;; amdgpu-corpus repo=ROCm/rocSOLVER kind=compiled arch=gfx1100 opt=O3
	.text
	.amdgcn_target "amdgcn-amd-amdhsa--gfx1100"
	.amdhsa_code_object_version 6
	.section	.text._ZN9rocsolver6v33100L18getri_kernel_smallILi1EdPdEEvT1_iilPiilS4_bb,"axG",@progbits,_ZN9rocsolver6v33100L18getri_kernel_smallILi1EdPdEEvT1_iilPiilS4_bb,comdat
	.globl	_ZN9rocsolver6v33100L18getri_kernel_smallILi1EdPdEEvT1_iilPiilS4_bb ; -- Begin function _ZN9rocsolver6v33100L18getri_kernel_smallILi1EdPdEEvT1_iilPiilS4_bb
	.p2align	8
	.type	_ZN9rocsolver6v33100L18getri_kernel_smallILi1EdPdEEvT1_iilPiilS4_bb,@function
_ZN9rocsolver6v33100L18getri_kernel_smallILi1EdPdEEvT1_iilPiilS4_bb: ; @_ZN9rocsolver6v33100L18getri_kernel_smallILi1EdPdEEvT1_iilPiilS4_bb
; %bb.0:
	s_mov_b32 s10, 0
	s_mov_b32 s2, exec_lo
	v_cmpx_eq_u32_e32 0, v0
	s_cbranch_execz .LBB0_12
; %bb.1:
	s_clause 0x4
	s_load_b32 s2, s[0:1], 0x8
	s_load_b64 s[8:9], s[0:1], 0x10
	s_load_b32 s5, s[0:1], 0x38
	s_load_b64 s[12:13], s[0:1], 0x0
	s_load_b64 s[6:7], s[0:1], 0x30
	s_mov_b32 s4, s15
	s_waitcnt lgkmcnt(0)
	s_ashr_i32 s3, s2, 31
	s_mul_i32 s0, s15, s9
	s_bitcmp1_b32 s5, 0
	s_mul_hi_u32 s1, s15, s8
	s_cselect_b32 s11, -1, 0
	s_ashr_i32 s5, s15, 31
	s_add_i32 s1, s1, s0
	s_mul_i32 s9, s5, s8
	s_mul_i32 s0, s15, s8
	s_add_i32 s1, s1, s9
	s_delay_alu instid0(SALU_CYCLE_1) | instskip(NEXT) | instid1(SALU_CYCLE_1)
	s_lshl_b64 s[0:1], s[0:1], 3
	s_add_u32 s8, s12, s0
	s_addc_u32 s9, s13, s1
	s_lshl_b64 s[0:1], s[2:3], 3
	s_delay_alu instid0(SALU_CYCLE_1)
	s_add_u32 s2, s8, s0
	s_addc_u32 s3, s9, s1
	s_and_b32 vcc_lo, exec_lo, s11
	s_load_b64 s[8:9], s[2:3], 0x0
	s_cbranch_vccnz .LBB0_4
; %bb.2:
	s_lshl_b64 s[0:1], s[4:5], 2
	s_mov_b32 s10, -1
	s_add_u32 s0, s6, s0
	s_addc_u32 s1, s7, s1
	s_load_b32 s0, s[0:1], 0x0
	s_waitcnt lgkmcnt(0)
	s_cmp_eq_u32 s0, 0
	s_cselect_b32 s0, -1, 0
	s_cbranch_execz .LBB0_5
; %bb.3:
	s_waitcnt lgkmcnt(0)
	v_dual_mov_b32 v0, s8 :: v_dual_mov_b32 v1, s9
	s_and_b32 vcc_lo, exec_lo, s10
	s_cbranch_vccz .LBB0_12
	s_branch .LBB0_14
.LBB0_4:
                                        ; implicit-def: $sgpr0
.LBB0_5:
	s_waitcnt lgkmcnt(0)
	v_cmp_neq_f64_e64 s0, s[8:9], 0
	v_mov_b32_e32 v0, 0
	ds_store_b32 v0, v0
	s_waitcnt lgkmcnt(0)
	s_barrier
	buffer_gl0_inv
	s_and_b32 vcc_lo, exec_lo, s0
	s_cbranch_vccnz .LBB0_10
; %bb.6:
	ds_load_b32 v1, v0
	s_mov_b32 s1, 0
	s_waitcnt lgkmcnt(0)
	v_cmp_ne_u32_e32 vcc_lo, 0, v1
	v_cmp_gt_i32_e64 s0, 2, v1
	s_delay_alu instid0(VALU_DEP_1) | instskip(NEXT) | instid1(SALU_CYCLE_1)
	s_and_b32 s0, vcc_lo, s0
	s_and_b32 vcc_lo, exec_lo, s0
	s_cbranch_vccnz .LBB0_10
; %bb.7:
	v_dual_mov_b32 v2, 1 :: v_dual_mov_b32 v3, 0
.LBB0_8:                                ; =>This Inner Loop Header: Depth=1
	ds_cmpstore_rtn_b32 v1, v3, v2, v1
	s_waitcnt lgkmcnt(0)
	v_cmp_ne_u32_e32 vcc_lo, 0, v1
	v_cmp_gt_i32_e64 s0, 2, v1
	s_delay_alu instid0(VALU_DEP_1) | instskip(NEXT) | instid1(SALU_CYCLE_1)
	s_and_b32 s0, vcc_lo, s0
	s_and_b32 s0, exec_lo, s0
	s_delay_alu instid0(SALU_CYCLE_1) | instskip(NEXT) | instid1(SALU_CYCLE_1)
	s_or_b32 s1, s0, s1
	s_and_not1_b32 exec_lo, exec_lo, s1
	s_cbranch_execnz .LBB0_8
; %bb.9:
	s_or_b32 exec_lo, exec_lo, s1
.LBB0_10:
	s_barrier
	buffer_gl0_inv
	ds_load_b32 v1, v0
	s_lshl_b64 s[0:1], s[4:5], 2
	s_delay_alu instid0(SALU_CYCLE_1)
	s_add_u32 s0, s6, s0
	s_addc_u32 s1, s7, s1
	s_waitcnt lgkmcnt(0)
	v_cmp_ne_u32_e32 vcc_lo, 0, v1
	global_store_b32 v0, v1, s[0:1]
	s_cbranch_vccz .LBB0_13
; %bb.11:
                                        ; implicit-def: $vgpr0_vgpr1
                                        ; implicit-def: $sgpr0
	s_and_b32 vcc_lo, exec_lo, s10
	s_cbranch_vccnz .LBB0_14
.LBB0_12:
	s_nop 0
	s_sendmsg sendmsg(MSG_DEALLOC_VGPRS)
	s_endpgm
.LBB0_13:
	v_div_scale_f64 v[0:1], null, s[8:9], s[8:9], 1.0
	s_mov_b32 s0, -1
	s_delay_alu instid0(VALU_DEP_1) | instskip(SKIP_2) | instid1(VALU_DEP_1)
	v_rcp_f64_e32 v[2:3], v[0:1]
	s_waitcnt_depctr 0xfff
	v_fma_f64 v[4:5], -v[0:1], v[2:3], 1.0
	v_fma_f64 v[2:3], v[2:3], v[4:5], v[2:3]
	s_delay_alu instid0(VALU_DEP_1) | instskip(NEXT) | instid1(VALU_DEP_1)
	v_fma_f64 v[4:5], -v[0:1], v[2:3], 1.0
	v_fma_f64 v[2:3], v[2:3], v[4:5], v[2:3]
	v_div_scale_f64 v[4:5], vcc_lo, 1.0, s[8:9], 1.0
	s_delay_alu instid0(VALU_DEP_1) | instskip(NEXT) | instid1(VALU_DEP_1)
	v_mul_f64 v[6:7], v[4:5], v[2:3]
	v_fma_f64 v[0:1], -v[0:1], v[6:7], v[4:5]
	s_delay_alu instid0(VALU_DEP_1) | instskip(NEXT) | instid1(VALU_DEP_1)
	v_div_fmas_f64 v[0:1], v[0:1], v[2:3], v[6:7]
	v_div_fixup_f64 v[0:1], v[0:1], s[8:9], 1.0
	s_cbranch_execz .LBB0_12
.LBB0_14:
	s_and_not1_b32 vcc_lo, exec_lo, s0
	s_cbranch_vccnz .LBB0_12
; %bb.15:
	v_mov_b32_e32 v2, 0
	global_store_b64 v2, v[0:1], s[2:3]
	s_nop 0
	s_sendmsg sendmsg(MSG_DEALLOC_VGPRS)
	s_endpgm
	.section	.rodata,"a",@progbits
	.p2align	6, 0x0
	.amdhsa_kernel _ZN9rocsolver6v33100L18getri_kernel_smallILi1EdPdEEvT1_iilPiilS4_bb
		.amdhsa_group_segment_fixed_size 4
		.amdhsa_private_segment_fixed_size 0
		.amdhsa_kernarg_size 60
		.amdhsa_user_sgpr_count 15
		.amdhsa_user_sgpr_dispatch_ptr 0
		.amdhsa_user_sgpr_queue_ptr 0
		.amdhsa_user_sgpr_kernarg_segment_ptr 1
		.amdhsa_user_sgpr_dispatch_id 0
		.amdhsa_user_sgpr_private_segment_size 0
		.amdhsa_wavefront_size32 1
		.amdhsa_uses_dynamic_stack 0
		.amdhsa_enable_private_segment 0
		.amdhsa_system_sgpr_workgroup_id_x 1
		.amdhsa_system_sgpr_workgroup_id_y 0
		.amdhsa_system_sgpr_workgroup_id_z 0
		.amdhsa_system_sgpr_workgroup_info 0
		.amdhsa_system_vgpr_workitem_id 0
		.amdhsa_next_free_vgpr 8
		.amdhsa_next_free_sgpr 16
		.amdhsa_reserve_vcc 1
		.amdhsa_float_round_mode_32 0
		.amdhsa_float_round_mode_16_64 0
		.amdhsa_float_denorm_mode_32 3
		.amdhsa_float_denorm_mode_16_64 3
		.amdhsa_dx10_clamp 1
		.amdhsa_ieee_mode 1
		.amdhsa_fp16_overflow 0
		.amdhsa_workgroup_processor_mode 1
		.amdhsa_memory_ordered 1
		.amdhsa_forward_progress 0
		.amdhsa_shared_vgpr_count 0
		.amdhsa_exception_fp_ieee_invalid_op 0
		.amdhsa_exception_fp_denorm_src 0
		.amdhsa_exception_fp_ieee_div_zero 0
		.amdhsa_exception_fp_ieee_overflow 0
		.amdhsa_exception_fp_ieee_underflow 0
		.amdhsa_exception_fp_ieee_inexact 0
		.amdhsa_exception_int_div_zero 0
	.end_amdhsa_kernel
	.section	.text._ZN9rocsolver6v33100L18getri_kernel_smallILi1EdPdEEvT1_iilPiilS4_bb,"axG",@progbits,_ZN9rocsolver6v33100L18getri_kernel_smallILi1EdPdEEvT1_iilPiilS4_bb,comdat
.Lfunc_end0:
	.size	_ZN9rocsolver6v33100L18getri_kernel_smallILi1EdPdEEvT1_iilPiilS4_bb, .Lfunc_end0-_ZN9rocsolver6v33100L18getri_kernel_smallILi1EdPdEEvT1_iilPiilS4_bb
                                        ; -- End function
	.section	.AMDGPU.csdata,"",@progbits
; Kernel info:
; codeLenInByte = 596
; NumSgprs: 18
; NumVgprs: 8
; ScratchSize: 0
; MemoryBound: 0
; FloatMode: 240
; IeeeMode: 1
; LDSByteSize: 4 bytes/workgroup (compile time only)
; SGPRBlocks: 2
; VGPRBlocks: 0
; NumSGPRsForWavesPerEU: 18
; NumVGPRsForWavesPerEU: 8
; Occupancy: 16
; WaveLimiterHint : 0
; COMPUTE_PGM_RSRC2:SCRATCH_EN: 0
; COMPUTE_PGM_RSRC2:USER_SGPR: 15
; COMPUTE_PGM_RSRC2:TRAP_HANDLER: 0
; COMPUTE_PGM_RSRC2:TGID_X_EN: 1
; COMPUTE_PGM_RSRC2:TGID_Y_EN: 0
; COMPUTE_PGM_RSRC2:TGID_Z_EN: 0
; COMPUTE_PGM_RSRC2:TIDIG_COMP_CNT: 0
	.section	.text._ZN9rocsolver6v33100L18getri_kernel_smallILi2EdPdEEvT1_iilPiilS4_bb,"axG",@progbits,_ZN9rocsolver6v33100L18getri_kernel_smallILi2EdPdEEvT1_iilPiilS4_bb,comdat
	.globl	_ZN9rocsolver6v33100L18getri_kernel_smallILi2EdPdEEvT1_iilPiilS4_bb ; -- Begin function _ZN9rocsolver6v33100L18getri_kernel_smallILi2EdPdEEvT1_iilPiilS4_bb
	.p2align	8
	.type	_ZN9rocsolver6v33100L18getri_kernel_smallILi2EdPdEEvT1_iilPiilS4_bb,@function
_ZN9rocsolver6v33100L18getri_kernel_smallILi2EdPdEEvT1_iilPiilS4_bb: ; @_ZN9rocsolver6v33100L18getri_kernel_smallILi2EdPdEEvT1_iilPiilS4_bb
; %bb.0:
	s_mov_b32 s2, exec_lo
	v_cmpx_gt_u32_e32 2, v0
	s_cbranch_execz .LBB1_16
; %bb.1:
	s_mov_b32 s12, s15
	s_clause 0x2
	s_load_b32 s15, s[0:1], 0x38
	s_load_b128 s[8:11], s[0:1], 0x10
	s_load_b128 s[4:7], s[0:1], 0x28
	s_waitcnt lgkmcnt(0)
	s_bitcmp1_b32 s15, 8
	s_cselect_b32 s14, -1, 0
	s_bfe_u32 s2, s15, 0x10008
	s_ashr_i32 s13, s12, 31
	s_cmp_eq_u32 s2, 0
                                        ; implicit-def: $sgpr2_sgpr3
	s_cbranch_scc1 .LBB1_3
; %bb.2:
	s_load_b32 s2, s[0:1], 0x20
	s_mul_i32 s3, s12, s5
	s_mul_hi_u32 s5, s12, s4
	s_mul_i32 s16, s13, s4
	s_add_i32 s3, s5, s3
	s_mul_i32 s4, s12, s4
	s_add_i32 s5, s3, s16
	s_delay_alu instid0(SALU_CYCLE_1)
	s_lshl_b64 s[4:5], s[4:5], 2
	s_waitcnt lgkmcnt(0)
	s_ashr_i32 s3, s2, 31
	s_add_u32 s4, s10, s4
	s_addc_u32 s5, s11, s5
	s_lshl_b64 s[2:3], s[2:3], 2
	s_delay_alu instid0(SALU_CYCLE_1)
	s_add_u32 s2, s4, s2
	s_addc_u32 s3, s5, s3
.LBB1_3:
	s_load_b128 s[16:19], s[0:1], 0x0
	s_mul_i32 s0, s12, s9
	s_mul_hi_u32 s1, s12, s8
	s_mul_i32 s4, s13, s8
	s_add_i32 s1, s1, s0
	s_mul_i32 s0, s12, s8
	s_add_i32 s1, s1, s4
	v_lshlrev_b32_e32 v11, 3, v0
	s_lshl_b64 s[0:1], s[0:1], 3
	s_waitcnt lgkmcnt(0)
	s_ashr_i32 s5, s18, 31
	s_mov_b32 s4, s18
	s_add_u32 s8, s16, s0
	s_addc_u32 s9, s17, s1
	s_lshl_b64 s[0:1], s[4:5], 3
	s_mov_b32 s4, s19
	s_add_u32 s0, s8, s0
	s_addc_u32 s1, s9, s1
	v_add_co_u32 v7, s8, s0, v11
	s_ashr_i32 s5, s19, 31
	v_add_co_ci_u32_e64 v8, null, s1, 0, s8
	s_lshl_b64 s[4:5], s[4:5], 3
	s_bitcmp0_b32 s15, 0
	v_add_co_u32 v5, vcc_lo, v7, s4
	s_delay_alu instid0(VALU_DEP_2)
	v_add_co_ci_u32_e32 v6, vcc_lo, s5, v8, vcc_lo
	s_clause 0x1
	global_load_b64 v[1:2], v11, s[0:1]
	global_load_b64 v[3:4], v[5:6], off
	s_mov_b32 s0, -1
	s_cbranch_scc1 .LBB1_14
; %bb.4:
	v_cmp_eq_u32_e64 s0, 0, v0
	s_delay_alu instid0(VALU_DEP_1)
	s_and_saveexec_b32 s1, s0
	s_cbranch_execz .LBB1_6
; %bb.5:
	v_mov_b32_e32 v9, 0
	ds_store_b32 v9, v9 offset:32
.LBB1_6:
	s_or_b32 exec_lo, exec_lo, s1
	v_cmp_eq_u32_e32 vcc_lo, 1, v0
	s_mov_b32 s4, exec_lo
	s_waitcnt vmcnt(0) lgkmcnt(0)
	s_barrier
	buffer_gl0_inv
	v_dual_cndmask_b32 v10, v2, v4 :: v_dual_cndmask_b32 v9, v1, v3
	s_delay_alu instid0(VALU_DEP_1)
	v_cmpx_eq_f64_e32 0, v[9:10]
	s_cbranch_execz .LBB1_10
; %bb.7:
	v_mov_b32_e32 v12, 0
	s_mov_b32 s5, 0
	ds_load_b32 v13, v12 offset:32
	s_waitcnt lgkmcnt(0)
	v_readfirstlane_b32 s1, v13
	v_add_nc_u32_e32 v13, 1, v0
	s_delay_alu instid0(VALU_DEP_2) | instskip(NEXT) | instid1(VALU_DEP_1)
	s_cmp_eq_u32 s1, 0
	v_cmp_gt_i32_e32 vcc_lo, s1, v13
	s_cselect_b32 s8, -1, 0
	s_delay_alu instid0(SALU_CYCLE_1) | instskip(NEXT) | instid1(SALU_CYCLE_1)
	s_or_b32 s8, s8, vcc_lo
	s_and_b32 exec_lo, exec_lo, s8
	s_cbranch_execz .LBB1_10
; %bb.8:
	v_mov_b32_e32 v14, s1
.LBB1_9:                                ; =>This Inner Loop Header: Depth=1
	ds_cmpstore_rtn_b32 v14, v12, v13, v14 offset:32
	s_waitcnt lgkmcnt(0)
	v_cmp_ne_u32_e32 vcc_lo, 0, v14
	v_cmp_le_i32_e64 s1, v14, v13
	s_delay_alu instid0(VALU_DEP_1) | instskip(NEXT) | instid1(SALU_CYCLE_1)
	s_and_b32 s1, vcc_lo, s1
	s_and_b32 s1, exec_lo, s1
	s_delay_alu instid0(SALU_CYCLE_1) | instskip(NEXT) | instid1(SALU_CYCLE_1)
	s_or_b32 s5, s1, s5
	s_and_not1_b32 exec_lo, exec_lo, s5
	s_cbranch_execnz .LBB1_9
.LBB1_10:
	s_or_b32 exec_lo, exec_lo, s4
	v_mov_b32_e32 v12, 0
	s_barrier
	buffer_gl0_inv
	ds_load_b32 v13, v12 offset:32
	s_and_saveexec_b32 s1, s0
	s_cbranch_execz .LBB1_12
; %bb.11:
	s_lshl_b64 s[4:5], s[12:13], 2
	s_delay_alu instid0(SALU_CYCLE_1)
	s_add_u32 s4, s6, s4
	s_addc_u32 s5, s7, s5
	s_waitcnt lgkmcnt(0)
	global_store_b32 v12, v13, s[4:5]
.LBB1_12:
	s_or_b32 exec_lo, exec_lo, s1
	s_waitcnt lgkmcnt(0)
	v_cmp_ne_u32_e32 vcc_lo, 0, v13
	s_cbranch_vccz .LBB1_17
; %bb.13:
	s_mov_b32 s0, 0
                                        ; implicit-def: $vgpr1_vgpr2_vgpr3_vgpr4
.LBB1_14:
	s_delay_alu instid0(SALU_CYCLE_1)
	s_and_b32 vcc_lo, exec_lo, s0
	s_cbranch_vccz .LBB1_16
.LBB1_15:
	s_lshl_b64 s[0:1], s[12:13], 2
	v_mov_b32_e32 v9, 0
	s_add_u32 s0, s6, s0
	s_addc_u32 s1, s7, s1
	global_load_b32 v9, v9, s[0:1]
	s_waitcnt vmcnt(0)
	v_cmp_ne_u32_e32 vcc_lo, 0, v9
	s_cbranch_vccz .LBB1_20
.LBB1_16:
	s_nop 0
	s_sendmsg sendmsg(MSG_DEALLOC_VGPRS)
	s_endpgm
.LBB1_17:
	v_div_scale_f64 v[12:13], null, v[9:10], v[9:10], 1.0
	v_div_scale_f64 v[18:19], vcc_lo, 1.0, v[9:10], 1.0
	s_delay_alu instid0(VALU_DEP_2) | instskip(SKIP_2) | instid1(VALU_DEP_1)
	v_rcp_f64_e32 v[14:15], v[12:13]
	s_waitcnt_depctr 0xfff
	v_fma_f64 v[16:17], -v[12:13], v[14:15], 1.0
	v_fma_f64 v[14:15], v[14:15], v[16:17], v[14:15]
	s_delay_alu instid0(VALU_DEP_1) | instskip(NEXT) | instid1(VALU_DEP_1)
	v_fma_f64 v[16:17], -v[12:13], v[14:15], 1.0
	v_fma_f64 v[14:15], v[14:15], v[16:17], v[14:15]
	s_delay_alu instid0(VALU_DEP_1) | instskip(NEXT) | instid1(VALU_DEP_1)
	v_mul_f64 v[16:17], v[18:19], v[14:15]
	v_fma_f64 v[12:13], -v[12:13], v[16:17], v[18:19]
	s_delay_alu instid0(VALU_DEP_1) | instskip(SKIP_1) | instid1(VALU_DEP_2)
	v_div_fmas_f64 v[12:13], v[12:13], v[14:15], v[16:17]
	v_cmp_eq_u32_e32 vcc_lo, 1, v0
	v_div_fixup_f64 v[9:10], v[12:13], v[9:10], 1.0
	s_delay_alu instid0(VALU_DEP_1)
	v_dual_cndmask_b32 v4, v4, v10 :: v_dual_cndmask_b32 v3, v3, v9
	v_cmp_eq_u32_e32 vcc_lo, 0, v0
	v_dual_cndmask_b32 v2, v2, v10 :: v_dual_cndmask_b32 v1, v1, v9
	v_xor_b32_e32 v10, 0x80000000, v10
	ds_store_2addr_b64 v11, v[9:10], v[3:4] offset1:2
	s_waitcnt lgkmcnt(0)
	s_waitcnt_vscnt null, 0x0
	s_barrier
	buffer_gl0_inv
	s_and_saveexec_b32 s1, s0
	s_cbranch_execz .LBB1_19
; %bb.18:
	v_mov_b32_e32 v3, 0
	ds_load_2addr_b64 v[9:12], v3 offset0:1 offset1:2
	s_waitcnt lgkmcnt(0)
	v_fma_f64 v[3:4], v[1:2], v[11:12], 0
	s_delay_alu instid0(VALU_DEP_1)
	v_mul_f64 v[3:4], v[3:4], v[9:10]
.LBB1_19:
	s_or_b32 exec_lo, exec_lo, s1
	s_barrier
	buffer_gl0_inv
	s_cbranch_execnz .LBB1_15
	s_branch .LBB1_16
.LBB1_20:
	s_mov_b32 s0, exec_lo
	v_cmpx_eq_u32_e32 1, v0
	s_cbranch_execz .LBB1_22
; %bb.21:
	s_mov_b32 s1, 0
	v_dual_mov_b32 v12, v4 :: v_dual_mov_b32 v11, v3
	v_dual_mov_b32 v10, v2 :: v_dual_mov_b32 v9, v1
	;; [unrolled: 1-line block ×3, first 2 shown]
	v_mov_b32_e32 v10, s1
	ds_store_b64 v0, v[1:2] offset:24
	v_dual_mov_b32 v1, v9 :: v_dual_mov_b32 v2, v10
	v_dual_mov_b32 v3, v11 :: v_dual_mov_b32 v4, v12
.LBB1_22:
	s_or_b32 exec_lo, exec_lo, s0
	v_mov_b32_e32 v0, 0
	s_waitcnt lgkmcnt(0)
	s_waitcnt_vscnt null, 0x0
	s_barrier
	buffer_gl0_inv
	s_and_not1_b32 vcc_lo, exec_lo, s14
	ds_load_b64 v[9:10], v0 offset:24
	s_waitcnt lgkmcnt(0)
	v_fma_f64 v[9:10], v[3:4], v[9:10], 0
	s_delay_alu instid0(VALU_DEP_1)
	v_add_f64 v[1:2], v[1:2], -v[9:10]
	s_cbranch_vccnz .LBB1_24
; %bb.23:
	v_dual_mov_b32 v10, s3 :: v_dual_mov_b32 v9, s2
	flat_load_b32 v0, v[9:10]
	s_waitcnt vmcnt(0) lgkmcnt(0)
	v_add_nc_u32_e32 v0, -1, v0
	s_delay_alu instid0(VALU_DEP_1) | instskip(SKIP_4) | instid1(VALU_DEP_2)
	v_cmp_eq_u32_e32 vcc_lo, 1, v0
	v_cndmask_b32_e32 v11, v4, v2, vcc_lo
	v_dual_cndmask_b32 v9, v2, v4 :: v_dual_cndmask_b32 v10, v1, v3
	v_cmp_eq_u32_e64 s0, 0, v0
	v_cndmask_b32_e32 v0, v3, v1, vcc_lo
	v_cndmask_b32_e64 v10, v10, v1, s0
	s_delay_alu instid0(VALU_DEP_4) | instskip(SKIP_1) | instid1(VALU_DEP_4)
	v_cndmask_b32_e64 v9, v9, v2, s0
	v_cndmask_b32_e64 v4, v11, v4, s0
	;; [unrolled: 1-line block ×3, first 2 shown]
	s_delay_alu instid0(VALU_DEP_4) | instskip(NEXT) | instid1(VALU_DEP_4)
	v_cndmask_b32_e64 v1, v10, v1, s0
	v_cndmask_b32_e64 v2, v9, v2, s0
.LBB1_24:
	s_clause 0x1
	global_store_b64 v[7:8], v[1:2], off
	global_store_b64 v[5:6], v[3:4], off
	s_nop 0
	s_sendmsg sendmsg(MSG_DEALLOC_VGPRS)
	s_endpgm
	.section	.rodata,"a",@progbits
	.p2align	6, 0x0
	.amdhsa_kernel _ZN9rocsolver6v33100L18getri_kernel_smallILi2EdPdEEvT1_iilPiilS4_bb
		.amdhsa_group_segment_fixed_size 40
		.amdhsa_private_segment_fixed_size 0
		.amdhsa_kernarg_size 60
		.amdhsa_user_sgpr_count 15
		.amdhsa_user_sgpr_dispatch_ptr 0
		.amdhsa_user_sgpr_queue_ptr 0
		.amdhsa_user_sgpr_kernarg_segment_ptr 1
		.amdhsa_user_sgpr_dispatch_id 0
		.amdhsa_user_sgpr_private_segment_size 0
		.amdhsa_wavefront_size32 1
		.amdhsa_uses_dynamic_stack 0
		.amdhsa_enable_private_segment 0
		.amdhsa_system_sgpr_workgroup_id_x 1
		.amdhsa_system_sgpr_workgroup_id_y 0
		.amdhsa_system_sgpr_workgroup_id_z 0
		.amdhsa_system_sgpr_workgroup_info 0
		.amdhsa_system_vgpr_workitem_id 0
		.amdhsa_next_free_vgpr 20
		.amdhsa_next_free_sgpr 20
		.amdhsa_reserve_vcc 1
		.amdhsa_float_round_mode_32 0
		.amdhsa_float_round_mode_16_64 0
		.amdhsa_float_denorm_mode_32 3
		.amdhsa_float_denorm_mode_16_64 3
		.amdhsa_dx10_clamp 1
		.amdhsa_ieee_mode 1
		.amdhsa_fp16_overflow 0
		.amdhsa_workgroup_processor_mode 1
		.amdhsa_memory_ordered 1
		.amdhsa_forward_progress 0
		.amdhsa_shared_vgpr_count 0
		.amdhsa_exception_fp_ieee_invalid_op 0
		.amdhsa_exception_fp_denorm_src 0
		.amdhsa_exception_fp_ieee_div_zero 0
		.amdhsa_exception_fp_ieee_overflow 0
		.amdhsa_exception_fp_ieee_underflow 0
		.amdhsa_exception_fp_ieee_inexact 0
		.amdhsa_exception_int_div_zero 0
	.end_amdhsa_kernel
	.section	.text._ZN9rocsolver6v33100L18getri_kernel_smallILi2EdPdEEvT1_iilPiilS4_bb,"axG",@progbits,_ZN9rocsolver6v33100L18getri_kernel_smallILi2EdPdEEvT1_iilPiilS4_bb,comdat
.Lfunc_end1:
	.size	_ZN9rocsolver6v33100L18getri_kernel_smallILi2EdPdEEvT1_iilPiilS4_bb, .Lfunc_end1-_ZN9rocsolver6v33100L18getri_kernel_smallILi2EdPdEEvT1_iilPiilS4_bb
                                        ; -- End function
	.section	.AMDGPU.csdata,"",@progbits
; Kernel info:
; codeLenInByte = 1152
; NumSgprs: 22
; NumVgprs: 20
; ScratchSize: 0
; MemoryBound: 0
; FloatMode: 240
; IeeeMode: 1
; LDSByteSize: 40 bytes/workgroup (compile time only)
; SGPRBlocks: 2
; VGPRBlocks: 2
; NumSGPRsForWavesPerEU: 22
; NumVGPRsForWavesPerEU: 20
; Occupancy: 16
; WaveLimiterHint : 0
; COMPUTE_PGM_RSRC2:SCRATCH_EN: 0
; COMPUTE_PGM_RSRC2:USER_SGPR: 15
; COMPUTE_PGM_RSRC2:TRAP_HANDLER: 0
; COMPUTE_PGM_RSRC2:TGID_X_EN: 1
; COMPUTE_PGM_RSRC2:TGID_Y_EN: 0
; COMPUTE_PGM_RSRC2:TGID_Z_EN: 0
; COMPUTE_PGM_RSRC2:TIDIG_COMP_CNT: 0
	.section	.text._ZN9rocsolver6v33100L18getri_kernel_smallILi3EdPdEEvT1_iilPiilS4_bb,"axG",@progbits,_ZN9rocsolver6v33100L18getri_kernel_smallILi3EdPdEEvT1_iilPiilS4_bb,comdat
	.globl	_ZN9rocsolver6v33100L18getri_kernel_smallILi3EdPdEEvT1_iilPiilS4_bb ; -- Begin function _ZN9rocsolver6v33100L18getri_kernel_smallILi3EdPdEEvT1_iilPiilS4_bb
	.p2align	8
	.type	_ZN9rocsolver6v33100L18getri_kernel_smallILi3EdPdEEvT1_iilPiilS4_bb,@function
_ZN9rocsolver6v33100L18getri_kernel_smallILi3EdPdEEvT1_iilPiilS4_bb: ; @_ZN9rocsolver6v33100L18getri_kernel_smallILi3EdPdEEvT1_iilPiilS4_bb
; %bb.0:
	s_mov_b32 s2, exec_lo
	v_cmpx_gt_u32_e32 3, v0
	s_cbranch_execz .LBB2_16
; %bb.1:
	s_clause 0x2
	s_load_b32 s17, s[0:1], 0x38
	s_load_b128 s[8:11], s[0:1], 0x10
	s_load_b128 s[4:7], s[0:1], 0x28
	s_mov_b32 s14, s15
                                        ; implicit-def: $sgpr12_sgpr13
	s_waitcnt lgkmcnt(0)
	s_bitcmp1_b32 s17, 8
	s_cselect_b32 s16, -1, 0
	s_bfe_u32 s2, s17, 0x10008
	s_ashr_i32 s15, s15, 31
	s_cmp_eq_u32 s2, 0
	s_cbranch_scc1 .LBB2_3
; %bb.2:
	s_load_b32 s2, s[0:1], 0x20
	s_mul_i32 s3, s14, s5
	s_mul_hi_u32 s5, s14, s4
	s_mul_i32 s12, s15, s4
	s_add_i32 s3, s5, s3
	s_mul_i32 s4, s14, s4
	s_add_i32 s5, s3, s12
	s_delay_alu instid0(SALU_CYCLE_1)
	s_lshl_b64 s[4:5], s[4:5], 2
	s_waitcnt lgkmcnt(0)
	s_ashr_i32 s3, s2, 31
	s_add_u32 s4, s10, s4
	s_addc_u32 s5, s11, s5
	s_lshl_b64 s[2:3], s[2:3], 2
	s_delay_alu instid0(SALU_CYCLE_1)
	s_add_u32 s12, s4, s2
	s_addc_u32 s13, s5, s3
.LBB2_3:
	s_load_b128 s[0:3], s[0:1], 0x0
	s_mul_i32 s4, s14, s9
	s_mul_hi_u32 s5, s14, s8
	s_mul_i32 s9, s15, s8
	s_add_i32 s5, s5, s4
	s_mul_i32 s4, s14, s8
	s_add_i32 s5, s5, s9
	v_lshlrev_b32_e32 v15, 3, v0
	s_lshl_b64 s[4:5], s[4:5], 3
	s_waitcnt lgkmcnt(0)
	v_add3_u32 v1, s3, s3, v0
	s_ashr_i32 s9, s2, 31
	s_mov_b32 s8, s2
	s_add_u32 s4, s0, s4
	s_addc_u32 s5, s1, s5
	s_lshl_b64 s[0:1], s[8:9], 3
	v_ashrrev_i32_e32 v2, 31, v1
	s_add_u32 s0, s4, s0
	s_addc_u32 s1, s5, s1
	v_add_co_u32 v9, s4, s0, v15
	s_mov_b32 s2, s3
	s_ashr_i32 s3, s3, 31
	v_add_co_ci_u32_e64 v10, null, s1, 0, s4
	v_lshlrev_b64 v[1:2], 3, v[1:2]
	s_lshl_b64 s[2:3], s[2:3], 3
	s_bitcmp0_b32 s17, 0
	v_add_co_u32 v11, vcc_lo, v9, s2
	v_add_co_ci_u32_e32 v12, vcc_lo, s3, v10, vcc_lo
	s_delay_alu instid0(VALU_DEP_3)
	v_add_co_u32 v7, vcc_lo, s0, v1
	v_add_co_ci_u32_e32 v8, vcc_lo, s1, v2, vcc_lo
	s_clause 0x2
	global_load_b64 v[3:4], v[11:12], off
	global_load_b64 v[1:2], v15, s[0:1]
	global_load_b64 v[5:6], v[7:8], off
	s_mov_b32 s0, -1
	s_cbranch_scc1 .LBB2_14
; %bb.4:
	v_cmp_eq_u32_e64 s0, 0, v0
	s_delay_alu instid0(VALU_DEP_1)
	s_and_saveexec_b32 s1, s0
	s_cbranch_execz .LBB2_6
; %bb.5:
	v_mov_b32_e32 v13, 0
	ds_store_b32 v13, v13 offset:24
.LBB2_6:
	s_or_b32 exec_lo, exec_lo, s1
	v_cmp_eq_u32_e32 vcc_lo, 1, v0
	s_mov_b32 s2, exec_lo
	s_waitcnt vmcnt(0) lgkmcnt(0)
	s_barrier
	buffer_gl0_inv
	v_dual_cndmask_b32 v13, v2, v4 :: v_dual_cndmask_b32 v16, v1, v3
	v_cmp_eq_u32_e32 vcc_lo, 2, v0
	s_delay_alu instid0(VALU_DEP_2) | instskip(NEXT) | instid1(VALU_DEP_1)
	v_dual_cndmask_b32 v14, v13, v6 :: v_dual_cndmask_b32 v13, v16, v5
	v_cmpx_eq_f64_e32 0, v[13:14]
	s_cbranch_execz .LBB2_10
; %bb.7:
	v_mov_b32_e32 v16, 0
	s_mov_b32 s3, 0
	ds_load_b32 v17, v16 offset:24
	s_waitcnt lgkmcnt(0)
	v_readfirstlane_b32 s1, v17
	v_add_nc_u32_e32 v17, 1, v0
	s_delay_alu instid0(VALU_DEP_2) | instskip(NEXT) | instid1(VALU_DEP_1)
	s_cmp_eq_u32 s1, 0
	v_cmp_gt_i32_e32 vcc_lo, s1, v17
	s_cselect_b32 s4, -1, 0
	s_delay_alu instid0(SALU_CYCLE_1) | instskip(NEXT) | instid1(SALU_CYCLE_1)
	s_or_b32 s4, s4, vcc_lo
	s_and_b32 exec_lo, exec_lo, s4
	s_cbranch_execz .LBB2_10
; %bb.8:
	v_mov_b32_e32 v18, s1
.LBB2_9:                                ; =>This Inner Loop Header: Depth=1
	ds_cmpstore_rtn_b32 v18, v16, v17, v18 offset:24
	s_waitcnt lgkmcnt(0)
	v_cmp_ne_u32_e32 vcc_lo, 0, v18
	v_cmp_le_i32_e64 s1, v18, v17
	s_delay_alu instid0(VALU_DEP_1) | instskip(NEXT) | instid1(SALU_CYCLE_1)
	s_and_b32 s1, vcc_lo, s1
	s_and_b32 s1, exec_lo, s1
	s_delay_alu instid0(SALU_CYCLE_1) | instskip(NEXT) | instid1(SALU_CYCLE_1)
	s_or_b32 s3, s1, s3
	s_and_not1_b32 exec_lo, exec_lo, s3
	s_cbranch_execnz .LBB2_9
.LBB2_10:
	s_or_b32 exec_lo, exec_lo, s2
	v_mov_b32_e32 v16, 0
	s_barrier
	buffer_gl0_inv
	ds_load_b32 v17, v16 offset:24
	s_and_saveexec_b32 s1, s0
	s_cbranch_execz .LBB2_12
; %bb.11:
	s_lshl_b64 s[2:3], s[14:15], 2
	s_delay_alu instid0(SALU_CYCLE_1)
	s_add_u32 s2, s6, s2
	s_addc_u32 s3, s7, s3
	s_waitcnt lgkmcnt(0)
	global_store_b32 v16, v17, s[2:3]
.LBB2_12:
	s_or_b32 exec_lo, exec_lo, s1
	s_waitcnt lgkmcnt(0)
	v_cmp_ne_u32_e32 vcc_lo, 0, v17
	s_cbranch_vccz .LBB2_17
; %bb.13:
	s_mov_b32 s0, 0
                                        ; implicit-def: $vgpr1_vgpr2_vgpr3_vgpr4_vgpr5_vgpr6
.LBB2_14:
	s_delay_alu instid0(SALU_CYCLE_1)
	s_and_b32 vcc_lo, exec_lo, s0
	s_cbranch_vccz .LBB2_16
.LBB2_15:
	s_lshl_b64 s[0:1], s[14:15], 2
	v_mov_b32_e32 v13, 0
	s_add_u32 s0, s6, s0
	s_addc_u32 s1, s7, s1
	global_load_b32 v13, v13, s[0:1]
	s_waitcnt vmcnt(0)
	v_cmp_ne_u32_e32 vcc_lo, 0, v13
	s_cbranch_vccz .LBB2_24
.LBB2_16:
	s_nop 0
	s_sendmsg sendmsg(MSG_DEALLOC_VGPRS)
	s_endpgm
.LBB2_17:
	v_div_scale_f64 v[16:17], null, v[13:14], v[13:14], 1.0
	v_div_scale_f64 v[22:23], vcc_lo, 1.0, v[13:14], 1.0
	v_cmp_eq_u32_e64 s1, 0, v0
	v_cmp_eq_u32_e64 s2, 2, v0
	s_delay_alu instid0(VALU_DEP_4) | instskip(SKIP_2) | instid1(VALU_DEP_1)
	v_rcp_f64_e32 v[18:19], v[16:17]
	s_waitcnt_depctr 0xfff
	v_fma_f64 v[20:21], -v[16:17], v[18:19], 1.0
	v_fma_f64 v[18:19], v[18:19], v[20:21], v[18:19]
	s_delay_alu instid0(VALU_DEP_1) | instskip(NEXT) | instid1(VALU_DEP_1)
	v_fma_f64 v[20:21], -v[16:17], v[18:19], 1.0
	v_fma_f64 v[18:19], v[18:19], v[20:21], v[18:19]
	s_delay_alu instid0(VALU_DEP_1) | instskip(NEXT) | instid1(VALU_DEP_1)
	v_mul_f64 v[20:21], v[22:23], v[18:19]
	v_fma_f64 v[16:17], -v[16:17], v[20:21], v[22:23]
	s_delay_alu instid0(VALU_DEP_1) | instskip(SKIP_1) | instid1(VALU_DEP_2)
	v_div_fmas_f64 v[16:17], v[16:17], v[18:19], v[20:21]
	v_cmp_eq_u32_e32 vcc_lo, 1, v0
	v_div_fixup_f64 v[13:14], v[16:17], v[13:14], 1.0
	s_delay_alu instid0(VALU_DEP_1) | instskip(NEXT) | instid1(VALU_DEP_2)
	v_dual_cndmask_b32 v3, v3, v13 :: v_dual_add_nc_u32 v16, 32, v15
	v_dual_cndmask_b32 v4, v4, v14 :: v_dual_mov_b32 v17, v13
	v_xor_b32_e32 v18, 0x80000000, v14
	v_cndmask_b32_e64 v6, v6, v14, s2
	v_cndmask_b32_e64 v5, v5, v13, s2
	;; [unrolled: 1-line block ×4, first 2 shown]
	ds_store_2addr_b64 v15, v[17:18], v[3:4] offset1:4
	s_waitcnt lgkmcnt(0)
	s_waitcnt_vscnt null, 0x0
	s_barrier
	buffer_gl0_inv
	s_and_saveexec_b32 s1, s0
	s_cbranch_execz .LBB2_19
; %bb.18:
	ds_load_b64 v[3:4], v16
	v_mov_b32_e32 v15, 0
	ds_load_b64 v[17:18], v15 offset:8
	s_waitcnt lgkmcnt(1)
	v_fma_f64 v[3:4], v[13:14], v[3:4], 0
	s_waitcnt lgkmcnt(0)
	s_delay_alu instid0(VALU_DEP_1)
	v_mul_f64 v[3:4], v[3:4], v[17:18]
.LBB2_19:
	s_or_b32 exec_lo, exec_lo, s1
	s_delay_alu instid0(SALU_CYCLE_1)
	s_mov_b32 s1, exec_lo
	s_barrier
	buffer_gl0_inv
	ds_store_b64 v16, v[5:6]
	s_waitcnt lgkmcnt(0)
	s_barrier
	buffer_gl0_inv
	v_cmpx_ne_u32_e32 2, v0
	s_cbranch_execz .LBB2_23
; %bb.20:
	ds_load_b64 v[13:14], v16
	v_cmp_eq_u32_e32 vcc_lo, 1, v0
	v_dual_cndmask_b32 v15, v2, v4 :: v_dual_cndmask_b32 v16, v1, v3
	v_cmp_eq_u32_e32 vcc_lo, 2, v0
	s_delay_alu instid0(VALU_DEP_2) | instskip(SKIP_1) | instid1(VALU_DEP_1)
	v_dual_cndmask_b32 v6, v15, v6 :: v_dual_cndmask_b32 v5, v16, v5
	s_waitcnt lgkmcnt(0)
	v_fma_f64 v[5:6], v[5:6], v[13:14], 0
	s_and_saveexec_b32 s2, s0
	s_cbranch_execz .LBB2_22
; %bb.21:
	v_mov_b32_e32 v13, 0
	ds_load_b64 v[13:14], v13 offset:40
	s_waitcnt lgkmcnt(0)
	v_fma_f64 v[5:6], v[3:4], v[13:14], v[5:6]
.LBB2_22:
	s_or_b32 exec_lo, exec_lo, s2
	v_mov_b32_e32 v13, 0
	ds_load_b64 v[13:14], v13 offset:16
	s_waitcnt lgkmcnt(0)
	v_mul_f64 v[5:6], v[5:6], v[13:14]
.LBB2_23:
	s_or_b32 exec_lo, exec_lo, s1
	s_barrier
	buffer_gl0_inv
	s_cbranch_execnz .LBB2_15
	s_branch .LBB2_16
.LBB2_24:
	v_lshl_add_u32 v13, v0, 3, 32
	s_mov_b32 s0, exec_lo
	v_cmpx_eq_u32_e32 2, v0
	s_cbranch_execz .LBB2_26
; %bb.25:
	s_mov_b32 s1, 0
	v_dual_mov_b32 v19, v6 :: v_dual_mov_b32 v18, v5
	v_dual_mov_b32 v17, v4 :: v_dual_mov_b32 v16, v3
	;; [unrolled: 1-line block ×4, first 2 shown]
	ds_store_b64 v13, v[3:4]
	v_dual_mov_b32 v1, v14 :: v_dual_mov_b32 v2, v15
	v_dual_mov_b32 v3, v16 :: v_dual_mov_b32 v4, v17
	;; [unrolled: 1-line block ×3, first 2 shown]
.LBB2_26:
	s_or_b32 exec_lo, exec_lo, s0
	v_mov_b32_e32 v14, 0
	s_waitcnt lgkmcnt(0)
	s_waitcnt_vscnt null, 0x0
	s_barrier
	buffer_gl0_inv
	s_mov_b32 s1, 0
	ds_load_b64 v[15:16], v14 offset:48
	s_mov_b32 s0, exec_lo
	s_waitcnt lgkmcnt(0)
	v_fma_f64 v[15:16], v[5:6], v[15:16], 0
	s_delay_alu instid0(VALU_DEP_1)
	v_add_f64 v[3:4], v[3:4], -v[15:16]
	v_cmpx_ne_u32_e32 0, v0
	s_cbranch_execz .LBB2_28
; %bb.27:
	v_dual_mov_b32 v20, v6 :: v_dual_mov_b32 v19, v5
	v_dual_mov_b32 v16, v2 :: v_dual_mov_b32 v15, v1
	;; [unrolled: 1-line block ×4, first 2 shown]
	ds_store_b64 v13, v[1:2]
	v_dual_mov_b32 v1, v15 :: v_dual_mov_b32 v2, v16
	v_dual_mov_b32 v4, v18 :: v_dual_mov_b32 v3, v17
	;; [unrolled: 1-line block ×3, first 2 shown]
.LBB2_28:
	s_or_b32 exec_lo, exec_lo, s0
	s_waitcnt lgkmcnt(0)
	s_barrier
	buffer_gl0_inv
	ds_load_2addr_b64 v[13:16], v14 offset0:5 offset1:6
	s_and_b32 vcc_lo, exec_lo, s16
	s_waitcnt lgkmcnt(0)
	v_fma_f64 v[13:14], v[3:4], v[13:14], 0
	s_delay_alu instid0(VALU_DEP_1) | instskip(NEXT) | instid1(VALU_DEP_1)
	v_fma_f64 v[13:14], v[5:6], v[15:16], v[13:14]
	v_add_f64 v[1:2], v[1:2], -v[13:14]
	s_cbranch_vccz .LBB2_34
; %bb.29:
	v_dual_mov_b32 v14, s13 :: v_dual_mov_b32 v13, s12
	s_mov_b32 s2, exec_lo
	flat_load_b32 v0, v[13:14] offset:4
	s_waitcnt vmcnt(0) lgkmcnt(0)
	v_add_nc_u32_e32 v0, -1, v0
	s_delay_alu instid0(VALU_DEP_1)
	v_cmpx_ne_u32_e32 1, v0
	s_cbranch_execz .LBB2_31
; %bb.30:
	v_cmp_eq_u32_e32 vcc_lo, 1, v0
	v_cmp_eq_u32_e64 s0, 2, v0
	v_cmp_eq_u32_e64 s1, 0, v0
	v_dual_cndmask_b32 v13, v1, v3 :: v_dual_cndmask_b32 v14, v2, v4
	s_delay_alu instid0(VALU_DEP_3) | instskip(SKIP_1) | instid1(VALU_DEP_3)
	v_cndmask_b32_e64 v18, v6, v4, s0
	v_cndmask_b32_e64 v17, v5, v3, s0
	;; [unrolled: 1-line block ×3, first 2 shown]
	s_delay_alu instid0(VALU_DEP_4) | instskip(SKIP_1) | instid1(VALU_DEP_2)
	v_cndmask_b32_e64 v16, v14, v6, s0
	v_cndmask_b32_e64 v14, v2, v4, s1
	v_dual_cndmask_b32 v15, v13, v3 :: v_dual_cndmask_b32 v16, v16, v4
	v_cndmask_b32_e64 v13, v1, v3, s1
	s_delay_alu instid0(VALU_DEP_1) | instskip(NEXT) | instid1(VALU_DEP_3)
	v_dual_mov_b32 v1, v13 :: v_dual_mov_b32 v2, v14
	v_dual_mov_b32 v3, v15 :: v_dual_mov_b32 v4, v16
	;; [unrolled: 1-line block ×3, first 2 shown]
.LBB2_31:
	s_or_b32 exec_lo, exec_lo, s2
	v_dual_mov_b32 v14, s13 :: v_dual_mov_b32 v13, s12
	s_mov_b32 s2, exec_lo
	flat_load_b32 v0, v[13:14]
	s_waitcnt vmcnt(0) lgkmcnt(0)
	v_add_nc_u32_e32 v0, -1, v0
	s_delay_alu instid0(VALU_DEP_1)
	v_cmpx_ne_u32_e32 0, v0
	s_cbranch_execz .LBB2_33
; %bb.32:
	v_cmp_eq_u32_e32 vcc_lo, 1, v0
	v_cmp_eq_u32_e64 s0, 2, v0
	v_cmp_eq_u32_e64 s1, 0, v0
	v_dual_cndmask_b32 v13, v1, v3 :: v_dual_cndmask_b32 v14, v2, v4
	s_delay_alu instid0(VALU_DEP_3) | instskip(SKIP_2) | instid1(VALU_DEP_4)
	v_cndmask_b32_e64 v18, v6, v2, s0
	v_cndmask_b32_e64 v17, v5, v1, s0
	v_dual_cndmask_b32 v16, v4, v2 :: v_dual_cndmask_b32 v15, v3, v1
	v_cndmask_b32_e64 v13, v13, v5, s0
	v_cndmask_b32_e64 v14, v14, v6, s0
	s_delay_alu instid0(VALU_DEP_2) | instskip(NEXT) | instid1(VALU_DEP_2)
	v_cndmask_b32_e64 v13, v13, v1, s1
	v_cndmask_b32_e64 v14, v14, v2, s1
	s_delay_alu instid0(VALU_DEP_1)
	v_dual_mov_b32 v1, v13 :: v_dual_mov_b32 v2, v14
	v_dual_mov_b32 v3, v15 :: v_dual_mov_b32 v4, v16
	;; [unrolled: 1-line block ×3, first 2 shown]
.LBB2_33:
	s_or_b32 exec_lo, exec_lo, s2
.LBB2_34:
	s_clause 0x2
	global_store_b64 v[9:10], v[1:2], off
	global_store_b64 v[11:12], v[3:4], off
	;; [unrolled: 1-line block ×3, first 2 shown]
	s_nop 0
	s_sendmsg sendmsg(MSG_DEALLOC_VGPRS)
	s_endpgm
	.section	.rodata,"a",@progbits
	.p2align	6, 0x0
	.amdhsa_kernel _ZN9rocsolver6v33100L18getri_kernel_smallILi3EdPdEEvT1_iilPiilS4_bb
		.amdhsa_group_segment_fixed_size 56
		.amdhsa_private_segment_fixed_size 0
		.amdhsa_kernarg_size 60
		.amdhsa_user_sgpr_count 15
		.amdhsa_user_sgpr_dispatch_ptr 0
		.amdhsa_user_sgpr_queue_ptr 0
		.amdhsa_user_sgpr_kernarg_segment_ptr 1
		.amdhsa_user_sgpr_dispatch_id 0
		.amdhsa_user_sgpr_private_segment_size 0
		.amdhsa_wavefront_size32 1
		.amdhsa_uses_dynamic_stack 0
		.amdhsa_enable_private_segment 0
		.amdhsa_system_sgpr_workgroup_id_x 1
		.amdhsa_system_sgpr_workgroup_id_y 0
		.amdhsa_system_sgpr_workgroup_id_z 0
		.amdhsa_system_sgpr_workgroup_info 0
		.amdhsa_system_vgpr_workitem_id 0
		.amdhsa_next_free_vgpr 24
		.amdhsa_next_free_sgpr 18
		.amdhsa_reserve_vcc 1
		.amdhsa_float_round_mode_32 0
		.amdhsa_float_round_mode_16_64 0
		.amdhsa_float_denorm_mode_32 3
		.amdhsa_float_denorm_mode_16_64 3
		.amdhsa_dx10_clamp 1
		.amdhsa_ieee_mode 1
		.amdhsa_fp16_overflow 0
		.amdhsa_workgroup_processor_mode 1
		.amdhsa_memory_ordered 1
		.amdhsa_forward_progress 0
		.amdhsa_shared_vgpr_count 0
		.amdhsa_exception_fp_ieee_invalid_op 0
		.amdhsa_exception_fp_denorm_src 0
		.amdhsa_exception_fp_ieee_div_zero 0
		.amdhsa_exception_fp_ieee_overflow 0
		.amdhsa_exception_fp_ieee_underflow 0
		.amdhsa_exception_fp_ieee_inexact 0
		.amdhsa_exception_int_div_zero 0
	.end_amdhsa_kernel
	.section	.text._ZN9rocsolver6v33100L18getri_kernel_smallILi3EdPdEEvT1_iilPiilS4_bb,"axG",@progbits,_ZN9rocsolver6v33100L18getri_kernel_smallILi3EdPdEEvT1_iilPiilS4_bb,comdat
.Lfunc_end2:
	.size	_ZN9rocsolver6v33100L18getri_kernel_smallILi3EdPdEEvT1_iilPiilS4_bb, .Lfunc_end2-_ZN9rocsolver6v33100L18getri_kernel_smallILi3EdPdEEvT1_iilPiilS4_bb
                                        ; -- End function
	.section	.AMDGPU.csdata,"",@progbits
; Kernel info:
; codeLenInByte = 1808
; NumSgprs: 20
; NumVgprs: 24
; ScratchSize: 0
; MemoryBound: 0
; FloatMode: 240
; IeeeMode: 1
; LDSByteSize: 56 bytes/workgroup (compile time only)
; SGPRBlocks: 2
; VGPRBlocks: 2
; NumSGPRsForWavesPerEU: 20
; NumVGPRsForWavesPerEU: 24
; Occupancy: 16
; WaveLimiterHint : 0
; COMPUTE_PGM_RSRC2:SCRATCH_EN: 0
; COMPUTE_PGM_RSRC2:USER_SGPR: 15
; COMPUTE_PGM_RSRC2:TRAP_HANDLER: 0
; COMPUTE_PGM_RSRC2:TGID_X_EN: 1
; COMPUTE_PGM_RSRC2:TGID_Y_EN: 0
; COMPUTE_PGM_RSRC2:TGID_Z_EN: 0
; COMPUTE_PGM_RSRC2:TIDIG_COMP_CNT: 0
	.section	.text._ZN9rocsolver6v33100L18getri_kernel_smallILi4EdPdEEvT1_iilPiilS4_bb,"axG",@progbits,_ZN9rocsolver6v33100L18getri_kernel_smallILi4EdPdEEvT1_iilPiilS4_bb,comdat
	.globl	_ZN9rocsolver6v33100L18getri_kernel_smallILi4EdPdEEvT1_iilPiilS4_bb ; -- Begin function _ZN9rocsolver6v33100L18getri_kernel_smallILi4EdPdEEvT1_iilPiilS4_bb
	.p2align	8
	.type	_ZN9rocsolver6v33100L18getri_kernel_smallILi4EdPdEEvT1_iilPiilS4_bb,@function
_ZN9rocsolver6v33100L18getri_kernel_smallILi4EdPdEEvT1_iilPiilS4_bb: ; @_ZN9rocsolver6v33100L18getri_kernel_smallILi4EdPdEEvT1_iilPiilS4_bb
; %bb.0:
	s_mov_b32 s2, exec_lo
	v_cmpx_gt_u32_e32 4, v0
	s_cbranch_execz .LBB3_16
; %bb.1:
	s_clause 0x2
	s_load_b32 s17, s[0:1], 0x38
	s_load_b128 s[8:11], s[0:1], 0x10
	s_load_b128 s[4:7], s[0:1], 0x28
	s_mov_b32 s14, s15
                                        ; implicit-def: $sgpr12_sgpr13
	s_waitcnt lgkmcnt(0)
	s_bitcmp1_b32 s17, 8
	s_cselect_b32 s16, -1, 0
	s_bfe_u32 s2, s17, 0x10008
	s_ashr_i32 s15, s15, 31
	s_cmp_eq_u32 s2, 0
	s_cbranch_scc1 .LBB3_3
; %bb.2:
	s_load_b32 s2, s[0:1], 0x20
	s_mul_i32 s3, s14, s5
	s_mul_hi_u32 s5, s14, s4
	s_mul_i32 s12, s15, s4
	s_add_i32 s3, s5, s3
	s_mul_i32 s4, s14, s4
	s_add_i32 s5, s3, s12
	s_delay_alu instid0(SALU_CYCLE_1)
	s_lshl_b64 s[4:5], s[4:5], 2
	s_waitcnt lgkmcnt(0)
	s_ashr_i32 s3, s2, 31
	s_add_u32 s4, s10, s4
	s_addc_u32 s5, s11, s5
	s_lshl_b64 s[2:3], s[2:3], 2
	s_delay_alu instid0(SALU_CYCLE_1)
	s_add_u32 s12, s4, s2
	s_addc_u32 s13, s5, s3
.LBB3_3:
	s_load_b128 s[0:3], s[0:1], 0x0
	s_mul_i32 s4, s14, s9
	s_mul_hi_u32 s5, s14, s8
	s_mul_i32 s9, s15, s8
	s_add_i32 s5, s5, s4
	s_mul_i32 s4, s14, s8
	s_add_i32 s5, s5, s9
	v_lshlrev_b32_e32 v20, 3, v0
	s_lshl_b64 s[4:5], s[4:5], 3
	s_waitcnt lgkmcnt(0)
	v_add3_u32 v1, s3, s3, v0
	s_ashr_i32 s9, s2, 31
	s_mov_b32 s8, s2
	s_add_u32 s2, s0, s4
	s_addc_u32 s5, s1, s5
	v_add_nc_u32_e32 v3, s3, v1
	s_lshl_b64 s[0:1], s[8:9], 3
	v_ashrrev_i32_e32 v2, 31, v1
	s_add_u32 s0, s2, s0
	s_addc_u32 s1, s5, s1
	v_add_co_u32 v12, s2, s0, v20
	v_ashrrev_i32_e32 v4, 31, v3
	s_mov_b32 s4, s3
	s_ashr_i32 s5, s3, 31
	v_add_co_ci_u32_e64 v13, null, s1, 0, s2
	v_lshlrev_b64 v[1:2], 3, v[1:2]
	s_lshl_b64 s[2:3], s[4:5], 3
	v_lshlrev_b64 v[3:4], 3, v[3:4]
	v_add_co_u32 v14, vcc_lo, v12, s2
	v_add_co_ci_u32_e32 v15, vcc_lo, s3, v13, vcc_lo
	s_delay_alu instid0(VALU_DEP_4)
	v_add_co_u32 v16, vcc_lo, s0, v1
	v_mov_b32_e32 v1, 0
	v_add_co_ci_u32_e32 v17, vcc_lo, s1, v2, vcc_lo
	v_add_co_u32 v10, vcc_lo, s0, v3
	v_add_co_ci_u32_e32 v11, vcc_lo, s1, v4, vcc_lo
	s_clause 0x3
	global_load_b64 v[4:5], v[14:15], off
	global_load_b64 v[6:7], v[16:17], off
	global_load_b64 v[2:3], v20, s[0:1]
	global_load_b64 v[8:9], v[10:11], off
	s_bitcmp0_b32 s17, 0
	s_mov_b32 s0, -1
	s_cbranch_scc1 .LBB3_14
; %bb.4:
	v_cmp_eq_u32_e64 s0, 0, v0
	s_delay_alu instid0(VALU_DEP_1)
	s_and_saveexec_b32 s1, s0
	s_cbranch_execz .LBB3_6
; %bb.5:
	v_mov_b32_e32 v18, 0
	ds_store_b32 v18, v18 offset:64
.LBB3_6:
	s_or_b32 exec_lo, exec_lo, s1
	v_cmp_eq_u32_e32 vcc_lo, 1, v0
	s_mov_b32 s2, exec_lo
	s_waitcnt vmcnt(0) lgkmcnt(0)
	s_barrier
	buffer_gl0_inv
	v_dual_cndmask_b32 v18, v3, v5 :: v_dual_cndmask_b32 v19, v2, v4
	v_cmp_eq_u32_e32 vcc_lo, 2, v0
	s_delay_alu instid0(VALU_DEP_2) | instskip(SKIP_1) | instid1(VALU_DEP_2)
	v_dual_cndmask_b32 v18, v18, v7 :: v_dual_cndmask_b32 v21, v19, v6
	v_cmp_eq_u32_e32 vcc_lo, 3, v0
	v_dual_cndmask_b32 v19, v18, v9 :: v_dual_cndmask_b32 v18, v21, v8
	s_delay_alu instid0(VALU_DEP_1)
	v_cmpx_eq_f64_e32 0, v[18:19]
	s_cbranch_execz .LBB3_10
; %bb.7:
	v_mov_b32_e32 v21, 0
	s_mov_b32 s3, 0
	ds_load_b32 v22, v21 offset:64
	s_waitcnt lgkmcnt(0)
	v_readfirstlane_b32 s1, v22
	v_add_nc_u32_e32 v22, 1, v0
	s_delay_alu instid0(VALU_DEP_2) | instskip(NEXT) | instid1(VALU_DEP_1)
	s_cmp_eq_u32 s1, 0
	v_cmp_gt_i32_e32 vcc_lo, s1, v22
	s_cselect_b32 s4, -1, 0
	s_delay_alu instid0(SALU_CYCLE_1) | instskip(NEXT) | instid1(SALU_CYCLE_1)
	s_or_b32 s4, s4, vcc_lo
	s_and_b32 exec_lo, exec_lo, s4
	s_cbranch_execz .LBB3_10
; %bb.8:
	v_mov_b32_e32 v23, s1
.LBB3_9:                                ; =>This Inner Loop Header: Depth=1
	ds_cmpstore_rtn_b32 v23, v21, v22, v23 offset:64
	s_waitcnt lgkmcnt(0)
	v_cmp_ne_u32_e32 vcc_lo, 0, v23
	v_cmp_le_i32_e64 s1, v23, v22
	s_delay_alu instid0(VALU_DEP_1) | instskip(NEXT) | instid1(SALU_CYCLE_1)
	s_and_b32 s1, vcc_lo, s1
	s_and_b32 s1, exec_lo, s1
	s_delay_alu instid0(SALU_CYCLE_1) | instskip(NEXT) | instid1(SALU_CYCLE_1)
	s_or_b32 s3, s1, s3
	s_and_not1_b32 exec_lo, exec_lo, s3
	s_cbranch_execnz .LBB3_9
.LBB3_10:
	s_or_b32 exec_lo, exec_lo, s2
	v_mov_b32_e32 v21, 0
	s_barrier
	buffer_gl0_inv
	ds_load_b32 v22, v21 offset:64
	s_and_saveexec_b32 s1, s0
	s_cbranch_execz .LBB3_12
; %bb.11:
	s_lshl_b64 s[2:3], s[14:15], 2
	s_delay_alu instid0(SALU_CYCLE_1)
	s_add_u32 s2, s6, s2
	s_addc_u32 s3, s7, s3
	s_waitcnt lgkmcnt(0)
	global_store_b32 v21, v22, s[2:3]
.LBB3_12:
	s_or_b32 exec_lo, exec_lo, s1
	s_waitcnt lgkmcnt(0)
	v_cmp_ne_u32_e32 vcc_lo, 0, v22
	s_cbranch_vccz .LBB3_17
; %bb.13:
	s_mov_b32 s0, 0
                                        ; implicit-def: $vgpr2_vgpr3_vgpr4_vgpr5_vgpr6_vgpr7_vgpr8_vgpr9
.LBB3_14:
	s_delay_alu instid0(SALU_CYCLE_1)
	s_and_b32 vcc_lo, exec_lo, s0
	s_cbranch_vccz .LBB3_16
.LBB3_15:
	s_lshl_b64 s[0:1], s[14:15], 2
	v_mov_b32_e32 v1, 0
	s_add_u32 s0, s6, s0
	s_addc_u32 s1, s7, s1
	global_load_b32 v1, v1, s[0:1]
	s_waitcnt vmcnt(0)
	v_cmp_ne_u32_e32 vcc_lo, 0, v1
	s_cbranch_vccz .LBB3_28
.LBB3_16:
	s_nop 0
	s_sendmsg sendmsg(MSG_DEALLOC_VGPRS)
	s_endpgm
.LBB3_17:
	v_div_scale_f64 v[21:22], null, v[18:19], v[18:19], 1.0
	v_div_scale_f64 v[27:28], vcc_lo, 1.0, v[18:19], 1.0
	v_cmp_eq_u32_e64 s1, 1, v0
	v_cmp_eq_u32_e64 s2, 0, v0
	s_delay_alu instid0(VALU_DEP_4) | instskip(SKIP_2) | instid1(VALU_DEP_1)
	v_rcp_f64_e32 v[23:24], v[21:22]
	s_waitcnt_depctr 0xfff
	v_fma_f64 v[25:26], -v[21:22], v[23:24], 1.0
	v_fma_f64 v[23:24], v[23:24], v[25:26], v[23:24]
	s_delay_alu instid0(VALU_DEP_1) | instskip(NEXT) | instid1(VALU_DEP_1)
	v_fma_f64 v[25:26], -v[21:22], v[23:24], 1.0
	v_fma_f64 v[23:24], v[23:24], v[25:26], v[23:24]
	s_delay_alu instid0(VALU_DEP_1) | instskip(NEXT) | instid1(VALU_DEP_1)
	v_mul_f64 v[25:26], v[27:28], v[23:24]
	v_fma_f64 v[21:22], -v[21:22], v[25:26], v[27:28]
	s_delay_alu instid0(VALU_DEP_1) | instskip(SKIP_1) | instid1(VALU_DEP_2)
	v_div_fmas_f64 v[21:22], v[21:22], v[23:24], v[25:26]
	v_cmp_eq_u32_e32 vcc_lo, 3, v0
	v_div_fixup_f64 v[18:19], v[21:22], v[18:19], 1.0
	s_delay_alu instid0(VALU_DEP_1) | instskip(NEXT) | instid1(VALU_DEP_2)
	v_dual_cndmask_b32 v8, v8, v18 :: v_dual_add_nc_u32 v21, 32, v20
	v_dual_cndmask_b32 v9, v9, v19 :: v_dual_mov_b32 v22, v18
	v_cmp_eq_u32_e32 vcc_lo, 2, v0
	v_cndmask_b32_e64 v5, v5, v19, s1
	v_cndmask_b32_e64 v4, v4, v18, s1
	v_xor_b32_e32 v23, 0x80000000, v19
	v_cndmask_b32_e64 v3, v3, v19, s2
	v_dual_cndmask_b32 v7, v7, v19 :: v_dual_cndmask_b32 v6, v6, v18
	v_cndmask_b32_e64 v2, v2, v18, s2
	ds_store_2addr_b64 v20, v[22:23], v[4:5] offset1:4
	s_waitcnt lgkmcnt(0)
	s_waitcnt_vscnt null, 0x0
	s_barrier
	buffer_gl0_inv
	s_and_saveexec_b32 s1, s0
	s_cbranch_execz .LBB3_19
; %bb.18:
	ds_load_b64 v[4:5], v21
	v_mov_b32_e32 v20, 0
	ds_load_b64 v[22:23], v20 offset:8
	s_waitcnt lgkmcnt(1)
	v_fma_f64 v[4:5], v[18:19], v[4:5], 0
	s_waitcnt lgkmcnt(0)
	s_delay_alu instid0(VALU_DEP_1)
	v_mul_f64 v[4:5], v[4:5], v[22:23]
.LBB3_19:
	s_or_b32 exec_lo, exec_lo, s1
	s_delay_alu instid0(SALU_CYCLE_1)
	s_mov_b32 s1, exec_lo
	s_barrier
	buffer_gl0_inv
	ds_store_b64 v21, v[6:7]
	s_waitcnt lgkmcnt(0)
	s_barrier
	buffer_gl0_inv
	v_cmpx_gt_u32_e32 2, v0
	s_cbranch_execz .LBB3_23
; %bb.20:
	v_cmp_eq_u32_e32 vcc_lo, 1, v0
	ds_load_b64 v[18:19], v21
	v_cndmask_b32_e32 v20, v3, v5, vcc_lo
	v_cndmask_b32_e32 v22, v2, v4, vcc_lo
	v_cmp_eq_u32_e32 vcc_lo, 2, v0
	s_delay_alu instid0(VALU_DEP_2) | instskip(SKIP_1) | instid1(VALU_DEP_2)
	v_dual_cndmask_b32 v7, v20, v7 :: v_dual_cndmask_b32 v6, v22, v6
	v_cmp_eq_u32_e32 vcc_lo, 3, v0
	v_dual_cndmask_b32 v7, v7, v9 :: v_dual_cndmask_b32 v6, v6, v8
	s_waitcnt lgkmcnt(0)
	s_delay_alu instid0(VALU_DEP_1)
	v_fma_f64 v[6:7], v[6:7], v[18:19], 0
	s_and_saveexec_b32 s2, s0
	s_cbranch_execz .LBB3_22
; %bb.21:
	v_mov_b32_e32 v18, 0
	ds_load_b64 v[18:19], v18 offset:40
	s_waitcnt lgkmcnt(0)
	v_fma_f64 v[6:7], v[4:5], v[18:19], v[6:7]
.LBB3_22:
	s_or_b32 exec_lo, exec_lo, s2
	v_mov_b32_e32 v18, 0
	ds_load_b64 v[18:19], v18 offset:16
	s_waitcnt lgkmcnt(0)
	v_mul_f64 v[6:7], v[6:7], v[18:19]
.LBB3_23:
	s_or_b32 exec_lo, exec_lo, s1
	s_delay_alu instid0(SALU_CYCLE_1)
	s_mov_b32 s1, exec_lo
	s_barrier
	buffer_gl0_inv
	ds_store_b64 v21, v[8:9]
	s_waitcnt lgkmcnt(0)
	s_barrier
	buffer_gl0_inv
	v_cmpx_ne_u32_e32 3, v0
	s_cbranch_execz .LBB3_27
; %bb.24:
	v_dual_mov_b32 v18, 0 :: v_dual_mov_b32 v21, v1
	v_lshl_add_u32 v22, v0, 3, 32
	v_dual_mov_b32 v19, 0 :: v_dual_mov_b32 v20, v0
	s_mov_b32 s2, 0
	.p2align	6
.LBB3_25:                               ; =>This Inner Loop Header: Depth=1
	s_delay_alu instid0(VALU_DEP_1) | instskip(SKIP_3) | instid1(VALU_DEP_1)
	v_cmp_eq_u32_e32 vcc_lo, 1, v20
	ds_load_b64 v[23:24], v22
	v_cmp_eq_u32_e64 s0, 2, v20
	v_dual_cndmask_b32 v1, v3, v5 :: v_dual_add_nc_u32 v22, 8, v22
	v_cndmask_b32_e64 v1, v1, v7, s0
	v_cndmask_b32_e32 v25, v2, v4, vcc_lo
	v_cmp_eq_u32_e32 vcc_lo, 3, v20
	s_delay_alu instid0(VALU_DEP_3) | instskip(NEXT) | instid1(VALU_DEP_3)
	v_cndmask_b32_e32 v26, v1, v9, vcc_lo
	v_cndmask_b32_e64 v25, v25, v6, s0
	s_delay_alu instid0(VALU_DEP_1) | instskip(SKIP_3) | instid1(VALU_DEP_3)
	v_cndmask_b32_e32 v25, v25, v8, vcc_lo
	v_add_co_u32 v20, vcc_lo, v20, 1
	v_add_co_ci_u32_e32 v21, vcc_lo, 0, v21, vcc_lo
	s_waitcnt lgkmcnt(0)
	v_fma_f64 v[18:19], v[25:26], v[23:24], v[18:19]
	s_delay_alu instid0(VALU_DEP_3) | instskip(NEXT) | instid1(VALU_DEP_1)
	v_add_nc_u32_e32 v1, -1, v20
	v_cmp_lt_u32_e32 vcc_lo, 1, v1
	s_or_b32 s2, vcc_lo, s2
	s_delay_alu instid0(SALU_CYCLE_1)
	s_and_not1_b32 exec_lo, exec_lo, s2
	s_cbranch_execnz .LBB3_25
; %bb.26:
	s_or_b32 exec_lo, exec_lo, s2
	v_mov_b32_e32 v1, 0
	ds_load_b64 v[8:9], v1 offset:24
	s_waitcnt lgkmcnt(0)
	v_mul_f64 v[8:9], v[18:19], v[8:9]
.LBB3_27:
	s_or_b32 exec_lo, exec_lo, s1
	s_barrier
	buffer_gl0_inv
	s_cbranch_execnz .LBB3_15
	s_branch .LBB3_16
.LBB3_28:
	v_lshl_add_u32 v1, v0, 3, 32
	s_mov_b32 s0, exec_lo
	v_cmpx_eq_u32_e32 3, v0
	s_cbranch_execz .LBB3_30
; %bb.29:
	s_mov_b32 s1, 0
	v_dual_mov_b32 v25, v9 :: v_dual_mov_b32 v24, v8
	v_dual_mov_b32 v23, v7 :: v_dual_mov_b32 v22, v6
	;; [unrolled: 1-line block ×5, first 2 shown]
	ds_store_b64 v1, v[6:7]
	v_dual_mov_b32 v2, v18 :: v_dual_mov_b32 v3, v19
	v_dual_mov_b32 v4, v20 :: v_dual_mov_b32 v5, v21
	;; [unrolled: 1-line block ×4, first 2 shown]
.LBB3_30:
	s_or_b32 exec_lo, exec_lo, s0
	v_mov_b32_e32 v18, 0
	s_waitcnt lgkmcnt(0)
	s_waitcnt_vscnt null, 0x0
	s_barrier
	buffer_gl0_inv
	s_mov_b32 s0, exec_lo
	ds_load_b64 v[19:20], v18 offset:56
	s_waitcnt lgkmcnt(0)
	v_fma_f64 v[19:20], v[8:9], v[19:20], 0
	s_delay_alu instid0(VALU_DEP_1)
	v_add_f64 v[6:7], v[6:7], -v[19:20]
	v_cmpx_lt_u32_e32 1, v0
	s_cbranch_execz .LBB3_32
; %bb.31:
	s_mov_b32 s1, 0
	v_dual_mov_b32 v26, v9 :: v_dual_mov_b32 v25, v8
	v_dual_mov_b32 v22, v5 :: v_dual_mov_b32 v21, v4
	;; [unrolled: 1-line block ×5, first 2 shown]
	ds_store_b64 v1, v[4:5]
	v_dual_mov_b32 v2, v19 :: v_dual_mov_b32 v3, v20
	v_dual_mov_b32 v4, v21 :: v_dual_mov_b32 v5, v22
	;; [unrolled: 1-line block ×4, first 2 shown]
.LBB3_32:
	s_or_b32 exec_lo, exec_lo, s0
	s_waitcnt lgkmcnt(0)
	s_barrier
	buffer_gl0_inv
	ds_load_b128 v[18:21], v18 offset:48
	s_mov_b32 s1, 0
	s_mov_b32 s0, exec_lo
	s_waitcnt lgkmcnt(0)
	v_fma_f64 v[18:19], v[6:7], v[18:19], 0
	s_delay_alu instid0(VALU_DEP_1) | instskip(NEXT) | instid1(VALU_DEP_1)
	v_fma_f64 v[18:19], v[8:9], v[20:21], v[18:19]
	v_add_f64 v[4:5], v[4:5], -v[18:19]
	v_cmpx_ne_u32_e32 0, v0
	s_cbranch_execz .LBB3_34
; %bb.33:
	v_dual_mov_b32 v25, v9 :: v_dual_mov_b32 v24, v8
	v_dual_mov_b32 v19, v3 :: v_dual_mov_b32 v18, v2
	;; [unrolled: 1-line block ×5, first 2 shown]
	ds_store_b64 v1, v[2:3]
	v_dual_mov_b32 v2, v18 :: v_dual_mov_b32 v3, v19
	v_dual_mov_b32 v5, v21 :: v_dual_mov_b32 v4, v20
	;; [unrolled: 1-line block ×4, first 2 shown]
.LBB3_34:
	s_or_b32 exec_lo, exec_lo, s0
	v_mov_b32_e32 v0, 0
	s_waitcnt lgkmcnt(0)
	s_barrier
	buffer_gl0_inv
	s_and_b32 vcc_lo, exec_lo, s16
	ds_load_2addr_b64 v[18:21], v0 offset0:5 offset1:6
	ds_load_b64 v[0:1], v0 offset:56
	s_waitcnt lgkmcnt(1)
	v_fma_f64 v[18:19], v[4:5], v[18:19], 0
	s_delay_alu instid0(VALU_DEP_1) | instskip(SKIP_1) | instid1(VALU_DEP_1)
	v_fma_f64 v[18:19], v[6:7], v[20:21], v[18:19]
	s_waitcnt lgkmcnt(0)
	v_fma_f64 v[0:1], v[8:9], v[0:1], v[18:19]
	s_delay_alu instid0(VALU_DEP_1)
	v_add_f64 v[2:3], v[2:3], -v[0:1]
	s_cbranch_vccz .LBB3_42
; %bb.35:
	v_dual_mov_b32 v0, s12 :: v_dual_mov_b32 v1, s13
	s_mov_b32 s3, exec_lo
	flat_load_b32 v0, v[0:1] offset:8
	s_waitcnt vmcnt(0) lgkmcnt(0)
	v_add_nc_u32_e32 v0, -1, v0
	s_delay_alu instid0(VALU_DEP_1)
	v_cmpx_ne_u32_e32 2, v0
	s_cbranch_execz .LBB3_37
; %bb.36:
	v_cmp_eq_u32_e32 vcc_lo, 1, v0
	v_cmp_eq_u32_e64 s0, 2, v0
	v_cmp_eq_u32_e64 s1, 3, v0
	;; [unrolled: 1-line block ×3, first 2 shown]
	v_dual_cndmask_b32 v1, v2, v4 :: v_dual_cndmask_b32 v18, v3, v5
	v_dual_cndmask_b32 v21, v5, v7 :: v_dual_cndmask_b32 v20, v4, v6
	s_delay_alu instid0(VALU_DEP_3) | instskip(NEXT) | instid1(VALU_DEP_3)
	v_cndmask_b32_e64 v19, v3, v7, s2
	v_cndmask_b32_e64 v1, v1, v6, s0
	s_delay_alu instid0(VALU_DEP_4) | instskip(SKIP_2) | instid1(VALU_DEP_4)
	v_cndmask_b32_e64 v18, v18, v7, s0
	v_cndmask_b32_e64 v25, v9, v7, s1
	;; [unrolled: 1-line block ×4, first 2 shown]
	s_delay_alu instid0(VALU_DEP_4) | instskip(SKIP_1) | instid1(VALU_DEP_3)
	v_cndmask_b32_e64 v1, v18, v9, s1
	v_cndmask_b32_e64 v18, v2, v6, s2
	;; [unrolled: 1-line block ×3, first 2 shown]
	s_delay_alu instid0(VALU_DEP_3) | instskip(NEXT) | instid1(VALU_DEP_3)
	v_cndmask_b32_e64 v23, v1, v7, s0
	v_dual_mov_b32 v2, v18 :: v_dual_mov_b32 v3, v19
	v_dual_mov_b32 v4, v20 :: v_dual_mov_b32 v5, v21
	s_delay_alu instid0(VALU_DEP_3)
	v_dual_mov_b32 v6, v22 :: v_dual_mov_b32 v7, v23
	v_dual_mov_b32 v8, v24 :: v_dual_mov_b32 v9, v25
.LBB3_37:
	s_or_b32 exec_lo, exec_lo, s3
	v_dual_mov_b32 v0, s12 :: v_dual_mov_b32 v1, s13
	s_mov_b32 s3, exec_lo
	flat_load_b32 v0, v[0:1] offset:4
	s_waitcnt vmcnt(0) lgkmcnt(0)
	v_add_nc_u32_e32 v0, -1, v0
	s_delay_alu instid0(VALU_DEP_1)
	v_cmpx_ne_u32_e32 1, v0
	s_cbranch_execz .LBB3_39
; %bb.38:
	v_cmp_eq_u32_e32 vcc_lo, 1, v0
	v_cmp_eq_u32_e64 s0, 2, v0
	v_cmp_eq_u32_e64 s1, 3, v0
	;; [unrolled: 1-line block ×3, first 2 shown]
	v_dual_cndmask_b32 v1, v2, v4 :: v_dual_cndmask_b32 v18, v3, v5
	s_delay_alu instid0(VALU_DEP_4) | instskip(NEXT) | instid1(VALU_DEP_3)
	v_cndmask_b32_e64 v23, v7, v5, s0
	v_cndmask_b32_e64 v19, v3, v5, s2
	;; [unrolled: 1-line block ×3, first 2 shown]
	s_delay_alu instid0(VALU_DEP_4) | instskip(SKIP_3) | instid1(VALU_DEP_4)
	v_cndmask_b32_e64 v1, v1, v6, s0
	v_cndmask_b32_e64 v18, v18, v7, s0
	;; [unrolled: 1-line block ×5, first 2 shown]
	s_delay_alu instid0(VALU_DEP_4) | instskip(SKIP_1) | instid1(VALU_DEP_2)
	v_cndmask_b32_e64 v1, v18, v9, s1
	v_cndmask_b32_e64 v18, v2, v4, s2
	v_dual_cndmask_b32 v20, v0, v4 :: v_dual_cndmask_b32 v21, v1, v5
	s_delay_alu instid0(VALU_DEP_2) | instskip(SKIP_1) | instid1(VALU_DEP_3)
	v_dual_mov_b32 v2, v18 :: v_dual_mov_b32 v3, v19
	v_dual_mov_b32 v6, v22 :: v_dual_mov_b32 v7, v23
	;; [unrolled: 1-line block ×4, first 2 shown]
.LBB3_39:
	s_or_b32 exec_lo, exec_lo, s3
	v_dual_mov_b32 v0, s12 :: v_dual_mov_b32 v1, s13
	s_mov_b32 s2, exec_lo
	flat_load_b32 v0, v[0:1]
	s_waitcnt vmcnt(0) lgkmcnt(0)
	v_add_nc_u32_e32 v0, -1, v0
	s_delay_alu instid0(VALU_DEP_1)
	v_cmpx_ne_u32_e32 0, v0
	s_cbranch_execz .LBB3_41
; %bb.40:
	v_cmp_eq_u32_e32 vcc_lo, 1, v0
	v_cmp_eq_u32_e64 s0, 2, v0
	v_cmp_eq_u32_e64 s1, 3, v0
	v_dual_cndmask_b32 v1, v2, v4 :: v_dual_cndmask_b32 v18, v3, v5
	s_delay_alu instid0(VALU_DEP_3) | instskip(SKIP_2) | instid1(VALU_DEP_4)
	v_cndmask_b32_e64 v23, v7, v3, s0
	v_cndmask_b32_e64 v22, v6, v2, s0
	v_dual_cndmask_b32 v21, v5, v3 :: v_dual_cndmask_b32 v20, v4, v2
	v_cndmask_b32_e64 v1, v1, v6, s0
	v_cndmask_b32_e64 v18, v18, v7, s0
	v_cmp_eq_u32_e64 s0, 0, v0
	v_cndmask_b32_e64 v25, v9, v3, s1
	v_cndmask_b32_e64 v24, v8, v2, s1
	;; [unrolled: 1-line block ×4, first 2 shown]
	s_delay_alu instid0(VALU_DEP_2) | instskip(NEXT) | instid1(VALU_DEP_2)
	v_cndmask_b32_e64 v18, v1, v2, s0
	v_cndmask_b32_e64 v19, v6, v3, s0
	s_delay_alu instid0(VALU_DEP_1)
	v_dual_mov_b32 v2, v18 :: v_dual_mov_b32 v3, v19
	v_dual_mov_b32 v4, v20 :: v_dual_mov_b32 v5, v21
	;; [unrolled: 1-line block ×4, first 2 shown]
.LBB3_41:
	s_or_b32 exec_lo, exec_lo, s2
.LBB3_42:
	s_clause 0x3
	global_store_b64 v[12:13], v[2:3], off
	global_store_b64 v[14:15], v[4:5], off
	;; [unrolled: 1-line block ×4, first 2 shown]
	s_nop 0
	s_sendmsg sendmsg(MSG_DEALLOC_VGPRS)
	s_endpgm
	.section	.rodata,"a",@progbits
	.p2align	6, 0x0
	.amdhsa_kernel _ZN9rocsolver6v33100L18getri_kernel_smallILi4EdPdEEvT1_iilPiilS4_bb
		.amdhsa_group_segment_fixed_size 72
		.amdhsa_private_segment_fixed_size 0
		.amdhsa_kernarg_size 60
		.amdhsa_user_sgpr_count 15
		.amdhsa_user_sgpr_dispatch_ptr 0
		.amdhsa_user_sgpr_queue_ptr 0
		.amdhsa_user_sgpr_kernarg_segment_ptr 1
		.amdhsa_user_sgpr_dispatch_id 0
		.amdhsa_user_sgpr_private_segment_size 0
		.amdhsa_wavefront_size32 1
		.amdhsa_uses_dynamic_stack 0
		.amdhsa_enable_private_segment 0
		.amdhsa_system_sgpr_workgroup_id_x 1
		.amdhsa_system_sgpr_workgroup_id_y 0
		.amdhsa_system_sgpr_workgroup_id_z 0
		.amdhsa_system_sgpr_workgroup_info 0
		.amdhsa_system_vgpr_workitem_id 0
		.amdhsa_next_free_vgpr 29
		.amdhsa_next_free_sgpr 18
		.amdhsa_reserve_vcc 1
		.amdhsa_float_round_mode_32 0
		.amdhsa_float_round_mode_16_64 0
		.amdhsa_float_denorm_mode_32 3
		.amdhsa_float_denorm_mode_16_64 3
		.amdhsa_dx10_clamp 1
		.amdhsa_ieee_mode 1
		.amdhsa_fp16_overflow 0
		.amdhsa_workgroup_processor_mode 1
		.amdhsa_memory_ordered 1
		.amdhsa_forward_progress 0
		.amdhsa_shared_vgpr_count 0
		.amdhsa_exception_fp_ieee_invalid_op 0
		.amdhsa_exception_fp_denorm_src 0
		.amdhsa_exception_fp_ieee_div_zero 0
		.amdhsa_exception_fp_ieee_overflow 0
		.amdhsa_exception_fp_ieee_underflow 0
		.amdhsa_exception_fp_ieee_inexact 0
		.amdhsa_exception_int_div_zero 0
	.end_amdhsa_kernel
	.section	.text._ZN9rocsolver6v33100L18getri_kernel_smallILi4EdPdEEvT1_iilPiilS4_bb,"axG",@progbits,_ZN9rocsolver6v33100L18getri_kernel_smallILi4EdPdEEvT1_iilPiilS4_bb,comdat
.Lfunc_end3:
	.size	_ZN9rocsolver6v33100L18getri_kernel_smallILi4EdPdEEvT1_iilPiilS4_bb, .Lfunc_end3-_ZN9rocsolver6v33100L18getri_kernel_smallILi4EdPdEEvT1_iilPiilS4_bb
                                        ; -- End function
	.section	.AMDGPU.csdata,"",@progbits
; Kernel info:
; codeLenInByte = 2672
; NumSgprs: 20
; NumVgprs: 29
; ScratchSize: 0
; MemoryBound: 0
; FloatMode: 240
; IeeeMode: 1
; LDSByteSize: 72 bytes/workgroup (compile time only)
; SGPRBlocks: 2
; VGPRBlocks: 3
; NumSGPRsForWavesPerEU: 20
; NumVGPRsForWavesPerEU: 29
; Occupancy: 16
; WaveLimiterHint : 0
; COMPUTE_PGM_RSRC2:SCRATCH_EN: 0
; COMPUTE_PGM_RSRC2:USER_SGPR: 15
; COMPUTE_PGM_RSRC2:TRAP_HANDLER: 0
; COMPUTE_PGM_RSRC2:TGID_X_EN: 1
; COMPUTE_PGM_RSRC2:TGID_Y_EN: 0
; COMPUTE_PGM_RSRC2:TGID_Z_EN: 0
; COMPUTE_PGM_RSRC2:TIDIG_COMP_CNT: 0
	.section	.text._ZN9rocsolver6v33100L18getri_kernel_smallILi5EdPdEEvT1_iilPiilS4_bb,"axG",@progbits,_ZN9rocsolver6v33100L18getri_kernel_smallILi5EdPdEEvT1_iilPiilS4_bb,comdat
	.globl	_ZN9rocsolver6v33100L18getri_kernel_smallILi5EdPdEEvT1_iilPiilS4_bb ; -- Begin function _ZN9rocsolver6v33100L18getri_kernel_smallILi5EdPdEEvT1_iilPiilS4_bb
	.p2align	8
	.type	_ZN9rocsolver6v33100L18getri_kernel_smallILi5EdPdEEvT1_iilPiilS4_bb,@function
_ZN9rocsolver6v33100L18getri_kernel_smallILi5EdPdEEvT1_iilPiilS4_bb: ; @_ZN9rocsolver6v33100L18getri_kernel_smallILi5EdPdEEvT1_iilPiilS4_bb
; %bb.0:
	s_mov_b32 s2, exec_lo
	v_cmpx_gt_u32_e32 5, v0
	s_cbranch_execz .LBB4_16
; %bb.1:
	s_clause 0x2
	s_load_b32 s17, s[0:1], 0x38
	s_load_b128 s[8:11], s[0:1], 0x10
	s_load_b128 s[4:7], s[0:1], 0x28
	s_mov_b32 s14, s15
                                        ; implicit-def: $sgpr12_sgpr13
	s_waitcnt lgkmcnt(0)
	s_bitcmp1_b32 s17, 8
	s_cselect_b32 s16, -1, 0
	s_bfe_u32 s2, s17, 0x10008
	s_ashr_i32 s15, s15, 31
	s_cmp_eq_u32 s2, 0
	s_cbranch_scc1 .LBB4_3
; %bb.2:
	s_load_b32 s2, s[0:1], 0x20
	s_mul_i32 s3, s14, s5
	s_mul_hi_u32 s5, s14, s4
	s_mul_i32 s12, s15, s4
	s_add_i32 s3, s5, s3
	s_mul_i32 s4, s14, s4
	s_add_i32 s5, s3, s12
	s_delay_alu instid0(SALU_CYCLE_1)
	s_lshl_b64 s[4:5], s[4:5], 2
	s_waitcnt lgkmcnt(0)
	s_ashr_i32 s3, s2, 31
	s_add_u32 s4, s10, s4
	s_addc_u32 s5, s11, s5
	s_lshl_b64 s[2:3], s[2:3], 2
	s_delay_alu instid0(SALU_CYCLE_1)
	s_add_u32 s12, s4, s2
	s_addc_u32 s13, s5, s3
.LBB4_3:
	s_load_b128 s[0:3], s[0:1], 0x0
	s_mul_i32 s4, s14, s9
	s_mul_hi_u32 s5, s14, s8
	s_mul_i32 s9, s15, s8
	s_add_i32 s5, s5, s4
	s_mul_i32 s4, s14, s8
	s_add_i32 s5, s5, s9
	v_lshlrev_b32_e32 v14, 3, v0
	s_lshl_b64 s[4:5], s[4:5], 3
	s_waitcnt lgkmcnt(0)
	v_add3_u32 v1, s3, s3, v0
	s_ashr_i32 s9, s2, 31
	s_mov_b32 s8, s2
	s_add_u32 s2, s0, s4
	s_addc_u32 s5, s1, s5
	v_add_nc_u32_e32 v3, s3, v1
	s_lshl_b64 s[0:1], s[8:9], 3
	v_ashrrev_i32_e32 v2, 31, v1
	s_add_u32 s0, s2, s0
	s_addc_u32 s1, s5, s1
	v_add_co_u32 v28, s2, s0, v14
	v_add_nc_u32_e32 v5, s3, v3
	s_mov_b32 s4, s3
	s_ashr_i32 s5, s3, 31
	v_add_co_ci_u32_e64 v29, null, s1, 0, s2
	v_lshlrev_b64 v[1:2], 3, v[1:2]
	v_ashrrev_i32_e32 v4, 31, v3
	s_lshl_b64 s[4:5], s[4:5], 3
	v_ashrrev_i32_e32 v6, 31, v5
	v_add_co_u32 v36, vcc_lo, v28, s4
	v_add_co_ci_u32_e32 v37, vcc_lo, s5, v29, vcc_lo
	v_lshlrev_b64 v[3:4], 3, v[3:4]
	v_add_co_u32 v32, vcc_lo, s0, v1
	v_add_co_ci_u32_e32 v33, vcc_lo, s1, v2, vcc_lo
	v_lshlrev_b64 v[1:2], 3, v[5:6]
	s_delay_alu instid0(VALU_DEP_4) | instskip(SKIP_2) | instid1(VALU_DEP_3)
	v_add_co_u32 v34, vcc_lo, s0, v3
	v_add_co_ci_u32_e32 v35, vcc_lo, s1, v4, vcc_lo
	s_bitcmp0_b32 s17, 0
	v_add_co_u32 v30, vcc_lo, s0, v1
	v_mov_b32_e32 v1, 0
	v_add_co_ci_u32_e32 v31, vcc_lo, s1, v2, vcc_lo
	s_clause 0x4
	global_load_b64 v[2:3], v14, s[0:1]
	global_load_b64 v[4:5], v[36:37], off
	global_load_b64 v[6:7], v[32:33], off
	global_load_b64 v[8:9], v[34:35], off
	global_load_b64 v[10:11], v[30:31], off
	s_mov_b32 s0, -1
	s_cbranch_scc1 .LBB4_14
; %bb.4:
	v_cmp_eq_u32_e64 s0, 0, v0
	s_delay_alu instid0(VALU_DEP_1)
	s_and_saveexec_b32 s1, s0
	s_cbranch_execz .LBB4_6
; %bb.5:
	v_mov_b32_e32 v12, 0
	ds_store_b32 v12, v12 offset:40
.LBB4_6:
	s_or_b32 exec_lo, exec_lo, s1
	v_cmp_eq_u32_e32 vcc_lo, 1, v0
	s_mov_b32 s2, exec_lo
	s_waitcnt vmcnt(0) lgkmcnt(0)
	s_barrier
	buffer_gl0_inv
	v_dual_cndmask_b32 v12, v3, v5 :: v_dual_cndmask_b32 v13, v2, v4
	v_cmp_eq_u32_e32 vcc_lo, 2, v0
	s_delay_alu instid0(VALU_DEP_2) | instskip(SKIP_1) | instid1(VALU_DEP_2)
	v_dual_cndmask_b32 v12, v12, v7 :: v_dual_cndmask_b32 v13, v13, v6
	v_cmp_eq_u32_e32 vcc_lo, 3, v0
	v_dual_cndmask_b32 v12, v12, v9 :: v_dual_cndmask_b32 v15, v13, v8
	v_cmp_eq_u32_e32 vcc_lo, 4, v0
	s_delay_alu instid0(VALU_DEP_2) | instskip(NEXT) | instid1(VALU_DEP_1)
	v_dual_cndmask_b32 v13, v12, v11 :: v_dual_cndmask_b32 v12, v15, v10
	v_cmpx_eq_f64_e32 0, v[12:13]
	s_cbranch_execz .LBB4_10
; %bb.7:
	v_mov_b32_e32 v15, 0
	s_mov_b32 s3, 0
	ds_load_b32 v16, v15 offset:40
	s_waitcnt lgkmcnt(0)
	v_readfirstlane_b32 s1, v16
	v_add_nc_u32_e32 v16, 1, v0
	s_delay_alu instid0(VALU_DEP_2) | instskip(NEXT) | instid1(VALU_DEP_1)
	s_cmp_eq_u32 s1, 0
	v_cmp_gt_i32_e32 vcc_lo, s1, v16
	s_cselect_b32 s4, -1, 0
	s_delay_alu instid0(SALU_CYCLE_1) | instskip(NEXT) | instid1(SALU_CYCLE_1)
	s_or_b32 s4, s4, vcc_lo
	s_and_b32 exec_lo, exec_lo, s4
	s_cbranch_execz .LBB4_10
; %bb.8:
	v_mov_b32_e32 v17, s1
.LBB4_9:                                ; =>This Inner Loop Header: Depth=1
	ds_cmpstore_rtn_b32 v17, v15, v16, v17 offset:40
	s_waitcnt lgkmcnt(0)
	v_cmp_ne_u32_e32 vcc_lo, 0, v17
	v_cmp_le_i32_e64 s1, v17, v16
	s_delay_alu instid0(VALU_DEP_1) | instskip(NEXT) | instid1(SALU_CYCLE_1)
	s_and_b32 s1, vcc_lo, s1
	s_and_b32 s1, exec_lo, s1
	s_delay_alu instid0(SALU_CYCLE_1) | instskip(NEXT) | instid1(SALU_CYCLE_1)
	s_or_b32 s3, s1, s3
	s_and_not1_b32 exec_lo, exec_lo, s3
	s_cbranch_execnz .LBB4_9
.LBB4_10:
	s_or_b32 exec_lo, exec_lo, s2
	v_mov_b32_e32 v15, 0
	s_barrier
	buffer_gl0_inv
	ds_load_b32 v16, v15 offset:40
	s_and_saveexec_b32 s1, s0
	s_cbranch_execz .LBB4_12
; %bb.11:
	s_lshl_b64 s[2:3], s[14:15], 2
	s_delay_alu instid0(SALU_CYCLE_1)
	s_add_u32 s2, s6, s2
	s_addc_u32 s3, s7, s3
	s_waitcnt lgkmcnt(0)
	global_store_b32 v15, v16, s[2:3]
.LBB4_12:
	s_or_b32 exec_lo, exec_lo, s1
	s_waitcnt lgkmcnt(0)
	v_cmp_ne_u32_e32 vcc_lo, 0, v16
	s_cbranch_vccz .LBB4_17
; %bb.13:
	s_mov_b32 s0, 0
                                        ; implicit-def: $vgpr2_vgpr3_vgpr4_vgpr5_vgpr6_vgpr7_vgpr8_vgpr9_vgpr10_vgpr11_vgpr12_vgpr13_vgpr14_vgpr15_vgpr16_vgpr17
.LBB4_14:
	s_delay_alu instid0(SALU_CYCLE_1)
	s_and_b32 vcc_lo, exec_lo, s0
	s_cbranch_vccz .LBB4_16
.LBB4_15:
	s_lshl_b64 s[0:1], s[14:15], 2
	v_mov_b32_e32 v1, 0
	s_add_u32 s0, s6, s0
	s_addc_u32 s1, s7, s1
	global_load_b32 v1, v1, s[0:1]
	s_waitcnt vmcnt(0)
	v_cmp_ne_u32_e32 vcc_lo, 0, v1
	s_cbranch_vccz .LBB4_32
.LBB4_16:
	s_nop 0
	s_sendmsg sendmsg(MSG_DEALLOC_VGPRS)
	s_endpgm
.LBB4_17:
	v_div_scale_f64 v[15:16], null, v[12:13], v[12:13], 1.0
	v_div_scale_f64 v[21:22], vcc_lo, 1.0, v[12:13], 1.0
	v_cmp_eq_u32_e64 s1, 3, v0
	v_cmp_eq_u32_e64 s2, 1, v0
	;; [unrolled: 1-line block ×3, first 2 shown]
	v_rcp_f64_e32 v[17:18], v[15:16]
	s_waitcnt_depctr 0xfff
	v_fma_f64 v[19:20], -v[15:16], v[17:18], 1.0
	s_delay_alu instid0(VALU_DEP_1) | instskip(NEXT) | instid1(VALU_DEP_1)
	v_fma_f64 v[17:18], v[17:18], v[19:20], v[17:18]
	v_fma_f64 v[19:20], -v[15:16], v[17:18], 1.0
	s_delay_alu instid0(VALU_DEP_1) | instskip(NEXT) | instid1(VALU_DEP_1)
	v_fma_f64 v[17:18], v[17:18], v[19:20], v[17:18]
	v_mul_f64 v[19:20], v[21:22], v[17:18]
	s_delay_alu instid0(VALU_DEP_1) | instskip(NEXT) | instid1(VALU_DEP_1)
	v_fma_f64 v[15:16], -v[15:16], v[19:20], v[21:22]
	v_div_fmas_f64 v[15:16], v[15:16], v[17:18], v[19:20]
	v_cmp_eq_u32_e32 vcc_lo, 4, v0
	s_delay_alu instid0(VALU_DEP_2) | instskip(NEXT) | instid1(VALU_DEP_1)
	v_div_fixup_f64 v[12:13], v[15:16], v[12:13], 1.0
	v_dual_cndmask_b32 v11, v11, v13 :: v_dual_add_nc_u32 v16, 48, v14
	s_delay_alu instid0(VALU_DEP_2)
	v_dual_cndmask_b32 v10, v10, v12 :: v_dual_mov_b32 v17, v12
	v_cmp_eq_u32_e32 vcc_lo, 2, v0
	v_cndmask_b32_e64 v9, v9, v13, s1
	v_cndmask_b32_e64 v8, v8, v12, s1
	v_cndmask_b32_e64 v5, v5, v13, s2
	v_cndmask_b32_e64 v4, v4, v12, s2
	v_xor_b32_e32 v18, 0x80000000, v13
	v_dual_cndmask_b32 v7, v7, v13 :: v_dual_cndmask_b32 v6, v6, v12
	v_cndmask_b32_e64 v3, v3, v13, s3
	v_cndmask_b32_e64 v2, v2, v12, s3
	ds_store_2addr_b64 v14, v[17:18], v[4:5] offset1:6
	s_waitcnt lgkmcnt(0)
	s_waitcnt_vscnt null, 0x0
	s_barrier
	buffer_gl0_inv
	s_and_saveexec_b32 s1, s0
	s_cbranch_execz .LBB4_19
; %bb.18:
	ds_load_b64 v[4:5], v16
	v_mov_b32_e32 v14, 0
	ds_load_b64 v[14:15], v14 offset:8
	s_waitcnt lgkmcnt(1)
	v_fma_f64 v[4:5], v[12:13], v[4:5], 0
	s_waitcnt lgkmcnt(0)
	s_delay_alu instid0(VALU_DEP_1)
	v_mul_f64 v[4:5], v[4:5], v[14:15]
.LBB4_19:
	s_or_b32 exec_lo, exec_lo, s1
	s_delay_alu instid0(SALU_CYCLE_1)
	s_mov_b32 s1, exec_lo
	s_barrier
	buffer_gl0_inv
	ds_store_b64 v16, v[6:7]
	s_waitcnt lgkmcnt(0)
	s_barrier
	buffer_gl0_inv
	v_cmpx_gt_u32_e32 2, v0
	s_cbranch_execz .LBB4_23
; %bb.20:
	v_cmp_eq_u32_e32 vcc_lo, 1, v0
	ds_load_b64 v[12:13], v16
	v_dual_cndmask_b32 v14, v3, v5 :: v_dual_cndmask_b32 v15, v2, v4
	v_cmp_eq_u32_e32 vcc_lo, 2, v0
	s_delay_alu instid0(VALU_DEP_2) | instskip(SKIP_1) | instid1(VALU_DEP_2)
	v_dual_cndmask_b32 v7, v14, v7 :: v_dual_cndmask_b32 v6, v15, v6
	v_cmp_eq_u32_e32 vcc_lo, 3, v0
	v_dual_cndmask_b32 v7, v7, v9 :: v_dual_cndmask_b32 v6, v6, v8
	v_cmp_eq_u32_e32 vcc_lo, 4, v0
	s_delay_alu instid0(VALU_DEP_2) | instskip(SKIP_1) | instid1(VALU_DEP_1)
	v_dual_cndmask_b32 v7, v7, v11 :: v_dual_cndmask_b32 v6, v6, v10
	s_waitcnt lgkmcnt(0)
	v_fma_f64 v[6:7], v[6:7], v[12:13], 0
	s_and_saveexec_b32 s2, s0
	s_cbranch_execz .LBB4_22
; %bb.21:
	v_mov_b32_e32 v12, 0
	ds_load_b64 v[12:13], v12 offset:56
	s_waitcnt lgkmcnt(0)
	v_fma_f64 v[6:7], v[4:5], v[12:13], v[6:7]
.LBB4_22:
	s_or_b32 exec_lo, exec_lo, s2
	v_mov_b32_e32 v12, 0
	ds_load_b64 v[12:13], v12 offset:16
	s_waitcnt lgkmcnt(0)
	v_mul_f64 v[6:7], v[6:7], v[12:13]
.LBB4_23:
	s_or_b32 exec_lo, exec_lo, s1
	s_delay_alu instid0(SALU_CYCLE_1)
	s_mov_b32 s1, exec_lo
	s_barrier
	buffer_gl0_inv
	ds_store_b64 v16, v[8:9]
	s_waitcnt lgkmcnt(0)
	s_barrier
	buffer_gl0_inv
	v_cmpx_gt_u32_e32 3, v0
	s_cbranch_execz .LBB4_27
; %bb.24:
	v_dual_mov_b32 v12, 0 :: v_dual_mov_b32 v15, v1
	v_lshl_add_u32 v17, v0, 3, 48
	v_dual_mov_b32 v13, 0 :: v_dual_mov_b32 v14, v0
	s_mov_b32 s2, 0
	.p2align	6
.LBB4_25:                               ; =>This Inner Loop Header: Depth=1
	s_delay_alu instid0(VALU_DEP_1)
	v_cmp_eq_u32_e32 vcc_lo, 1, v14
	ds_load_b64 v[18:19], v17
	v_cmp_eq_u32_e64 s0, 2, v14
	v_add_nc_u32_e32 v17, 8, v17
	v_dual_cndmask_b32 v20, v3, v5 :: v_dual_cndmask_b32 v21, v2, v4
	v_cmp_eq_u32_e32 vcc_lo, 3, v14
	s_delay_alu instid0(VALU_DEP_2) | instskip(NEXT) | instid1(VALU_DEP_3)
	v_cndmask_b32_e64 v20, v20, v7, s0
	v_cndmask_b32_e64 v21, v21, v6, s0
	v_cmp_eq_u32_e64 s0, 4, v14
	s_delay_alu instid0(VALU_DEP_3) | instskip(NEXT) | instid1(VALU_DEP_3)
	v_cndmask_b32_e32 v20, v20, v9, vcc_lo
	v_cndmask_b32_e32 v22, v21, v8, vcc_lo
	v_add_co_u32 v14, vcc_lo, v14, 1
	v_add_co_ci_u32_e32 v15, vcc_lo, 0, v15, vcc_lo
	s_delay_alu instid0(VALU_DEP_4) | instskip(NEXT) | instid1(VALU_DEP_4)
	v_cndmask_b32_e64 v21, v20, v11, s0
	v_cndmask_b32_e64 v20, v22, v10, s0
	s_waitcnt lgkmcnt(0)
	s_delay_alu instid0(VALU_DEP_1) | instskip(SKIP_1) | instid1(VALU_DEP_1)
	v_fma_f64 v[12:13], v[20:21], v[18:19], v[12:13]
	v_add_nc_u32_e32 v18, -1, v14
	v_cmp_lt_u32_e32 vcc_lo, 1, v18
	s_or_b32 s2, vcc_lo, s2
	s_delay_alu instid0(SALU_CYCLE_1)
	s_and_not1_b32 exec_lo, exec_lo, s2
	s_cbranch_execnz .LBB4_25
; %bb.26:
	s_or_b32 exec_lo, exec_lo, s2
	v_mov_b32_e32 v8, 0
	ds_load_b64 v[8:9], v8 offset:24
	s_waitcnt lgkmcnt(0)
	v_mul_f64 v[8:9], v[12:13], v[8:9]
.LBB4_27:
	s_or_b32 exec_lo, exec_lo, s1
	s_delay_alu instid0(SALU_CYCLE_1)
	s_mov_b32 s1, exec_lo
	s_barrier
	buffer_gl0_inv
	ds_store_b64 v16, v[10:11]
	s_waitcnt lgkmcnt(0)
	s_barrier
	buffer_gl0_inv
	v_cmpx_ne_u32_e32 4, v0
	s_cbranch_execz .LBB4_31
; %bb.28:
	v_dual_mov_b32 v12, 0 :: v_dual_mov_b32 v15, v1
	v_lshl_add_u32 v16, v0, 3, 48
	v_dual_mov_b32 v13, 0 :: v_dual_mov_b32 v14, v0
	s_mov_b32 s2, 0
	.p2align	6
.LBB4_29:                               ; =>This Inner Loop Header: Depth=1
	s_delay_alu instid0(VALU_DEP_1)
	v_cmp_eq_u32_e32 vcc_lo, 1, v14
	ds_load_b64 v[17:18], v16
	v_cmp_eq_u32_e64 s0, 2, v14
	v_dual_cndmask_b32 v1, v3, v5 :: v_dual_add_nc_u32 v16, 8, v16
	v_cndmask_b32_e32 v19, v2, v4, vcc_lo
	v_cmp_eq_u32_e32 vcc_lo, 3, v14
	s_delay_alu instid0(VALU_DEP_3) | instskip(NEXT) | instid1(VALU_DEP_3)
	v_cndmask_b32_e64 v1, v1, v7, s0
	v_cndmask_b32_e64 v19, v19, v6, s0
	v_cmp_eq_u32_e64 s0, 4, v14
	s_delay_alu instid0(VALU_DEP_3) | instskip(NEXT) | instid1(VALU_DEP_3)
	v_cndmask_b32_e32 v1, v1, v9, vcc_lo
	v_cndmask_b32_e32 v19, v19, v8, vcc_lo
	v_add_co_u32 v14, vcc_lo, v14, 1
	v_add_co_ci_u32_e32 v15, vcc_lo, 0, v15, vcc_lo
	s_delay_alu instid0(VALU_DEP_4) | instskip(NEXT) | instid1(VALU_DEP_4)
	v_cndmask_b32_e64 v20, v1, v11, s0
	v_cndmask_b32_e64 v19, v19, v10, s0
	s_delay_alu instid0(VALU_DEP_4) | instskip(SKIP_1) | instid1(VALU_DEP_2)
	v_add_nc_u32_e32 v1, -1, v14
	s_waitcnt lgkmcnt(0)
	v_fma_f64 v[12:13], v[19:20], v[17:18], v[12:13]
	s_delay_alu instid0(VALU_DEP_2) | instskip(SKIP_1) | instid1(SALU_CYCLE_1)
	v_cmp_lt_u32_e32 vcc_lo, 2, v1
	s_or_b32 s2, vcc_lo, s2
	s_and_not1_b32 exec_lo, exec_lo, s2
	s_cbranch_execnz .LBB4_29
; %bb.30:
	s_or_b32 exec_lo, exec_lo, s2
	v_mov_b32_e32 v1, 0
	ds_load_b64 v[10:11], v1 offset:32
	s_waitcnt lgkmcnt(0)
	v_mul_f64 v[10:11], v[12:13], v[10:11]
.LBB4_31:
	s_or_b32 exec_lo, exec_lo, s1
	s_barrier
	buffer_gl0_inv
	s_cbranch_execnz .LBB4_15
	s_branch .LBB4_16
.LBB4_32:
	v_lshl_add_u32 v1, v0, 3, 48
	s_mov_b32 s0, exec_lo
	v_cmpx_eq_u32_e32 4, v0
	s_cbranch_execz .LBB4_34
; %bb.33:
	v_dual_mov_b32 v18, 0 :: v_dual_mov_b32 v13, v3
	v_dual_mov_b32 v12, v2 :: v_dual_mov_b32 v15, v5
	;; [unrolled: 1-line block ×3, first 2 shown]
	s_delay_alu instid0(VALU_DEP_3)
	v_mov_b32_e32 v19, v18
	v_mov_b32_e32 v20, v10
	v_dual_mov_b32 v14, v4 :: v_dual_mov_b32 v17, v7
	ds_store_b64 v1, v[8:9]
	v_mov_b32_e32 v2, v12
	v_dual_mov_b32 v3, v13 :: v_dual_mov_b32 v4, v14
	v_dual_mov_b32 v5, v15 :: v_dual_mov_b32 v6, v16
	;; [unrolled: 1-line block ×5, first 2 shown]
	v_mov_b32_e32 v13, v23
	v_mov_b32_e32 v14, v24
	v_mov_b32_e32 v15, v25
	v_mov_b32_e32 v16, v26
	v_mov_b32_e32 v17, v27
.LBB4_34:
	s_or_b32 exec_lo, exec_lo, s0
	v_mov_b32_e32 v18, 0
	s_waitcnt lgkmcnt(0)
	s_waitcnt_vscnt null, 0x0
	s_barrier
	buffer_gl0_inv
	s_mov_b32 s0, exec_lo
	ds_load_b64 v[12:13], v18 offset:80
	s_waitcnt lgkmcnt(0)
	v_fma_f64 v[12:13], v[10:11], v[12:13], 0
	s_delay_alu instid0(VALU_DEP_1)
	v_add_f64 v[8:9], v[8:9], -v[12:13]
	v_cmpx_lt_u32_e32 2, v0
	s_cbranch_execz .LBB4_36
; %bb.35:
	v_dual_mov_b32 v14, v2 :: v_dual_mov_b32 v15, v3
	s_delay_alu instid0(VALU_DEP_3) | instskip(NEXT) | instid1(VALU_DEP_4)
	v_dual_mov_b32 v19, v18 :: v_dual_mov_b32 v20, v8
	v_dual_mov_b32 v21, v9 :: v_dual_mov_b32 v22, v10
	;; [unrolled: 1-line block ×3, first 2 shown]
	v_mov_b32_e32 v17, v5
	ds_store_b64 v1, v[6:7]
	v_mov_b32_e32 v2, v14
	v_dual_mov_b32 v3, v15 :: v_dual_mov_b32 v4, v16
	v_dual_mov_b32 v5, v17 :: v_dual_mov_b32 v6, v18
	v_dual_mov_b32 v7, v19 :: v_dual_mov_b32 v8, v20
	v_dual_mov_b32 v9, v21 :: v_dual_mov_b32 v10, v22
	v_dual_mov_b32 v11, v23 :: v_dual_mov_b32 v12, v24
	v_dual_mov_b32 v13, v25 :: v_dual_mov_b32 v14, v26
	v_mov_b32_e32 v15, v27
	v_mov_b32_e32 v16, v28
	;; [unrolled: 1-line block ×3, first 2 shown]
.LBB4_36:
	s_or_b32 exec_lo, exec_lo, s0
	s_waitcnt lgkmcnt(0)
	s_barrier
	buffer_gl0_inv
	ds_load_2addr_b64 v[12:15], v18 offset0:9 offset1:10
	s_mov_b32 s0, exec_lo
	s_waitcnt lgkmcnt(0)
	v_fma_f64 v[12:13], v[8:9], v[12:13], 0
	s_delay_alu instid0(VALU_DEP_1) | instskip(NEXT) | instid1(VALU_DEP_1)
	v_fma_f64 v[12:13], v[10:11], v[14:15], v[12:13]
	v_add_f64 v[6:7], v[6:7], -v[12:13]
	v_cmpx_lt_u32_e32 1, v0
	s_cbranch_execz .LBB4_38
; %bb.37:
	v_dual_mov_b32 v14, 0 :: v_dual_mov_b32 v13, v3
	s_delay_alu instid0(VALU_DEP_3) | instskip(NEXT) | instid1(VALU_DEP_4)
	v_dual_mov_b32 v12, v2 :: v_dual_mov_b32 v17, v7
	v_dual_mov_b32 v16, v6 :: v_dual_mov_b32 v19, v9
	s_delay_alu instid0(VALU_DEP_3)
	v_dual_mov_b32 v15, v14 :: v_dual_mov_b32 v18, v8
	v_dual_mov_b32 v20, v10 :: v_dual_mov_b32 v21, v11
	ds_store_b64 v1, v[4:5]
	v_mov_b32_e32 v2, v12
	v_dual_mov_b32 v3, v13 :: v_dual_mov_b32 v4, v14
	v_dual_mov_b32 v5, v15 :: v_dual_mov_b32 v6, v16
	v_dual_mov_b32 v7, v17 :: v_dual_mov_b32 v8, v18
	v_dual_mov_b32 v9, v19 :: v_dual_mov_b32 v10, v20
	v_dual_mov_b32 v11, v21 :: v_dual_mov_b32 v12, v22
	v_mov_b32_e32 v13, v23
	v_mov_b32_e32 v14, v24
	;; [unrolled: 1-line block ×5, first 2 shown]
.LBB4_38:
	s_or_b32 exec_lo, exec_lo, s0
	v_mov_b32_e32 v18, 0
	s_waitcnt lgkmcnt(0)
	s_barrier
	buffer_gl0_inv
	s_mov_b32 s0, exec_lo
	ds_load_b128 v[12:15], v18 offset:64
	ds_load_b64 v[16:17], v18 offset:80
	s_waitcnt lgkmcnt(1)
	v_fma_f64 v[12:13], v[6:7], v[12:13], 0
	s_delay_alu instid0(VALU_DEP_1) | instskip(SKIP_1) | instid1(VALU_DEP_1)
	v_fma_f64 v[12:13], v[8:9], v[14:15], v[12:13]
	s_waitcnt lgkmcnt(0)
	v_fma_f64 v[12:13], v[10:11], v[16:17], v[12:13]
	s_delay_alu instid0(VALU_DEP_1)
	v_add_f64 v[4:5], v[4:5], -v[12:13]
	v_cmpx_ne_u32_e32 0, v0
	s_cbranch_execz .LBB4_40
; %bb.39:
	s_delay_alu instid0(VALU_DEP_2) | instskip(NEXT) | instid1(VALU_DEP_3)
	v_dual_mov_b32 v19, v18 :: v_dual_mov_b32 v20, v4
	v_dual_mov_b32 v21, v5 :: v_dual_mov_b32 v22, v6
	;; [unrolled: 1-line block ×4, first 2 shown]
	v_mov_b32_e32 v27, v11
	ds_store_b64 v1, v[2:3]
	v_dual_mov_b32 v2, v18 :: v_dual_mov_b32 v3, v19
	v_dual_mov_b32 v4, v20 :: v_dual_mov_b32 v5, v21
	;; [unrolled: 1-line block ×8, first 2 shown]
.LBB4_40:
	s_or_b32 exec_lo, exec_lo, s0
	s_waitcnt lgkmcnt(0)
	s_barrier
	buffer_gl0_inv
	ds_load_2addr_b64 v[12:15], v18 offset0:7 offset1:8
	ds_load_2addr_b64 v[16:19], v18 offset0:9 offset1:10
	s_and_b32 vcc_lo, exec_lo, s16
	s_waitcnt lgkmcnt(1)
	v_fma_f64 v[0:1], v[4:5], v[12:13], 0
	s_delay_alu instid0(VALU_DEP_1) | instskip(SKIP_1) | instid1(VALU_DEP_1)
	v_fma_f64 v[0:1], v[6:7], v[14:15], v[0:1]
	s_waitcnt lgkmcnt(0)
	v_fma_f64 v[0:1], v[8:9], v[16:17], v[0:1]
	s_delay_alu instid0(VALU_DEP_1) | instskip(NEXT) | instid1(VALU_DEP_1)
	v_fma_f64 v[0:1], v[10:11], v[18:19], v[0:1]
	v_add_f64 v[2:3], v[2:3], -v[0:1]
	s_cbranch_vccz .LBB4_50
; %bb.41:
	v_dual_mov_b32 v0, s12 :: v_dual_mov_b32 v1, s13
	s_mov_b32 s4, exec_lo
	flat_load_b32 v0, v[0:1] offset:12
	s_waitcnt vmcnt(0) lgkmcnt(0)
	v_add_nc_u32_e32 v0, -1, v0
	s_delay_alu instid0(VALU_DEP_1)
	v_cmpx_ne_u32_e32 3, v0
	s_cbranch_execz .LBB4_43
; %bb.42:
	v_cmp_eq_u32_e32 vcc_lo, 1, v0
	v_cmp_eq_u32_e64 s0, 2, v0
	v_cmp_eq_u32_e64 s1, 3, v0
	;; [unrolled: 1-line block ×4, first 2 shown]
	v_dual_cndmask_b32 v1, v2, v4 :: v_dual_cndmask_b32 v12, v3, v5
	v_cndmask_b32_e64 v16, v7, v9, s0
	v_cndmask_b32_e64 v15, v6, v8, s0
	s_delay_alu instid0(VALU_DEP_4) | instskip(NEXT) | instid1(VALU_DEP_4)
	v_cndmask_b32_e64 v20, v11, v9, s3
	v_cndmask_b32_e64 v1, v1, v6, s0
	;; [unrolled: 1-line block ×5, first 2 shown]
	v_cndmask_b32_e32 v14, v5, v9, vcc_lo
	v_cndmask_b32_e64 v1, v1, v8, s1
	v_cndmask_b32_e64 v3, v13, v9, s1
	v_cndmask_b32_e32 v13, v4, v8, vcc_lo
	s_delay_alu instid0(VALU_DEP_3) | instskip(NEXT) | instid1(VALU_DEP_3)
	v_cndmask_b32_e64 v0, v1, v10, s3
	v_cndmask_b32_e64 v1, v3, v11, s3
	;; [unrolled: 1-line block ×3, first 2 shown]
	s_delay_alu instid0(VALU_DEP_3) | instskip(NEXT) | instid1(VALU_DEP_3)
	v_cndmask_b32_e64 v17, v0, v8, s1
	v_cndmask_b32_e64 v18, v1, v9, s1
	s_delay_alu instid0(VALU_DEP_3)
	v_mov_b32_e32 v2, v11
	v_dual_mov_b32 v3, v12 :: v_dual_mov_b32 v4, v13
	v_dual_mov_b32 v5, v14 :: v_dual_mov_b32 v6, v15
	;; [unrolled: 1-line block ×4, first 2 shown]
	v_mov_b32_e32 v11, v20
	v_mov_b32_e32 v12, v21
	;; [unrolled: 1-line block ×7, first 2 shown]
.LBB4_43:
	s_or_b32 exec_lo, exec_lo, s4
	v_dual_mov_b32 v0, s12 :: v_dual_mov_b32 v1, s13
	s_mov_b32 s4, exec_lo
	flat_load_b32 v0, v[0:1] offset:8
	s_waitcnt vmcnt(0) lgkmcnt(0)
	v_add_nc_u32_e32 v0, -1, v0
	s_delay_alu instid0(VALU_DEP_1)
	v_cmpx_ne_u32_e32 2, v0
	s_cbranch_execz .LBB4_45
; %bb.44:
	v_cmp_eq_u32_e32 vcc_lo, 1, v0
	v_cmp_eq_u32_e64 s0, 2, v0
	v_cmp_eq_u32_e64 s1, 3, v0
	;; [unrolled: 1-line block ×4, first 2 shown]
	v_dual_cndmask_b32 v1, v2, v4 :: v_dual_cndmask_b32 v12, v3, v5
	s_delay_alu instid0(VALU_DEP_4) | instskip(SKIP_1) | instid1(VALU_DEP_4)
	v_cndmask_b32_e64 v18, v9, v7, s1
	v_cndmask_b32_e32 v14, v5, v7, vcc_lo
	v_cndmask_b32_e64 v20, v11, v7, s3
	s_delay_alu instid0(VALU_DEP_4)
	v_cndmask_b32_e64 v1, v1, v6, s0
	v_cndmask_b32_e64 v13, v12, v7, s0
	;; [unrolled: 1-line block ×7, first 2 shown]
	v_cndmask_b32_e32 v13, v4, v6, vcc_lo
	s_delay_alu instid0(VALU_DEP_3) | instskip(NEXT) | instid1(VALU_DEP_3)
	v_cndmask_b32_e64 v0, v1, v10, s3
	v_cndmask_b32_e64 v1, v3, v11, s3
	;; [unrolled: 1-line block ×3, first 2 shown]
	s_delay_alu instid0(VALU_DEP_3) | instskip(NEXT) | instid1(VALU_DEP_3)
	v_cndmask_b32_e64 v15, v0, v6, s0
	v_cndmask_b32_e64 v16, v1, v7, s0
	s_delay_alu instid0(VALU_DEP_3) | instskip(SKIP_1) | instid1(VALU_DEP_4)
	v_mov_b32_e32 v2, v11
	v_dual_mov_b32 v3, v12 :: v_dual_mov_b32 v4, v13
	v_dual_mov_b32 v5, v14 :: v_dual_mov_b32 v6, v15
	s_delay_alu instid0(VALU_DEP_4)
	v_dual_mov_b32 v7, v16 :: v_dual_mov_b32 v8, v17
	v_dual_mov_b32 v9, v18 :: v_dual_mov_b32 v10, v19
	v_mov_b32_e32 v11, v20
	v_mov_b32_e32 v12, v21
	;; [unrolled: 1-line block ×7, first 2 shown]
.LBB4_45:
	s_or_b32 exec_lo, exec_lo, s4
	v_dual_mov_b32 v0, s12 :: v_dual_mov_b32 v1, s13
	s_mov_b32 s4, exec_lo
	flat_load_b32 v0, v[0:1] offset:4
	s_waitcnt vmcnt(0) lgkmcnt(0)
	v_add_nc_u32_e32 v0, -1, v0
	s_delay_alu instid0(VALU_DEP_1)
	v_cmpx_ne_u32_e32 1, v0
	s_cbranch_execz .LBB4_47
; %bb.46:
	v_cmp_eq_u32_e32 vcc_lo, 1, v0
	v_cmp_eq_u32_e64 s0, 2, v0
	v_cmp_eq_u32_e64 s1, 3, v0
	v_cmp_eq_u32_e64 s2, 0, v0
	v_cmp_eq_u32_e64 s3, 4, v0
	v_dual_cndmask_b32 v1, v2, v4 :: v_dual_cndmask_b32 v12, v3, v5
	s_delay_alu instid0(VALU_DEP_4) | instskip(SKIP_1) | instid1(VALU_DEP_4)
	v_cndmask_b32_e64 v18, v9, v5, s1
	v_cndmask_b32_e64 v16, v7, v5, s0
	;; [unrolled: 1-line block ×3, first 2 shown]
	s_delay_alu instid0(VALU_DEP_4)
	v_cndmask_b32_e64 v1, v1, v6, s0
	v_cndmask_b32_e64 v13, v12, v7, s0
	;; [unrolled: 1-line block ×8, first 2 shown]
	s_delay_alu instid0(VALU_DEP_3) | instskip(NEXT) | instid1(VALU_DEP_3)
	v_cndmask_b32_e64 v0, v1, v10, s3
	v_cndmask_b32_e64 v1, v3, v11, s3
	v_cndmask_b32_e64 v11, v2, v4, s2
	s_delay_alu instid0(VALU_DEP_2) | instskip(NEXT) | instid1(VALU_DEP_2)
	v_dual_cndmask_b32 v13, v0, v4 :: v_dual_cndmask_b32 v14, v1, v5
	v_mov_b32_e32 v2, v11
	s_delay_alu instid0(VALU_DEP_2) | instskip(NEXT) | instid1(VALU_DEP_3)
	v_dual_mov_b32 v3, v12 :: v_dual_mov_b32 v4, v13
	v_dual_mov_b32 v5, v14 :: v_dual_mov_b32 v6, v15
	;; [unrolled: 1-line block ×4, first 2 shown]
	v_mov_b32_e32 v11, v20
	v_mov_b32_e32 v12, v21
	;; [unrolled: 1-line block ×7, first 2 shown]
.LBB4_47:
	s_or_b32 exec_lo, exec_lo, s4
	v_dual_mov_b32 v0, s12 :: v_dual_mov_b32 v1, s13
	s_mov_b32 s3, exec_lo
	flat_load_b32 v0, v[0:1]
	s_waitcnt vmcnt(0) lgkmcnt(0)
	v_add_nc_u32_e32 v0, -1, v0
	s_delay_alu instid0(VALU_DEP_1)
	v_cmpx_ne_u32_e32 0, v0
	s_cbranch_execz .LBB4_49
; %bb.48:
	v_cmp_eq_u32_e32 vcc_lo, 1, v0
	v_cmp_eq_u32_e64 s0, 2, v0
	v_cmp_eq_u32_e64 s1, 3, v0
	;; [unrolled: 1-line block ×3, first 2 shown]
	v_dual_cndmask_b32 v1, v2, v4 :: v_dual_cndmask_b32 v12, v3, v5
	s_delay_alu instid0(VALU_DEP_4) | instskip(SKIP_2) | instid1(VALU_DEP_4)
	v_cndmask_b32_e64 v14, v7, v3, s0
	v_cndmask_b32_e64 v13, v6, v2, s0
	;; [unrolled: 1-line block ×5, first 2 shown]
	v_cmp_eq_u32_e64 s0, 0, v0
	v_cndmask_b32_e64 v18, v11, v3, s2
	v_cndmask_b32_e64 v15, v8, v2, s1
	;; [unrolled: 1-line block ×4, first 2 shown]
	v_cndmask_b32_e32 v12, v5, v3, vcc_lo
	v_cndmask_b32_e64 v17, v10, v2, s2
	s_delay_alu instid0(VALU_DEP_4) | instskip(NEXT) | instid1(VALU_DEP_4)
	v_cndmask_b32_e64 v1, v1, v10, s2
	v_cndmask_b32_e64 v5, v7, v11, s2
	v_cndmask_b32_e32 v11, v4, v2, vcc_lo
	s_delay_alu instid0(VALU_DEP_3) | instskip(NEXT) | instid1(VALU_DEP_3)
	v_cndmask_b32_e64 v9, v1, v2, s0
	v_cndmask_b32_e64 v10, v5, v3, s0
	s_delay_alu instid0(VALU_DEP_2) | instskip(NEXT) | instid1(VALU_DEP_2)
	v_mov_b32_e32 v2, v9
	v_dual_mov_b32 v3, v10 :: v_dual_mov_b32 v4, v11
	v_dual_mov_b32 v5, v12 :: v_dual_mov_b32 v6, v13
	;; [unrolled: 1-line block ×3, first 2 shown]
	v_mov_b32_e32 v9, v16
	v_mov_b32_e32 v10, v17
	v_mov_b32_e32 v11, v18
	v_mov_b32_e32 v12, v19
	v_mov_b32_e32 v13, v20
	v_mov_b32_e32 v14, v21
	v_mov_b32_e32 v15, v22
	v_mov_b32_e32 v16, v23
	v_mov_b32_e32 v17, v24
.LBB4_49:
	s_or_b32 exec_lo, exec_lo, s3
.LBB4_50:
	s_clause 0x4
	global_store_b64 v[28:29], v[2:3], off
	global_store_b64 v[36:37], v[4:5], off
	global_store_b64 v[32:33], v[6:7], off
	global_store_b64 v[34:35], v[8:9], off
	global_store_b64 v[30:31], v[10:11], off
	s_nop 0
	s_sendmsg sendmsg(MSG_DEALLOC_VGPRS)
	s_endpgm
	.section	.rodata,"a",@progbits
	.p2align	6, 0x0
	.amdhsa_kernel _ZN9rocsolver6v33100L18getri_kernel_smallILi5EdPdEEvT1_iilPiilS4_bb
		.amdhsa_group_segment_fixed_size 88
		.amdhsa_private_segment_fixed_size 0
		.amdhsa_kernarg_size 60
		.amdhsa_user_sgpr_count 15
		.amdhsa_user_sgpr_dispatch_ptr 0
		.amdhsa_user_sgpr_queue_ptr 0
		.amdhsa_user_sgpr_kernarg_segment_ptr 1
		.amdhsa_user_sgpr_dispatch_id 0
		.amdhsa_user_sgpr_private_segment_size 0
		.amdhsa_wavefront_size32 1
		.amdhsa_uses_dynamic_stack 0
		.amdhsa_enable_private_segment 0
		.amdhsa_system_sgpr_workgroup_id_x 1
		.amdhsa_system_sgpr_workgroup_id_y 0
		.amdhsa_system_sgpr_workgroup_id_z 0
		.amdhsa_system_sgpr_workgroup_info 0
		.amdhsa_system_vgpr_workitem_id 0
		.amdhsa_next_free_vgpr 38
		.amdhsa_next_free_sgpr 18
		.amdhsa_reserve_vcc 1
		.amdhsa_float_round_mode_32 0
		.amdhsa_float_round_mode_16_64 0
		.amdhsa_float_denorm_mode_32 3
		.amdhsa_float_denorm_mode_16_64 3
		.amdhsa_dx10_clamp 1
		.amdhsa_ieee_mode 1
		.amdhsa_fp16_overflow 0
		.amdhsa_workgroup_processor_mode 1
		.amdhsa_memory_ordered 1
		.amdhsa_forward_progress 0
		.amdhsa_shared_vgpr_count 0
		.amdhsa_exception_fp_ieee_invalid_op 0
		.amdhsa_exception_fp_denorm_src 0
		.amdhsa_exception_fp_ieee_div_zero 0
		.amdhsa_exception_fp_ieee_overflow 0
		.amdhsa_exception_fp_ieee_underflow 0
		.amdhsa_exception_fp_ieee_inexact 0
		.amdhsa_exception_int_div_zero 0
	.end_amdhsa_kernel
	.section	.text._ZN9rocsolver6v33100L18getri_kernel_smallILi5EdPdEEvT1_iilPiilS4_bb,"axG",@progbits,_ZN9rocsolver6v33100L18getri_kernel_smallILi5EdPdEEvT1_iilPiilS4_bb,comdat
.Lfunc_end4:
	.size	_ZN9rocsolver6v33100L18getri_kernel_smallILi5EdPdEEvT1_iilPiilS4_bb, .Lfunc_end4-_ZN9rocsolver6v33100L18getri_kernel_smallILi5EdPdEEvT1_iilPiilS4_bb
                                        ; -- End function
	.section	.AMDGPU.csdata,"",@progbits
; Kernel info:
; codeLenInByte = 3884
; NumSgprs: 20
; NumVgprs: 38
; ScratchSize: 0
; MemoryBound: 0
; FloatMode: 240
; IeeeMode: 1
; LDSByteSize: 88 bytes/workgroup (compile time only)
; SGPRBlocks: 2
; VGPRBlocks: 4
; NumSGPRsForWavesPerEU: 20
; NumVGPRsForWavesPerEU: 38
; Occupancy: 16
; WaveLimiterHint : 0
; COMPUTE_PGM_RSRC2:SCRATCH_EN: 0
; COMPUTE_PGM_RSRC2:USER_SGPR: 15
; COMPUTE_PGM_RSRC2:TRAP_HANDLER: 0
; COMPUTE_PGM_RSRC2:TGID_X_EN: 1
; COMPUTE_PGM_RSRC2:TGID_Y_EN: 0
; COMPUTE_PGM_RSRC2:TGID_Z_EN: 0
; COMPUTE_PGM_RSRC2:TIDIG_COMP_CNT: 0
	.section	.text._ZN9rocsolver6v33100L18getri_kernel_smallILi6EdPdEEvT1_iilPiilS4_bb,"axG",@progbits,_ZN9rocsolver6v33100L18getri_kernel_smallILi6EdPdEEvT1_iilPiilS4_bb,comdat
	.globl	_ZN9rocsolver6v33100L18getri_kernel_smallILi6EdPdEEvT1_iilPiilS4_bb ; -- Begin function _ZN9rocsolver6v33100L18getri_kernel_smallILi6EdPdEEvT1_iilPiilS4_bb
	.p2align	8
	.type	_ZN9rocsolver6v33100L18getri_kernel_smallILi6EdPdEEvT1_iilPiilS4_bb,@function
_ZN9rocsolver6v33100L18getri_kernel_smallILi6EdPdEEvT1_iilPiilS4_bb: ; @_ZN9rocsolver6v33100L18getri_kernel_smallILi6EdPdEEvT1_iilPiilS4_bb
; %bb.0:
	s_mov_b32 s2, exec_lo
	v_cmpx_gt_u32_e32 6, v0
	s_cbranch_execz .LBB5_16
; %bb.1:
	s_clause 0x2
	s_load_b32 s17, s[0:1], 0x38
	s_load_b128 s[8:11], s[0:1], 0x10
	s_load_b128 s[4:7], s[0:1], 0x28
	s_mov_b32 s14, s15
                                        ; implicit-def: $sgpr12_sgpr13
	s_waitcnt lgkmcnt(0)
	s_bitcmp1_b32 s17, 8
	s_cselect_b32 s16, -1, 0
	s_bfe_u32 s2, s17, 0x10008
	s_ashr_i32 s15, s15, 31
	s_cmp_eq_u32 s2, 0
	s_cbranch_scc1 .LBB5_3
; %bb.2:
	s_load_b32 s2, s[0:1], 0x20
	s_mul_i32 s3, s14, s5
	s_mul_hi_u32 s5, s14, s4
	s_mul_i32 s12, s15, s4
	s_add_i32 s3, s5, s3
	s_mul_i32 s4, s14, s4
	s_add_i32 s5, s3, s12
	s_delay_alu instid0(SALU_CYCLE_1)
	s_lshl_b64 s[4:5], s[4:5], 2
	s_waitcnt lgkmcnt(0)
	s_ashr_i32 s3, s2, 31
	s_add_u32 s4, s10, s4
	s_addc_u32 s5, s11, s5
	s_lshl_b64 s[2:3], s[2:3], 2
	s_delay_alu instid0(SALU_CYCLE_1)
	s_add_u32 s12, s4, s2
	s_addc_u32 s13, s5, s3
.LBB5_3:
	s_load_b128 s[0:3], s[0:1], 0x0
	s_mul_i32 s4, s14, s9
	s_mul_hi_u32 s5, s14, s8
	s_mul_i32 s9, s15, s8
	s_add_i32 s5, s5, s4
	s_mul_i32 s4, s14, s8
	s_add_i32 s5, s5, s9
	v_lshlrev_b32_e32 v16, 3, v0
	s_lshl_b64 s[4:5], s[4:5], 3
	s_waitcnt lgkmcnt(0)
	v_add3_u32 v1, s3, s3, v0
	s_ashr_i32 s9, s2, 31
	s_mov_b32 s8, s2
	s_add_u32 s2, s0, s4
	s_addc_u32 s5, s1, s5
	v_add_nc_u32_e32 v3, s3, v1
	s_lshl_b64 s[0:1], s[8:9], 3
	v_ashrrev_i32_e32 v2, 31, v1
	s_add_u32 s0, s2, s0
	s_addc_u32 s1, s5, s1
	v_add_nc_u32_e32 v5, s3, v3
	v_add_co_u32 v28, s2, s0, v16
	v_ashrrev_i32_e32 v4, 31, v3
	s_mov_b32 s4, s3
	s_ashr_i32 s5, s3, 31
	v_add_co_ci_u32_e64 v29, null, s1, 0, s2
	v_lshlrev_b64 v[1:2], 3, v[1:2]
	s_lshl_b64 s[4:5], s[4:5], 3
	v_add_nc_u32_e32 v7, s3, v5
	v_add_co_u32 v30, vcc_lo, v28, s4
	v_lshlrev_b64 v[3:4], 3, v[3:4]
	v_ashrrev_i32_e32 v6, 31, v5
	v_add_co_ci_u32_e32 v31, vcc_lo, s5, v29, vcc_lo
	v_add_co_u32 v38, vcc_lo, s0, v1
	v_ashrrev_i32_e32 v8, 31, v7
	v_add_co_ci_u32_e32 v39, vcc_lo, s1, v2, vcc_lo
	v_lshlrev_b64 v[1:2], 3, v[5:6]
	v_add_co_u32 v34, vcc_lo, s0, v3
	v_add_co_ci_u32_e32 v35, vcc_lo, s1, v4, vcc_lo
	v_lshlrev_b64 v[3:4], 3, v[7:8]
	s_delay_alu instid0(VALU_DEP_4) | instskip(SKIP_2) | instid1(VALU_DEP_4)
	v_add_co_u32 v36, vcc_lo, s0, v1
	v_mov_b32_e32 v1, 0
	v_add_co_ci_u32_e32 v37, vcc_lo, s1, v2, vcc_lo
	v_add_co_u32 v32, vcc_lo, s0, v3
	v_add_co_ci_u32_e32 v33, vcc_lo, s1, v4, vcc_lo
	s_clause 0x5
	global_load_b64 v[4:5], v[30:31], off
	global_load_b64 v[6:7], v[38:39], off
	;; [unrolled: 1-line block ×4, first 2 shown]
	global_load_b64 v[2:3], v16, s[0:1]
	global_load_b64 v[12:13], v[32:33], off
	s_bitcmp0_b32 s17, 0
	s_mov_b32 s0, -1
	s_cbranch_scc1 .LBB5_14
; %bb.4:
	v_cmp_eq_u32_e64 s0, 0, v0
	s_delay_alu instid0(VALU_DEP_1)
	s_and_saveexec_b32 s1, s0
	s_cbranch_execz .LBB5_6
; %bb.5:
	v_mov_b32_e32 v14, 0
	ds_store_b32 v14, v14 offset:96
.LBB5_6:
	s_or_b32 exec_lo, exec_lo, s1
	v_cmp_eq_u32_e32 vcc_lo, 1, v0
	s_mov_b32 s2, exec_lo
	s_waitcnt vmcnt(0) lgkmcnt(0)
	s_barrier
	buffer_gl0_inv
	v_dual_cndmask_b32 v14, v3, v5 :: v_dual_cndmask_b32 v15, v2, v4
	v_cmp_eq_u32_e32 vcc_lo, 2, v0
	s_delay_alu instid0(VALU_DEP_2) | instskip(SKIP_1) | instid1(VALU_DEP_2)
	v_dual_cndmask_b32 v14, v14, v7 :: v_dual_cndmask_b32 v15, v15, v6
	v_cmp_eq_u32_e32 vcc_lo, 3, v0
	v_dual_cndmask_b32 v14, v14, v9 :: v_dual_cndmask_b32 v15, v15, v8
	v_cmp_eq_u32_e32 vcc_lo, 4, v0
	s_delay_alu instid0(VALU_DEP_2) | instskip(SKIP_1) | instid1(VALU_DEP_2)
	v_dual_cndmask_b32 v14, v14, v11 :: v_dual_cndmask_b32 v17, v15, v10
	v_cmp_eq_u32_e32 vcc_lo, 5, v0
	v_dual_cndmask_b32 v15, v14, v13 :: v_dual_cndmask_b32 v14, v17, v12
	s_delay_alu instid0(VALU_DEP_1)
	v_cmpx_eq_f64_e32 0, v[14:15]
	s_cbranch_execz .LBB5_10
; %bb.7:
	v_mov_b32_e32 v17, 0
	s_mov_b32 s3, 0
	ds_load_b32 v18, v17 offset:96
	s_waitcnt lgkmcnt(0)
	v_readfirstlane_b32 s1, v18
	v_add_nc_u32_e32 v18, 1, v0
	s_delay_alu instid0(VALU_DEP_2) | instskip(NEXT) | instid1(VALU_DEP_1)
	s_cmp_eq_u32 s1, 0
	v_cmp_gt_i32_e32 vcc_lo, s1, v18
	s_cselect_b32 s4, -1, 0
	s_delay_alu instid0(SALU_CYCLE_1) | instskip(NEXT) | instid1(SALU_CYCLE_1)
	s_or_b32 s4, s4, vcc_lo
	s_and_b32 exec_lo, exec_lo, s4
	s_cbranch_execz .LBB5_10
; %bb.8:
	v_mov_b32_e32 v19, s1
.LBB5_9:                                ; =>This Inner Loop Header: Depth=1
	ds_cmpstore_rtn_b32 v19, v17, v18, v19 offset:96
	s_waitcnt lgkmcnt(0)
	v_cmp_ne_u32_e32 vcc_lo, 0, v19
	v_cmp_le_i32_e64 s1, v19, v18
	s_delay_alu instid0(VALU_DEP_1) | instskip(NEXT) | instid1(SALU_CYCLE_1)
	s_and_b32 s1, vcc_lo, s1
	s_and_b32 s1, exec_lo, s1
	s_delay_alu instid0(SALU_CYCLE_1) | instskip(NEXT) | instid1(SALU_CYCLE_1)
	s_or_b32 s3, s1, s3
	s_and_not1_b32 exec_lo, exec_lo, s3
	s_cbranch_execnz .LBB5_9
.LBB5_10:
	s_or_b32 exec_lo, exec_lo, s2
	v_mov_b32_e32 v17, 0
	s_barrier
	buffer_gl0_inv
	ds_load_b32 v18, v17 offset:96
	s_and_saveexec_b32 s1, s0
	s_cbranch_execz .LBB5_12
; %bb.11:
	s_lshl_b64 s[2:3], s[14:15], 2
	s_delay_alu instid0(SALU_CYCLE_1)
	s_add_u32 s2, s6, s2
	s_addc_u32 s3, s7, s3
	s_waitcnt lgkmcnt(0)
	global_store_b32 v17, v18, s[2:3]
.LBB5_12:
	s_or_b32 exec_lo, exec_lo, s1
	s_waitcnt lgkmcnt(0)
	v_cmp_ne_u32_e32 vcc_lo, 0, v18
	s_cbranch_vccz .LBB5_17
; %bb.13:
	s_mov_b32 s0, 0
                                        ; implicit-def: $vgpr2_vgpr3_vgpr4_vgpr5_vgpr6_vgpr7_vgpr8_vgpr9_vgpr10_vgpr11_vgpr12_vgpr13_vgpr14_vgpr15_vgpr16_vgpr17
.LBB5_14:
	s_delay_alu instid0(SALU_CYCLE_1)
	s_and_b32 vcc_lo, exec_lo, s0
	s_cbranch_vccz .LBB5_16
.LBB5_15:
	s_lshl_b64 s[0:1], s[14:15], 2
	v_mov_b32_e32 v1, 0
	s_add_u32 s0, s6, s0
	s_addc_u32 s1, s7, s1
	global_load_b32 v1, v1, s[0:1]
	s_waitcnt vmcnt(0)
	v_cmp_ne_u32_e32 vcc_lo, 0, v1
	s_cbranch_vccz .LBB5_36
.LBB5_16:
	s_nop 0
	s_sendmsg sendmsg(MSG_DEALLOC_VGPRS)
	s_endpgm
.LBB5_17:
	v_div_scale_f64 v[17:18], null, v[14:15], v[14:15], 1.0
	v_div_scale_f64 v[23:24], vcc_lo, 1.0, v[14:15], 1.0
	v_cmp_eq_u32_e64 s1, 5, v0
	v_cmp_eq_u32_e64 s2, 3, v0
	;; [unrolled: 1-line block ×4, first 2 shown]
	v_rcp_f64_e32 v[19:20], v[17:18]
	s_waitcnt_depctr 0xfff
	v_fma_f64 v[21:22], -v[17:18], v[19:20], 1.0
	s_delay_alu instid0(VALU_DEP_1) | instskip(NEXT) | instid1(VALU_DEP_1)
	v_fma_f64 v[19:20], v[19:20], v[21:22], v[19:20]
	v_fma_f64 v[21:22], -v[17:18], v[19:20], 1.0
	s_delay_alu instid0(VALU_DEP_1) | instskip(NEXT) | instid1(VALU_DEP_1)
	v_fma_f64 v[19:20], v[19:20], v[21:22], v[19:20]
	v_mul_f64 v[21:22], v[23:24], v[19:20]
	s_delay_alu instid0(VALU_DEP_1) | instskip(NEXT) | instid1(VALU_DEP_1)
	v_fma_f64 v[17:18], -v[17:18], v[21:22], v[23:24]
	v_div_fmas_f64 v[17:18], v[17:18], v[19:20], v[21:22]
	v_cmp_eq_u32_e32 vcc_lo, 4, v0
	s_delay_alu instid0(VALU_DEP_2) | instskip(NEXT) | instid1(VALU_DEP_1)
	v_div_fixup_f64 v[14:15], v[17:18], v[14:15], 1.0
	v_dual_cndmask_b32 v11, v11, v15 :: v_dual_add_nc_u32 v18, 48, v16
	s_delay_alu instid0(VALU_DEP_2)
	v_cndmask_b32_e32 v10, v10, v14, vcc_lo
	v_cmp_eq_u32_e32 vcc_lo, 2, v0
	v_cndmask_b32_e64 v13, v13, v15, s1
	v_cndmask_b32_e64 v12, v12, v14, s1
	;; [unrolled: 1-line block ×4, first 2 shown]
	v_cndmask_b32_e32 v7, v7, v15, vcc_lo
	v_cndmask_b32_e64 v5, v5, v15, s3
	v_cndmask_b32_e64 v4, v4, v14, s3
	v_xor_b32_e32 v20, 0x80000000, v15
	v_mov_b32_e32 v19, v14
	v_cndmask_b32_e32 v6, v6, v14, vcc_lo
	v_cndmask_b32_e64 v3, v3, v15, s4
	v_cndmask_b32_e64 v2, v2, v14, s4
	ds_store_2addr_b64 v16, v[19:20], v[4:5] offset1:6
	s_waitcnt lgkmcnt(0)
	s_waitcnt_vscnt null, 0x0
	s_barrier
	buffer_gl0_inv
	s_and_saveexec_b32 s1, s0
	s_cbranch_execz .LBB5_19
; %bb.18:
	ds_load_b64 v[4:5], v18
	v_mov_b32_e32 v16, 0
	ds_load_b64 v[16:17], v16 offset:8
	s_waitcnt lgkmcnt(1)
	v_fma_f64 v[4:5], v[14:15], v[4:5], 0
	s_waitcnt lgkmcnt(0)
	s_delay_alu instid0(VALU_DEP_1)
	v_mul_f64 v[4:5], v[4:5], v[16:17]
.LBB5_19:
	s_or_b32 exec_lo, exec_lo, s1
	s_delay_alu instid0(SALU_CYCLE_1)
	s_mov_b32 s1, exec_lo
	s_barrier
	buffer_gl0_inv
	ds_store_b64 v18, v[6:7]
	s_waitcnt lgkmcnt(0)
	s_barrier
	buffer_gl0_inv
	v_cmpx_gt_u32_e32 2, v0
	s_cbranch_execz .LBB5_23
; %bb.20:
	v_cmp_eq_u32_e32 vcc_lo, 1, v0
	v_dual_cndmask_b32 v14, v3, v5 :: v_dual_cndmask_b32 v15, v2, v4
	v_cmp_eq_u32_e32 vcc_lo, 2, v0
	s_delay_alu instid0(VALU_DEP_2) | instskip(SKIP_4) | instid1(VALU_DEP_2)
	v_dual_cndmask_b32 v14, v14, v7 :: v_dual_cndmask_b32 v15, v15, v6
	v_cmp_eq_u32_e32 vcc_lo, 3, v0
	ds_load_b64 v[6:7], v18
	v_dual_cndmask_b32 v14, v14, v9 :: v_dual_cndmask_b32 v15, v15, v8
	v_cmp_eq_u32_e32 vcc_lo, 4, v0
	v_cndmask_b32_e32 v14, v14, v11, vcc_lo
	s_delay_alu instid0(VALU_DEP_3) | instskip(SKIP_1) | instid1(VALU_DEP_2)
	v_cndmask_b32_e32 v16, v15, v10, vcc_lo
	v_cmp_eq_u32_e32 vcc_lo, 5, v0
	v_dual_cndmask_b32 v15, v14, v13 :: v_dual_cndmask_b32 v14, v16, v12
	s_waitcnt lgkmcnt(0)
	s_delay_alu instid0(VALU_DEP_1)
	v_fma_f64 v[6:7], v[14:15], v[6:7], 0
	s_and_saveexec_b32 s2, s0
	s_cbranch_execz .LBB5_22
; %bb.21:
	v_mov_b32_e32 v14, 0
	ds_load_b64 v[14:15], v14 offset:56
	s_waitcnt lgkmcnt(0)
	v_fma_f64 v[6:7], v[4:5], v[14:15], v[6:7]
.LBB5_22:
	s_or_b32 exec_lo, exec_lo, s2
	v_mov_b32_e32 v14, 0
	ds_load_b64 v[14:15], v14 offset:16
	s_waitcnt lgkmcnt(0)
	v_mul_f64 v[6:7], v[6:7], v[14:15]
.LBB5_23:
	s_or_b32 exec_lo, exec_lo, s1
	s_delay_alu instid0(SALU_CYCLE_1)
	s_mov_b32 s1, exec_lo
	s_barrier
	buffer_gl0_inv
	ds_store_b64 v18, v[8:9]
	s_waitcnt lgkmcnt(0)
	s_barrier
	buffer_gl0_inv
	v_cmpx_gt_u32_e32 3, v0
	s_cbranch_execz .LBB5_27
; %bb.24:
	v_dual_mov_b32 v14, 0 :: v_dual_mov_b32 v17, v1
	v_lshl_add_u32 v19, v0, 3, 48
	v_dual_mov_b32 v15, 0 :: v_dual_mov_b32 v16, v0
	s_mov_b32 s2, 0
	s_set_inst_prefetch_distance 0x1
	.p2align	6
.LBB5_25:                               ; =>This Inner Loop Header: Depth=1
	s_delay_alu instid0(VALU_DEP_1)
	v_cmp_eq_u32_e32 vcc_lo, 1, v16
	v_cmp_eq_u32_e64 s0, 2, v16
	ds_load_b64 v[20:21], v19
	v_dual_cndmask_b32 v22, v3, v5 :: v_dual_add_nc_u32 v19, 8, v19
	v_cndmask_b32_e32 v23, v2, v4, vcc_lo
	v_cmp_eq_u32_e32 vcc_lo, 3, v16
	s_delay_alu instid0(VALU_DEP_3) | instskip(NEXT) | instid1(VALU_DEP_3)
	v_cndmask_b32_e64 v22, v22, v7, s0
	v_cndmask_b32_e64 v23, v23, v6, s0
	v_cmp_eq_u32_e64 s0, 4, v16
	s_delay_alu instid0(VALU_DEP_2) | instskip(SKIP_1) | instid1(VALU_DEP_2)
	v_dual_cndmask_b32 v22, v22, v9 :: v_dual_cndmask_b32 v23, v23, v8
	v_cmp_eq_u32_e32 vcc_lo, 5, v16
	v_cndmask_b32_e64 v22, v22, v11, s0
	s_delay_alu instid0(VALU_DEP_3) | instskip(NEXT) | instid1(VALU_DEP_1)
	v_cndmask_b32_e64 v24, v23, v10, s0
	v_dual_cndmask_b32 v23, v22, v13 :: v_dual_cndmask_b32 v22, v24, v12
	v_add_co_u32 v16, vcc_lo, v16, 1
	v_add_co_ci_u32_e32 v17, vcc_lo, 0, v17, vcc_lo
	s_waitcnt lgkmcnt(0)
	s_delay_alu instid0(VALU_DEP_3) | instskip(NEXT) | instid1(VALU_DEP_3)
	v_fma_f64 v[14:15], v[22:23], v[20:21], v[14:15]
	v_add_nc_u32_e32 v20, -1, v16
	s_delay_alu instid0(VALU_DEP_1) | instskip(SKIP_1) | instid1(SALU_CYCLE_1)
	v_cmp_lt_u32_e32 vcc_lo, 1, v20
	s_or_b32 s2, vcc_lo, s2
	s_and_not1_b32 exec_lo, exec_lo, s2
	s_cbranch_execnz .LBB5_25
; %bb.26:
	s_set_inst_prefetch_distance 0x2
	s_or_b32 exec_lo, exec_lo, s2
	v_mov_b32_e32 v8, 0
	ds_load_b64 v[8:9], v8 offset:24
	s_waitcnt lgkmcnt(0)
	v_mul_f64 v[8:9], v[14:15], v[8:9]
.LBB5_27:
	s_or_b32 exec_lo, exec_lo, s1
	s_delay_alu instid0(SALU_CYCLE_1)
	s_mov_b32 s1, exec_lo
	s_barrier
	buffer_gl0_inv
	ds_store_b64 v18, v[10:11]
	s_waitcnt lgkmcnt(0)
	s_barrier
	buffer_gl0_inv
	v_cmpx_gt_u32_e32 4, v0
	s_cbranch_execz .LBB5_31
; %bb.28:
	v_dual_mov_b32 v14, 0 :: v_dual_mov_b32 v17, v1
	v_lshl_add_u32 v19, v0, 3, 48
	v_dual_mov_b32 v15, 0 :: v_dual_mov_b32 v16, v0
	s_mov_b32 s2, 0
	s_set_inst_prefetch_distance 0x1
	.p2align	6
.LBB5_29:                               ; =>This Inner Loop Header: Depth=1
	s_delay_alu instid0(VALU_DEP_1)
	v_cmp_eq_u32_e32 vcc_lo, 1, v16
	v_cmp_eq_u32_e64 s0, 2, v16
	ds_load_b64 v[20:21], v19
	v_dual_cndmask_b32 v22, v3, v5 :: v_dual_add_nc_u32 v19, 8, v19
	v_cndmask_b32_e32 v23, v2, v4, vcc_lo
	v_cmp_eq_u32_e32 vcc_lo, 3, v16
	s_delay_alu instid0(VALU_DEP_3) | instskip(NEXT) | instid1(VALU_DEP_3)
	v_cndmask_b32_e64 v22, v22, v7, s0
	v_cndmask_b32_e64 v23, v23, v6, s0
	v_cmp_eq_u32_e64 s0, 4, v16
	s_delay_alu instid0(VALU_DEP_2) | instskip(SKIP_1) | instid1(VALU_DEP_2)
	v_dual_cndmask_b32 v22, v22, v9 :: v_dual_cndmask_b32 v23, v23, v8
	v_cmp_eq_u32_e32 vcc_lo, 5, v16
	v_cndmask_b32_e64 v22, v22, v11, s0
	s_delay_alu instid0(VALU_DEP_3) | instskip(NEXT) | instid1(VALU_DEP_1)
	v_cndmask_b32_e64 v24, v23, v10, s0
	v_dual_cndmask_b32 v23, v22, v13 :: v_dual_cndmask_b32 v22, v24, v12
	v_add_co_u32 v16, vcc_lo, v16, 1
	v_add_co_ci_u32_e32 v17, vcc_lo, 0, v17, vcc_lo
	s_waitcnt lgkmcnt(0)
	s_delay_alu instid0(VALU_DEP_3) | instskip(NEXT) | instid1(VALU_DEP_3)
	v_fma_f64 v[14:15], v[22:23], v[20:21], v[14:15]
	v_add_nc_u32_e32 v20, -1, v16
	s_delay_alu instid0(VALU_DEP_1) | instskip(SKIP_1) | instid1(SALU_CYCLE_1)
	v_cmp_lt_u32_e32 vcc_lo, 2, v20
	s_or_b32 s2, vcc_lo, s2
	s_and_not1_b32 exec_lo, exec_lo, s2
	s_cbranch_execnz .LBB5_29
; %bb.30:
	s_set_inst_prefetch_distance 0x2
	s_or_b32 exec_lo, exec_lo, s2
	v_mov_b32_e32 v10, 0
	ds_load_b64 v[10:11], v10 offset:32
	s_waitcnt lgkmcnt(0)
	v_mul_f64 v[10:11], v[14:15], v[10:11]
.LBB5_31:
	s_or_b32 exec_lo, exec_lo, s1
	s_delay_alu instid0(SALU_CYCLE_1)
	s_mov_b32 s1, exec_lo
	s_barrier
	buffer_gl0_inv
	ds_store_b64 v18, v[12:13]
	s_waitcnt lgkmcnt(0)
	s_barrier
	buffer_gl0_inv
	v_cmpx_ne_u32_e32 5, v0
	s_cbranch_execz .LBB5_35
; %bb.32:
	v_dual_mov_b32 v14, 0 :: v_dual_mov_b32 v17, v1
	v_lshl_add_u32 v18, v0, 3, 48
	v_dual_mov_b32 v15, 0 :: v_dual_mov_b32 v16, v0
	s_mov_b32 s2, 0
	s_set_inst_prefetch_distance 0x1
	.p2align	6
.LBB5_33:                               ; =>This Inner Loop Header: Depth=1
	s_delay_alu instid0(VALU_DEP_1)
	v_cmp_eq_u32_e32 vcc_lo, 1, v16
	v_cmp_eq_u32_e64 s0, 2, v16
	ds_load_b64 v[19:20], v18
	v_dual_cndmask_b32 v1, v3, v5 :: v_dual_add_nc_u32 v18, 8, v18
	v_cndmask_b32_e32 v21, v2, v4, vcc_lo
	v_cmp_eq_u32_e32 vcc_lo, 3, v16
	s_delay_alu instid0(VALU_DEP_3) | instskip(NEXT) | instid1(VALU_DEP_3)
	v_cndmask_b32_e64 v1, v1, v7, s0
	v_cndmask_b32_e64 v21, v21, v6, s0
	v_cmp_eq_u32_e64 s0, 4, v16
	s_delay_alu instid0(VALU_DEP_3) | instskip(NEXT) | instid1(VALU_DEP_3)
	v_cndmask_b32_e32 v1, v1, v9, vcc_lo
	v_cndmask_b32_e32 v21, v21, v8, vcc_lo
	v_cmp_eq_u32_e32 vcc_lo, 5, v16
	s_delay_alu instid0(VALU_DEP_3) | instskip(NEXT) | instid1(VALU_DEP_3)
	v_cndmask_b32_e64 v1, v1, v11, s0
	v_cndmask_b32_e64 v21, v21, v10, s0
	s_delay_alu instid0(VALU_DEP_2) | instskip(NEXT) | instid1(VALU_DEP_2)
	v_cndmask_b32_e32 v22, v1, v13, vcc_lo
	v_cndmask_b32_e32 v21, v21, v12, vcc_lo
	v_add_co_u32 v16, vcc_lo, v16, 1
	v_add_co_ci_u32_e32 v17, vcc_lo, 0, v17, vcc_lo
	s_waitcnt lgkmcnt(0)
	s_delay_alu instid0(VALU_DEP_3) | instskip(NEXT) | instid1(VALU_DEP_3)
	v_fma_f64 v[14:15], v[21:22], v[19:20], v[14:15]
	v_add_nc_u32_e32 v1, -1, v16
	s_delay_alu instid0(VALU_DEP_1) | instskip(SKIP_1) | instid1(SALU_CYCLE_1)
	v_cmp_lt_u32_e32 vcc_lo, 3, v1
	s_or_b32 s2, vcc_lo, s2
	s_and_not1_b32 exec_lo, exec_lo, s2
	s_cbranch_execnz .LBB5_33
; %bb.34:
	s_set_inst_prefetch_distance 0x2
	s_or_b32 exec_lo, exec_lo, s2
	v_mov_b32_e32 v1, 0
	ds_load_b64 v[12:13], v1 offset:40
	s_waitcnt lgkmcnt(0)
	v_mul_f64 v[12:13], v[14:15], v[12:13]
.LBB5_35:
	s_or_b32 exec_lo, exec_lo, s1
	s_barrier
	buffer_gl0_inv
	s_cbranch_execnz .LBB5_15
	s_branch .LBB5_16
.LBB5_36:
	v_lshl_add_u32 v1, v0, 3, 48
	s_mov_b32 s0, exec_lo
	v_cmpx_eq_u32_e32 5, v0
	s_cbranch_execz .LBB5_38
; %bb.37:
	v_dual_mov_b32 v22, 0 :: v_dual_mov_b32 v15, v3
	v_dual_mov_b32 v14, v2 :: v_dual_mov_b32 v17, v5
	;; [unrolled: 1-line block ×4, first 2 shown]
	s_delay_alu instid0(VALU_DEP_4)
	v_dual_mov_b32 v20, v8 :: v_dual_mov_b32 v23, v22
	v_dual_mov_b32 v24, v12 :: v_dual_mov_b32 v25, v13
	ds_store_b64 v1, v[10:11]
	v_mov_b32_e32 v2, v14
	v_dual_mov_b32 v3, v15 :: v_dual_mov_b32 v4, v16
	v_dual_mov_b32 v5, v17 :: v_dual_mov_b32 v6, v18
	;; [unrolled: 1-line block ×6, first 2 shown]
	v_mov_b32_e32 v15, v27
	v_mov_b32_e32 v16, v28
	;; [unrolled: 1-line block ×3, first 2 shown]
.LBB5_38:
	s_or_b32 exec_lo, exec_lo, s0
	v_mov_b32_e32 v20, 0
	s_waitcnt lgkmcnt(0)
	s_waitcnt_vscnt null, 0x0
	s_barrier
	buffer_gl0_inv
	s_mov_b32 s0, exec_lo
	ds_load_b64 v[14:15], v20 offset:88
	s_waitcnt lgkmcnt(0)
	v_fma_f64 v[14:15], v[12:13], v[14:15], 0
	s_delay_alu instid0(VALU_DEP_1)
	v_add_f64 v[10:11], v[10:11], -v[14:15]
	v_cmpx_lt_u32_e32 3, v0
	s_cbranch_execz .LBB5_40
; %bb.39:
	v_dual_mov_b32 v14, v2 :: v_dual_mov_b32 v15, v3
	v_dual_mov_b32 v18, v6 :: v_dual_mov_b32 v19, v7
	s_delay_alu instid0(VALU_DEP_4)
	v_dual_mov_b32 v21, v20 :: v_dual_mov_b32 v22, v10
	v_dual_mov_b32 v23, v11 :: v_dual_mov_b32 v24, v12
	;; [unrolled: 1-line block ×3, first 2 shown]
	v_mov_b32_e32 v17, v5
	ds_store_b64 v1, v[8:9]
	v_mov_b32_e32 v2, v14
	v_dual_mov_b32 v3, v15 :: v_dual_mov_b32 v4, v16
	v_dual_mov_b32 v5, v17 :: v_dual_mov_b32 v6, v18
	;; [unrolled: 1-line block ×6, first 2 shown]
	v_mov_b32_e32 v15, v27
	v_mov_b32_e32 v16, v28
	;; [unrolled: 1-line block ×3, first 2 shown]
.LBB5_40:
	s_or_b32 exec_lo, exec_lo, s0
	s_waitcnt lgkmcnt(0)
	s_barrier
	buffer_gl0_inv
	ds_load_b128 v[14:17], v20 offset:80
	s_mov_b32 s0, exec_lo
	s_waitcnt lgkmcnt(0)
	v_fma_f64 v[14:15], v[10:11], v[14:15], 0
	s_delay_alu instid0(VALU_DEP_1) | instskip(NEXT) | instid1(VALU_DEP_1)
	v_fma_f64 v[14:15], v[12:13], v[16:17], v[14:15]
	v_add_f64 v[8:9], v[8:9], -v[14:15]
	v_cmpx_lt_u32_e32 2, v0
	s_cbranch_execz .LBB5_42
; %bb.41:
	v_dual_mov_b32 v18, 0 :: v_dual_mov_b32 v15, v3
	v_dual_mov_b32 v14, v2 :: v_dual_mov_b32 v17, v5
	s_delay_alu instid0(VALU_DEP_2)
	v_dual_mov_b32 v16, v4 :: v_dual_mov_b32 v19, v18
	v_dual_mov_b32 v20, v8 :: v_dual_mov_b32 v21, v9
	;; [unrolled: 1-line block ×4, first 2 shown]
	ds_store_b64 v1, v[6:7]
	v_mov_b32_e32 v2, v14
	v_dual_mov_b32 v3, v15 :: v_dual_mov_b32 v4, v16
	v_dual_mov_b32 v5, v17 :: v_dual_mov_b32 v6, v18
	;; [unrolled: 1-line block ×6, first 2 shown]
	v_mov_b32_e32 v15, v27
	v_mov_b32_e32 v16, v28
	;; [unrolled: 1-line block ×3, first 2 shown]
.LBB5_42:
	s_or_b32 exec_lo, exec_lo, s0
	v_mov_b32_e32 v18, 0
	s_waitcnt lgkmcnt(0)
	s_barrier
	buffer_gl0_inv
	s_mov_b32 s0, exec_lo
	ds_load_2addr_b64 v[14:17], v18 offset0:9 offset1:10
	ds_load_b64 v[19:20], v18 offset:88
	s_waitcnt lgkmcnt(1)
	v_fma_f64 v[14:15], v[8:9], v[14:15], 0
	s_delay_alu instid0(VALU_DEP_1) | instskip(SKIP_1) | instid1(VALU_DEP_1)
	v_fma_f64 v[14:15], v[10:11], v[16:17], v[14:15]
	s_waitcnt lgkmcnt(0)
	v_fma_f64 v[14:15], v[12:13], v[19:20], v[14:15]
	s_delay_alu instid0(VALU_DEP_1)
	v_add_f64 v[6:7], v[6:7], -v[14:15]
	v_cmpx_lt_u32_e32 1, v0
	s_cbranch_execz .LBB5_44
; %bb.43:
	v_dual_mov_b32 v16, v2 :: v_dual_mov_b32 v17, v3
	v_dual_mov_b32 v19, v18 :: v_dual_mov_b32 v22, v8
	s_delay_alu instid0(VALU_DEP_4)
	v_dual_mov_b32 v20, v6 :: v_dual_mov_b32 v21, v7
	v_dual_mov_b32 v23, v9 :: v_dual_mov_b32 v24, v10
	;; [unrolled: 1-line block ×3, first 2 shown]
	v_mov_b32_e32 v27, v13
	ds_store_b64 v1, v[4:5]
	v_mov_b32_e32 v2, v16
	v_dual_mov_b32 v3, v17 :: v_dual_mov_b32 v4, v18
	v_dual_mov_b32 v5, v19 :: v_dual_mov_b32 v6, v20
	;; [unrolled: 1-line block ×7, first 2 shown]
	v_mov_b32_e32 v17, v31
.LBB5_44:
	s_or_b32 exec_lo, exec_lo, s0
	s_waitcnt lgkmcnt(0)
	s_barrier
	buffer_gl0_inv
	ds_load_b128 v[14:17], v18 offset:64
	ds_load_b128 v[18:21], v18 offset:80
	s_mov_b32 s0, exec_lo
	s_waitcnt lgkmcnt(1)
	v_fma_f64 v[14:15], v[6:7], v[14:15], 0
	s_delay_alu instid0(VALU_DEP_1) | instskip(SKIP_1) | instid1(VALU_DEP_1)
	v_fma_f64 v[14:15], v[8:9], v[16:17], v[14:15]
	s_waitcnt lgkmcnt(0)
	v_fma_f64 v[14:15], v[10:11], v[18:19], v[14:15]
	s_delay_alu instid0(VALU_DEP_1) | instskip(NEXT) | instid1(VALU_DEP_1)
	v_fma_f64 v[14:15], v[12:13], v[20:21], v[14:15]
	v_add_f64 v[4:5], v[4:5], -v[14:15]
	v_cmpx_ne_u32_e32 0, v0
	s_cbranch_execz .LBB5_46
; %bb.45:
	s_delay_alu instid0(VALU_DEP_2) | instskip(NEXT) | instid1(VALU_DEP_3)
	v_dual_mov_b32 v14, 0 :: v_dual_mov_b32 v17, v5
	v_dual_mov_b32 v16, v4 :: v_dual_mov_b32 v19, v7
	;; [unrolled: 1-line block ×3, first 2 shown]
	s_delay_alu instid0(VALU_DEP_3)
	v_dual_mov_b32 v15, v14 :: v_dual_mov_b32 v20, v8
	v_dual_mov_b32 v22, v10 :: v_dual_mov_b32 v23, v11
	;; [unrolled: 1-line block ×3, first 2 shown]
	ds_store_b64 v1, v[2:3]
	v_mov_b32_e32 v2, v14
	v_dual_mov_b32 v3, v15 :: v_dual_mov_b32 v4, v16
	v_dual_mov_b32 v5, v17 :: v_dual_mov_b32 v6, v18
	;; [unrolled: 1-line block ×6, first 2 shown]
	v_mov_b32_e32 v15, v27
	v_mov_b32_e32 v16, v28
	;; [unrolled: 1-line block ×3, first 2 shown]
.LBB5_46:
	s_or_b32 exec_lo, exec_lo, s0
	v_mov_b32_e32 v22, 0
	s_waitcnt lgkmcnt(0)
	s_barrier
	buffer_gl0_inv
	s_and_b32 vcc_lo, exec_lo, s16
	ds_load_2addr_b64 v[14:17], v22 offset0:7 offset1:8
	ds_load_2addr_b64 v[18:21], v22 offset0:9 offset1:10
	s_waitcnt lgkmcnt(1)
	v_fma_f64 v[0:1], v[4:5], v[14:15], 0
	ds_load_b64 v[14:15], v22 offset:88
	v_fma_f64 v[0:1], v[6:7], v[16:17], v[0:1]
	s_waitcnt lgkmcnt(1)
	s_delay_alu instid0(VALU_DEP_1) | instskip(NEXT) | instid1(VALU_DEP_1)
	v_fma_f64 v[0:1], v[8:9], v[18:19], v[0:1]
	v_fma_f64 v[0:1], v[10:11], v[20:21], v[0:1]
	s_waitcnt lgkmcnt(0)
	s_delay_alu instid0(VALU_DEP_1) | instskip(NEXT) | instid1(VALU_DEP_1)
	v_fma_f64 v[0:1], v[12:13], v[14:15], v[0:1]
	v_add_f64 v[2:3], v[2:3], -v[0:1]
	s_cbranch_vccz .LBB5_58
; %bb.47:
	v_dual_mov_b32 v0, s12 :: v_dual_mov_b32 v1, s13
	s_mov_b32 s4, exec_lo
	flat_load_b32 v0, v[0:1] offset:16
	s_waitcnt vmcnt(0) lgkmcnt(0)
	v_add_nc_u32_e32 v0, -1, v0
	s_delay_alu instid0(VALU_DEP_1)
	v_cmpx_ne_u32_e32 4, v0
	s_cbranch_execz .LBB5_49
; %bb.48:
	v_cmp_eq_u32_e32 vcc_lo, 1, v0
	v_cmp_eq_u32_e64 s0, 2, v0
	v_cmp_eq_u32_e64 s1, 3, v0
	;; [unrolled: 1-line block ×4, first 2 shown]
	v_dual_cndmask_b32 v1, v2, v4 :: v_dual_cndmask_b32 v14, v3, v5
	v_cndmask_b32_e64 v18, v7, v11, s0
	v_cndmask_b32_e64 v17, v6, v10, s0
	;; [unrolled: 1-line block ×3, first 2 shown]
	s_delay_alu instid0(VALU_DEP_4)
	v_cndmask_b32_e64 v1, v1, v6, s0
	v_cndmask_b32_e64 v14, v14, v7, s0
	v_cmp_eq_u32_e64 s0, 5, v0
	v_cndmask_b32_e64 v19, v8, v10, s1
	v_cndmask_b32_e32 v16, v5, v11, vcc_lo
	v_cndmask_b32_e64 v1, v1, v8, s1
	v_cndmask_b32_e64 v15, v14, v9, s1
	;; [unrolled: 1-line block ×7, first 2 shown]
	v_cndmask_b32_e32 v15, v4, v10, vcc_lo
	s_delay_alu instid0(VALU_DEP_3) | instskip(NEXT) | instid1(VALU_DEP_3)
	v_cndmask_b32_e64 v0, v1, v12, s0
	v_cndmask_b32_e64 v1, v3, v13, s0
	;; [unrolled: 1-line block ×3, first 2 shown]
	s_delay_alu instid0(VALU_DEP_3) | instskip(NEXT) | instid1(VALU_DEP_3)
	v_cndmask_b32_e64 v21, v0, v10, s2
	v_cndmask_b32_e64 v22, v1, v11, s2
	s_delay_alu instid0(VALU_DEP_3)
	v_mov_b32_e32 v2, v13
	v_dual_mov_b32 v3, v14 :: v_dual_mov_b32 v4, v15
	v_dual_mov_b32 v5, v16 :: v_dual_mov_b32 v6, v17
	;; [unrolled: 1-line block ×5, first 2 shown]
	v_mov_b32_e32 v13, v24
	v_mov_b32_e32 v14, v25
	;; [unrolled: 1-line block ×5, first 2 shown]
.LBB5_49:
	s_or_b32 exec_lo, exec_lo, s4
	v_dual_mov_b32 v0, s12 :: v_dual_mov_b32 v1, s13
	s_mov_b32 s4, exec_lo
	flat_load_b32 v0, v[0:1] offset:12
	s_waitcnt vmcnt(0) lgkmcnt(0)
	v_add_nc_u32_e32 v0, -1, v0
	s_delay_alu instid0(VALU_DEP_1)
	v_cmpx_ne_u32_e32 3, v0
	s_cbranch_execz .LBB5_51
; %bb.50:
	v_cmp_eq_u32_e32 vcc_lo, 1, v0
	v_cmp_eq_u32_e64 s0, 2, v0
	v_cmp_eq_u32_e64 s1, 3, v0
	;; [unrolled: 1-line block ×4, first 2 shown]
	v_dual_cndmask_b32 v1, v2, v4 :: v_dual_cndmask_b32 v14, v3, v5
	v_cndmask_b32_e64 v18, v7, v9, s0
	v_cndmask_b32_e64 v17, v6, v8, s0
	;; [unrolled: 1-line block ×3, first 2 shown]
	s_delay_alu instid0(VALU_DEP_4)
	v_cndmask_b32_e64 v1, v1, v6, s0
	v_cndmask_b32_e64 v14, v14, v7, s0
	v_cmp_eq_u32_e64 s0, 5, v0
	v_cndmask_b32_e64 v21, v10, v8, s2
	v_cndmask_b32_e32 v16, v5, v9, vcc_lo
	v_cndmask_b32_e64 v1, v1, v8, s1
	v_cndmask_b32_e64 v15, v14, v9, s1
	;; [unrolled: 1-line block ×7, first 2 shown]
	v_cndmask_b32_e32 v15, v4, v8, vcc_lo
	s_delay_alu instid0(VALU_DEP_3) | instskip(NEXT) | instid1(VALU_DEP_3)
	v_cndmask_b32_e64 v0, v1, v12, s0
	v_cndmask_b32_e64 v1, v3, v13, s0
	;; [unrolled: 1-line block ×3, first 2 shown]
	s_delay_alu instid0(VALU_DEP_3) | instskip(NEXT) | instid1(VALU_DEP_3)
	v_cndmask_b32_e64 v19, v0, v8, s1
	v_cndmask_b32_e64 v20, v1, v9, s1
	s_delay_alu instid0(VALU_DEP_3)
	v_mov_b32_e32 v2, v13
	v_dual_mov_b32 v3, v14 :: v_dual_mov_b32 v4, v15
	v_dual_mov_b32 v5, v16 :: v_dual_mov_b32 v6, v17
	;; [unrolled: 1-line block ×5, first 2 shown]
	v_mov_b32_e32 v13, v24
	v_mov_b32_e32 v14, v25
	;; [unrolled: 1-line block ×5, first 2 shown]
.LBB5_51:
	s_or_b32 exec_lo, exec_lo, s4
	v_dual_mov_b32 v0, s12 :: v_dual_mov_b32 v1, s13
	s_mov_b32 s4, exec_lo
	flat_load_b32 v0, v[0:1] offset:8
	s_waitcnt vmcnt(0) lgkmcnt(0)
	v_add_nc_u32_e32 v0, -1, v0
	s_delay_alu instid0(VALU_DEP_1)
	v_cmpx_ne_u32_e32 2, v0
	s_cbranch_execz .LBB5_53
; %bb.52:
	v_cmp_eq_u32_e32 vcc_lo, 1, v0
	v_cmp_eq_u32_e64 s0, 2, v0
	v_cmp_eq_u32_e64 s1, 3, v0
	;; [unrolled: 1-line block ×4, first 2 shown]
	v_dual_cndmask_b32 v1, v2, v4 :: v_dual_cndmask_b32 v14, v3, v5
	v_dual_cndmask_b32 v16, v5, v7 :: v_dual_cndmask_b32 v15, v4, v6
	v_cmp_eq_u32_e32 vcc_lo, 5, v0
	s_delay_alu instid0(VALU_DEP_3) | instskip(NEXT) | instid1(VALU_DEP_4)
	v_cndmask_b32_e64 v1, v1, v6, s0
	v_cndmask_b32_e64 v14, v14, v7, s0
	;; [unrolled: 1-line block ×4, first 2 shown]
	v_dual_cndmask_b32 v24, v13, v7 :: v_dual_cndmask_b32 v23, v12, v6
	v_cndmask_b32_e64 v1, v1, v8, s1
	v_cndmask_b32_e64 v17, v14, v9, s1
	;; [unrolled: 1-line block ×7, first 2 shown]
	s_delay_alu instid0(VALU_DEP_1) | instskip(SKIP_1) | instid1(VALU_DEP_2)
	v_dual_cndmask_b32 v0, v1, v12 :: v_dual_cndmask_b32 v1, v3, v13
	v_cndmask_b32_e64 v13, v2, v6, s3
	v_cndmask_b32_e64 v17, v0, v6, s0
	s_delay_alu instid0(VALU_DEP_3) | instskip(NEXT) | instid1(VALU_DEP_3)
	v_cndmask_b32_e64 v18, v1, v7, s0
	v_mov_b32_e32 v2, v13
	v_dual_mov_b32 v3, v14 :: v_dual_mov_b32 v4, v15
	s_delay_alu instid0(VALU_DEP_4) | instskip(NEXT) | instid1(VALU_DEP_4)
	v_dual_mov_b32 v5, v16 :: v_dual_mov_b32 v6, v17
	v_dual_mov_b32 v7, v18 :: v_dual_mov_b32 v8, v19
	;; [unrolled: 1-line block ×4, first 2 shown]
	v_mov_b32_e32 v13, v24
	v_mov_b32_e32 v14, v25
	;; [unrolled: 1-line block ×5, first 2 shown]
.LBB5_53:
	s_or_b32 exec_lo, exec_lo, s4
	v_dual_mov_b32 v0, s12 :: v_dual_mov_b32 v1, s13
	s_mov_b32 s4, exec_lo
	flat_load_b32 v0, v[0:1] offset:4
	s_waitcnt vmcnt(0) lgkmcnt(0)
	v_add_nc_u32_e32 v0, -1, v0
	s_delay_alu instid0(VALU_DEP_1)
	v_cmpx_ne_u32_e32 1, v0
	s_cbranch_execz .LBB5_55
; %bb.54:
	v_cmp_eq_u32_e32 vcc_lo, 1, v0
	v_cmp_eq_u32_e64 s0, 2, v0
	v_cmp_eq_u32_e64 s1, 3, v0
	;; [unrolled: 1-line block ×4, first 2 shown]
	v_dual_cndmask_b32 v1, v2, v4 :: v_dual_cndmask_b32 v14, v3, v5
	v_cndmask_b32_e64 v18, v7, v5, s0
	v_cndmask_b32_e64 v17, v6, v4, s0
	;; [unrolled: 1-line block ×3, first 2 shown]
	s_delay_alu instid0(VALU_DEP_4)
	v_cndmask_b32_e64 v1, v1, v6, s0
	v_cndmask_b32_e64 v14, v14, v7, s0
	v_cmp_eq_u32_e64 s0, 5, v0
	v_cndmask_b32_e64 v19, v8, v4, s1
	v_cndmask_b32_e64 v22, v11, v5, s2
	;; [unrolled: 1-line block ×10, first 2 shown]
	s_delay_alu instid0(VALU_DEP_3) | instskip(NEXT) | instid1(VALU_DEP_3)
	v_cndmask_b32_e64 v0, v1, v12, s0
	v_cndmask_b32_e64 v1, v3, v13, s0
	v_cndmask_b32_e64 v13, v2, v4, s3
	s_delay_alu instid0(VALU_DEP_2) | instskip(NEXT) | instid1(VALU_DEP_2)
	v_dual_cndmask_b32 v15, v0, v4 :: v_dual_cndmask_b32 v16, v1, v5
	v_mov_b32_e32 v2, v13
	s_delay_alu instid0(VALU_DEP_2) | instskip(NEXT) | instid1(VALU_DEP_3)
	v_dual_mov_b32 v3, v14 :: v_dual_mov_b32 v4, v15
	v_dual_mov_b32 v5, v16 :: v_dual_mov_b32 v6, v17
	;; [unrolled: 1-line block ×5, first 2 shown]
	v_mov_b32_e32 v13, v24
	v_mov_b32_e32 v14, v25
	;; [unrolled: 1-line block ×5, first 2 shown]
.LBB5_55:
	s_or_b32 exec_lo, exec_lo, s4
	v_dual_mov_b32 v0, s12 :: v_dual_mov_b32 v1, s13
	s_mov_b32 s3, exec_lo
	flat_load_b32 v0, v[0:1]
	s_waitcnt vmcnt(0) lgkmcnt(0)
	v_add_nc_u32_e32 v0, -1, v0
	s_delay_alu instid0(VALU_DEP_1)
	v_cmpx_ne_u32_e32 0, v0
	s_cbranch_execz .LBB5_57
; %bb.56:
	v_cmp_eq_u32_e32 vcc_lo, 1, v0
	v_cmp_eq_u32_e64 s0, 2, v0
	v_cmp_eq_u32_e64 s1, 3, v0
	v_cmp_eq_u32_e64 s2, 4, v0
	v_dual_cndmask_b32 v1, v2, v4 :: v_dual_cndmask_b32 v14, v3, v5
	s_delay_alu instid0(VALU_DEP_4) | instskip(SKIP_2) | instid1(VALU_DEP_4)
	v_cndmask_b32_e64 v16, v7, v3, s0
	v_cndmask_b32_e64 v15, v6, v2, s0
	;; [unrolled: 1-line block ×5, first 2 shown]
	v_cmp_eq_u32_e64 s0, 5, v0
	v_cndmask_b32_e64 v20, v11, v3, s2
	v_cndmask_b32_e64 v19, v10, v2, s2
	;; [unrolled: 1-line block ×4, first 2 shown]
	v_cndmask_b32_e32 v14, v5, v3, vcc_lo
	v_cndmask_b32_e64 v22, v13, v3, s0
	v_cndmask_b32_e64 v21, v12, v2, s0
	;; [unrolled: 1-line block ×5, first 2 shown]
	v_cmp_eq_u32_e64 s1, 0, v0
	s_delay_alu instid0(VALU_DEP_4) | instskip(NEXT) | instid1(VALU_DEP_4)
	v_cndmask_b32_e64 v1, v1, v12, s0
	v_cndmask_b32_e64 v5, v5, v13, s0
	v_cndmask_b32_e32 v13, v4, v2, vcc_lo
	s_delay_alu instid0(VALU_DEP_3) | instskip(NEXT) | instid1(VALU_DEP_3)
	v_cndmask_b32_e64 v11, v1, v2, s1
	v_cndmask_b32_e64 v12, v5, v3, s1
	s_delay_alu instid0(VALU_DEP_2) | instskip(NEXT) | instid1(VALU_DEP_2)
	v_mov_b32_e32 v2, v11
	v_dual_mov_b32 v3, v12 :: v_dual_mov_b32 v4, v13
	v_dual_mov_b32 v5, v14 :: v_dual_mov_b32 v6, v15
	;; [unrolled: 1-line block ×4, first 2 shown]
	v_mov_b32_e32 v11, v20
	v_mov_b32_e32 v12, v21
	;; [unrolled: 1-line block ×7, first 2 shown]
.LBB5_57:
	s_or_b32 exec_lo, exec_lo, s3
.LBB5_58:
	s_clause 0x5
	global_store_b64 v[28:29], v[2:3], off
	global_store_b64 v[30:31], v[4:5], off
	;; [unrolled: 1-line block ×6, first 2 shown]
	s_nop 0
	s_sendmsg sendmsg(MSG_DEALLOC_VGPRS)
	s_endpgm
	.section	.rodata,"a",@progbits
	.p2align	6, 0x0
	.amdhsa_kernel _ZN9rocsolver6v33100L18getri_kernel_smallILi6EdPdEEvT1_iilPiilS4_bb
		.amdhsa_group_segment_fixed_size 104
		.amdhsa_private_segment_fixed_size 0
		.amdhsa_kernarg_size 60
		.amdhsa_user_sgpr_count 15
		.amdhsa_user_sgpr_dispatch_ptr 0
		.amdhsa_user_sgpr_queue_ptr 0
		.amdhsa_user_sgpr_kernarg_segment_ptr 1
		.amdhsa_user_sgpr_dispatch_id 0
		.amdhsa_user_sgpr_private_segment_size 0
		.amdhsa_wavefront_size32 1
		.amdhsa_uses_dynamic_stack 0
		.amdhsa_enable_private_segment 0
		.amdhsa_system_sgpr_workgroup_id_x 1
		.amdhsa_system_sgpr_workgroup_id_y 0
		.amdhsa_system_sgpr_workgroup_id_z 0
		.amdhsa_system_sgpr_workgroup_info 0
		.amdhsa_system_vgpr_workitem_id 0
		.amdhsa_next_free_vgpr 40
		.amdhsa_next_free_sgpr 18
		.amdhsa_reserve_vcc 1
		.amdhsa_float_round_mode_32 0
		.amdhsa_float_round_mode_16_64 0
		.amdhsa_float_denorm_mode_32 3
		.amdhsa_float_denorm_mode_16_64 3
		.amdhsa_dx10_clamp 1
		.amdhsa_ieee_mode 1
		.amdhsa_fp16_overflow 0
		.amdhsa_workgroup_processor_mode 1
		.amdhsa_memory_ordered 1
		.amdhsa_forward_progress 0
		.amdhsa_shared_vgpr_count 0
		.amdhsa_exception_fp_ieee_invalid_op 0
		.amdhsa_exception_fp_denorm_src 0
		.amdhsa_exception_fp_ieee_div_zero 0
		.amdhsa_exception_fp_ieee_overflow 0
		.amdhsa_exception_fp_ieee_underflow 0
		.amdhsa_exception_fp_ieee_inexact 0
		.amdhsa_exception_int_div_zero 0
	.end_amdhsa_kernel
	.section	.text._ZN9rocsolver6v33100L18getri_kernel_smallILi6EdPdEEvT1_iilPiilS4_bb,"axG",@progbits,_ZN9rocsolver6v33100L18getri_kernel_smallILi6EdPdEEvT1_iilPiilS4_bb,comdat
.Lfunc_end5:
	.size	_ZN9rocsolver6v33100L18getri_kernel_smallILi6EdPdEEvT1_iilPiilS4_bb, .Lfunc_end5-_ZN9rocsolver6v33100L18getri_kernel_smallILi6EdPdEEvT1_iilPiilS4_bb
                                        ; -- End function
	.section	.AMDGPU.csdata,"",@progbits
; Kernel info:
; codeLenInByte = 5052
; NumSgprs: 20
; NumVgprs: 40
; ScratchSize: 0
; MemoryBound: 0
; FloatMode: 240
; IeeeMode: 1
; LDSByteSize: 104 bytes/workgroup (compile time only)
; SGPRBlocks: 2
; VGPRBlocks: 4
; NumSGPRsForWavesPerEU: 20
; NumVGPRsForWavesPerEU: 40
; Occupancy: 16
; WaveLimiterHint : 0
; COMPUTE_PGM_RSRC2:SCRATCH_EN: 0
; COMPUTE_PGM_RSRC2:USER_SGPR: 15
; COMPUTE_PGM_RSRC2:TRAP_HANDLER: 0
; COMPUTE_PGM_RSRC2:TGID_X_EN: 1
; COMPUTE_PGM_RSRC2:TGID_Y_EN: 0
; COMPUTE_PGM_RSRC2:TGID_Z_EN: 0
; COMPUTE_PGM_RSRC2:TIDIG_COMP_CNT: 0
	.section	.text._ZN9rocsolver6v33100L18getri_kernel_smallILi7EdPdEEvT1_iilPiilS4_bb,"axG",@progbits,_ZN9rocsolver6v33100L18getri_kernel_smallILi7EdPdEEvT1_iilPiilS4_bb,comdat
	.globl	_ZN9rocsolver6v33100L18getri_kernel_smallILi7EdPdEEvT1_iilPiilS4_bb ; -- Begin function _ZN9rocsolver6v33100L18getri_kernel_smallILi7EdPdEEvT1_iilPiilS4_bb
	.p2align	8
	.type	_ZN9rocsolver6v33100L18getri_kernel_smallILi7EdPdEEvT1_iilPiilS4_bb,@function
_ZN9rocsolver6v33100L18getri_kernel_smallILi7EdPdEEvT1_iilPiilS4_bb: ; @_ZN9rocsolver6v33100L18getri_kernel_smallILi7EdPdEEvT1_iilPiilS4_bb
; %bb.0:
	s_mov_b32 s2, exec_lo
	v_cmpx_gt_u32_e32 7, v0
	s_cbranch_execz .LBB6_16
; %bb.1:
	s_clause 0x2
	s_load_b32 s17, s[0:1], 0x38
	s_load_b128 s[8:11], s[0:1], 0x10
	s_load_b128 s[4:7], s[0:1], 0x28
	s_mov_b32 s14, s15
                                        ; implicit-def: $sgpr12_sgpr13
	s_waitcnt lgkmcnt(0)
	s_bitcmp1_b32 s17, 8
	s_cselect_b32 s16, -1, 0
	s_bfe_u32 s2, s17, 0x10008
	s_ashr_i32 s15, s15, 31
	s_cmp_eq_u32 s2, 0
	s_cbranch_scc1 .LBB6_3
; %bb.2:
	s_load_b32 s2, s[0:1], 0x20
	s_mul_i32 s3, s14, s5
	s_mul_hi_u32 s5, s14, s4
	s_mul_i32 s12, s15, s4
	s_add_i32 s3, s5, s3
	s_mul_i32 s4, s14, s4
	s_add_i32 s5, s3, s12
	s_delay_alu instid0(SALU_CYCLE_1)
	s_lshl_b64 s[4:5], s[4:5], 2
	s_waitcnt lgkmcnt(0)
	s_ashr_i32 s3, s2, 31
	s_add_u32 s4, s10, s4
	s_addc_u32 s5, s11, s5
	s_lshl_b64 s[2:3], s[2:3], 2
	s_delay_alu instid0(SALU_CYCLE_1)
	s_add_u32 s12, s4, s2
	s_addc_u32 s13, s5, s3
.LBB6_3:
	s_load_b128 s[0:3], s[0:1], 0x0
	s_mul_i32 s4, s14, s9
	s_mul_hi_u32 s5, s14, s8
	s_mul_i32 s9, s15, s8
	s_add_i32 s5, s5, s4
	s_mul_i32 s4, s14, s8
	s_add_i32 s5, s5, s9
	v_lshlrev_b32_e32 v18, 3, v0
	s_lshl_b64 s[4:5], s[4:5], 3
	s_waitcnt lgkmcnt(0)
	v_add3_u32 v1, s3, s3, v0
	s_ashr_i32 s9, s2, 31
	s_mov_b32 s8, s2
	s_add_u32 s2, s0, s4
	s_addc_u32 s5, s1, s5
	v_add_nc_u32_e32 v3, s3, v1
	s_lshl_b64 s[0:1], s[8:9], 3
	v_ashrrev_i32_e32 v2, 31, v1
	s_add_u32 s0, s2, s0
	s_addc_u32 s1, s5, s1
	v_add_co_u32 v32, s2, s0, v18
	v_add_nc_u32_e32 v5, s3, v3
	s_mov_b32 s4, s3
	s_ashr_i32 s5, s3, 31
	v_add_co_ci_u32_e64 v33, null, s1, 0, s2
	v_lshlrev_b64 v[1:2], 3, v[1:2]
	s_lshl_b64 s[4:5], s[4:5], 3
	v_ashrrev_i32_e32 v4, 31, v3
	v_add_co_u32 v34, vcc_lo, v32, s4
	v_ashrrev_i32_e32 v6, 31, v5
	v_add_nc_u32_e32 v7, s3, v5
	v_add_co_ci_u32_e32 v35, vcc_lo, s5, v33, vcc_lo
	v_add_co_u32 v36, vcc_lo, s0, v1
	v_lshlrev_b64 v[3:4], 3, v[3:4]
	v_add_co_ci_u32_e32 v37, vcc_lo, s1, v2, vcc_lo
	v_lshlrev_b64 v[1:2], 3, v[5:6]
	v_add_nc_u32_e32 v5, s3, v7
	v_ashrrev_i32_e32 v8, 31, v7
	v_add_co_u32 v44, vcc_lo, s0, v3
	v_add_co_ci_u32_e32 v45, vcc_lo, s1, v4, vcc_lo
	s_delay_alu instid0(VALU_DEP_4) | instskip(NEXT) | instid1(VALU_DEP_4)
	v_ashrrev_i32_e32 v6, 31, v5
	v_lshlrev_b64 v[3:4], 3, v[7:8]
	v_add_co_u32 v40, vcc_lo, s0, v1
	v_add_co_ci_u32_e32 v41, vcc_lo, s1, v2, vcc_lo
	s_delay_alu instid0(VALU_DEP_4) | instskip(NEXT) | instid1(VALU_DEP_4)
	v_lshlrev_b64 v[1:2], 3, v[5:6]
	v_add_co_u32 v42, vcc_lo, s0, v3
	v_add_co_ci_u32_e32 v43, vcc_lo, s1, v4, vcc_lo
	s_bitcmp0_b32 s17, 0
	s_delay_alu instid0(VALU_DEP_3)
	v_add_co_u32 v38, vcc_lo, s0, v1
	v_mov_b32_e32 v1, 0
	v_add_co_ci_u32_e32 v39, vcc_lo, s1, v2, vcc_lo
	s_clause 0x6
	global_load_b64 v[4:5], v[34:35], off
	global_load_b64 v[6:7], v[36:37], off
	;; [unrolled: 1-line block ×5, first 2 shown]
	global_load_b64 v[2:3], v18, s[0:1]
	global_load_b64 v[14:15], v[38:39], off
	s_mov_b32 s0, -1
	s_cbranch_scc1 .LBB6_14
; %bb.4:
	v_cmp_eq_u32_e64 s0, 0, v0
	s_delay_alu instid0(VALU_DEP_1)
	s_and_saveexec_b32 s1, s0
	s_cbranch_execz .LBB6_6
; %bb.5:
	v_mov_b32_e32 v16, 0
	ds_store_b32 v16, v16 offset:56
.LBB6_6:
	s_or_b32 exec_lo, exec_lo, s1
	v_cmp_eq_u32_e32 vcc_lo, 1, v0
	s_mov_b32 s2, exec_lo
	s_waitcnt vmcnt(0) lgkmcnt(0)
	s_barrier
	buffer_gl0_inv
	v_dual_cndmask_b32 v16, v3, v5 :: v_dual_cndmask_b32 v17, v2, v4
	v_cmp_eq_u32_e32 vcc_lo, 2, v0
	s_delay_alu instid0(VALU_DEP_2) | instskip(SKIP_1) | instid1(VALU_DEP_2)
	v_dual_cndmask_b32 v16, v16, v7 :: v_dual_cndmask_b32 v17, v17, v6
	v_cmp_eq_u32_e32 vcc_lo, 3, v0
	v_dual_cndmask_b32 v16, v16, v9 :: v_dual_cndmask_b32 v17, v17, v8
	v_cmp_eq_u32_e32 vcc_lo, 4, v0
	s_delay_alu instid0(VALU_DEP_2) | instskip(SKIP_1) | instid1(VALU_DEP_2)
	v_dual_cndmask_b32 v16, v16, v11 :: v_dual_cndmask_b32 v17, v17, v10
	v_cmp_eq_u32_e32 vcc_lo, 5, v0
	v_dual_cndmask_b32 v16, v16, v13 :: v_dual_cndmask_b32 v19, v17, v12
	v_cmp_eq_u32_e32 vcc_lo, 6, v0
	s_delay_alu instid0(VALU_DEP_2) | instskip(NEXT) | instid1(VALU_DEP_1)
	v_dual_cndmask_b32 v17, v16, v15 :: v_dual_cndmask_b32 v16, v19, v14
	v_cmpx_eq_f64_e32 0, v[16:17]
	s_cbranch_execz .LBB6_10
; %bb.7:
	v_mov_b32_e32 v19, 0
	s_mov_b32 s3, 0
	ds_load_b32 v20, v19 offset:56
	s_waitcnt lgkmcnt(0)
	v_readfirstlane_b32 s1, v20
	v_add_nc_u32_e32 v20, 1, v0
	s_delay_alu instid0(VALU_DEP_2) | instskip(NEXT) | instid1(VALU_DEP_1)
	s_cmp_eq_u32 s1, 0
	v_cmp_gt_i32_e32 vcc_lo, s1, v20
	s_cselect_b32 s4, -1, 0
	s_delay_alu instid0(SALU_CYCLE_1) | instskip(NEXT) | instid1(SALU_CYCLE_1)
	s_or_b32 s4, s4, vcc_lo
	s_and_b32 exec_lo, exec_lo, s4
	s_cbranch_execz .LBB6_10
; %bb.8:
	v_mov_b32_e32 v21, s1
.LBB6_9:                                ; =>This Inner Loop Header: Depth=1
	ds_cmpstore_rtn_b32 v21, v19, v20, v21 offset:56
	s_waitcnt lgkmcnt(0)
	v_cmp_ne_u32_e32 vcc_lo, 0, v21
	v_cmp_le_i32_e64 s1, v21, v20
	s_delay_alu instid0(VALU_DEP_1) | instskip(NEXT) | instid1(SALU_CYCLE_1)
	s_and_b32 s1, vcc_lo, s1
	s_and_b32 s1, exec_lo, s1
	s_delay_alu instid0(SALU_CYCLE_1) | instskip(NEXT) | instid1(SALU_CYCLE_1)
	s_or_b32 s3, s1, s3
	s_and_not1_b32 exec_lo, exec_lo, s3
	s_cbranch_execnz .LBB6_9
.LBB6_10:
	s_or_b32 exec_lo, exec_lo, s2
	v_mov_b32_e32 v19, 0
	s_barrier
	buffer_gl0_inv
	ds_load_b32 v20, v19 offset:56
	s_and_saveexec_b32 s1, s0
	s_cbranch_execz .LBB6_12
; %bb.11:
	s_lshl_b64 s[2:3], s[14:15], 2
	s_delay_alu instid0(SALU_CYCLE_1)
	s_add_u32 s2, s6, s2
	s_addc_u32 s3, s7, s3
	s_waitcnt lgkmcnt(0)
	global_store_b32 v19, v20, s[2:3]
.LBB6_12:
	s_or_b32 exec_lo, exec_lo, s1
	s_waitcnt lgkmcnt(0)
	v_cmp_ne_u32_e32 vcc_lo, 0, v20
	s_cbranch_vccz .LBB6_17
; %bb.13:
	s_mov_b32 s0, 0
                                        ; implicit-def: $vgpr2_vgpr3_vgpr4_vgpr5_vgpr6_vgpr7_vgpr8_vgpr9_vgpr10_vgpr11_vgpr12_vgpr13_vgpr14_vgpr15_vgpr16_vgpr17
.LBB6_14:
	s_delay_alu instid0(SALU_CYCLE_1)
	s_and_b32 vcc_lo, exec_lo, s0
	s_cbranch_vccz .LBB6_16
.LBB6_15:
	s_lshl_b64 s[0:1], s[14:15], 2
	v_mov_b32_e32 v1, 0
	s_add_u32 s0, s6, s0
	s_addc_u32 s1, s7, s1
	global_load_b32 v1, v1, s[0:1]
	s_waitcnt vmcnt(0)
	v_cmp_ne_u32_e32 vcc_lo, 0, v1
	s_cbranch_vccz .LBB6_40
.LBB6_16:
	s_nop 0
	s_sendmsg sendmsg(MSG_DEALLOC_VGPRS)
	s_endpgm
.LBB6_17:
	v_div_scale_f64 v[19:20], null, v[16:17], v[16:17], 1.0
	v_div_scale_f64 v[25:26], vcc_lo, 1.0, v[16:17], 1.0
	v_cmp_eq_u32_e64 s1, 4, v0
	v_cmp_eq_u32_e64 s2, 6, v0
	;; [unrolled: 1-line block ×5, first 2 shown]
	v_rcp_f64_e32 v[21:22], v[19:20]
	s_waitcnt_depctr 0xfff
	v_fma_f64 v[23:24], -v[19:20], v[21:22], 1.0
	s_delay_alu instid0(VALU_DEP_1) | instskip(NEXT) | instid1(VALU_DEP_1)
	v_fma_f64 v[21:22], v[21:22], v[23:24], v[21:22]
	v_fma_f64 v[23:24], -v[19:20], v[21:22], 1.0
	s_delay_alu instid0(VALU_DEP_1) | instskip(NEXT) | instid1(VALU_DEP_1)
	v_fma_f64 v[21:22], v[21:22], v[23:24], v[21:22]
	v_mul_f64 v[23:24], v[25:26], v[21:22]
	s_delay_alu instid0(VALU_DEP_1) | instskip(NEXT) | instid1(VALU_DEP_1)
	v_fma_f64 v[19:20], -v[19:20], v[23:24], v[25:26]
	v_div_fmas_f64 v[19:20], v[19:20], v[21:22], v[23:24]
	v_cmp_eq_u32_e32 vcc_lo, 5, v0
	s_delay_alu instid0(VALU_DEP_2) | instskip(NEXT) | instid1(VALU_DEP_1)
	v_div_fixup_f64 v[16:17], v[19:20], v[16:17], 1.0
	v_dual_cndmask_b32 v13, v13, v17 :: v_dual_add_nc_u32 v20, 64, v18
	s_delay_alu instid0(VALU_DEP_2)
	v_cndmask_b32_e32 v12, v12, v16, vcc_lo
	v_cmp_eq_u32_e32 vcc_lo, 2, v0
	v_cndmask_b32_e64 v15, v15, v17, s2
	v_cndmask_b32_e64 v14, v14, v16, s2
	;; [unrolled: 1-line block ×4, first 2 shown]
	v_cndmask_b32_e32 v7, v7, v17, vcc_lo
	v_cndmask_b32_e64 v9, v9, v17, s3
	v_cndmask_b32_e64 v8, v8, v16, s3
	;; [unrolled: 1-line block ×4, first 2 shown]
	v_xor_b32_e32 v22, 0x80000000, v17
	v_dual_mov_b32 v21, v16 :: v_dual_cndmask_b32 v6, v6, v16
	v_cndmask_b32_e64 v3, v3, v17, s5
	v_cndmask_b32_e64 v2, v2, v16, s5
	ds_store_2addr_b64 v18, v[21:22], v[4:5] offset1:8
	s_waitcnt lgkmcnt(0)
	s_waitcnt_vscnt null, 0x0
	s_barrier
	buffer_gl0_inv
	s_and_saveexec_b32 s1, s0
	s_cbranch_execz .LBB6_19
; %bb.18:
	ds_load_b64 v[4:5], v20
	v_mov_b32_e32 v18, 0
	ds_load_b64 v[18:19], v18 offset:8
	s_waitcnt lgkmcnt(1)
	v_fma_f64 v[4:5], v[16:17], v[4:5], 0
	s_waitcnt lgkmcnt(0)
	s_delay_alu instid0(VALU_DEP_1)
	v_mul_f64 v[4:5], v[4:5], v[18:19]
.LBB6_19:
	s_or_b32 exec_lo, exec_lo, s1
	s_delay_alu instid0(SALU_CYCLE_1)
	s_mov_b32 s1, exec_lo
	s_barrier
	buffer_gl0_inv
	ds_store_b64 v20, v[6:7]
	s_waitcnt lgkmcnt(0)
	s_barrier
	buffer_gl0_inv
	v_cmpx_gt_u32_e32 2, v0
	s_cbranch_execz .LBB6_23
; %bb.20:
	v_cmp_eq_u32_e32 vcc_lo, 1, v0
	v_dual_cndmask_b32 v16, v3, v5 :: v_dual_cndmask_b32 v17, v2, v4
	v_cmp_eq_u32_e32 vcc_lo, 2, v0
	s_delay_alu instid0(VALU_DEP_2) | instskip(SKIP_1) | instid1(VALU_DEP_2)
	v_dual_cndmask_b32 v7, v16, v7 :: v_dual_cndmask_b32 v6, v17, v6
	v_cmp_eq_u32_e32 vcc_lo, 3, v0
	v_dual_cndmask_b32 v16, v7, v9 :: v_dual_cndmask_b32 v17, v6, v8
	v_cmp_eq_u32_e32 vcc_lo, 4, v0
	ds_load_b64 v[6:7], v20
	v_dual_cndmask_b32 v16, v16, v11 :: v_dual_cndmask_b32 v17, v17, v10
	v_cmp_eq_u32_e32 vcc_lo, 5, v0
	s_delay_alu instid0(VALU_DEP_2) | instskip(NEXT) | instid1(VALU_DEP_3)
	v_cndmask_b32_e32 v16, v16, v13, vcc_lo
	v_cndmask_b32_e32 v18, v17, v12, vcc_lo
	v_cmp_eq_u32_e32 vcc_lo, 6, v0
	s_delay_alu instid0(VALU_DEP_2) | instskip(SKIP_1) | instid1(VALU_DEP_1)
	v_dual_cndmask_b32 v17, v16, v15 :: v_dual_cndmask_b32 v16, v18, v14
	s_waitcnt lgkmcnt(0)
	v_fma_f64 v[6:7], v[16:17], v[6:7], 0
	s_and_saveexec_b32 s2, s0
	s_cbranch_execz .LBB6_22
; %bb.21:
	v_mov_b32_e32 v16, 0
	ds_load_b64 v[16:17], v16 offset:72
	s_waitcnt lgkmcnt(0)
	v_fma_f64 v[6:7], v[4:5], v[16:17], v[6:7]
.LBB6_22:
	s_or_b32 exec_lo, exec_lo, s2
	v_mov_b32_e32 v16, 0
	ds_load_b64 v[16:17], v16 offset:16
	s_waitcnt lgkmcnt(0)
	v_mul_f64 v[6:7], v[6:7], v[16:17]
.LBB6_23:
	s_or_b32 exec_lo, exec_lo, s1
	s_delay_alu instid0(SALU_CYCLE_1)
	s_mov_b32 s1, exec_lo
	s_barrier
	buffer_gl0_inv
	ds_store_b64 v20, v[8:9]
	s_waitcnt lgkmcnt(0)
	s_barrier
	buffer_gl0_inv
	v_cmpx_gt_u32_e32 3, v0
	s_cbranch_execz .LBB6_27
; %bb.24:
	v_dual_mov_b32 v16, 0 :: v_dual_mov_b32 v19, v1
	v_lshl_add_u32 v21, v0, 3, 64
	v_dual_mov_b32 v17, 0 :: v_dual_mov_b32 v18, v0
	s_mov_b32 s2, 0
	s_set_inst_prefetch_distance 0x1
	.p2align	6
.LBB6_25:                               ; =>This Inner Loop Header: Depth=1
	s_delay_alu instid0(VALU_DEP_1) | instskip(SKIP_3) | instid1(VALU_DEP_2)
	v_cmp_eq_u32_e32 vcc_lo, 1, v18
	v_cmp_eq_u32_e64 s0, 2, v18
	v_dual_cndmask_b32 v22, v3, v5 :: v_dual_cndmask_b32 v23, v2, v4
	v_cmp_eq_u32_e32 vcc_lo, 3, v18
	v_cndmask_b32_e64 v24, v22, v7, s0
	s_delay_alu instid0(VALU_DEP_3)
	v_cndmask_b32_e64 v25, v23, v6, s0
	ds_load_b64 v[22:23], v21
	v_cmp_eq_u32_e64 s0, 4, v18
	v_add_nc_u32_e32 v21, 8, v21
	v_dual_cndmask_b32 v24, v24, v9 :: v_dual_cndmask_b32 v25, v25, v8
	v_cmp_eq_u32_e32 vcc_lo, 5, v18
	s_delay_alu instid0(VALU_DEP_2) | instskip(NEXT) | instid1(VALU_DEP_3)
	v_cndmask_b32_e64 v24, v24, v11, s0
	v_cndmask_b32_e64 v25, v25, v10, s0
	v_cmp_eq_u32_e64 s0, 6, v18
	s_delay_alu instid0(VALU_DEP_3) | instskip(NEXT) | instid1(VALU_DEP_3)
	v_cndmask_b32_e32 v24, v24, v13, vcc_lo
	v_cndmask_b32_e32 v26, v25, v12, vcc_lo
	v_add_co_u32 v18, vcc_lo, v18, 1
	v_add_co_ci_u32_e32 v19, vcc_lo, 0, v19, vcc_lo
	s_delay_alu instid0(VALU_DEP_4) | instskip(NEXT) | instid1(VALU_DEP_4)
	v_cndmask_b32_e64 v25, v24, v15, s0
	v_cndmask_b32_e64 v24, v26, v14, s0
	s_waitcnt lgkmcnt(0)
	s_delay_alu instid0(VALU_DEP_1) | instskip(SKIP_1) | instid1(VALU_DEP_1)
	v_fma_f64 v[16:17], v[24:25], v[22:23], v[16:17]
	v_add_nc_u32_e32 v22, -1, v18
	v_cmp_lt_u32_e32 vcc_lo, 1, v22
	s_or_b32 s2, vcc_lo, s2
	s_delay_alu instid0(SALU_CYCLE_1)
	s_and_not1_b32 exec_lo, exec_lo, s2
	s_cbranch_execnz .LBB6_25
; %bb.26:
	s_set_inst_prefetch_distance 0x2
	s_or_b32 exec_lo, exec_lo, s2
	v_mov_b32_e32 v8, 0
	ds_load_b64 v[8:9], v8 offset:24
	s_waitcnt lgkmcnt(0)
	v_mul_f64 v[8:9], v[16:17], v[8:9]
.LBB6_27:
	s_or_b32 exec_lo, exec_lo, s1
	s_delay_alu instid0(SALU_CYCLE_1)
	s_mov_b32 s1, exec_lo
	s_barrier
	buffer_gl0_inv
	ds_store_b64 v20, v[10:11]
	s_waitcnt lgkmcnt(0)
	s_barrier
	buffer_gl0_inv
	v_cmpx_gt_u32_e32 4, v0
	s_cbranch_execz .LBB6_31
; %bb.28:
	v_dual_mov_b32 v16, 0 :: v_dual_mov_b32 v19, v1
	v_lshl_add_u32 v21, v0, 3, 64
	v_dual_mov_b32 v17, 0 :: v_dual_mov_b32 v18, v0
	s_mov_b32 s2, 0
	s_set_inst_prefetch_distance 0x1
	.p2align	6
.LBB6_29:                               ; =>This Inner Loop Header: Depth=1
	s_delay_alu instid0(VALU_DEP_1) | instskip(SKIP_3) | instid1(VALU_DEP_2)
	v_cmp_eq_u32_e32 vcc_lo, 1, v18
	v_cmp_eq_u32_e64 s0, 2, v18
	v_dual_cndmask_b32 v22, v3, v5 :: v_dual_cndmask_b32 v23, v2, v4
	v_cmp_eq_u32_e32 vcc_lo, 3, v18
	v_cndmask_b32_e64 v24, v22, v7, s0
	s_delay_alu instid0(VALU_DEP_3)
	v_cndmask_b32_e64 v25, v23, v6, s0
	ds_load_b64 v[22:23], v21
	v_cmp_eq_u32_e64 s0, 4, v18
	v_add_nc_u32_e32 v21, 8, v21
	v_dual_cndmask_b32 v24, v24, v9 :: v_dual_cndmask_b32 v25, v25, v8
	v_cmp_eq_u32_e32 vcc_lo, 5, v18
	s_delay_alu instid0(VALU_DEP_2) | instskip(NEXT) | instid1(VALU_DEP_3)
	v_cndmask_b32_e64 v24, v24, v11, s0
	v_cndmask_b32_e64 v25, v25, v10, s0
	v_cmp_eq_u32_e64 s0, 6, v18
	s_delay_alu instid0(VALU_DEP_3) | instskip(NEXT) | instid1(VALU_DEP_3)
	v_cndmask_b32_e32 v24, v24, v13, vcc_lo
	v_cndmask_b32_e32 v26, v25, v12, vcc_lo
	v_add_co_u32 v18, vcc_lo, v18, 1
	v_add_co_ci_u32_e32 v19, vcc_lo, 0, v19, vcc_lo
	s_delay_alu instid0(VALU_DEP_4) | instskip(NEXT) | instid1(VALU_DEP_4)
	v_cndmask_b32_e64 v25, v24, v15, s0
	v_cndmask_b32_e64 v24, v26, v14, s0
	s_waitcnt lgkmcnt(0)
	s_delay_alu instid0(VALU_DEP_1) | instskip(SKIP_1) | instid1(VALU_DEP_1)
	v_fma_f64 v[16:17], v[24:25], v[22:23], v[16:17]
	v_add_nc_u32_e32 v22, -1, v18
	v_cmp_lt_u32_e32 vcc_lo, 2, v22
	s_or_b32 s2, vcc_lo, s2
	s_delay_alu instid0(SALU_CYCLE_1)
	s_and_not1_b32 exec_lo, exec_lo, s2
	s_cbranch_execnz .LBB6_29
; %bb.30:
	s_set_inst_prefetch_distance 0x2
	s_or_b32 exec_lo, exec_lo, s2
	v_mov_b32_e32 v10, 0
	ds_load_b64 v[10:11], v10 offset:32
	s_waitcnt lgkmcnt(0)
	v_mul_f64 v[10:11], v[16:17], v[10:11]
.LBB6_31:
	s_or_b32 exec_lo, exec_lo, s1
	s_delay_alu instid0(SALU_CYCLE_1)
	s_mov_b32 s1, exec_lo
	s_barrier
	buffer_gl0_inv
	ds_store_b64 v20, v[12:13]
	s_waitcnt lgkmcnt(0)
	s_barrier
	buffer_gl0_inv
	v_cmpx_gt_u32_e32 5, v0
	s_cbranch_execz .LBB6_35
; %bb.32:
	v_dual_mov_b32 v16, 0 :: v_dual_mov_b32 v19, v1
	v_lshl_add_u32 v21, v0, 3, 64
	v_dual_mov_b32 v17, 0 :: v_dual_mov_b32 v18, v0
	s_mov_b32 s2, 0
	s_set_inst_prefetch_distance 0x1
	.p2align	6
.LBB6_33:                               ; =>This Inner Loop Header: Depth=1
	s_delay_alu instid0(VALU_DEP_1) | instskip(SKIP_3) | instid1(VALU_DEP_2)
	v_cmp_eq_u32_e32 vcc_lo, 1, v18
	v_cmp_eq_u32_e64 s0, 2, v18
	v_dual_cndmask_b32 v22, v3, v5 :: v_dual_cndmask_b32 v23, v2, v4
	v_cmp_eq_u32_e32 vcc_lo, 3, v18
	v_cndmask_b32_e64 v24, v22, v7, s0
	s_delay_alu instid0(VALU_DEP_3)
	v_cndmask_b32_e64 v25, v23, v6, s0
	ds_load_b64 v[22:23], v21
	v_cmp_eq_u32_e64 s0, 4, v18
	v_add_nc_u32_e32 v21, 8, v21
	v_dual_cndmask_b32 v24, v24, v9 :: v_dual_cndmask_b32 v25, v25, v8
	v_cmp_eq_u32_e32 vcc_lo, 5, v18
	s_delay_alu instid0(VALU_DEP_2) | instskip(NEXT) | instid1(VALU_DEP_3)
	v_cndmask_b32_e64 v24, v24, v11, s0
	v_cndmask_b32_e64 v25, v25, v10, s0
	v_cmp_eq_u32_e64 s0, 6, v18
	s_delay_alu instid0(VALU_DEP_3) | instskip(NEXT) | instid1(VALU_DEP_3)
	v_cndmask_b32_e32 v24, v24, v13, vcc_lo
	v_cndmask_b32_e32 v26, v25, v12, vcc_lo
	v_add_co_u32 v18, vcc_lo, v18, 1
	v_add_co_ci_u32_e32 v19, vcc_lo, 0, v19, vcc_lo
	s_delay_alu instid0(VALU_DEP_4) | instskip(NEXT) | instid1(VALU_DEP_4)
	v_cndmask_b32_e64 v25, v24, v15, s0
	v_cndmask_b32_e64 v24, v26, v14, s0
	s_waitcnt lgkmcnt(0)
	s_delay_alu instid0(VALU_DEP_1) | instskip(SKIP_1) | instid1(VALU_DEP_1)
	v_fma_f64 v[16:17], v[24:25], v[22:23], v[16:17]
	v_add_nc_u32_e32 v22, -1, v18
	v_cmp_lt_u32_e32 vcc_lo, 3, v22
	s_or_b32 s2, vcc_lo, s2
	s_delay_alu instid0(SALU_CYCLE_1)
	s_and_not1_b32 exec_lo, exec_lo, s2
	s_cbranch_execnz .LBB6_33
; %bb.34:
	s_set_inst_prefetch_distance 0x2
	s_or_b32 exec_lo, exec_lo, s2
	v_mov_b32_e32 v12, 0
	ds_load_b64 v[12:13], v12 offset:40
	s_waitcnt lgkmcnt(0)
	v_mul_f64 v[12:13], v[16:17], v[12:13]
.LBB6_35:
	s_or_b32 exec_lo, exec_lo, s1
	s_delay_alu instid0(SALU_CYCLE_1)
	s_mov_b32 s1, exec_lo
	s_barrier
	buffer_gl0_inv
	ds_store_b64 v20, v[14:15]
	s_waitcnt lgkmcnt(0)
	s_barrier
	buffer_gl0_inv
	v_cmpx_ne_u32_e32 6, v0
	s_cbranch_execz .LBB6_39
; %bb.36:
	v_dual_mov_b32 v16, 0 :: v_dual_mov_b32 v19, v1
	v_lshl_add_u32 v20, v0, 3, 64
	v_dual_mov_b32 v17, 0 :: v_dual_mov_b32 v18, v0
	s_mov_b32 s2, 0
	s_set_inst_prefetch_distance 0x1
	.p2align	6
.LBB6_37:                               ; =>This Inner Loop Header: Depth=1
	s_delay_alu instid0(VALU_DEP_1) | instskip(SKIP_4) | instid1(VALU_DEP_2)
	v_cmp_eq_u32_e32 vcc_lo, 1, v18
	v_cmp_eq_u32_e64 s0, 2, v18
	v_cndmask_b32_e32 v1, v3, v5, vcc_lo
	v_cndmask_b32_e32 v21, v2, v4, vcc_lo
	v_cmp_eq_u32_e32 vcc_lo, 3, v18
	v_cndmask_b32_e64 v23, v21, v6, s0
	ds_load_b64 v[21:22], v20
	v_add_nc_u32_e32 v20, 8, v20
	v_cndmask_b32_e64 v1, v1, v7, s0
	v_cmp_eq_u32_e64 s0, 4, v18
	v_cndmask_b32_e32 v23, v23, v8, vcc_lo
	s_delay_alu instid0(VALU_DEP_3) | instskip(SKIP_1) | instid1(VALU_DEP_3)
	v_cndmask_b32_e32 v1, v1, v9, vcc_lo
	v_cmp_eq_u32_e32 vcc_lo, 5, v18
	v_cndmask_b32_e64 v23, v23, v10, s0
	s_delay_alu instid0(VALU_DEP_3) | instskip(SKIP_1) | instid1(VALU_DEP_3)
	v_cndmask_b32_e64 v1, v1, v11, s0
	v_cmp_eq_u32_e64 s0, 6, v18
	v_cndmask_b32_e32 v23, v23, v12, vcc_lo
	s_delay_alu instid0(VALU_DEP_3) | instskip(SKIP_1) | instid1(VALU_DEP_3)
	v_cndmask_b32_e32 v1, v1, v13, vcc_lo
	v_add_co_u32 v18, vcc_lo, v18, 1
	v_cndmask_b32_e64 v23, v23, v14, s0
	v_add_co_ci_u32_e32 v19, vcc_lo, 0, v19, vcc_lo
	s_delay_alu instid0(VALU_DEP_4) | instskip(NEXT) | instid1(VALU_DEP_4)
	v_cndmask_b32_e64 v24, v1, v15, s0
	v_add_nc_u32_e32 v1, -1, v18
	s_waitcnt lgkmcnt(0)
	s_delay_alu instid0(VALU_DEP_2) | instskip(NEXT) | instid1(VALU_DEP_2)
	v_fma_f64 v[16:17], v[23:24], v[21:22], v[16:17]
	v_cmp_lt_u32_e32 vcc_lo, 4, v1
	s_or_b32 s2, vcc_lo, s2
	s_delay_alu instid0(SALU_CYCLE_1)
	s_and_not1_b32 exec_lo, exec_lo, s2
	s_cbranch_execnz .LBB6_37
; %bb.38:
	s_set_inst_prefetch_distance 0x2
	s_or_b32 exec_lo, exec_lo, s2
	v_mov_b32_e32 v1, 0
	ds_load_b64 v[14:15], v1 offset:48
	s_waitcnt lgkmcnt(0)
	v_mul_f64 v[14:15], v[16:17], v[14:15]
.LBB6_39:
	s_or_b32 exec_lo, exec_lo, s1
	s_barrier
	buffer_gl0_inv
	s_cbranch_execnz .LBB6_15
	s_branch .LBB6_16
.LBB6_40:
	v_lshl_add_u32 v1, v0, 3, 64
	s_mov_b32 s0, exec_lo
	v_cmpx_eq_u32_e32 6, v0
	s_cbranch_execz .LBB6_42
; %bb.41:
	v_dual_mov_b32 v26, 0 :: v_dual_mov_b32 v17, v3
	v_dual_mov_b32 v16, v2 :: v_dual_mov_b32 v19, v5
	;; [unrolled: 1-line block ×6, first 2 shown]
	v_mov_b32_e32 v27, v26
	v_mov_b32_e32 v28, v14
	ds_store_b64 v1, v[12:13]
	v_mov_b32_e32 v2, v16
	v_dual_mov_b32 v3, v17 :: v_dual_mov_b32 v4, v18
	v_dual_mov_b32 v5, v19 :: v_dual_mov_b32 v6, v20
	;; [unrolled: 1-line block ×7, first 2 shown]
	v_mov_b32_e32 v17, v31
.LBB6_42:
	s_or_b32 exec_lo, exec_lo, s0
	v_mov_b32_e32 v24, 0
	s_waitcnt lgkmcnt(0)
	s_waitcnt_vscnt null, 0x0
	s_barrier
	buffer_gl0_inv
	s_mov_b32 s0, exec_lo
	ds_load_b64 v[16:17], v24 offset:112
	s_waitcnt lgkmcnt(0)
	v_fma_f64 v[16:17], v[14:15], v[16:17], 0
	s_delay_alu instid0(VALU_DEP_1)
	v_add_f64 v[12:13], v[12:13], -v[16:17]
	v_cmpx_lt_u32_e32 4, v0
	s_cbranch_execz .LBB6_44
; %bb.43:
	v_dual_mov_b32 v16, v2 :: v_dual_mov_b32 v17, v3
	v_dual_mov_b32 v18, v4 :: v_dual_mov_b32 v19, v5
	;; [unrolled: 1-line block ×6, first 2 shown]
	v_mov_b32_e32 v29, v15
	ds_store_b64 v1, v[10:11]
	v_mov_b32_e32 v2, v16
	v_dual_mov_b32 v3, v17 :: v_dual_mov_b32 v4, v18
	v_dual_mov_b32 v5, v19 :: v_dual_mov_b32 v6, v20
	;; [unrolled: 1-line block ×7, first 2 shown]
	v_mov_b32_e32 v17, v31
.LBB6_44:
	s_or_b32 exec_lo, exec_lo, s0
	s_waitcnt lgkmcnt(0)
	s_barrier
	buffer_gl0_inv
	ds_load_2addr_b64 v[16:19], v24 offset0:13 offset1:14
	s_mov_b32 s0, exec_lo
	s_waitcnt lgkmcnt(0)
	v_fma_f64 v[16:17], v[12:13], v[16:17], 0
	s_delay_alu instid0(VALU_DEP_1) | instskip(NEXT) | instid1(VALU_DEP_1)
	v_fma_f64 v[16:17], v[14:15], v[18:19], v[16:17]
	v_add_f64 v[10:11], v[10:11], -v[16:17]
	v_cmpx_lt_u32_e32 3, v0
	s_cbranch_execz .LBB6_46
; %bb.45:
	v_dual_mov_b32 v22, 0 :: v_dual_mov_b32 v17, v3
	v_dual_mov_b32 v16, v2 :: v_dual_mov_b32 v19, v5
	;; [unrolled: 1-line block ×4, first 2 shown]
	s_delay_alu instid0(VALU_DEP_4)
	v_dual_mov_b32 v23, v22 :: v_dual_mov_b32 v26, v12
	v_dual_mov_b32 v24, v10 :: v_dual_mov_b32 v27, v13
	v_dual_mov_b32 v28, v14 :: v_dual_mov_b32 v29, v15
	ds_store_b64 v1, v[8:9]
	v_mov_b32_e32 v2, v16
	v_dual_mov_b32 v3, v17 :: v_dual_mov_b32 v4, v18
	v_dual_mov_b32 v5, v19 :: v_dual_mov_b32 v6, v20
	;; [unrolled: 1-line block ×7, first 2 shown]
	v_mov_b32_e32 v17, v31
.LBB6_46:
	s_or_b32 exec_lo, exec_lo, s0
	v_mov_b32_e32 v20, 0
	s_waitcnt lgkmcnt(0)
	s_barrier
	buffer_gl0_inv
	s_mov_b32 s0, exec_lo
	ds_load_b128 v[16:19], v20 offset:96
	ds_load_b64 v[21:22], v20 offset:112
	s_waitcnt lgkmcnt(1)
	v_fma_f64 v[16:17], v[10:11], v[16:17], 0
	s_delay_alu instid0(VALU_DEP_1) | instskip(SKIP_1) | instid1(VALU_DEP_1)
	v_fma_f64 v[16:17], v[12:13], v[18:19], v[16:17]
	s_waitcnt lgkmcnt(0)
	v_fma_f64 v[16:17], v[14:15], v[21:22], v[16:17]
	s_delay_alu instid0(VALU_DEP_1)
	v_add_f64 v[8:9], v[8:9], -v[16:17]
	v_cmpx_lt_u32_e32 2, v0
	s_cbranch_execz .LBB6_48
; %bb.47:
	v_dual_mov_b32 v16, v2 :: v_dual_mov_b32 v17, v3
	v_dual_mov_b32 v18, v4 :: v_dual_mov_b32 v19, v5
	;; [unrolled: 1-line block ×6, first 2 shown]
	v_mov_b32_e32 v29, v15
	ds_store_b64 v1, v[6:7]
	v_mov_b32_e32 v2, v16
	v_dual_mov_b32 v3, v17 :: v_dual_mov_b32 v4, v18
	v_dual_mov_b32 v5, v19 :: v_dual_mov_b32 v6, v20
	;; [unrolled: 1-line block ×7, first 2 shown]
	v_mov_b32_e32 v17, v31
.LBB6_48:
	s_or_b32 exec_lo, exec_lo, s0
	s_waitcnt lgkmcnt(0)
	s_barrier
	buffer_gl0_inv
	ds_load_2addr_b64 v[16:19], v20 offset0:11 offset1:12
	ds_load_2addr_b64 v[20:23], v20 offset0:13 offset1:14
	s_mov_b32 s0, exec_lo
	s_waitcnt lgkmcnt(1)
	v_fma_f64 v[16:17], v[8:9], v[16:17], 0
	s_delay_alu instid0(VALU_DEP_1) | instskip(SKIP_1) | instid1(VALU_DEP_1)
	v_fma_f64 v[16:17], v[10:11], v[18:19], v[16:17]
	s_waitcnt lgkmcnt(0)
	v_fma_f64 v[16:17], v[12:13], v[20:21], v[16:17]
	s_delay_alu instid0(VALU_DEP_1) | instskip(NEXT) | instid1(VALU_DEP_1)
	v_fma_f64 v[16:17], v[14:15], v[22:23], v[16:17]
	v_add_f64 v[6:7], v[6:7], -v[16:17]
	v_cmpx_lt_u32_e32 1, v0
	s_cbranch_execz .LBB6_50
; %bb.49:
	v_dual_mov_b32 v18, 0 :: v_dual_mov_b32 v17, v3
	s_delay_alu instid0(VALU_DEP_3) | instskip(NEXT) | instid1(VALU_DEP_4)
	v_dual_mov_b32 v16, v2 :: v_dual_mov_b32 v21, v7
	v_dual_mov_b32 v20, v6 :: v_dual_mov_b32 v23, v9
	s_delay_alu instid0(VALU_DEP_3)
	v_dual_mov_b32 v19, v18 :: v_dual_mov_b32 v22, v8
	v_dual_mov_b32 v24, v10 :: v_dual_mov_b32 v25, v11
	;; [unrolled: 1-line block ×4, first 2 shown]
	ds_store_b64 v1, v[4:5]
	v_mov_b32_e32 v2, v16
	v_dual_mov_b32 v3, v17 :: v_dual_mov_b32 v4, v18
	v_dual_mov_b32 v5, v19 :: v_dual_mov_b32 v6, v20
	;; [unrolled: 1-line block ×7, first 2 shown]
	v_mov_b32_e32 v17, v31
.LBB6_50:
	s_or_b32 exec_lo, exec_lo, s0
	v_mov_b32_e32 v18, 0
	s_waitcnt lgkmcnt(0)
	s_barrier
	buffer_gl0_inv
	s_mov_b32 s0, exec_lo
	ds_load_b128 v[19:22], v18 offset:80
	ds_load_b128 v[23:26], v18 offset:96
	s_waitcnt lgkmcnt(1)
	v_fma_f64 v[16:17], v[6:7], v[19:20], 0
	ds_load_b64 v[19:20], v18 offset:112
	v_fma_f64 v[16:17], v[8:9], v[21:22], v[16:17]
	s_waitcnt lgkmcnt(1)
	s_delay_alu instid0(VALU_DEP_1) | instskip(NEXT) | instid1(VALU_DEP_1)
	v_fma_f64 v[16:17], v[10:11], v[23:24], v[16:17]
	v_fma_f64 v[16:17], v[12:13], v[25:26], v[16:17]
	s_waitcnt lgkmcnt(0)
	s_delay_alu instid0(VALU_DEP_1) | instskip(NEXT) | instid1(VALU_DEP_1)
	v_fma_f64 v[16:17], v[14:15], v[19:20], v[16:17]
	v_add_f64 v[4:5], v[4:5], -v[16:17]
	v_cmpx_ne_u32_e32 0, v0
	s_cbranch_execz .LBB6_52
; %bb.51:
	s_delay_alu instid0(VALU_DEP_2) | instskip(NEXT) | instid1(VALU_DEP_3)
	v_dual_mov_b32 v19, v18 :: v_dual_mov_b32 v20, v4
	v_dual_mov_b32 v21, v5 :: v_dual_mov_b32 v22, v6
	;; [unrolled: 1-line block ×6, first 2 shown]
	v_mov_b32_e32 v31, v15
	ds_store_b64 v1, v[2:3]
	v_dual_mov_b32 v2, v18 :: v_dual_mov_b32 v3, v19
	v_dual_mov_b32 v4, v20 :: v_dual_mov_b32 v5, v21
	;; [unrolled: 1-line block ×8, first 2 shown]
.LBB6_52:
	s_or_b32 exec_lo, exec_lo, s0
	s_waitcnt lgkmcnt(0)
	s_barrier
	buffer_gl0_inv
	ds_load_2addr_b64 v[19:22], v18 offset0:9 offset1:10
	ds_load_2addr_b64 v[23:26], v18 offset0:11 offset1:12
	s_and_b32 vcc_lo, exec_lo, s16
	s_waitcnt lgkmcnt(1)
	v_fma_f64 v[0:1], v[4:5], v[19:20], 0
	ds_load_2addr_b64 v[16:19], v18 offset0:13 offset1:14
	v_fma_f64 v[0:1], v[6:7], v[21:22], v[0:1]
	s_waitcnt lgkmcnt(1)
	s_delay_alu instid0(VALU_DEP_1) | instskip(NEXT) | instid1(VALU_DEP_1)
	v_fma_f64 v[0:1], v[8:9], v[23:24], v[0:1]
	v_fma_f64 v[0:1], v[10:11], v[25:26], v[0:1]
	s_waitcnt lgkmcnt(0)
	s_delay_alu instid0(VALU_DEP_1) | instskip(NEXT) | instid1(VALU_DEP_1)
	v_fma_f64 v[0:1], v[12:13], v[16:17], v[0:1]
	v_fma_f64 v[0:1], v[14:15], v[18:19], v[0:1]
	s_delay_alu instid0(VALU_DEP_1)
	v_add_f64 v[2:3], v[2:3], -v[0:1]
	s_cbranch_vccz .LBB6_66
; %bb.53:
	v_dual_mov_b32 v0, s12 :: v_dual_mov_b32 v1, s13
	s_mov_b32 s5, exec_lo
	flat_load_b32 v0, v[0:1] offset:20
	s_waitcnt vmcnt(0) lgkmcnt(0)
	v_add_nc_u32_e32 v0, -1, v0
	s_delay_alu instid0(VALU_DEP_1)
	v_cmpx_ne_u32_e32 5, v0
	s_cbranch_execz .LBB6_55
; %bb.54:
	v_cmp_eq_u32_e32 vcc_lo, 1, v0
	v_cmp_eq_u32_e64 s0, 2, v0
	v_cmp_eq_u32_e64 s1, 3, v0
	v_cmp_eq_u32_e64 s2, 4, v0
	v_cmp_eq_u32_e64 s3, 0, v0
	v_dual_cndmask_b32 v1, v2, v4 :: v_dual_cndmask_b32 v16, v3, v5
	v_cmp_eq_u32_e64 s4, 5, v0
	v_cndmask_b32_e32 v18, v5, v13, vcc_lo
	v_cndmask_b32_e64 v20, v7, v13, s0
	s_delay_alu instid0(VALU_DEP_4)
	v_cndmask_b32_e64 v1, v1, v6, s0
	v_cndmask_b32_e64 v16, v16, v7, s0
	v_cndmask_b32_e64 v19, v6, v12, s0
	v_cndmask_b32_e64 v22, v9, v13, s1
	v_cndmask_b32_e64 v21, v8, v12, s1
	v_cndmask_b32_e64 v1, v1, v8, s1
	v_cndmask_b32_e64 v17, v16, v9, s1
	v_cndmask_b32_e64 v16, v3, v13, s3
	v_cndmask_b32_e64 v24, v11, v13, s2
	v_cndmask_b32_e64 v23, v10, v12, s2
	v_cndmask_b32_e64 v1, v1, v10, s2
	v_cndmask_b32_e64 v3, v17, v11, s2
	v_cndmask_b32_e32 v17, v4, v12, vcc_lo
	v_cmp_eq_u32_e32 vcc_lo, 6, v0
	s_delay_alu instid0(VALU_DEP_4) | instskip(NEXT) | instid1(VALU_DEP_4)
	v_cndmask_b32_e64 v1, v1, v12, s4
	v_cndmask_b32_e64 v3, v3, v13, s4
	v_dual_cndmask_b32 v28, v15, v13 :: v_dual_cndmask_b32 v27, v14, v12
	s_delay_alu instid0(VALU_DEP_2) | instskip(SKIP_1) | instid1(VALU_DEP_2)
	v_dual_cndmask_b32 v0, v1, v14 :: v_dual_cndmask_b32 v1, v3, v15
	v_cndmask_b32_e64 v15, v2, v12, s3
	v_cndmask_b32_e64 v25, v0, v12, s4
	s_delay_alu instid0(VALU_DEP_3) | instskip(NEXT) | instid1(VALU_DEP_3)
	v_cndmask_b32_e64 v26, v1, v13, s4
	v_mov_b32_e32 v2, v15
	v_dual_mov_b32 v3, v16 :: v_dual_mov_b32 v4, v17
	v_dual_mov_b32 v5, v18 :: v_dual_mov_b32 v6, v19
	v_dual_mov_b32 v7, v20 :: v_dual_mov_b32 v8, v21
	v_dual_mov_b32 v9, v22 :: v_dual_mov_b32 v10, v23
	v_dual_mov_b32 v11, v24 :: v_dual_mov_b32 v12, v25
	v_dual_mov_b32 v13, v26 :: v_dual_mov_b32 v14, v27
	v_mov_b32_e32 v15, v28
	v_mov_b32_e32 v16, v29
	v_mov_b32_e32 v17, v30
.LBB6_55:
	s_or_b32 exec_lo, exec_lo, s5
	v_dual_mov_b32 v0, s12 :: v_dual_mov_b32 v1, s13
	s_mov_b32 s5, exec_lo
	flat_load_b32 v0, v[0:1] offset:16
	s_waitcnt vmcnt(0) lgkmcnt(0)
	v_add_nc_u32_e32 v0, -1, v0
	s_delay_alu instid0(VALU_DEP_1)
	v_cmpx_ne_u32_e32 4, v0
	s_cbranch_execz .LBB6_57
; %bb.56:
	v_cmp_eq_u32_e32 vcc_lo, 1, v0
	v_cmp_eq_u32_e64 s0, 2, v0
	v_cmp_eq_u32_e64 s1, 3, v0
	v_cmp_eq_u32_e64 s2, 4, v0
	v_cmp_eq_u32_e64 s3, 0, v0
	v_dual_cndmask_b32 v1, v2, v4 :: v_dual_cndmask_b32 v16, v3, v5
	v_cmp_eq_u32_e64 s4, 5, v0
	v_cndmask_b32_e32 v18, v5, v11, vcc_lo
	v_cndmask_b32_e64 v20, v7, v11, s0
	s_delay_alu instid0(VALU_DEP_4)
	v_cndmask_b32_e64 v1, v1, v6, s0
	v_cndmask_b32_e64 v16, v16, v7, s0
	v_cndmask_b32_e64 v19, v6, v10, s0
	v_cndmask_b32_e64 v22, v9, v11, s1
	v_cndmask_b32_e64 v21, v8, v10, s1
	v_cndmask_b32_e64 v1, v1, v8, s1
	v_cndmask_b32_e64 v17, v16, v9, s1
	v_cndmask_b32_e64 v16, v3, v11, s3
	v_cndmask_b32_e64 v26, v13, v11, s4
	v_cndmask_b32_e64 v25, v12, v10, s4
	v_cndmask_b32_e64 v1, v1, v10, s2
	v_cndmask_b32_e64 v3, v17, v11, s2
	v_cndmask_b32_e32 v17, v4, v10, vcc_lo
	v_cmp_eq_u32_e32 vcc_lo, 6, v0
	s_delay_alu instid0(VALU_DEP_4) | instskip(NEXT) | instid1(VALU_DEP_4)
	v_cndmask_b32_e64 v1, v1, v12, s4
	v_cndmask_b32_e64 v3, v3, v13, s4
	v_dual_cndmask_b32 v28, v15, v11 :: v_dual_cndmask_b32 v27, v14, v10
	s_delay_alu instid0(VALU_DEP_2) | instskip(SKIP_1) | instid1(VALU_DEP_2)
	v_dual_cndmask_b32 v0, v1, v14 :: v_dual_cndmask_b32 v1, v3, v15
	v_cndmask_b32_e64 v15, v2, v10, s3
	v_cndmask_b32_e64 v23, v0, v10, s2
	s_delay_alu instid0(VALU_DEP_3) | instskip(NEXT) | instid1(VALU_DEP_3)
	v_cndmask_b32_e64 v24, v1, v11, s2
	v_mov_b32_e32 v2, v15
	v_dual_mov_b32 v3, v16 :: v_dual_mov_b32 v4, v17
	v_dual_mov_b32 v5, v18 :: v_dual_mov_b32 v6, v19
	v_dual_mov_b32 v7, v20 :: v_dual_mov_b32 v8, v21
	v_dual_mov_b32 v9, v22 :: v_dual_mov_b32 v10, v23
	v_dual_mov_b32 v11, v24 :: v_dual_mov_b32 v12, v25
	v_dual_mov_b32 v13, v26 :: v_dual_mov_b32 v14, v27
	v_mov_b32_e32 v15, v28
	v_mov_b32_e32 v16, v29
	v_mov_b32_e32 v17, v30
.LBB6_57:
	s_or_b32 exec_lo, exec_lo, s5
	;; [unrolled: 55-line block ×3, first 2 shown]
	v_dual_mov_b32 v0, s12 :: v_dual_mov_b32 v1, s13
	s_mov_b32 s5, exec_lo
	flat_load_b32 v0, v[0:1] offset:8
	s_waitcnt vmcnt(0) lgkmcnt(0)
	v_add_nc_u32_e32 v0, -1, v0
	s_delay_alu instid0(VALU_DEP_1)
	v_cmpx_ne_u32_e32 2, v0
	s_cbranch_execz .LBB6_61
; %bb.60:
	v_cmp_eq_u32_e32 vcc_lo, 1, v0
	v_cmp_eq_u32_e64 s0, 2, v0
	v_cmp_eq_u32_e64 s1, 3, v0
	;; [unrolled: 1-line block ×4, first 2 shown]
	v_dual_cndmask_b32 v1, v2, v4 :: v_dual_cndmask_b32 v16, v3, v5
	v_cmp_eq_u32_e64 s4, 5, v0
	v_cndmask_b32_e32 v18, v5, v7, vcc_lo
	v_cndmask_b32_e64 v22, v9, v7, s1
	s_delay_alu instid0(VALU_DEP_4)
	v_cndmask_b32_e64 v1, v1, v6, s0
	v_cndmask_b32_e64 v16, v16, v7, s0
	;; [unrolled: 1-line block ×12, first 2 shown]
	v_cndmask_b32_e32 v17, v4, v6, vcc_lo
	v_cmp_eq_u32_e32 vcc_lo, 6, v0
	s_delay_alu instid0(VALU_DEP_4) | instskip(NEXT) | instid1(VALU_DEP_4)
	v_cndmask_b32_e64 v1, v1, v12, s4
	v_cndmask_b32_e64 v3, v3, v13, s4
	v_dual_cndmask_b32 v28, v15, v7 :: v_dual_cndmask_b32 v27, v14, v6
	s_delay_alu instid0(VALU_DEP_2) | instskip(SKIP_1) | instid1(VALU_DEP_2)
	v_dual_cndmask_b32 v0, v1, v14 :: v_dual_cndmask_b32 v1, v3, v15
	v_cndmask_b32_e64 v15, v2, v6, s3
	v_cndmask_b32_e64 v19, v0, v6, s0
	s_delay_alu instid0(VALU_DEP_3) | instskip(NEXT) | instid1(VALU_DEP_3)
	v_cndmask_b32_e64 v20, v1, v7, s0
	v_mov_b32_e32 v2, v15
	v_dual_mov_b32 v3, v16 :: v_dual_mov_b32 v4, v17
	s_delay_alu instid0(VALU_DEP_4) | instskip(NEXT) | instid1(VALU_DEP_4)
	v_dual_mov_b32 v5, v18 :: v_dual_mov_b32 v6, v19
	v_dual_mov_b32 v7, v20 :: v_dual_mov_b32 v8, v21
	;; [unrolled: 1-line block ×5, first 2 shown]
	v_mov_b32_e32 v15, v28
	v_mov_b32_e32 v16, v29
	v_mov_b32_e32 v17, v30
.LBB6_61:
	s_or_b32 exec_lo, exec_lo, s5
	v_dual_mov_b32 v0, s12 :: v_dual_mov_b32 v1, s13
	s_mov_b32 s5, exec_lo
	flat_load_b32 v0, v[0:1] offset:4
	s_waitcnt vmcnt(0) lgkmcnt(0)
	v_add_nc_u32_e32 v0, -1, v0
	s_delay_alu instid0(VALU_DEP_1)
	v_cmpx_ne_u32_e32 1, v0
	s_cbranch_execz .LBB6_63
; %bb.62:
	v_cmp_eq_u32_e32 vcc_lo, 1, v0
	v_cmp_eq_u32_e64 s0, 2, v0
	v_cmp_eq_u32_e64 s1, 3, v0
	;; [unrolled: 1-line block ×4, first 2 shown]
	v_dual_cndmask_b32 v1, v2, v4 :: v_dual_cndmask_b32 v16, v3, v5
	v_cmp_eq_u32_e64 s4, 5, v0
	v_cndmask_b32_e64 v20, v7, v5, s0
	v_cndmask_b32_e64 v19, v6, v4, s0
	s_delay_alu instid0(VALU_DEP_4)
	v_cndmask_b32_e64 v1, v1, v6, s0
	v_cndmask_b32_e64 v16, v16, v7, s0
	v_cmp_eq_u32_e64 s0, 6, v0
	v_cndmask_b32_e64 v22, v9, v5, s1
	v_cndmask_b32_e64 v21, v8, v4, s1
	;; [unrolled: 1-line block ×15, first 2 shown]
	s_delay_alu instid0(VALU_DEP_3) | instskip(NEXT) | instid1(VALU_DEP_3)
	v_cndmask_b32_e64 v0, v1, v14, s0
	v_cndmask_b32_e64 v1, v3, v15, s0
	v_cndmask_b32_e64 v15, v2, v4, s3
	s_delay_alu instid0(VALU_DEP_2) | instskip(NEXT) | instid1(VALU_DEP_2)
	v_dual_cndmask_b32 v17, v0, v4 :: v_dual_cndmask_b32 v18, v1, v5
	v_mov_b32_e32 v2, v15
	s_delay_alu instid0(VALU_DEP_2) | instskip(NEXT) | instid1(VALU_DEP_3)
	v_dual_mov_b32 v3, v16 :: v_dual_mov_b32 v4, v17
	v_dual_mov_b32 v6, v19 :: v_dual_mov_b32 v5, v18
	v_dual_mov_b32 v7, v20 :: v_dual_mov_b32 v8, v21
	v_dual_mov_b32 v9, v22 :: v_dual_mov_b32 v10, v23
	v_dual_mov_b32 v11, v24 :: v_dual_mov_b32 v12, v25
	v_dual_mov_b32 v13, v26 :: v_dual_mov_b32 v14, v27
	v_mov_b32_e32 v15, v28
	v_mov_b32_e32 v16, v29
	;; [unrolled: 1-line block ×3, first 2 shown]
.LBB6_63:
	s_or_b32 exec_lo, exec_lo, s5
	v_dual_mov_b32 v0, s12 :: v_dual_mov_b32 v1, s13
	s_mov_b32 s3, exec_lo
	flat_load_b32 v0, v[0:1]
	s_waitcnt vmcnt(0) lgkmcnt(0)
	v_add_nc_u32_e32 v0, -1, v0
	s_delay_alu instid0(VALU_DEP_1)
	v_cmpx_ne_u32_e32 0, v0
	s_cbranch_execz .LBB6_65
; %bb.64:
	v_cmp_eq_u32_e32 vcc_lo, 1, v0
	v_cmp_eq_u32_e64 s0, 2, v0
	v_cmp_eq_u32_e64 s1, 3, v0
	v_cmp_eq_u32_e64 s2, 4, v0
	v_dual_cndmask_b32 v1, v2, v4 :: v_dual_cndmask_b32 v16, v3, v5
	s_delay_alu instid0(VALU_DEP_4) | instskip(SKIP_2) | instid1(VALU_DEP_4)
	v_cndmask_b32_e64 v18, v7, v3, s0
	v_cndmask_b32_e64 v17, v6, v2, s0
	;; [unrolled: 1-line block ×5, first 2 shown]
	v_cmp_eq_u32_e64 s0, 5, v0
	v_cndmask_b32_e64 v19, v8, v2, s1
	v_cndmask_b32_e64 v22, v11, v3, s2
	;; [unrolled: 1-line block ×4, first 2 shown]
	v_cmp_eq_u32_e64 s1, 6, v0
	v_cndmask_b32_e64 v21, v10, v2, s2
	v_cndmask_b32_e64 v24, v13, v3, s0
	;; [unrolled: 1-line block ×4, first 2 shown]
	v_cndmask_b32_e32 v16, v5, v3, vcc_lo
	v_cmp_eq_u32_e64 s2, 0, v0
	v_cndmask_b32_e64 v23, v12, v2, s0
	v_cndmask_b32_e64 v1, v1, v12, s0
	;; [unrolled: 1-line block ×5, first 2 shown]
	s_delay_alu instid0(VALU_DEP_4) | instskip(NEXT) | instid1(VALU_DEP_4)
	v_cndmask_b32_e64 v1, v1, v14, s1
	v_cndmask_b32_e64 v5, v5, v15, s1
	v_cndmask_b32_e32 v15, v4, v2, vcc_lo
	s_delay_alu instid0(VALU_DEP_3) | instskip(NEXT) | instid1(VALU_DEP_3)
	v_cndmask_b32_e64 v13, v1, v2, s2
	v_cndmask_b32_e64 v14, v5, v3, s2
	s_delay_alu instid0(VALU_DEP_2) | instskip(NEXT) | instid1(VALU_DEP_2)
	v_mov_b32_e32 v2, v13
	v_dual_mov_b32 v3, v14 :: v_dual_mov_b32 v4, v15
	v_dual_mov_b32 v5, v16 :: v_dual_mov_b32 v6, v17
	;; [unrolled: 1-line block ×5, first 2 shown]
	v_mov_b32_e32 v13, v24
	v_mov_b32_e32 v14, v25
	;; [unrolled: 1-line block ×5, first 2 shown]
.LBB6_65:
	s_or_b32 exec_lo, exec_lo, s3
.LBB6_66:
	s_clause 0x6
	global_store_b64 v[32:33], v[2:3], off
	global_store_b64 v[34:35], v[4:5], off
	;; [unrolled: 1-line block ×7, first 2 shown]
	s_nop 0
	s_sendmsg sendmsg(MSG_DEALLOC_VGPRS)
	s_endpgm
	.section	.rodata,"a",@progbits
	.p2align	6, 0x0
	.amdhsa_kernel _ZN9rocsolver6v33100L18getri_kernel_smallILi7EdPdEEvT1_iilPiilS4_bb
		.amdhsa_group_segment_fixed_size 120
		.amdhsa_private_segment_fixed_size 0
		.amdhsa_kernarg_size 60
		.amdhsa_user_sgpr_count 15
		.amdhsa_user_sgpr_dispatch_ptr 0
		.amdhsa_user_sgpr_queue_ptr 0
		.amdhsa_user_sgpr_kernarg_segment_ptr 1
		.amdhsa_user_sgpr_dispatch_id 0
		.amdhsa_user_sgpr_private_segment_size 0
		.amdhsa_wavefront_size32 1
		.amdhsa_uses_dynamic_stack 0
		.amdhsa_enable_private_segment 0
		.amdhsa_system_sgpr_workgroup_id_x 1
		.amdhsa_system_sgpr_workgroup_id_y 0
		.amdhsa_system_sgpr_workgroup_id_z 0
		.amdhsa_system_sgpr_workgroup_info 0
		.amdhsa_system_vgpr_workitem_id 0
		.amdhsa_next_free_vgpr 46
		.amdhsa_next_free_sgpr 18
		.amdhsa_reserve_vcc 1
		.amdhsa_float_round_mode_32 0
		.amdhsa_float_round_mode_16_64 0
		.amdhsa_float_denorm_mode_32 3
		.amdhsa_float_denorm_mode_16_64 3
		.amdhsa_dx10_clamp 1
		.amdhsa_ieee_mode 1
		.amdhsa_fp16_overflow 0
		.amdhsa_workgroup_processor_mode 1
		.amdhsa_memory_ordered 1
		.amdhsa_forward_progress 0
		.amdhsa_shared_vgpr_count 0
		.amdhsa_exception_fp_ieee_invalid_op 0
		.amdhsa_exception_fp_denorm_src 0
		.amdhsa_exception_fp_ieee_div_zero 0
		.amdhsa_exception_fp_ieee_overflow 0
		.amdhsa_exception_fp_ieee_underflow 0
		.amdhsa_exception_fp_ieee_inexact 0
		.amdhsa_exception_int_div_zero 0
	.end_amdhsa_kernel
	.section	.text._ZN9rocsolver6v33100L18getri_kernel_smallILi7EdPdEEvT1_iilPiilS4_bb,"axG",@progbits,_ZN9rocsolver6v33100L18getri_kernel_smallILi7EdPdEEvT1_iilPiilS4_bb,comdat
.Lfunc_end6:
	.size	_ZN9rocsolver6v33100L18getri_kernel_smallILi7EdPdEEvT1_iilPiilS4_bb, .Lfunc_end6-_ZN9rocsolver6v33100L18getri_kernel_smallILi7EdPdEEvT1_iilPiilS4_bb
                                        ; -- End function
	.section	.AMDGPU.csdata,"",@progbits
; Kernel info:
; codeLenInByte = 6348
; NumSgprs: 20
; NumVgprs: 46
; ScratchSize: 0
; MemoryBound: 0
; FloatMode: 240
; IeeeMode: 1
; LDSByteSize: 120 bytes/workgroup (compile time only)
; SGPRBlocks: 2
; VGPRBlocks: 5
; NumSGPRsForWavesPerEU: 20
; NumVGPRsForWavesPerEU: 46
; Occupancy: 16
; WaveLimiterHint : 0
; COMPUTE_PGM_RSRC2:SCRATCH_EN: 0
; COMPUTE_PGM_RSRC2:USER_SGPR: 15
; COMPUTE_PGM_RSRC2:TRAP_HANDLER: 0
; COMPUTE_PGM_RSRC2:TGID_X_EN: 1
; COMPUTE_PGM_RSRC2:TGID_Y_EN: 0
; COMPUTE_PGM_RSRC2:TGID_Z_EN: 0
; COMPUTE_PGM_RSRC2:TIDIG_COMP_CNT: 0
	.section	.text._ZN9rocsolver6v33100L18getri_kernel_smallILi8EdPdEEvT1_iilPiilS4_bb,"axG",@progbits,_ZN9rocsolver6v33100L18getri_kernel_smallILi8EdPdEEvT1_iilPiilS4_bb,comdat
	.globl	_ZN9rocsolver6v33100L18getri_kernel_smallILi8EdPdEEvT1_iilPiilS4_bb ; -- Begin function _ZN9rocsolver6v33100L18getri_kernel_smallILi8EdPdEEvT1_iilPiilS4_bb
	.p2align	8
	.type	_ZN9rocsolver6v33100L18getri_kernel_smallILi8EdPdEEvT1_iilPiilS4_bb,@function
_ZN9rocsolver6v33100L18getri_kernel_smallILi8EdPdEEvT1_iilPiilS4_bb: ; @_ZN9rocsolver6v33100L18getri_kernel_smallILi8EdPdEEvT1_iilPiilS4_bb
; %bb.0:
	s_mov_b32 s2, exec_lo
	v_cmpx_gt_u32_e32 8, v0
	s_cbranch_execz .LBB7_16
; %bb.1:
	s_clause 0x2
	s_load_b32 s17, s[0:1], 0x38
	s_load_b128 s[4:7], s[0:1], 0x10
	s_load_b128 s[8:11], s[0:1], 0x28
	s_mov_b32 s14, s15
                                        ; implicit-def: $sgpr12_sgpr13
	s_waitcnt lgkmcnt(0)
	s_bitcmp1_b32 s17, 8
	s_cselect_b32 s16, -1, 0
	s_bfe_u32 s2, s17, 0x10008
	s_ashr_i32 s15, s15, 31
	s_cmp_eq_u32 s2, 0
	s_cbranch_scc1 .LBB7_3
; %bb.2:
	s_load_b32 s2, s[0:1], 0x20
	s_mul_i32 s3, s14, s9
	s_mul_hi_u32 s9, s14, s8
	s_mul_i32 s12, s15, s8
	s_add_i32 s3, s9, s3
	s_mul_i32 s8, s14, s8
	s_add_i32 s9, s3, s12
	s_delay_alu instid0(SALU_CYCLE_1)
	s_lshl_b64 s[8:9], s[8:9], 2
	s_waitcnt lgkmcnt(0)
	s_ashr_i32 s3, s2, 31
	s_add_u32 s6, s6, s8
	s_addc_u32 s7, s7, s9
	s_lshl_b64 s[2:3], s[2:3], 2
	s_delay_alu instid0(SALU_CYCLE_1)
	s_add_u32 s12, s6, s2
	s_addc_u32 s13, s7, s3
.LBB7_3:
	s_load_b128 s[0:3], s[0:1], 0x0
	s_mul_i32 s5, s14, s5
	s_mul_hi_u32 s6, s14, s4
	s_mul_i32 s7, s15, s4
	s_add_i32 s5, s6, s5
	s_mul_i32 s4, s14, s4
	s_add_i32 s5, s5, s7
	v_lshlrev_b32_e32 v20, 3, v0
	s_lshl_b64 s[4:5], s[4:5], 3
	s_waitcnt lgkmcnt(0)
	v_add3_u32 v1, s3, s3, v0
	s_ashr_i32 s7, s2, 31
	s_mov_b32 s6, s2
	s_add_u32 s2, s0, s4
	s_addc_u32 s5, s1, s5
	v_add_nc_u32_e32 v3, s3, v1
	s_lshl_b64 s[0:1], s[6:7], 3
	v_ashrrev_i32_e32 v2, 31, v1
	s_add_u32 s0, s2, s0
	s_addc_u32 s1, s5, s1
	v_add_co_u32 v33, s2, s0, v20
	v_add_nc_u32_e32 v5, s3, v3
	s_mov_b32 s4, s3
	s_ashr_i32 s5, s3, 31
	v_add_co_ci_u32_e64 v34, null, s1, 0, s2
	v_lshlrev_b64 v[1:2], 3, v[1:2]
	v_ashrrev_i32_e32 v4, 31, v3
	s_lshl_b64 s[4:5], s[4:5], 3
	v_ashrrev_i32_e32 v6, 31, v5
	v_add_co_u32 v35, vcc_lo, v33, s4
	v_add_nc_u32_e32 v7, s3, v5
	v_add_co_ci_u32_e32 v36, vcc_lo, s5, v34, vcc_lo
	v_lshlrev_b64 v[3:4], 3, v[3:4]
	v_add_co_u32 v37, vcc_lo, s0, v1
	v_add_co_ci_u32_e32 v38, vcc_lo, s1, v2, vcc_lo
	v_lshlrev_b64 v[1:2], 3, v[5:6]
	v_ashrrev_i32_e32 v8, 31, v7
	v_add_nc_u32_e32 v5, s3, v7
	v_add_co_u32 v39, vcc_lo, s0, v3
	v_add_co_ci_u32_e32 v40, vcc_lo, s1, v4, vcc_lo
	s_delay_alu instid0(VALU_DEP_4) | instskip(NEXT) | instid1(VALU_DEP_4)
	v_lshlrev_b64 v[3:4], 3, v[7:8]
	v_add_nc_u32_e32 v7, s3, v5
	v_ashrrev_i32_e32 v6, 31, v5
	v_add_co_u32 v47, vcc_lo, s0, v1
	v_add_co_ci_u32_e32 v48, vcc_lo, s1, v2, vcc_lo
	s_delay_alu instid0(VALU_DEP_4) | instskip(NEXT) | instid1(VALU_DEP_4)
	v_ashrrev_i32_e32 v8, 31, v7
	v_lshlrev_b64 v[1:2], 3, v[5:6]
	v_add_co_u32 v43, vcc_lo, s0, v3
	v_add_co_ci_u32_e32 v44, vcc_lo, s1, v4, vcc_lo
	s_delay_alu instid0(VALU_DEP_4) | instskip(NEXT) | instid1(VALU_DEP_4)
	v_lshlrev_b64 v[3:4], 3, v[7:8]
	v_add_co_u32 v45, vcc_lo, s0, v1
	v_mov_b32_e32 v1, 0
	v_add_co_ci_u32_e32 v46, vcc_lo, s1, v2, vcc_lo
	s_delay_alu instid0(VALU_DEP_4)
	v_add_co_u32 v41, vcc_lo, s0, v3
	v_add_co_ci_u32_e32 v42, vcc_lo, s1, v4, vcc_lo
	s_clause 0x7
	global_load_b64 v[4:5], v[35:36], off
	global_load_b64 v[6:7], v[37:38], off
	;; [unrolled: 1-line block ×6, first 2 shown]
	global_load_b64 v[2:3], v20, s[0:1]
	global_load_b64 v[16:17], v[41:42], off
	s_bitcmp0_b32 s17, 0
	s_mov_b32 s0, -1
	s_cbranch_scc1 .LBB7_14
; %bb.4:
	v_cmp_eq_u32_e64 s0, 0, v0
	s_delay_alu instid0(VALU_DEP_1)
	s_and_saveexec_b32 s1, s0
	s_cbranch_execz .LBB7_6
; %bb.5:
	v_mov_b32_e32 v18, 0
	ds_store_b32 v18, v18 offset:128
.LBB7_6:
	s_or_b32 exec_lo, exec_lo, s1
	v_cmp_eq_u32_e32 vcc_lo, 1, v0
	s_mov_b32 s2, exec_lo
	s_waitcnt vmcnt(0) lgkmcnt(0)
	s_barrier
	buffer_gl0_inv
	v_dual_cndmask_b32 v18, v3, v5 :: v_dual_cndmask_b32 v19, v2, v4
	v_cmp_eq_u32_e32 vcc_lo, 2, v0
	s_delay_alu instid0(VALU_DEP_2) | instskip(SKIP_1) | instid1(VALU_DEP_2)
	v_dual_cndmask_b32 v18, v18, v7 :: v_dual_cndmask_b32 v19, v19, v6
	v_cmp_eq_u32_e32 vcc_lo, 3, v0
	v_dual_cndmask_b32 v18, v18, v9 :: v_dual_cndmask_b32 v19, v19, v8
	v_cmp_eq_u32_e32 vcc_lo, 4, v0
	s_delay_alu instid0(VALU_DEP_2) | instskip(SKIP_1) | instid1(VALU_DEP_2)
	v_dual_cndmask_b32 v18, v18, v11 :: v_dual_cndmask_b32 v19, v19, v10
	v_cmp_eq_u32_e32 vcc_lo, 5, v0
	;; [unrolled: 5-line block ×3, first 2 shown]
	v_dual_cndmask_b32 v19, v18, v17 :: v_dual_cndmask_b32 v18, v21, v16
	s_delay_alu instid0(VALU_DEP_1)
	v_cmpx_eq_f64_e32 0, v[18:19]
	s_cbranch_execz .LBB7_10
; %bb.7:
	v_mov_b32_e32 v21, 0
	s_mov_b32 s3, 0
	ds_load_b32 v22, v21 offset:128
	s_waitcnt lgkmcnt(0)
	v_readfirstlane_b32 s1, v22
	v_add_nc_u32_e32 v22, 1, v0
	s_delay_alu instid0(VALU_DEP_2) | instskip(NEXT) | instid1(VALU_DEP_1)
	s_cmp_eq_u32 s1, 0
	v_cmp_gt_i32_e32 vcc_lo, s1, v22
	s_cselect_b32 s4, -1, 0
	s_delay_alu instid0(SALU_CYCLE_1) | instskip(NEXT) | instid1(SALU_CYCLE_1)
	s_or_b32 s4, s4, vcc_lo
	s_and_b32 exec_lo, exec_lo, s4
	s_cbranch_execz .LBB7_10
; %bb.8:
	v_mov_b32_e32 v23, s1
.LBB7_9:                                ; =>This Inner Loop Header: Depth=1
	ds_cmpstore_rtn_b32 v23, v21, v22, v23 offset:128
	s_waitcnt lgkmcnt(0)
	v_cmp_ne_u32_e32 vcc_lo, 0, v23
	v_cmp_le_i32_e64 s1, v23, v22
	s_delay_alu instid0(VALU_DEP_1) | instskip(NEXT) | instid1(SALU_CYCLE_1)
	s_and_b32 s1, vcc_lo, s1
	s_and_b32 s1, exec_lo, s1
	s_delay_alu instid0(SALU_CYCLE_1) | instskip(NEXT) | instid1(SALU_CYCLE_1)
	s_or_b32 s3, s1, s3
	s_and_not1_b32 exec_lo, exec_lo, s3
	s_cbranch_execnz .LBB7_9
.LBB7_10:
	s_or_b32 exec_lo, exec_lo, s2
	v_mov_b32_e32 v21, 0
	s_barrier
	buffer_gl0_inv
	ds_load_b32 v22, v21 offset:128
	s_and_saveexec_b32 s1, s0
	s_cbranch_execz .LBB7_12
; %bb.11:
	s_lshl_b64 s[2:3], s[14:15], 2
	s_delay_alu instid0(SALU_CYCLE_1)
	s_add_u32 s2, s10, s2
	s_addc_u32 s3, s11, s3
	s_waitcnt lgkmcnt(0)
	global_store_b32 v21, v22, s[2:3]
.LBB7_12:
	s_or_b32 exec_lo, exec_lo, s1
	s_waitcnt lgkmcnt(0)
	v_cmp_ne_u32_e32 vcc_lo, 0, v22
	s_cbranch_vccz .LBB7_17
; %bb.13:
	s_mov_b32 s0, 0
                                        ; implicit-def: $vgpr2_vgpr3_vgpr4_vgpr5_vgpr6_vgpr7_vgpr8_vgpr9_vgpr10_vgpr11_vgpr12_vgpr13_vgpr14_vgpr15_vgpr16_vgpr17
.LBB7_14:
	s_delay_alu instid0(SALU_CYCLE_1)
	s_and_b32 vcc_lo, exec_lo, s0
	s_cbranch_vccz .LBB7_16
.LBB7_15:
	s_lshl_b64 s[0:1], s[14:15], 2
	v_mov_b32_e32 v1, 0
	s_add_u32 s0, s10, s0
	s_addc_u32 s1, s11, s1
	global_load_b32 v1, v1, s[0:1]
	s_waitcnt vmcnt(0)
	v_cmp_ne_u32_e32 vcc_lo, 0, v1
	s_cbranch_vccz .LBB7_44
.LBB7_16:
	s_nop 0
	s_sendmsg sendmsg(MSG_DEALLOC_VGPRS)
	s_endpgm
.LBB7_17:
	v_div_scale_f64 v[21:22], null, v[18:19], v[18:19], 1.0
	v_div_scale_f64 v[27:28], vcc_lo, 1.0, v[18:19], 1.0
	v_cmp_eq_u32_e64 s1, 5, v0
	v_cmp_eq_u32_e64 s2, 4, v0
	;; [unrolled: 1-line block ×6, first 2 shown]
	v_rcp_f64_e32 v[23:24], v[21:22]
	s_waitcnt_depctr 0xfff
	v_fma_f64 v[25:26], -v[21:22], v[23:24], 1.0
	s_delay_alu instid0(VALU_DEP_1) | instskip(NEXT) | instid1(VALU_DEP_1)
	v_fma_f64 v[23:24], v[23:24], v[25:26], v[23:24]
	v_fma_f64 v[25:26], -v[21:22], v[23:24], 1.0
	s_delay_alu instid0(VALU_DEP_1) | instskip(NEXT) | instid1(VALU_DEP_1)
	v_fma_f64 v[23:24], v[23:24], v[25:26], v[23:24]
	v_mul_f64 v[25:26], v[27:28], v[23:24]
	s_delay_alu instid0(VALU_DEP_1) | instskip(NEXT) | instid1(VALU_DEP_1)
	v_fma_f64 v[21:22], -v[21:22], v[25:26], v[27:28]
	v_div_fmas_f64 v[21:22], v[21:22], v[23:24], v[25:26]
	v_cmp_eq_u32_e32 vcc_lo, 6, v0
	s_delay_alu instid0(VALU_DEP_2) | instskip(NEXT) | instid1(VALU_DEP_1)
	v_div_fixup_f64 v[18:19], v[21:22], v[18:19], 1.0
	v_dual_cndmask_b32 v15, v15, v19 :: v_dual_add_nc_u32 v22, 64, v20
	s_delay_alu instid0(VALU_DEP_2)
	v_cndmask_b32_e32 v14, v14, v18, vcc_lo
	v_cmp_eq_u32_e32 vcc_lo, 2, v0
	v_cndmask_b32_e64 v17, v17, v19, s3
	v_cndmask_b32_e64 v16, v16, v18, s3
	;; [unrolled: 1-line block ×4, first 2 shown]
	v_cndmask_b32_e32 v7, v7, v19, vcc_lo
	v_cndmask_b32_e64 v11, v11, v19, s2
	v_cndmask_b32_e64 v10, v10, v18, s2
	v_cndmask_b32_e64 v9, v9, v19, s4
	v_cndmask_b32_e64 v8, v8, v18, s4
	v_cndmask_b32_e64 v5, v5, v19, s5
	v_cndmask_b32_e64 v4, v4, v18, s5
	v_xor_b32_e32 v24, 0x80000000, v19
	v_mov_b32_e32 v23, v18
	v_cndmask_b32_e32 v6, v6, v18, vcc_lo
	v_cndmask_b32_e64 v3, v3, v19, s6
	v_cndmask_b32_e64 v2, v2, v18, s6
	ds_store_2addr_b64 v20, v[23:24], v[4:5] offset1:8
	s_waitcnt lgkmcnt(0)
	s_waitcnt_vscnt null, 0x0
	s_barrier
	buffer_gl0_inv
	s_and_saveexec_b32 s1, s0
	s_cbranch_execz .LBB7_19
; %bb.18:
	ds_load_b64 v[4:5], v22
	v_mov_b32_e32 v20, 0
	ds_load_b64 v[20:21], v20 offset:8
	s_waitcnt lgkmcnt(1)
	v_fma_f64 v[4:5], v[18:19], v[4:5], 0
	s_waitcnt lgkmcnt(0)
	s_delay_alu instid0(VALU_DEP_1)
	v_mul_f64 v[4:5], v[4:5], v[20:21]
.LBB7_19:
	s_or_b32 exec_lo, exec_lo, s1
	s_delay_alu instid0(SALU_CYCLE_1)
	s_mov_b32 s1, exec_lo
	s_barrier
	buffer_gl0_inv
	ds_store_b64 v22, v[6:7]
	s_waitcnt lgkmcnt(0)
	s_barrier
	buffer_gl0_inv
	v_cmpx_gt_u32_e32 2, v0
	s_cbranch_execz .LBB7_23
; %bb.20:
	v_cmp_eq_u32_e32 vcc_lo, 1, v0
	v_dual_cndmask_b32 v18, v3, v5 :: v_dual_cndmask_b32 v19, v2, v4
	v_cmp_eq_u32_e32 vcc_lo, 2, v0
	s_delay_alu instid0(VALU_DEP_2) | instskip(SKIP_1) | instid1(VALU_DEP_2)
	v_dual_cndmask_b32 v7, v18, v7 :: v_dual_cndmask_b32 v6, v19, v6
	v_cmp_eq_u32_e32 vcc_lo, 3, v0
	v_dual_cndmask_b32 v7, v7, v9 :: v_dual_cndmask_b32 v6, v6, v8
	v_cmp_eq_u32_e32 vcc_lo, 4, v0
	s_delay_alu instid0(VALU_DEP_2) | instskip(SKIP_4) | instid1(VALU_DEP_2)
	v_dual_cndmask_b32 v18, v7, v11 :: v_dual_cndmask_b32 v19, v6, v10
	v_cmp_eq_u32_e32 vcc_lo, 5, v0
	ds_load_b64 v[6:7], v22
	v_dual_cndmask_b32 v18, v18, v13 :: v_dual_cndmask_b32 v19, v19, v12
	v_cmp_eq_u32_e32 vcc_lo, 6, v0
	v_cndmask_b32_e32 v18, v18, v15, vcc_lo
	s_delay_alu instid0(VALU_DEP_3) | instskip(SKIP_1) | instid1(VALU_DEP_2)
	v_cndmask_b32_e32 v20, v19, v14, vcc_lo
	v_cmp_eq_u32_e32 vcc_lo, 7, v0
	v_dual_cndmask_b32 v19, v18, v17 :: v_dual_cndmask_b32 v18, v20, v16
	s_waitcnt lgkmcnt(0)
	s_delay_alu instid0(VALU_DEP_1)
	v_fma_f64 v[6:7], v[18:19], v[6:7], 0
	s_and_saveexec_b32 s2, s0
	s_cbranch_execz .LBB7_22
; %bb.21:
	v_mov_b32_e32 v18, 0
	ds_load_b64 v[18:19], v18 offset:72
	s_waitcnt lgkmcnt(0)
	v_fma_f64 v[6:7], v[4:5], v[18:19], v[6:7]
.LBB7_22:
	s_or_b32 exec_lo, exec_lo, s2
	v_mov_b32_e32 v18, 0
	ds_load_b64 v[18:19], v18 offset:16
	s_waitcnt lgkmcnt(0)
	v_mul_f64 v[6:7], v[6:7], v[18:19]
.LBB7_23:
	s_or_b32 exec_lo, exec_lo, s1
	s_delay_alu instid0(SALU_CYCLE_1)
	s_mov_b32 s1, exec_lo
	s_barrier
	buffer_gl0_inv
	ds_store_b64 v22, v[8:9]
	s_waitcnt lgkmcnt(0)
	s_barrier
	buffer_gl0_inv
	v_cmpx_gt_u32_e32 3, v0
	s_cbranch_execz .LBB7_27
; %bb.24:
	v_dual_mov_b32 v18, 0 :: v_dual_mov_b32 v21, v1
	v_lshl_add_u32 v23, v0, 3, 64
	v_dual_mov_b32 v19, 0 :: v_dual_mov_b32 v20, v0
	s_mov_b32 s2, 0
	s_set_inst_prefetch_distance 0x1
	.p2align	6
.LBB7_25:                               ; =>This Inner Loop Header: Depth=1
	s_delay_alu instid0(VALU_DEP_1) | instskip(SKIP_3) | instid1(VALU_DEP_2)
	v_cmp_eq_u32_e32 vcc_lo, 1, v20
	v_cmp_eq_u32_e64 s0, 2, v20
	v_dual_cndmask_b32 v24, v3, v5 :: v_dual_cndmask_b32 v25, v2, v4
	v_cmp_eq_u32_e32 vcc_lo, 3, v20
	v_cndmask_b32_e64 v24, v24, v7, s0
	s_delay_alu instid0(VALU_DEP_3) | instskip(SKIP_1) | instid1(VALU_DEP_2)
	v_cndmask_b32_e64 v25, v25, v6, s0
	v_cmp_eq_u32_e64 s0, 4, v20
	v_dual_cndmask_b32 v26, v24, v9 :: v_dual_cndmask_b32 v27, v25, v8
	ds_load_b64 v[24:25], v23
	v_cmp_eq_u32_e32 vcc_lo, 5, v20
	v_add_nc_u32_e32 v23, 8, v23
	v_cndmask_b32_e64 v26, v26, v11, s0
	v_cndmask_b32_e64 v27, v27, v10, s0
	v_cmp_eq_u32_e64 s0, 6, v20
	s_delay_alu instid0(VALU_DEP_2) | instskip(SKIP_1) | instid1(VALU_DEP_2)
	v_dual_cndmask_b32 v26, v26, v13 :: v_dual_cndmask_b32 v27, v27, v12
	v_cmp_eq_u32_e32 vcc_lo, 7, v20
	v_cndmask_b32_e64 v26, v26, v15, s0
	s_delay_alu instid0(VALU_DEP_3) | instskip(NEXT) | instid1(VALU_DEP_1)
	v_cndmask_b32_e64 v28, v27, v14, s0
	v_dual_cndmask_b32 v27, v26, v17 :: v_dual_cndmask_b32 v26, v28, v16
	v_add_co_u32 v20, vcc_lo, v20, 1
	v_add_co_ci_u32_e32 v21, vcc_lo, 0, v21, vcc_lo
	s_waitcnt lgkmcnt(0)
	s_delay_alu instid0(VALU_DEP_3) | instskip(NEXT) | instid1(VALU_DEP_3)
	v_fma_f64 v[18:19], v[26:27], v[24:25], v[18:19]
	v_add_nc_u32_e32 v24, -1, v20
	s_delay_alu instid0(VALU_DEP_1) | instskip(SKIP_1) | instid1(SALU_CYCLE_1)
	v_cmp_lt_u32_e32 vcc_lo, 1, v24
	s_or_b32 s2, vcc_lo, s2
	s_and_not1_b32 exec_lo, exec_lo, s2
	s_cbranch_execnz .LBB7_25
; %bb.26:
	s_set_inst_prefetch_distance 0x2
	s_or_b32 exec_lo, exec_lo, s2
	v_mov_b32_e32 v8, 0
	ds_load_b64 v[8:9], v8 offset:24
	s_waitcnt lgkmcnt(0)
	v_mul_f64 v[8:9], v[18:19], v[8:9]
.LBB7_27:
	s_or_b32 exec_lo, exec_lo, s1
	s_delay_alu instid0(SALU_CYCLE_1)
	s_mov_b32 s1, exec_lo
	s_barrier
	buffer_gl0_inv
	ds_store_b64 v22, v[10:11]
	s_waitcnt lgkmcnt(0)
	s_barrier
	buffer_gl0_inv
	v_cmpx_gt_u32_e32 4, v0
	s_cbranch_execz .LBB7_31
; %bb.28:
	v_dual_mov_b32 v18, 0 :: v_dual_mov_b32 v21, v1
	v_lshl_add_u32 v23, v0, 3, 64
	v_dual_mov_b32 v19, 0 :: v_dual_mov_b32 v20, v0
	s_mov_b32 s2, 0
	s_set_inst_prefetch_distance 0x1
	.p2align	6
.LBB7_29:                               ; =>This Inner Loop Header: Depth=1
	s_delay_alu instid0(VALU_DEP_1) | instskip(SKIP_3) | instid1(VALU_DEP_2)
	v_cmp_eq_u32_e32 vcc_lo, 1, v20
	v_cmp_eq_u32_e64 s0, 2, v20
	v_dual_cndmask_b32 v24, v3, v5 :: v_dual_cndmask_b32 v25, v2, v4
	v_cmp_eq_u32_e32 vcc_lo, 3, v20
	v_cndmask_b32_e64 v24, v24, v7, s0
	s_delay_alu instid0(VALU_DEP_3) | instskip(SKIP_1) | instid1(VALU_DEP_2)
	v_cndmask_b32_e64 v25, v25, v6, s0
	v_cmp_eq_u32_e64 s0, 4, v20
	v_dual_cndmask_b32 v26, v24, v9 :: v_dual_cndmask_b32 v27, v25, v8
	ds_load_b64 v[24:25], v23
	v_cmp_eq_u32_e32 vcc_lo, 5, v20
	v_add_nc_u32_e32 v23, 8, v23
	v_cndmask_b32_e64 v26, v26, v11, s0
	v_cndmask_b32_e64 v27, v27, v10, s0
	v_cmp_eq_u32_e64 s0, 6, v20
	s_delay_alu instid0(VALU_DEP_2) | instskip(SKIP_1) | instid1(VALU_DEP_2)
	v_dual_cndmask_b32 v26, v26, v13 :: v_dual_cndmask_b32 v27, v27, v12
	v_cmp_eq_u32_e32 vcc_lo, 7, v20
	v_cndmask_b32_e64 v26, v26, v15, s0
	s_delay_alu instid0(VALU_DEP_3) | instskip(NEXT) | instid1(VALU_DEP_1)
	v_cndmask_b32_e64 v28, v27, v14, s0
	v_dual_cndmask_b32 v27, v26, v17 :: v_dual_cndmask_b32 v26, v28, v16
	v_add_co_u32 v20, vcc_lo, v20, 1
	v_add_co_ci_u32_e32 v21, vcc_lo, 0, v21, vcc_lo
	s_waitcnt lgkmcnt(0)
	s_delay_alu instid0(VALU_DEP_3) | instskip(NEXT) | instid1(VALU_DEP_3)
	v_fma_f64 v[18:19], v[26:27], v[24:25], v[18:19]
	v_add_nc_u32_e32 v24, -1, v20
	s_delay_alu instid0(VALU_DEP_1) | instskip(SKIP_1) | instid1(SALU_CYCLE_1)
	v_cmp_lt_u32_e32 vcc_lo, 2, v24
	s_or_b32 s2, vcc_lo, s2
	s_and_not1_b32 exec_lo, exec_lo, s2
	s_cbranch_execnz .LBB7_29
; %bb.30:
	s_set_inst_prefetch_distance 0x2
	s_or_b32 exec_lo, exec_lo, s2
	v_mov_b32_e32 v10, 0
	ds_load_b64 v[10:11], v10 offset:32
	s_waitcnt lgkmcnt(0)
	v_mul_f64 v[10:11], v[18:19], v[10:11]
.LBB7_31:
	s_or_b32 exec_lo, exec_lo, s1
	s_delay_alu instid0(SALU_CYCLE_1)
	s_mov_b32 s1, exec_lo
	s_barrier
	buffer_gl0_inv
	ds_store_b64 v22, v[12:13]
	s_waitcnt lgkmcnt(0)
	s_barrier
	buffer_gl0_inv
	v_cmpx_gt_u32_e32 5, v0
	s_cbranch_execz .LBB7_35
; %bb.32:
	v_dual_mov_b32 v18, 0 :: v_dual_mov_b32 v21, v1
	v_lshl_add_u32 v23, v0, 3, 64
	v_dual_mov_b32 v19, 0 :: v_dual_mov_b32 v20, v0
	s_mov_b32 s2, 0
	s_set_inst_prefetch_distance 0x1
	.p2align	6
.LBB7_33:                               ; =>This Inner Loop Header: Depth=1
	s_delay_alu instid0(VALU_DEP_1) | instskip(SKIP_3) | instid1(VALU_DEP_2)
	v_cmp_eq_u32_e32 vcc_lo, 1, v20
	v_cmp_eq_u32_e64 s0, 2, v20
	v_dual_cndmask_b32 v24, v3, v5 :: v_dual_cndmask_b32 v25, v2, v4
	v_cmp_eq_u32_e32 vcc_lo, 3, v20
	v_cndmask_b32_e64 v24, v24, v7, s0
	s_delay_alu instid0(VALU_DEP_3) | instskip(SKIP_1) | instid1(VALU_DEP_2)
	v_cndmask_b32_e64 v25, v25, v6, s0
	v_cmp_eq_u32_e64 s0, 4, v20
	v_dual_cndmask_b32 v26, v24, v9 :: v_dual_cndmask_b32 v27, v25, v8
	ds_load_b64 v[24:25], v23
	v_cmp_eq_u32_e32 vcc_lo, 5, v20
	v_add_nc_u32_e32 v23, 8, v23
	v_cndmask_b32_e64 v26, v26, v11, s0
	v_cndmask_b32_e64 v27, v27, v10, s0
	v_cmp_eq_u32_e64 s0, 6, v20
	s_delay_alu instid0(VALU_DEP_2) | instskip(SKIP_1) | instid1(VALU_DEP_2)
	v_dual_cndmask_b32 v26, v26, v13 :: v_dual_cndmask_b32 v27, v27, v12
	v_cmp_eq_u32_e32 vcc_lo, 7, v20
	v_cndmask_b32_e64 v26, v26, v15, s0
	s_delay_alu instid0(VALU_DEP_3) | instskip(NEXT) | instid1(VALU_DEP_1)
	v_cndmask_b32_e64 v28, v27, v14, s0
	v_dual_cndmask_b32 v27, v26, v17 :: v_dual_cndmask_b32 v26, v28, v16
	v_add_co_u32 v20, vcc_lo, v20, 1
	v_add_co_ci_u32_e32 v21, vcc_lo, 0, v21, vcc_lo
	s_waitcnt lgkmcnt(0)
	s_delay_alu instid0(VALU_DEP_3) | instskip(NEXT) | instid1(VALU_DEP_3)
	v_fma_f64 v[18:19], v[26:27], v[24:25], v[18:19]
	v_add_nc_u32_e32 v24, -1, v20
	s_delay_alu instid0(VALU_DEP_1) | instskip(SKIP_1) | instid1(SALU_CYCLE_1)
	v_cmp_lt_u32_e32 vcc_lo, 3, v24
	s_or_b32 s2, vcc_lo, s2
	s_and_not1_b32 exec_lo, exec_lo, s2
	s_cbranch_execnz .LBB7_33
; %bb.34:
	s_set_inst_prefetch_distance 0x2
	s_or_b32 exec_lo, exec_lo, s2
	v_mov_b32_e32 v12, 0
	ds_load_b64 v[12:13], v12 offset:40
	s_waitcnt lgkmcnt(0)
	v_mul_f64 v[12:13], v[18:19], v[12:13]
.LBB7_35:
	s_or_b32 exec_lo, exec_lo, s1
	s_delay_alu instid0(SALU_CYCLE_1)
	s_mov_b32 s1, exec_lo
	s_barrier
	buffer_gl0_inv
	ds_store_b64 v22, v[14:15]
	s_waitcnt lgkmcnt(0)
	s_barrier
	buffer_gl0_inv
	v_cmpx_gt_u32_e32 6, v0
	s_cbranch_execz .LBB7_39
; %bb.36:
	v_dual_mov_b32 v18, 0 :: v_dual_mov_b32 v21, v1
	v_lshl_add_u32 v23, v0, 3, 64
	v_dual_mov_b32 v19, 0 :: v_dual_mov_b32 v20, v0
	s_mov_b32 s2, 0
	s_set_inst_prefetch_distance 0x1
	.p2align	6
.LBB7_37:                               ; =>This Inner Loop Header: Depth=1
	s_delay_alu instid0(VALU_DEP_1) | instskip(SKIP_3) | instid1(VALU_DEP_2)
	v_cmp_eq_u32_e32 vcc_lo, 1, v20
	v_cmp_eq_u32_e64 s0, 2, v20
	v_dual_cndmask_b32 v24, v3, v5 :: v_dual_cndmask_b32 v25, v2, v4
	v_cmp_eq_u32_e32 vcc_lo, 3, v20
	v_cndmask_b32_e64 v24, v24, v7, s0
	s_delay_alu instid0(VALU_DEP_3) | instskip(SKIP_1) | instid1(VALU_DEP_2)
	v_cndmask_b32_e64 v25, v25, v6, s0
	v_cmp_eq_u32_e64 s0, 4, v20
	v_dual_cndmask_b32 v26, v24, v9 :: v_dual_cndmask_b32 v27, v25, v8
	ds_load_b64 v[24:25], v23
	v_cmp_eq_u32_e32 vcc_lo, 5, v20
	v_add_nc_u32_e32 v23, 8, v23
	v_cndmask_b32_e64 v26, v26, v11, s0
	v_cndmask_b32_e64 v27, v27, v10, s0
	v_cmp_eq_u32_e64 s0, 6, v20
	s_delay_alu instid0(VALU_DEP_2) | instskip(SKIP_1) | instid1(VALU_DEP_2)
	v_dual_cndmask_b32 v26, v26, v13 :: v_dual_cndmask_b32 v27, v27, v12
	v_cmp_eq_u32_e32 vcc_lo, 7, v20
	v_cndmask_b32_e64 v26, v26, v15, s0
	s_delay_alu instid0(VALU_DEP_3) | instskip(NEXT) | instid1(VALU_DEP_1)
	v_cndmask_b32_e64 v28, v27, v14, s0
	v_dual_cndmask_b32 v27, v26, v17 :: v_dual_cndmask_b32 v26, v28, v16
	v_add_co_u32 v20, vcc_lo, v20, 1
	v_add_co_ci_u32_e32 v21, vcc_lo, 0, v21, vcc_lo
	s_waitcnt lgkmcnt(0)
	s_delay_alu instid0(VALU_DEP_3) | instskip(NEXT) | instid1(VALU_DEP_3)
	v_fma_f64 v[18:19], v[26:27], v[24:25], v[18:19]
	v_add_nc_u32_e32 v24, -1, v20
	s_delay_alu instid0(VALU_DEP_1) | instskip(SKIP_1) | instid1(SALU_CYCLE_1)
	v_cmp_lt_u32_e32 vcc_lo, 4, v24
	s_or_b32 s2, vcc_lo, s2
	s_and_not1_b32 exec_lo, exec_lo, s2
	s_cbranch_execnz .LBB7_37
; %bb.38:
	s_set_inst_prefetch_distance 0x2
	s_or_b32 exec_lo, exec_lo, s2
	v_mov_b32_e32 v14, 0
	ds_load_b64 v[14:15], v14 offset:48
	s_waitcnt lgkmcnt(0)
	v_mul_f64 v[14:15], v[18:19], v[14:15]
.LBB7_39:
	s_or_b32 exec_lo, exec_lo, s1
	s_delay_alu instid0(SALU_CYCLE_1)
	s_mov_b32 s1, exec_lo
	s_barrier
	buffer_gl0_inv
	ds_store_b64 v22, v[16:17]
	s_waitcnt lgkmcnt(0)
	s_barrier
	buffer_gl0_inv
	v_cmpx_ne_u32_e32 7, v0
	s_cbranch_execz .LBB7_43
; %bb.40:
	v_dual_mov_b32 v18, 0 :: v_dual_mov_b32 v21, v1
	v_lshl_add_u32 v22, v0, 3, 64
	v_dual_mov_b32 v19, 0 :: v_dual_mov_b32 v20, v0
	s_mov_b32 s2, 0
	s_set_inst_prefetch_distance 0x1
	.p2align	6
.LBB7_41:                               ; =>This Inner Loop Header: Depth=1
	s_delay_alu instid0(VALU_DEP_1) | instskip(SKIP_4) | instid1(VALU_DEP_3)
	v_cmp_eq_u32_e32 vcc_lo, 1, v20
	v_cmp_eq_u32_e64 s0, 2, v20
	v_cndmask_b32_e32 v23, v2, v4, vcc_lo
	v_cndmask_b32_e32 v1, v3, v5, vcc_lo
	v_cmp_eq_u32_e32 vcc_lo, 3, v20
	v_cndmask_b32_e64 v23, v23, v6, s0
	s_delay_alu instid0(VALU_DEP_1) | instskip(SKIP_4) | instid1(VALU_DEP_2)
	v_cndmask_b32_e32 v25, v23, v8, vcc_lo
	ds_load_b64 v[23:24], v22
	v_add_nc_u32_e32 v22, 8, v22
	v_cndmask_b32_e64 v1, v1, v7, s0
	v_cmp_eq_u32_e64 s0, 4, v20
	v_cndmask_b32_e32 v1, v1, v9, vcc_lo
	v_cmp_eq_u32_e32 vcc_lo, 5, v20
	s_delay_alu instid0(VALU_DEP_3) | instskip(NEXT) | instid1(VALU_DEP_3)
	v_cndmask_b32_e64 v25, v25, v10, s0
	v_cndmask_b32_e64 v1, v1, v11, s0
	v_cmp_eq_u32_e64 s0, 6, v20
	s_delay_alu instid0(VALU_DEP_3) | instskip(NEXT) | instid1(VALU_DEP_3)
	v_cndmask_b32_e32 v25, v25, v12, vcc_lo
	v_cndmask_b32_e32 v1, v1, v13, vcc_lo
	v_cmp_eq_u32_e32 vcc_lo, 7, v20
	s_delay_alu instid0(VALU_DEP_3) | instskip(NEXT) | instid1(VALU_DEP_3)
	v_cndmask_b32_e64 v25, v25, v14, s0
	v_cndmask_b32_e64 v1, v1, v15, s0
	s_delay_alu instid0(VALU_DEP_2) | instskip(NEXT) | instid1(VALU_DEP_2)
	v_cndmask_b32_e32 v25, v25, v16, vcc_lo
	v_cndmask_b32_e32 v26, v1, v17, vcc_lo
	v_add_co_u32 v20, vcc_lo, v20, 1
	v_add_co_ci_u32_e32 v21, vcc_lo, 0, v21, vcc_lo
	s_waitcnt lgkmcnt(0)
	s_delay_alu instid0(VALU_DEP_3) | instskip(NEXT) | instid1(VALU_DEP_3)
	v_fma_f64 v[18:19], v[25:26], v[23:24], v[18:19]
	v_add_nc_u32_e32 v1, -1, v20
	s_delay_alu instid0(VALU_DEP_1) | instskip(SKIP_1) | instid1(SALU_CYCLE_1)
	v_cmp_lt_u32_e32 vcc_lo, 5, v1
	s_or_b32 s2, vcc_lo, s2
	s_and_not1_b32 exec_lo, exec_lo, s2
	s_cbranch_execnz .LBB7_41
; %bb.42:
	s_set_inst_prefetch_distance 0x2
	s_or_b32 exec_lo, exec_lo, s2
	v_mov_b32_e32 v1, 0
	ds_load_b64 v[16:17], v1 offset:56
	s_waitcnt lgkmcnt(0)
	v_mul_f64 v[16:17], v[18:19], v[16:17]
.LBB7_43:
	s_or_b32 exec_lo, exec_lo, s1
	s_barrier
	buffer_gl0_inv
	s_cbranch_execnz .LBB7_15
	s_branch .LBB7_16
.LBB7_44:
	v_lshl_add_u32 v1, v0, 3, 64
	s_mov_b32 s0, exec_lo
	v_cmpx_eq_u32_e32 7, v0
	s_cbranch_execz .LBB7_46
; %bb.45:
	s_mov_b32 s1, 0
	v_mov_b32_e32 v31, v17
	v_mov_b32_e32 v28, v14
	v_dual_mov_b32 v28, s1 :: v_dual_mov_b32 v27, v13
	v_dual_mov_b32 v30, v16 :: v_dual_mov_b32 v29, v15
	;; [unrolled: 1-line block ×8, first 2 shown]
	ds_store_b64 v1, v[14:15]
	v_mov_b32_e32 v2, v16
	v_dual_mov_b32 v3, v17 :: v_dual_mov_b32 v4, v18
	v_dual_mov_b32 v5, v19 :: v_dual_mov_b32 v6, v20
	;; [unrolled: 1-line block ×7, first 2 shown]
	v_mov_b32_e32 v17, v31
.LBB7_46:
	s_or_b32 exec_lo, exec_lo, s0
	v_mov_b32_e32 v30, 0
	s_waitcnt lgkmcnt(0)
	s_waitcnt_vscnt null, 0x0
	s_barrier
	buffer_gl0_inv
	s_mov_b32 s0, exec_lo
	ds_load_b64 v[18:19], v30 offset:120
	s_waitcnt lgkmcnt(0)
	v_fma_f64 v[18:19], v[16:17], v[18:19], 0
	s_delay_alu instid0(VALU_DEP_1)
	v_add_f64 v[14:15], v[14:15], -v[18:19]
	v_cmpx_lt_u32_e32 5, v0
	s_cbranch_execz .LBB7_48
; %bb.47:
	s_mov_b32 s1, 0
	v_mov_b32_e32 v29, v17
	v_mov_b32_e32 v24, v12
	v_dual_mov_b32 v24, s1 :: v_dual_mov_b32 v23, v11
	v_dual_mov_b32 v26, v14 :: v_dual_mov_b32 v25, v13
	;; [unrolled: 1-line block ×7, first 2 shown]
	v_mov_b32_e32 v15, v3
	v_mov_b32_e32 v14, v2
	ds_store_b64 v1, v[12:13]
	v_mov_b32_e32 v2, v14
	v_dual_mov_b32 v3, v15 :: v_dual_mov_b32 v4, v16
	v_dual_mov_b32 v5, v17 :: v_dual_mov_b32 v6, v18
	;; [unrolled: 1-line block ×6, first 2 shown]
	v_mov_b32_e32 v15, v27
	v_mov_b32_e32 v16, v28
	;; [unrolled: 1-line block ×3, first 2 shown]
.LBB7_48:
	s_or_b32 exec_lo, exec_lo, s0
	s_waitcnt lgkmcnt(0)
	s_barrier
	buffer_gl0_inv
	ds_load_b128 v[18:21], v30 offset:112
	s_mov_b32 s0, exec_lo
	s_waitcnt lgkmcnt(0)
	v_fma_f64 v[18:19], v[14:15], v[18:19], 0
	s_delay_alu instid0(VALU_DEP_1) | instskip(NEXT) | instid1(VALU_DEP_1)
	v_fma_f64 v[18:19], v[16:17], v[20:21], v[18:19]
	v_add_f64 v[12:13], v[12:13], -v[18:19]
	v_cmpx_lt_u32_e32 4, v0
	s_cbranch_execz .LBB7_50
; %bb.49:
	s_mov_b32 s1, 0
	v_mov_b32_e32 v27, v17
	v_mov_b32_e32 v20, v10
	v_dual_mov_b32 v20, s1 :: v_dual_mov_b32 v19, v9
	v_dual_mov_b32 v22, v12 :: v_dual_mov_b32 v21, v11
	;; [unrolled: 1-line block ×6, first 2 shown]
	v_mov_b32_e32 v15, v5
	v_mov_b32_e32 v14, v4
	;; [unrolled: 1-line block ×4, first 2 shown]
	ds_store_b64 v1, v[10:11]
	v_mov_b32_e32 v2, v12
	v_dual_mov_b32 v3, v13 :: v_dual_mov_b32 v4, v14
	v_dual_mov_b32 v5, v15 :: v_dual_mov_b32 v6, v16
	;; [unrolled: 1-line block ×5, first 2 shown]
	v_mov_b32_e32 v13, v23
	v_mov_b32_e32 v14, v24
	;; [unrolled: 1-line block ×5, first 2 shown]
.LBB7_50:
	s_or_b32 exec_lo, exec_lo, s0
	v_mov_b32_e32 v26, 0
	s_waitcnt lgkmcnt(0)
	s_barrier
	buffer_gl0_inv
	s_mov_b32 s0, exec_lo
	ds_load_2addr_b64 v[18:21], v26 offset0:13 offset1:14
	ds_load_b64 v[22:23], v26 offset:120
	s_waitcnt lgkmcnt(1)
	v_fma_f64 v[18:19], v[12:13], v[18:19], 0
	s_delay_alu instid0(VALU_DEP_1) | instskip(SKIP_1) | instid1(VALU_DEP_1)
	v_fma_f64 v[18:19], v[14:15], v[20:21], v[18:19]
	s_waitcnt lgkmcnt(0)
	v_fma_f64 v[18:19], v[16:17], v[22:23], v[18:19]
	s_delay_alu instid0(VALU_DEP_1)
	v_add_f64 v[10:11], v[10:11], -v[18:19]
	v_cmpx_lt_u32_e32 3, v0
	s_cbranch_execz .LBB7_52
; %bb.51:
	s_mov_b32 s1, 0
	v_mov_b32_e32 v25, v17
	v_dual_mov_b32 v24, v16 :: v_dual_mov_b32 v23, v15
	v_dual_mov_b32 v22, v14 :: v_dual_mov_b32 v21, v13
	;; [unrolled: 1-line block ×4, first 2 shown]
	v_mov_b32_e32 v16, v8
	v_mov_b32_e32 v15, v7
	;; [unrolled: 1-line block ×6, first 2 shown]
	v_dual_mov_b32 v10, v2 :: v_dual_mov_b32 v17, s1
	v_mov_b32_e32 v16, s1
	ds_store_b64 v1, v[8:9]
	v_mov_b32_e32 v2, v10
	v_dual_mov_b32 v3, v11 :: v_dual_mov_b32 v4, v12
	v_dual_mov_b32 v5, v13 :: v_dual_mov_b32 v6, v14
	;; [unrolled: 1-line block ×4, first 2 shown]
	v_mov_b32_e32 v11, v19
	v_mov_b32_e32 v12, v20
	;; [unrolled: 1-line block ×7, first 2 shown]
.LBB7_52:
	s_or_b32 exec_lo, exec_lo, s0
	s_waitcnt lgkmcnt(0)
	s_barrier
	buffer_gl0_inv
	ds_load_b128 v[18:21], v26 offset:96
	ds_load_b128 v[22:25], v26 offset:112
	s_mov_b32 s0, exec_lo
	s_waitcnt lgkmcnt(1)
	v_fma_f64 v[18:19], v[10:11], v[18:19], 0
	s_delay_alu instid0(VALU_DEP_1) | instskip(SKIP_1) | instid1(VALU_DEP_1)
	v_fma_f64 v[18:19], v[12:13], v[20:21], v[18:19]
	s_waitcnt lgkmcnt(0)
	v_fma_f64 v[18:19], v[14:15], v[22:23], v[18:19]
	s_delay_alu instid0(VALU_DEP_1) | instskip(NEXT) | instid1(VALU_DEP_1)
	v_fma_f64 v[18:19], v[16:17], v[24:25], v[18:19]
	v_add_f64 v[8:9], v[8:9], -v[18:19]
	v_cmpx_lt_u32_e32 2, v0
	s_cbranch_execz .LBB7_54
; %bb.53:
	s_mov_b32 s1, 0
	v_mov_b32_e32 v23, v17
	v_dual_mov_b32 v22, v16 :: v_dual_mov_b32 v21, v15
	v_dual_mov_b32 v20, v14 :: v_dual_mov_b32 v19, v13
	;; [unrolled: 1-line block ×3, first 2 shown]
	v_mov_b32_e32 v16, v10
	v_mov_b32_e32 v15, v9
	;; [unrolled: 1-line block ×8, first 2 shown]
	v_dual_mov_b32 v8, v2 :: v_dual_mov_b32 v13, s1
	v_mov_b32_e32 v12, s1
	ds_store_b64 v1, v[6:7]
	v_mov_b32_e32 v2, v8
	v_dual_mov_b32 v3, v9 :: v_dual_mov_b32 v4, v10
	v_dual_mov_b32 v5, v11 :: v_dual_mov_b32 v6, v12
	;; [unrolled: 1-line block ×3, first 2 shown]
	v_mov_b32_e32 v9, v15
	v_mov_b32_e32 v10, v16
	;; [unrolled: 1-line block ×9, first 2 shown]
.LBB7_54:
	s_or_b32 exec_lo, exec_lo, s0
	v_mov_b32_e32 v22, 0
	s_waitcnt lgkmcnt(0)
	s_barrier
	buffer_gl0_inv
	s_mov_b32 s0, exec_lo
	ds_load_2addr_b64 v[18:21], v22 offset0:11 offset1:12
	ds_load_2addr_b64 v[23:26], v22 offset0:13 offset1:14
	s_waitcnt lgkmcnt(1)
	v_fma_f64 v[18:19], v[8:9], v[18:19], 0
	s_delay_alu instid0(VALU_DEP_1) | instskip(SKIP_3) | instid1(VALU_DEP_1)
	v_fma_f64 v[18:19], v[10:11], v[20:21], v[18:19]
	ds_load_b64 v[20:21], v22 offset:120
	s_waitcnt lgkmcnt(1)
	v_fma_f64 v[18:19], v[12:13], v[23:24], v[18:19]
	v_fma_f64 v[18:19], v[14:15], v[25:26], v[18:19]
	s_waitcnt lgkmcnt(0)
	s_delay_alu instid0(VALU_DEP_1) | instskip(NEXT) | instid1(VALU_DEP_1)
	v_fma_f64 v[18:19], v[16:17], v[20:21], v[18:19]
	v_add_f64 v[6:7], v[6:7], -v[18:19]
	v_cmpx_lt_u32_e32 1, v0
	s_cbranch_execz .LBB7_56
; %bb.55:
	s_mov_b32 s1, 0
	v_mov_b32_e32 v21, v17
	v_dual_mov_b32 v20, v16 :: v_dual_mov_b32 v19, v15
	v_dual_mov_b32 v18, v14 :: v_dual_mov_b32 v17, v13
	v_mov_b32_e32 v16, v12
	v_mov_b32_e32 v15, v11
	;; [unrolled: 1-line block ×10, first 2 shown]
	v_dual_mov_b32 v6, v2 :: v_dual_mov_b32 v9, s1
	v_mov_b32_e32 v8, s1
	ds_store_b64 v1, v[4:5]
	v_mov_b32_e32 v2, v6
	v_dual_mov_b32 v3, v7 :: v_dual_mov_b32 v4, v8
	v_dual_mov_b32 v5, v9 :: v_dual_mov_b32 v6, v10
	v_mov_b32_e32 v7, v11
	v_mov_b32_e32 v8, v12
	;; [unrolled: 1-line block ×11, first 2 shown]
.LBB7_56:
	s_or_b32 exec_lo, exec_lo, s0
	s_waitcnt lgkmcnt(0)
	s_barrier
	buffer_gl0_inv
	ds_load_b128 v[18:21], v22 offset:80
	ds_load_b128 v[23:26], v22 offset:96
	s_mov_b32 s1, 0
	s_mov_b32 s0, exec_lo
	s_waitcnt lgkmcnt(1)
	v_fma_f64 v[18:19], v[6:7], v[18:19], 0
	s_delay_alu instid0(VALU_DEP_1) | instskip(SKIP_1) | instid1(VALU_DEP_1)
	v_fma_f64 v[18:19], v[8:9], v[20:21], v[18:19]
	s_waitcnt lgkmcnt(0)
	v_fma_f64 v[18:19], v[10:11], v[23:24], v[18:19]
	s_delay_alu instid0(VALU_DEP_1) | instskip(SKIP_3) | instid1(VALU_DEP_1)
	v_fma_f64 v[23:24], v[12:13], v[25:26], v[18:19]
	ds_load_b128 v[18:21], v22 offset:112
	s_waitcnt lgkmcnt(0)
	v_fma_f64 v[18:19], v[14:15], v[18:19], v[23:24]
	v_fma_f64 v[18:19], v[16:17], v[20:21], v[18:19]
	s_delay_alu instid0(VALU_DEP_1)
	v_add_f64 v[4:5], v[4:5], -v[18:19]
	v_cmpx_ne_u32_e32 0, v0
	s_cbranch_execz .LBB7_58
; %bb.57:
	v_mov_b32_e32 v19, v17
	v_dual_mov_b32 v18, v16 :: v_dual_mov_b32 v17, v15
	v_mov_b32_e32 v16, v14
	v_mov_b32_e32 v15, v13
	;; [unrolled: 1-line block ×12, first 2 shown]
	v_dual_mov_b32 v4, v2 :: v_dual_mov_b32 v5, s1
	v_mov_b32_e32 v4, s1
	ds_store_b64 v1, v[2:3]
	v_mov_b32_e32 v2, v4
	v_dual_mov_b32 v3, v5 :: v_dual_mov_b32 v4, v6
	v_mov_b32_e32 v5, v7
	v_mov_b32_e32 v6, v8
	;; [unrolled: 1-line block ×13, first 2 shown]
.LBB7_58:
	s_or_b32 exec_lo, exec_lo, s0
	v_mov_b32_e32 v26, 0
	s_waitcnt lgkmcnt(0)
	s_barrier
	buffer_gl0_inv
	s_and_b32 vcc_lo, exec_lo, s16
	ds_load_2addr_b64 v[18:21], v26 offset0:9 offset1:10
	ds_load_2addr_b64 v[22:25], v26 offset0:11 offset1:12
	s_waitcnt lgkmcnt(1)
	v_fma_f64 v[0:1], v[4:5], v[18:19], 0
	s_delay_alu instid0(VALU_DEP_1) | instskip(SKIP_1) | instid1(VALU_DEP_1)
	v_fma_f64 v[0:1], v[6:7], v[20:21], v[0:1]
	s_waitcnt lgkmcnt(0)
	v_fma_f64 v[0:1], v[8:9], v[22:23], v[0:1]
	ds_load_2addr_b64 v[18:21], v26 offset0:13 offset1:14
	ds_load_b64 v[22:23], v26 offset:120
	v_fma_f64 v[0:1], v[10:11], v[24:25], v[0:1]
	s_waitcnt lgkmcnt(1)
	s_delay_alu instid0(VALU_DEP_1) | instskip(NEXT) | instid1(VALU_DEP_1)
	v_fma_f64 v[0:1], v[12:13], v[18:19], v[0:1]
	v_fma_f64 v[0:1], v[14:15], v[20:21], v[0:1]
	s_waitcnt lgkmcnt(0)
	s_delay_alu instid0(VALU_DEP_1) | instskip(NEXT) | instid1(VALU_DEP_1)
	v_fma_f64 v[0:1], v[16:17], v[22:23], v[0:1]
	v_add_f64 v[2:3], v[2:3], -v[0:1]
	s_cbranch_vccz .LBB7_74
; %bb.59:
	v_dual_mov_b32 v0, s12 :: v_dual_mov_b32 v1, s13
	s_mov_b32 s5, exec_lo
	flat_load_b32 v0, v[0:1] offset:24
	s_waitcnt vmcnt(0) lgkmcnt(0)
	v_add_nc_u32_e32 v0, -1, v0
	s_delay_alu instid0(VALU_DEP_1)
	v_cmpx_ne_u32_e32 6, v0
	s_cbranch_execz .LBB7_61
; %bb.60:
	v_cmp_eq_u32_e32 vcc_lo, 1, v0
	v_cmp_eq_u32_e64 s0, 2, v0
	v_cmp_eq_u32_e64 s1, 3, v0
	v_cmp_eq_u32_e64 s2, 4, v0
	v_cmp_eq_u32_e64 s3, 0, v0
	v_dual_cndmask_b32 v1, v2, v4 :: v_dual_cndmask_b32 v18, v3, v5
	v_cmp_eq_u32_e64 s4, 5, v0
	v_cndmask_b32_e64 v22, v7, v15, s0
	v_cndmask_b32_e64 v21, v6, v14, s0
	s_delay_alu instid0(VALU_DEP_4)
	v_cndmask_b32_e64 v1, v1, v6, s0
	v_cndmask_b32_e64 v18, v18, v7, s0
	v_cmp_eq_u32_e64 s0, 6, v0
	v_cndmask_b32_e32 v20, v5, v15, vcc_lo
	v_cndmask_b32_e64 v24, v9, v15, s1
	v_cndmask_b32_e64 v1, v1, v8, s1
	v_cndmask_b32_e64 v19, v18, v9, s1
	v_cndmask_b32_e64 v18, v3, v15, s3
	v_cndmask_b32_e64 v23, v8, v14, s1
	v_cndmask_b32_e64 v26, v11, v15, s2
	v_cndmask_b32_e64 v1, v1, v10, s2
	v_cndmask_b32_e64 v3, v19, v11, s2
	v_cndmask_b32_e32 v19, v4, v14, vcc_lo
	v_cmp_eq_u32_e32 vcc_lo, 7, v0
	v_cndmask_b32_e64 v25, v10, v14, s2
	v_cndmask_b32_e64 v1, v1, v12, s4
	v_cndmask_b32_e64 v3, v3, v13, s4
	v_cndmask_b32_e64 v28, v13, v15, s4
	v_dual_cndmask_b32 v32, v17, v15 :: v_dual_cndmask_b32 v31, v16, v14
	s_delay_alu instid0(VALU_DEP_4) | instskip(NEXT) | instid1(VALU_DEP_4)
	v_cndmask_b32_e64 v1, v1, v14, s0
	v_cndmask_b32_e64 v3, v3, v15, s0
	v_cndmask_b32_e64 v27, v12, v14, s4
	s_delay_alu instid0(VALU_DEP_2) | instskip(SKIP_1) | instid1(VALU_DEP_2)
	v_dual_cndmask_b32 v0, v1, v16 :: v_dual_cndmask_b32 v1, v3, v17
	v_cndmask_b32_e64 v17, v2, v14, s3
	v_cndmask_b32_e64 v29, v0, v14, s0
	s_delay_alu instid0(VALU_DEP_3) | instskip(NEXT) | instid1(VALU_DEP_3)
	v_cndmask_b32_e64 v30, v1, v15, s0
	v_mov_b32_e32 v2, v17
	v_dual_mov_b32 v3, v18 :: v_dual_mov_b32 v4, v19
	v_dual_mov_b32 v5, v20 :: v_dual_mov_b32 v6, v21
	v_dual_mov_b32 v7, v22 :: v_dual_mov_b32 v8, v23
	v_dual_mov_b32 v9, v24 :: v_dual_mov_b32 v10, v25
	v_dual_mov_b32 v11, v26 :: v_dual_mov_b32 v12, v27
	v_dual_mov_b32 v13, v28 :: v_dual_mov_b32 v14, v29
	v_dual_mov_b32 v15, v30 :: v_dual_mov_b32 v16, v31
	v_mov_b32_e32 v17, v32
.LBB7_61:
	s_or_b32 exec_lo, exec_lo, s5
	v_dual_mov_b32 v0, s12 :: v_dual_mov_b32 v1, s13
	s_mov_b32 s5, exec_lo
	flat_load_b32 v0, v[0:1] offset:20
	s_waitcnt vmcnt(0) lgkmcnt(0)
	v_add_nc_u32_e32 v0, -1, v0
	s_delay_alu instid0(VALU_DEP_1)
	v_cmpx_ne_u32_e32 5, v0
	s_cbranch_execz .LBB7_63
; %bb.62:
	v_cmp_eq_u32_e32 vcc_lo, 1, v0
	v_cmp_eq_u32_e64 s0, 2, v0
	v_cmp_eq_u32_e64 s1, 3, v0
	v_cmp_eq_u32_e64 s2, 4, v0
	v_cmp_eq_u32_e64 s3, 0, v0
	v_dual_cndmask_b32 v1, v2, v4 :: v_dual_cndmask_b32 v18, v3, v5
	v_cmp_eq_u32_e64 s4, 5, v0
	v_cndmask_b32_e64 v22, v7, v13, s0
	v_cndmask_b32_e64 v21, v6, v12, s0
	s_delay_alu instid0(VALU_DEP_4)
	v_cndmask_b32_e64 v1, v1, v6, s0
	v_cndmask_b32_e64 v18, v18, v7, s0
	v_cmp_eq_u32_e64 s0, 6, v0
	v_cndmask_b32_e32 v20, v5, v13, vcc_lo
	v_cndmask_b32_e64 v24, v9, v13, s1
	v_cndmask_b32_e64 v1, v1, v8, s1
	v_cndmask_b32_e64 v19, v18, v9, s1
	v_cndmask_b32_e64 v18, v3, v13, s3
	v_cndmask_b32_e64 v23, v8, v12, s1
	v_cndmask_b32_e64 v26, v11, v13, s2
	v_cndmask_b32_e64 v1, v1, v10, s2
	v_cndmask_b32_e64 v3, v19, v11, s2
	v_cndmask_b32_e32 v19, v4, v12, vcc_lo
	v_cmp_eq_u32_e32 vcc_lo, 7, v0
	v_cndmask_b32_e64 v25, v10, v12, s2
	v_cndmask_b32_e64 v1, v1, v12, s4
	v_cndmask_b32_e64 v3, v3, v13, s4
	v_cndmask_b32_e64 v30, v15, v13, s0
	v_dual_cndmask_b32 v32, v17, v13 :: v_dual_cndmask_b32 v31, v16, v12
	s_delay_alu instid0(VALU_DEP_4) | instskip(NEXT) | instid1(VALU_DEP_4)
	v_cndmask_b32_e64 v1, v1, v14, s0
	v_cndmask_b32_e64 v3, v3, v15, s0
	v_cndmask_b32_e64 v29, v14, v12, s0
	s_delay_alu instid0(VALU_DEP_2) | instskip(SKIP_1) | instid1(VALU_DEP_2)
	v_dual_cndmask_b32 v0, v1, v16 :: v_dual_cndmask_b32 v1, v3, v17
	v_cndmask_b32_e64 v17, v2, v12, s3
	v_cndmask_b32_e64 v27, v0, v12, s4
	s_delay_alu instid0(VALU_DEP_3) | instskip(NEXT) | instid1(VALU_DEP_3)
	v_cndmask_b32_e64 v28, v1, v13, s4
	v_mov_b32_e32 v2, v17
	v_dual_mov_b32 v3, v18 :: v_dual_mov_b32 v4, v19
	v_dual_mov_b32 v5, v20 :: v_dual_mov_b32 v6, v21
	v_dual_mov_b32 v7, v22 :: v_dual_mov_b32 v8, v23
	v_dual_mov_b32 v9, v24 :: v_dual_mov_b32 v10, v25
	v_dual_mov_b32 v11, v26 :: v_dual_mov_b32 v12, v27
	v_dual_mov_b32 v13, v28 :: v_dual_mov_b32 v14, v29
	v_dual_mov_b32 v15, v30 :: v_dual_mov_b32 v16, v31
	v_mov_b32_e32 v17, v32
.LBB7_63:
	s_or_b32 exec_lo, exec_lo, s5
	;; [unrolled: 59-line block ×4, first 2 shown]
	v_dual_mov_b32 v0, s12 :: v_dual_mov_b32 v1, s13
	s_mov_b32 s5, exec_lo
	flat_load_b32 v0, v[0:1] offset:8
	s_waitcnt vmcnt(0) lgkmcnt(0)
	v_add_nc_u32_e32 v0, -1, v0
	s_delay_alu instid0(VALU_DEP_1)
	v_cmpx_ne_u32_e32 2, v0
	s_cbranch_execz .LBB7_69
; %bb.68:
	v_cmp_eq_u32_e32 vcc_lo, 1, v0
	v_cmp_eq_u32_e64 s0, 2, v0
	v_cmp_eq_u32_e64 s1, 3, v0
	;; [unrolled: 1-line block ×4, first 2 shown]
	v_dual_cndmask_b32 v1, v2, v4 :: v_dual_cndmask_b32 v18, v3, v5
	v_cmp_eq_u32_e64 s4, 5, v0
	v_cndmask_b32_e32 v20, v5, v7, vcc_lo
	v_cndmask_b32_e64 v24, v9, v7, s1
	s_delay_alu instid0(VALU_DEP_4)
	v_cndmask_b32_e64 v1, v1, v6, s0
	v_cndmask_b32_e64 v18, v18, v7, s0
	;; [unrolled: 1-line block ×8, first 2 shown]
	v_cmp_eq_u32_e64 s1, 7, v0
	v_cndmask_b32_e64 v28, v13, v7, s4
	v_cndmask_b32_e64 v1, v1, v10, s2
	;; [unrolled: 1-line block ×3, first 2 shown]
	v_cndmask_b32_e32 v19, v4, v6, vcc_lo
	v_cmp_eq_u32_e32 vcc_lo, 6, v0
	v_cndmask_b32_e64 v27, v12, v6, s4
	v_cndmask_b32_e64 v1, v1, v12, s4
	v_cndmask_b32_e64 v3, v3, v13, s4
	v_cndmask_b32_e64 v32, v17, v7, s1
	v_cndmask_b32_e32 v29, v14, v6, vcc_lo
	v_cndmask_b32_e64 v31, v16, v6, s1
	v_dual_cndmask_b32 v1, v1, v14 :: v_dual_cndmask_b32 v30, v15, v7
	s_delay_alu instid0(VALU_DEP_1) | instskip(NEXT) | instid1(VALU_DEP_1)
	v_cndmask_b32_e64 v0, v1, v16, s1
	v_cndmask_b32_e64 v21, v0, v6, s0
	v_cndmask_b32_e32 v3, v3, v15, vcc_lo
	s_delay_alu instid0(VALU_DEP_1) | instskip(SKIP_1) | instid1(VALU_DEP_2)
	v_cndmask_b32_e64 v1, v3, v17, s1
	v_cndmask_b32_e64 v17, v2, v6, s3
	;; [unrolled: 1-line block ×3, first 2 shown]
	s_delay_alu instid0(VALU_DEP_2) | instskip(SKIP_2) | instid1(VALU_DEP_4)
	v_mov_b32_e32 v2, v17
	v_dual_mov_b32 v6, v21 :: v_dual_mov_b32 v3, v18
	v_dual_mov_b32 v4, v19 :: v_dual_mov_b32 v5, v20
	;; [unrolled: 1-line block ×7, first 2 shown]
	v_mov_b32_e32 v17, v32
.LBB7_69:
	s_or_b32 exec_lo, exec_lo, s5
	v_dual_mov_b32 v0, s12 :: v_dual_mov_b32 v1, s13
	s_mov_b32 s5, exec_lo
	flat_load_b32 v0, v[0:1] offset:4
	s_waitcnt vmcnt(0) lgkmcnt(0)
	v_add_nc_u32_e32 v0, -1, v0
	s_delay_alu instid0(VALU_DEP_1)
	v_cmpx_ne_u32_e32 1, v0
	s_cbranch_execz .LBB7_71
; %bb.70:
	v_cmp_eq_u32_e32 vcc_lo, 1, v0
	v_cmp_eq_u32_e64 s0, 2, v0
	v_cmp_eq_u32_e64 s1, 3, v0
	;; [unrolled: 1-line block ×4, first 2 shown]
	v_dual_cndmask_b32 v1, v2, v4 :: v_dual_cndmask_b32 v18, v3, v5
	v_cmp_eq_u32_e64 s4, 5, v0
	v_cndmask_b32_e64 v22, v7, v5, s0
	v_cndmask_b32_e64 v21, v6, v4, s0
	s_delay_alu instid0(VALU_DEP_4)
	v_cndmask_b32_e64 v1, v1, v6, s0
	v_cndmask_b32_e64 v18, v18, v7, s0
	v_cmp_eq_u32_e64 s0, 6, v0
	v_cndmask_b32_e64 v24, v9, v5, s1
	v_cndmask_b32_e64 v23, v8, v4, s1
	;; [unrolled: 1-line block ×5, first 2 shown]
	v_cmp_eq_u32_e64 s1, 7, v0
	v_cndmask_b32_e64 v26, v11, v5, s2
	v_cndmask_b32_e64 v1, v1, v10, s2
	;; [unrolled: 1-line block ×14, first 2 shown]
	s_delay_alu instid0(VALU_DEP_3) | instskip(NEXT) | instid1(VALU_DEP_3)
	v_cndmask_b32_e64 v0, v1, v16, s1
	v_cndmask_b32_e64 v1, v3, v17, s1
	;; [unrolled: 1-line block ×3, first 2 shown]
	s_delay_alu instid0(VALU_DEP_2) | instskip(NEXT) | instid1(VALU_DEP_2)
	v_dual_cndmask_b32 v19, v0, v4 :: v_dual_cndmask_b32 v20, v1, v5
	v_mov_b32_e32 v2, v17
	v_mov_b32_e32 v3, v18
	v_dual_mov_b32 v7, v22 :: v_dual_mov_b32 v8, v23
	s_delay_alu instid0(VALU_DEP_4)
	v_dual_mov_b32 v4, v19 :: v_dual_mov_b32 v5, v20
	v_dual_mov_b32 v6, v21 :: v_dual_mov_b32 v9, v24
	;; [unrolled: 1-line block ×6, first 2 shown]
.LBB7_71:
	s_or_b32 exec_lo, exec_lo, s5
	v_dual_mov_b32 v0, s12 :: v_dual_mov_b32 v1, s13
	s_mov_b32 s4, exec_lo
	flat_load_b32 v0, v[0:1]
	s_waitcnt vmcnt(0) lgkmcnt(0)
	v_add_nc_u32_e32 v0, -1, v0
	s_delay_alu instid0(VALU_DEP_1)
	v_cmpx_ne_u32_e32 0, v0
	s_cbranch_execz .LBB7_73
; %bb.72:
	v_cmp_eq_u32_e32 vcc_lo, 1, v0
	v_cmp_eq_u32_e64 s0, 2, v0
	v_cmp_eq_u32_e64 s1, 3, v0
	;; [unrolled: 1-line block ×4, first 2 shown]
	v_dual_cndmask_b32 v1, v2, v4 :: v_dual_cndmask_b32 v18, v3, v5
	v_cndmask_b32_e64 v20, v7, v3, s0
	v_cndmask_b32_e64 v19, v6, v2, s0
	;; [unrolled: 1-line block ×3, first 2 shown]
	s_delay_alu instid0(VALU_DEP_4)
	v_cndmask_b32_e64 v1, v1, v6, s0
	v_cndmask_b32_e64 v18, v18, v7, s0
	v_cmp_eq_u32_e64 s0, 6, v0
	v_cndmask_b32_e64 v21, v8, v2, s1
	v_cndmask_b32_e64 v24, v11, v3, s2
	;; [unrolled: 1-line block ×4, first 2 shown]
	v_cmp_eq_u32_e64 s1, 7, v0
	v_cndmask_b32_e64 v23, v10, v2, s2
	v_cndmask_b32_e64 v28, v15, v3, s0
	v_cndmask_b32_e64 v1, v1, v10, s2
	v_cndmask_b32_e64 v7, v18, v11, s2
	v_cndmask_b32_e32 v18, v5, v3, vcc_lo
	v_cmp_eq_u32_e64 s2, 0, v0
	v_cndmask_b32_e64 v26, v13, v3, s3
	v_cndmask_b32_e64 v1, v1, v12, s3
	;; [unrolled: 1-line block ×9, first 2 shown]
	s_delay_alu instid0(VALU_DEP_3) | instskip(NEXT) | instid1(VALU_DEP_3)
	v_cndmask_b32_e64 v1, v1, v16, s1
	v_cndmask_b32_e64 v5, v5, v17, s1
	v_cndmask_b32_e32 v17, v4, v2, vcc_lo
	s_delay_alu instid0(VALU_DEP_3) | instskip(NEXT) | instid1(VALU_DEP_3)
	v_cndmask_b32_e64 v15, v1, v2, s2
	v_cndmask_b32_e64 v16, v5, v3, s2
	s_delay_alu instid0(VALU_DEP_2) | instskip(NEXT) | instid1(VALU_DEP_2)
	v_mov_b32_e32 v2, v15
	v_dual_mov_b32 v3, v16 :: v_dual_mov_b32 v4, v17
	v_dual_mov_b32 v5, v18 :: v_dual_mov_b32 v6, v19
	v_dual_mov_b32 v7, v20 :: v_dual_mov_b32 v8, v21
	v_dual_mov_b32 v9, v22 :: v_dual_mov_b32 v10, v23
	v_dual_mov_b32 v11, v24 :: v_dual_mov_b32 v12, v25
	v_dual_mov_b32 v13, v26 :: v_dual_mov_b32 v14, v27
	v_mov_b32_e32 v15, v28
	v_mov_b32_e32 v16, v29
	;; [unrolled: 1-line block ×3, first 2 shown]
.LBB7_73:
	s_or_b32 exec_lo, exec_lo, s4
.LBB7_74:
	s_clause 0x7
	global_store_b64 v[33:34], v[2:3], off
	global_store_b64 v[35:36], v[4:5], off
	;; [unrolled: 1-line block ×8, first 2 shown]
	s_nop 0
	s_sendmsg sendmsg(MSG_DEALLOC_VGPRS)
	s_endpgm
	.section	.rodata,"a",@progbits
	.p2align	6, 0x0
	.amdhsa_kernel _ZN9rocsolver6v33100L18getri_kernel_smallILi8EdPdEEvT1_iilPiilS4_bb
		.amdhsa_group_segment_fixed_size 136
		.amdhsa_private_segment_fixed_size 0
		.amdhsa_kernarg_size 60
		.amdhsa_user_sgpr_count 15
		.amdhsa_user_sgpr_dispatch_ptr 0
		.amdhsa_user_sgpr_queue_ptr 0
		.amdhsa_user_sgpr_kernarg_segment_ptr 1
		.amdhsa_user_sgpr_dispatch_id 0
		.amdhsa_user_sgpr_private_segment_size 0
		.amdhsa_wavefront_size32 1
		.amdhsa_uses_dynamic_stack 0
		.amdhsa_enable_private_segment 0
		.amdhsa_system_sgpr_workgroup_id_x 1
		.amdhsa_system_sgpr_workgroup_id_y 0
		.amdhsa_system_sgpr_workgroup_id_z 0
		.amdhsa_system_sgpr_workgroup_info 0
		.amdhsa_system_vgpr_workitem_id 0
		.amdhsa_next_free_vgpr 49
		.amdhsa_next_free_sgpr 18
		.amdhsa_reserve_vcc 1
		.amdhsa_float_round_mode_32 0
		.amdhsa_float_round_mode_16_64 0
		.amdhsa_float_denorm_mode_32 3
		.amdhsa_float_denorm_mode_16_64 3
		.amdhsa_dx10_clamp 1
		.amdhsa_ieee_mode 1
		.amdhsa_fp16_overflow 0
		.amdhsa_workgroup_processor_mode 1
		.amdhsa_memory_ordered 1
		.amdhsa_forward_progress 0
		.amdhsa_shared_vgpr_count 0
		.amdhsa_exception_fp_ieee_invalid_op 0
		.amdhsa_exception_fp_denorm_src 0
		.amdhsa_exception_fp_ieee_div_zero 0
		.amdhsa_exception_fp_ieee_overflow 0
		.amdhsa_exception_fp_ieee_underflow 0
		.amdhsa_exception_fp_ieee_inexact 0
		.amdhsa_exception_int_div_zero 0
	.end_amdhsa_kernel
	.section	.text._ZN9rocsolver6v33100L18getri_kernel_smallILi8EdPdEEvT1_iilPiilS4_bb,"axG",@progbits,_ZN9rocsolver6v33100L18getri_kernel_smallILi8EdPdEEvT1_iilPiilS4_bb,comdat
.Lfunc_end7:
	.size	_ZN9rocsolver6v33100L18getri_kernel_smallILi8EdPdEEvT1_iilPiilS4_bb, .Lfunc_end7-_ZN9rocsolver6v33100L18getri_kernel_smallILi8EdPdEEvT1_iilPiilS4_bb
                                        ; -- End function
	.section	.AMDGPU.csdata,"",@progbits
; Kernel info:
; codeLenInByte = 7860
; NumSgprs: 20
; NumVgprs: 49
; ScratchSize: 0
; MemoryBound: 0
; FloatMode: 240
; IeeeMode: 1
; LDSByteSize: 136 bytes/workgroup (compile time only)
; SGPRBlocks: 2
; VGPRBlocks: 6
; NumSGPRsForWavesPerEU: 20
; NumVGPRsForWavesPerEU: 49
; Occupancy: 16
; WaveLimiterHint : 0
; COMPUTE_PGM_RSRC2:SCRATCH_EN: 0
; COMPUTE_PGM_RSRC2:USER_SGPR: 15
; COMPUTE_PGM_RSRC2:TRAP_HANDLER: 0
; COMPUTE_PGM_RSRC2:TGID_X_EN: 1
; COMPUTE_PGM_RSRC2:TGID_Y_EN: 0
; COMPUTE_PGM_RSRC2:TGID_Z_EN: 0
; COMPUTE_PGM_RSRC2:TIDIG_COMP_CNT: 0
	.section	.text._ZN9rocsolver6v33100L18getri_kernel_smallILi9EdPdEEvT1_iilPiilS4_bb,"axG",@progbits,_ZN9rocsolver6v33100L18getri_kernel_smallILi9EdPdEEvT1_iilPiilS4_bb,comdat
	.globl	_ZN9rocsolver6v33100L18getri_kernel_smallILi9EdPdEEvT1_iilPiilS4_bb ; -- Begin function _ZN9rocsolver6v33100L18getri_kernel_smallILi9EdPdEEvT1_iilPiilS4_bb
	.p2align	8
	.type	_ZN9rocsolver6v33100L18getri_kernel_smallILi9EdPdEEvT1_iilPiilS4_bb,@function
_ZN9rocsolver6v33100L18getri_kernel_smallILi9EdPdEEvT1_iilPiilS4_bb: ; @_ZN9rocsolver6v33100L18getri_kernel_smallILi9EdPdEEvT1_iilPiilS4_bb
; %bb.0:
	s_mov_b32 s2, exec_lo
	v_cmpx_gt_u32_e32 9, v0
	s_cbranch_execz .LBB8_16
; %bb.1:
	s_clause 0x2
	s_load_b32 s17, s[0:1], 0x38
	s_load_b128 s[4:7], s[0:1], 0x10
	s_load_b128 s[8:11], s[0:1], 0x28
	s_mov_b32 s14, s15
                                        ; implicit-def: $sgpr12_sgpr13
	s_waitcnt lgkmcnt(0)
	s_bitcmp1_b32 s17, 8
	s_cselect_b32 s16, -1, 0
	s_bfe_u32 s2, s17, 0x10008
	s_ashr_i32 s15, s15, 31
	s_cmp_eq_u32 s2, 0
	s_cbranch_scc1 .LBB8_3
; %bb.2:
	s_load_b32 s2, s[0:1], 0x20
	s_mul_i32 s3, s14, s9
	s_mul_hi_u32 s9, s14, s8
	s_mul_i32 s12, s15, s8
	s_add_i32 s3, s9, s3
	s_mul_i32 s8, s14, s8
	s_add_i32 s9, s3, s12
	s_delay_alu instid0(SALU_CYCLE_1)
	s_lshl_b64 s[8:9], s[8:9], 2
	s_waitcnt lgkmcnt(0)
	s_ashr_i32 s3, s2, 31
	s_add_u32 s6, s6, s8
	s_addc_u32 s7, s7, s9
	s_lshl_b64 s[2:3], s[2:3], 2
	s_delay_alu instid0(SALU_CYCLE_1)
	s_add_u32 s12, s6, s2
	s_addc_u32 s13, s7, s3
.LBB8_3:
	s_load_b128 s[0:3], s[0:1], 0x0
	s_mul_i32 s5, s14, s5
	s_mul_hi_u32 s6, s14, s4
	s_mul_i32 s7, s15, s4
	s_add_i32 s5, s6, s5
	s_mul_i32 s4, s14, s4
	s_add_i32 s5, s5, s7
	v_dual_mov_b32 v1, 0 :: v_dual_lshlrev_b32 v22, 3, v0
	s_lshl_b64 s[4:5], s[4:5], 3
	s_waitcnt lgkmcnt(0)
	v_add3_u32 v4, s3, s3, v0
	s_ashr_i32 s7, s2, 31
	s_mov_b32 s6, s2
	s_add_u32 s2, s0, s4
	s_addc_u32 s5, s1, s5
	v_add_nc_u32_e32 v6, s3, v4
	s_lshl_b64 s[0:1], s[6:7], 3
	v_ashrrev_i32_e32 v5, 31, v4
	s_add_u32 s0, s2, s0
	s_addc_u32 s1, s5, s1
	v_add_co_u32 v52, s2, s0, v22
	v_add_nc_u32_e32 v8, s3, v6
	s_mov_b32 s4, s3
	s_ashr_i32 s5, s3, 31
	v_add_co_ci_u32_e64 v53, null, s1, 0, s2
	v_lshlrev_b64 v[4:5], 3, v[4:5]
	v_ashrrev_i32_e32 v7, 31, v6
	s_lshl_b64 s[4:5], s[4:5], 3
	v_ashrrev_i32_e32 v9, 31, v8
	v_add_co_u32 v54, vcc_lo, v52, s4
	v_add_nc_u32_e32 v10, s3, v8
	v_add_co_ci_u32_e32 v55, vcc_lo, s5, v53, vcc_lo
	v_lshlrev_b64 v[6:7], 3, v[6:7]
	v_add_co_u32 v56, vcc_lo, s0, v4
	v_add_co_ci_u32_e32 v57, vcc_lo, s1, v5, vcc_lo
	v_lshlrev_b64 v[4:5], 3, v[8:9]
	v_ashrrev_i32_e32 v11, 31, v10
	v_add_nc_u32_e32 v8, s3, v10
	v_add_co_u32 v58, vcc_lo, s0, v6
	v_add_co_ci_u32_e32 v59, vcc_lo, s1, v7, vcc_lo
	s_delay_alu instid0(VALU_DEP_4) | instskip(NEXT) | instid1(VALU_DEP_4)
	v_lshlrev_b64 v[6:7], 3, v[10:11]
	v_ashrrev_i32_e32 v9, 31, v8
	v_add_nc_u32_e32 v10, s3, v8
	v_add_co_u32 v60, vcc_lo, s0, v4
	v_add_co_ci_u32_e32 v61, vcc_lo, s1, v5, vcc_lo
	s_delay_alu instid0(VALU_DEP_4) | instskip(NEXT) | instid1(VALU_DEP_4)
	v_lshlrev_b64 v[4:5], 3, v[8:9]
	v_add_nc_u32_e32 v8, s3, v10
	v_ashrrev_i32_e32 v11, 31, v10
	v_add_co_u32 v68, vcc_lo, s0, v6
	v_add_co_ci_u32_e32 v69, vcc_lo, s1, v7, vcc_lo
	s_delay_alu instid0(VALU_DEP_4) | instskip(NEXT) | instid1(VALU_DEP_4)
	v_ashrrev_i32_e32 v9, 31, v8
	v_lshlrev_b64 v[6:7], 3, v[10:11]
	v_add_co_u32 v64, vcc_lo, s0, v4
	v_add_co_ci_u32_e32 v65, vcc_lo, s1, v5, vcc_lo
	s_delay_alu instid0(VALU_DEP_4) | instskip(NEXT) | instid1(VALU_DEP_4)
	v_lshlrev_b64 v[4:5], 3, v[8:9]
	v_add_co_u32 v66, vcc_lo, s0, v6
	v_add_co_ci_u32_e32 v67, vcc_lo, s1, v7, vcc_lo
	global_load_b64 v[2:3], v22, s[0:1]
	v_add_co_u32 v62, vcc_lo, s0, v4
	v_add_co_ci_u32_e32 v63, vcc_lo, s1, v5, vcc_lo
	s_clause 0x7
	global_load_b64 v[4:5], v[54:55], off
	global_load_b64 v[6:7], v[56:57], off
	;; [unrolled: 1-line block ×8, first 2 shown]
	s_bitcmp0_b32 s17, 0
	s_mov_b32 s0, -1
	s_cbranch_scc1 .LBB8_14
; %bb.4:
	v_cmp_eq_u32_e64 s0, 0, v0
	s_delay_alu instid0(VALU_DEP_1)
	s_and_saveexec_b32 s1, s0
	s_cbranch_execz .LBB8_6
; %bb.5:
	v_mov_b32_e32 v20, 0
	ds_store_b32 v20, v20 offset:72
.LBB8_6:
	s_or_b32 exec_lo, exec_lo, s1
	v_cmp_eq_u32_e32 vcc_lo, 1, v0
	s_mov_b32 s2, exec_lo
	s_waitcnt vmcnt(0) lgkmcnt(0)
	s_barrier
	buffer_gl0_inv
	v_dual_cndmask_b32 v20, v3, v5 :: v_dual_cndmask_b32 v21, v2, v4
	v_cmp_eq_u32_e32 vcc_lo, 2, v0
	s_delay_alu instid0(VALU_DEP_2) | instskip(SKIP_1) | instid1(VALU_DEP_2)
	v_dual_cndmask_b32 v20, v20, v7 :: v_dual_cndmask_b32 v21, v21, v6
	v_cmp_eq_u32_e32 vcc_lo, 3, v0
	v_dual_cndmask_b32 v20, v20, v9 :: v_dual_cndmask_b32 v21, v21, v8
	v_cmp_eq_u32_e32 vcc_lo, 4, v0
	s_delay_alu instid0(VALU_DEP_2) | instskip(SKIP_1) | instid1(VALU_DEP_2)
	v_dual_cndmask_b32 v20, v20, v11 :: v_dual_cndmask_b32 v21, v21, v10
	v_cmp_eq_u32_e32 vcc_lo, 5, v0
	;; [unrolled: 5-line block ×3, first 2 shown]
	v_dual_cndmask_b32 v20, v20, v17 :: v_dual_cndmask_b32 v23, v21, v16
	v_cmp_eq_u32_e32 vcc_lo, 8, v0
	s_delay_alu instid0(VALU_DEP_2) | instskip(NEXT) | instid1(VALU_DEP_1)
	v_dual_cndmask_b32 v21, v20, v19 :: v_dual_cndmask_b32 v20, v23, v18
	v_cmpx_eq_f64_e32 0, v[20:21]
	s_cbranch_execz .LBB8_10
; %bb.7:
	v_mov_b32_e32 v23, 0
	s_mov_b32 s3, 0
	ds_load_b32 v24, v23 offset:72
	s_waitcnt lgkmcnt(0)
	v_readfirstlane_b32 s1, v24
	v_add_nc_u32_e32 v24, 1, v0
	s_delay_alu instid0(VALU_DEP_2) | instskip(NEXT) | instid1(VALU_DEP_1)
	s_cmp_eq_u32 s1, 0
	v_cmp_gt_i32_e32 vcc_lo, s1, v24
	s_cselect_b32 s4, -1, 0
	s_delay_alu instid0(SALU_CYCLE_1) | instskip(NEXT) | instid1(SALU_CYCLE_1)
	s_or_b32 s4, s4, vcc_lo
	s_and_b32 exec_lo, exec_lo, s4
	s_cbranch_execz .LBB8_10
; %bb.8:
	v_mov_b32_e32 v25, s1
.LBB8_9:                                ; =>This Inner Loop Header: Depth=1
	ds_cmpstore_rtn_b32 v25, v23, v24, v25 offset:72
	s_waitcnt lgkmcnt(0)
	v_cmp_ne_u32_e32 vcc_lo, 0, v25
	v_cmp_le_i32_e64 s1, v25, v24
	s_delay_alu instid0(VALU_DEP_1) | instskip(NEXT) | instid1(SALU_CYCLE_1)
	s_and_b32 s1, vcc_lo, s1
	s_and_b32 s1, exec_lo, s1
	s_delay_alu instid0(SALU_CYCLE_1) | instskip(NEXT) | instid1(SALU_CYCLE_1)
	s_or_b32 s3, s1, s3
	s_and_not1_b32 exec_lo, exec_lo, s3
	s_cbranch_execnz .LBB8_9
.LBB8_10:
	s_or_b32 exec_lo, exec_lo, s2
	v_mov_b32_e32 v23, 0
	s_barrier
	buffer_gl0_inv
	ds_load_b32 v24, v23 offset:72
	s_and_saveexec_b32 s1, s0
	s_cbranch_execz .LBB8_12
; %bb.11:
	s_lshl_b64 s[2:3], s[14:15], 2
	s_delay_alu instid0(SALU_CYCLE_1)
	s_add_u32 s2, s10, s2
	s_addc_u32 s3, s11, s3
	s_waitcnt lgkmcnt(0)
	global_store_b32 v23, v24, s[2:3]
.LBB8_12:
	s_or_b32 exec_lo, exec_lo, s1
	s_waitcnt lgkmcnt(0)
	v_cmp_ne_u32_e32 vcc_lo, 0, v24
	s_cbranch_vccz .LBB8_17
; %bb.13:
	s_mov_b32 s0, 0
                                        ; implicit-def: $vgpr2_vgpr3_vgpr4_vgpr5_vgpr6_vgpr7_vgpr8_vgpr9_vgpr10_vgpr11_vgpr12_vgpr13_vgpr14_vgpr15_vgpr16_vgpr17_vgpr18_vgpr19_vgpr20_vgpr21_vgpr22_vgpr23_vgpr24_vgpr25_vgpr26_vgpr27_vgpr28_vgpr29_vgpr30_vgpr31_vgpr32_vgpr33
.LBB8_14:
	s_delay_alu instid0(SALU_CYCLE_1)
	s_and_b32 vcc_lo, exec_lo, s0
	s_cbranch_vccz .LBB8_16
.LBB8_15:
	s_lshl_b64 s[0:1], s[14:15], 2
	v_mov_b32_e32 v1, 0
	s_add_u32 s0, s10, s0
	s_addc_u32 s1, s11, s1
	global_load_b32 v1, v1, s[0:1]
	s_waitcnt vmcnt(0)
	v_cmp_ne_u32_e32 vcc_lo, 0, v1
	s_cbranch_vccz .LBB8_60
.LBB8_16:
	s_nop 0
	s_sendmsg sendmsg(MSG_DEALLOC_VGPRS)
	s_endpgm
.LBB8_17:
	v_div_scale_f64 v[23:24], null, v[20:21], v[20:21], 1.0
	v_div_scale_f64 v[29:30], vcc_lo, 1.0, v[20:21], 1.0
	v_cmp_eq_u32_e64 s1, 6, v0
	v_cmp_eq_u32_e64 s2, 5, v0
	;; [unrolled: 1-line block ×7, first 2 shown]
	v_rcp_f64_e32 v[25:26], v[23:24]
	s_waitcnt_depctr 0xfff
	v_fma_f64 v[27:28], -v[23:24], v[25:26], 1.0
	s_delay_alu instid0(VALU_DEP_1) | instskip(NEXT) | instid1(VALU_DEP_1)
	v_fma_f64 v[25:26], v[25:26], v[27:28], v[25:26]
	v_fma_f64 v[27:28], -v[23:24], v[25:26], 1.0
	s_delay_alu instid0(VALU_DEP_1) | instskip(NEXT) | instid1(VALU_DEP_1)
	v_fma_f64 v[25:26], v[25:26], v[27:28], v[25:26]
	v_mul_f64 v[27:28], v[29:30], v[25:26]
	s_delay_alu instid0(VALU_DEP_1) | instskip(NEXT) | instid1(VALU_DEP_1)
	v_fma_f64 v[23:24], -v[23:24], v[27:28], v[29:30]
	v_div_fmas_f64 v[23:24], v[23:24], v[25:26], v[27:28]
	v_cmp_eq_u32_e32 vcc_lo, 7, v0
	s_delay_alu instid0(VALU_DEP_2) | instskip(NEXT) | instid1(VALU_DEP_1)
	v_div_fixup_f64 v[20:21], v[23:24], v[20:21], 1.0
	v_dual_cndmask_b32 v17, v17, v21 :: v_dual_add_nc_u32 v24, 0x50, v22
	s_delay_alu instid0(VALU_DEP_2)
	v_cndmask_b32_e32 v16, v16, v20, vcc_lo
	v_cmp_eq_u32_e32 vcc_lo, 2, v0
	v_cndmask_b32_e64 v19, v19, v21, s4
	v_cndmask_b32_e64 v18, v18, v20, s4
	;; [unrolled: 1-line block ×4, first 2 shown]
	v_cndmask_b32_e32 v7, v7, v21, vcc_lo
	v_cndmask_b32_e64 v13, v13, v21, s2
	v_cndmask_b32_e64 v12, v12, v20, s2
	;; [unrolled: 1-line block ×8, first 2 shown]
	v_xor_b32_e32 v26, 0x80000000, v21
	v_dual_mov_b32 v25, v20 :: v_dual_cndmask_b32 v6, v6, v20
	v_cndmask_b32_e64 v3, v3, v21, s7
	v_cndmask_b32_e64 v2, v2, v20, s7
	ds_store_2addr_b64 v22, v[25:26], v[4:5] offset1:10
	s_waitcnt lgkmcnt(0)
	s_waitcnt_vscnt null, 0x0
	s_barrier
	buffer_gl0_inv
	s_and_saveexec_b32 s1, s0
	s_cbranch_execz .LBB8_19
; %bb.18:
	ds_load_b64 v[4:5], v24
	v_mov_b32_e32 v22, 0
	ds_load_b64 v[22:23], v22 offset:8
	s_waitcnt lgkmcnt(1)
	v_fma_f64 v[4:5], v[20:21], v[4:5], 0
	s_waitcnt lgkmcnt(0)
	s_delay_alu instid0(VALU_DEP_1)
	v_mul_f64 v[4:5], v[4:5], v[22:23]
.LBB8_19:
	s_or_b32 exec_lo, exec_lo, s1
	s_delay_alu instid0(SALU_CYCLE_1)
	s_mov_b32 s1, exec_lo
	s_barrier
	buffer_gl0_inv
	ds_store_b64 v24, v[6:7]
	s_waitcnt lgkmcnt(0)
	s_barrier
	buffer_gl0_inv
	v_cmpx_gt_u32_e32 2, v0
	s_cbranch_execz .LBB8_23
; %bb.20:
	v_cmp_eq_u32_e32 vcc_lo, 1, v0
	v_dual_cndmask_b32 v20, v3, v5 :: v_dual_cndmask_b32 v21, v2, v4
	v_cmp_eq_u32_e32 vcc_lo, 2, v0
	s_delay_alu instid0(VALU_DEP_2) | instskip(SKIP_1) | instid1(VALU_DEP_2)
	v_dual_cndmask_b32 v7, v20, v7 :: v_dual_cndmask_b32 v6, v21, v6
	v_cmp_eq_u32_e32 vcc_lo, 3, v0
	v_dual_cndmask_b32 v7, v7, v9 :: v_dual_cndmask_b32 v6, v6, v8
	v_cmp_eq_u32_e32 vcc_lo, 4, v0
	s_delay_alu instid0(VALU_DEP_2) | instskip(SKIP_1) | instid1(VALU_DEP_2)
	v_dual_cndmask_b32 v7, v7, v11 :: v_dual_cndmask_b32 v6, v6, v10
	v_cmp_eq_u32_e32 vcc_lo, 5, v0
	v_dual_cndmask_b32 v20, v7, v13 :: v_dual_cndmask_b32 v21, v6, v12
	v_cmp_eq_u32_e32 vcc_lo, 6, v0
	ds_load_b64 v[6:7], v24
	v_dual_cndmask_b32 v20, v20, v15 :: v_dual_cndmask_b32 v21, v21, v14
	v_cmp_eq_u32_e32 vcc_lo, 7, v0
	s_delay_alu instid0(VALU_DEP_2) | instskip(NEXT) | instid1(VALU_DEP_3)
	v_cndmask_b32_e32 v20, v20, v17, vcc_lo
	v_cndmask_b32_e32 v22, v21, v16, vcc_lo
	v_cmp_eq_u32_e32 vcc_lo, 8, v0
	s_delay_alu instid0(VALU_DEP_2) | instskip(SKIP_1) | instid1(VALU_DEP_1)
	v_dual_cndmask_b32 v21, v20, v19 :: v_dual_cndmask_b32 v20, v22, v18
	s_waitcnt lgkmcnt(0)
	v_fma_f64 v[6:7], v[20:21], v[6:7], 0
	s_and_saveexec_b32 s2, s0
	s_cbranch_execz .LBB8_22
; %bb.21:
	v_mov_b32_e32 v20, 0
	ds_load_b64 v[20:21], v20 offset:88
	s_waitcnt lgkmcnt(0)
	v_fma_f64 v[6:7], v[4:5], v[20:21], v[6:7]
.LBB8_22:
	s_or_b32 exec_lo, exec_lo, s2
	v_mov_b32_e32 v20, 0
	ds_load_b64 v[20:21], v20 offset:16
	s_waitcnt lgkmcnt(0)
	v_mul_f64 v[6:7], v[6:7], v[20:21]
.LBB8_23:
	s_or_b32 exec_lo, exec_lo, s1
	v_cmp_gt_u32_e32 vcc_lo, 3, v0
	s_barrier
	buffer_gl0_inv
	ds_store_b64 v24, v[8:9]
	s_waitcnt lgkmcnt(0)
	s_barrier
	buffer_gl0_inv
	s_and_saveexec_b32 s3, vcc_lo
	s_cbranch_execz .LBB8_27
; %bb.24:
	v_dual_mov_b32 v20, 0 :: v_dual_mov_b32 v23, v1
	v_lshl_add_u32 v25, v0, 3, 0x50
	v_dual_mov_b32 v21, 0 :: v_dual_mov_b32 v22, v0
	s_mov_b32 s4, 0
.LBB8_25:                               ; =>This Inner Loop Header: Depth=1
	s_delay_alu instid0(VALU_DEP_1) | instskip(SKIP_1) | instid1(VALU_DEP_2)
	v_cmp_eq_u32_e64 s1, 1, v22
	v_cmp_eq_u32_e64 s2, 2, v22
	v_cndmask_b32_e64 v26, v3, v5, s1
	v_cndmask_b32_e64 v27, v2, v4, s1
	v_cmp_eq_u32_e64 s1, 3, v22
	s_delay_alu instid0(VALU_DEP_3) | instskip(NEXT) | instid1(VALU_DEP_3)
	v_cndmask_b32_e64 v26, v26, v7, s2
	v_cndmask_b32_e64 v27, v27, v6, s2
	v_cmp_eq_u32_e64 s2, 4, v22
	s_delay_alu instid0(VALU_DEP_3) | instskip(NEXT) | instid1(VALU_DEP_3)
	;; [unrolled: 4-line block ×3, first 2 shown]
	v_cndmask_b32_e64 v28, v26, v11, s2
	v_cndmask_b32_e64 v29, v27, v10, s2
	ds_load_b64 v[26:27], v25
	v_cmp_eq_u32_e64 s2, 6, v22
	v_add_nc_u32_e32 v25, 8, v25
	v_cndmask_b32_e64 v28, v28, v13, s1
	v_cndmask_b32_e64 v29, v29, v12, s1
	v_cmp_eq_u32_e64 s1, 7, v22
	s_delay_alu instid0(VALU_DEP_3) | instskip(NEXT) | instid1(VALU_DEP_3)
	v_cndmask_b32_e64 v28, v28, v15, s2
	v_cndmask_b32_e64 v29, v29, v14, s2
	v_cmp_eq_u32_e64 s2, 8, v22
	s_delay_alu instid0(VALU_DEP_3) | instskip(NEXT) | instid1(VALU_DEP_3)
	v_cndmask_b32_e64 v28, v28, v17, s1
	v_cndmask_b32_e64 v30, v29, v16, s1
	v_add_co_u32 v22, s1, v22, 1
	s_delay_alu instid0(VALU_DEP_1) | instskip(NEXT) | instid1(VALU_DEP_4)
	v_add_co_ci_u32_e64 v23, s1, 0, v23, s1
	v_cndmask_b32_e64 v29, v28, v19, s2
	s_delay_alu instid0(VALU_DEP_4) | instskip(SKIP_1) | instid1(VALU_DEP_1)
	v_cndmask_b32_e64 v28, v30, v18, s2
	s_waitcnt lgkmcnt(0)
	v_fma_f64 v[20:21], v[28:29], v[26:27], v[20:21]
	v_add_nc_u32_e32 v26, -1, v22
	s_delay_alu instid0(VALU_DEP_1) | instskip(NEXT) | instid1(VALU_DEP_1)
	v_cmp_lt_u32_e64 s1, 1, v26
	s_or_b32 s4, s1, s4
	s_delay_alu instid0(SALU_CYCLE_1)
	s_and_not1_b32 exec_lo, exec_lo, s4
	s_cbranch_execnz .LBB8_25
; %bb.26:
	s_or_b32 exec_lo, exec_lo, s4
	v_mov_b32_e32 v8, 0
	ds_load_b64 v[8:9], v8 offset:24
	s_waitcnt lgkmcnt(0)
	v_mul_f64 v[8:9], v[20:21], v[8:9]
.LBB8_27:
	s_or_b32 exec_lo, exec_lo, s3
	s_delay_alu instid0(SALU_CYCLE_1)
	s_mov_b32 s3, exec_lo
	s_barrier
	buffer_gl0_inv
	ds_store_b64 v24, v[10:11]
	s_waitcnt lgkmcnt(0)
	s_barrier
	buffer_gl0_inv
	v_cmpx_gt_u32_e32 4, v0
	s_cbranch_execz .LBB8_31
; %bb.28:
	v_dual_mov_b32 v20, 0 :: v_dual_mov_b32 v23, v1
	v_lshl_add_u32 v25, v0, 3, 0x50
	v_dual_mov_b32 v21, 0 :: v_dual_mov_b32 v22, v0
	s_mov_b32 s4, 0
.LBB8_29:                               ; =>This Inner Loop Header: Depth=1
	s_delay_alu instid0(VALU_DEP_1) | instskip(SKIP_1) | instid1(VALU_DEP_2)
	v_cmp_eq_u32_e64 s1, 1, v22
	v_cmp_eq_u32_e64 s2, 2, v22
	v_cndmask_b32_e64 v26, v3, v5, s1
	v_cndmask_b32_e64 v27, v2, v4, s1
	v_cmp_eq_u32_e64 s1, 3, v22
	s_delay_alu instid0(VALU_DEP_3) | instskip(NEXT) | instid1(VALU_DEP_3)
	v_cndmask_b32_e64 v26, v26, v7, s2
	v_cndmask_b32_e64 v27, v27, v6, s2
	v_cmp_eq_u32_e64 s2, 4, v22
	s_delay_alu instid0(VALU_DEP_3) | instskip(NEXT) | instid1(VALU_DEP_3)
	;; [unrolled: 4-line block ×3, first 2 shown]
	v_cndmask_b32_e64 v28, v26, v11, s2
	v_cndmask_b32_e64 v29, v27, v10, s2
	ds_load_b64 v[26:27], v25
	v_cmp_eq_u32_e64 s2, 6, v22
	v_add_nc_u32_e32 v25, 8, v25
	v_cndmask_b32_e64 v28, v28, v13, s1
	v_cndmask_b32_e64 v29, v29, v12, s1
	v_cmp_eq_u32_e64 s1, 7, v22
	s_delay_alu instid0(VALU_DEP_3) | instskip(NEXT) | instid1(VALU_DEP_3)
	v_cndmask_b32_e64 v28, v28, v15, s2
	v_cndmask_b32_e64 v29, v29, v14, s2
	v_cmp_eq_u32_e64 s2, 8, v22
	s_delay_alu instid0(VALU_DEP_3) | instskip(NEXT) | instid1(VALU_DEP_3)
	v_cndmask_b32_e64 v28, v28, v17, s1
	v_cndmask_b32_e64 v30, v29, v16, s1
	v_add_co_u32 v22, s1, v22, 1
	s_delay_alu instid0(VALU_DEP_1) | instskip(NEXT) | instid1(VALU_DEP_4)
	v_add_co_ci_u32_e64 v23, s1, 0, v23, s1
	v_cndmask_b32_e64 v29, v28, v19, s2
	s_delay_alu instid0(VALU_DEP_4) | instskip(SKIP_1) | instid1(VALU_DEP_1)
	v_cndmask_b32_e64 v28, v30, v18, s2
	s_waitcnt lgkmcnt(0)
	v_fma_f64 v[20:21], v[28:29], v[26:27], v[20:21]
	v_add_nc_u32_e32 v26, -1, v22
	s_delay_alu instid0(VALU_DEP_1) | instskip(NEXT) | instid1(VALU_DEP_1)
	v_cmp_lt_u32_e64 s1, 2, v26
	s_or_b32 s4, s1, s4
	s_delay_alu instid0(SALU_CYCLE_1)
	s_and_not1_b32 exec_lo, exec_lo, s4
	s_cbranch_execnz .LBB8_29
; %bb.30:
	s_or_b32 exec_lo, exec_lo, s4
	v_mov_b32_e32 v10, 0
	ds_load_b64 v[10:11], v10 offset:32
	s_waitcnt lgkmcnt(0)
	v_mul_f64 v[10:11], v[20:21], v[10:11]
.LBB8_31:
	s_or_b32 exec_lo, exec_lo, s3
	v_cmp_gt_u32_e64 s1, 5, v0
	s_barrier
	buffer_gl0_inv
	ds_store_b64 v24, v[12:13]
	s_waitcnt lgkmcnt(0)
	s_barrier
	buffer_gl0_inv
	s_and_saveexec_b32 s4, s1
	s_cbranch_execz .LBB8_35
; %bb.32:
	v_dual_mov_b32 v20, 0 :: v_dual_mov_b32 v23, v1
	v_lshl_add_u32 v25, v0, 3, 0x50
	v_dual_mov_b32 v21, 0 :: v_dual_mov_b32 v22, v0
	s_mov_b32 s5, 0
.LBB8_33:                               ; =>This Inner Loop Header: Depth=1
	s_delay_alu instid0(VALU_DEP_1) | instskip(SKIP_1) | instid1(VALU_DEP_2)
	v_cmp_eq_u32_e64 s2, 1, v22
	v_cmp_eq_u32_e64 s3, 2, v22
	v_cndmask_b32_e64 v26, v3, v5, s2
	v_cndmask_b32_e64 v27, v2, v4, s2
	v_cmp_eq_u32_e64 s2, 3, v22
	s_delay_alu instid0(VALU_DEP_3) | instskip(NEXT) | instid1(VALU_DEP_3)
	v_cndmask_b32_e64 v26, v26, v7, s3
	v_cndmask_b32_e64 v27, v27, v6, s3
	v_cmp_eq_u32_e64 s3, 4, v22
	s_delay_alu instid0(VALU_DEP_3) | instskip(NEXT) | instid1(VALU_DEP_3)
	v_cndmask_b32_e64 v26, v26, v9, s2
	v_cndmask_b32_e64 v27, v27, v8, s2
	v_cmp_eq_u32_e64 s2, 5, v22
	s_delay_alu instid0(VALU_DEP_3) | instskip(NEXT) | instid1(VALU_DEP_3)
	v_cndmask_b32_e64 v28, v26, v11, s3
	v_cndmask_b32_e64 v29, v27, v10, s3
	ds_load_b64 v[26:27], v25
	v_cmp_eq_u32_e64 s3, 6, v22
	v_add_nc_u32_e32 v25, 8, v25
	v_cndmask_b32_e64 v28, v28, v13, s2
	v_cndmask_b32_e64 v29, v29, v12, s2
	v_cmp_eq_u32_e64 s2, 7, v22
	s_delay_alu instid0(VALU_DEP_3) | instskip(NEXT) | instid1(VALU_DEP_3)
	v_cndmask_b32_e64 v28, v28, v15, s3
	v_cndmask_b32_e64 v29, v29, v14, s3
	v_cmp_eq_u32_e64 s3, 8, v22
	s_delay_alu instid0(VALU_DEP_3) | instskip(NEXT) | instid1(VALU_DEP_3)
	v_cndmask_b32_e64 v28, v28, v17, s2
	v_cndmask_b32_e64 v30, v29, v16, s2
	v_add_co_u32 v22, s2, v22, 1
	s_delay_alu instid0(VALU_DEP_1) | instskip(NEXT) | instid1(VALU_DEP_4)
	v_add_co_ci_u32_e64 v23, s2, 0, v23, s2
	v_cndmask_b32_e64 v29, v28, v19, s3
	s_delay_alu instid0(VALU_DEP_4) | instskip(SKIP_1) | instid1(VALU_DEP_1)
	v_cndmask_b32_e64 v28, v30, v18, s3
	s_waitcnt lgkmcnt(0)
	v_fma_f64 v[20:21], v[28:29], v[26:27], v[20:21]
	v_add_nc_u32_e32 v26, -1, v22
	s_delay_alu instid0(VALU_DEP_1) | instskip(NEXT) | instid1(VALU_DEP_1)
	v_cmp_lt_u32_e64 s2, 3, v26
	s_or_b32 s5, s2, s5
	s_delay_alu instid0(SALU_CYCLE_1)
	s_and_not1_b32 exec_lo, exec_lo, s5
	s_cbranch_execnz .LBB8_33
; %bb.34:
	s_or_b32 exec_lo, exec_lo, s5
	v_mov_b32_e32 v12, 0
	ds_load_b64 v[12:13], v12 offset:40
	s_waitcnt lgkmcnt(0)
	v_mul_f64 v[12:13], v[20:21], v[12:13]
.LBB8_35:
	s_or_b32 exec_lo, exec_lo, s4
	s_delay_alu instid0(SALU_CYCLE_1)
	s_mov_b32 s4, exec_lo
	s_barrier
	buffer_gl0_inv
	ds_store_b64 v24, v[14:15]
	s_waitcnt lgkmcnt(0)
	s_barrier
	buffer_gl0_inv
	v_cmpx_gt_u32_e32 6, v0
	s_cbranch_execz .LBB8_39
; %bb.36:
	v_dual_mov_b32 v20, 0 :: v_dual_mov_b32 v23, v1
	v_lshl_add_u32 v25, v0, 3, 0x50
	v_dual_mov_b32 v21, 0 :: v_dual_mov_b32 v22, v0
	s_mov_b32 s5, 0
.LBB8_37:                               ; =>This Inner Loop Header: Depth=1
	s_delay_alu instid0(VALU_DEP_1) | instskip(SKIP_1) | instid1(VALU_DEP_2)
	v_cmp_eq_u32_e64 s2, 1, v22
	v_cmp_eq_u32_e64 s3, 2, v22
	v_cndmask_b32_e64 v26, v3, v5, s2
	v_cndmask_b32_e64 v27, v2, v4, s2
	v_cmp_eq_u32_e64 s2, 3, v22
	s_delay_alu instid0(VALU_DEP_3) | instskip(NEXT) | instid1(VALU_DEP_3)
	v_cndmask_b32_e64 v26, v26, v7, s3
	v_cndmask_b32_e64 v27, v27, v6, s3
	v_cmp_eq_u32_e64 s3, 4, v22
	s_delay_alu instid0(VALU_DEP_3) | instskip(NEXT) | instid1(VALU_DEP_3)
	;; [unrolled: 4-line block ×3, first 2 shown]
	v_cndmask_b32_e64 v28, v26, v11, s3
	v_cndmask_b32_e64 v29, v27, v10, s3
	ds_load_b64 v[26:27], v25
	v_cmp_eq_u32_e64 s3, 6, v22
	v_add_nc_u32_e32 v25, 8, v25
	v_cndmask_b32_e64 v28, v28, v13, s2
	v_cndmask_b32_e64 v29, v29, v12, s2
	v_cmp_eq_u32_e64 s2, 7, v22
	s_delay_alu instid0(VALU_DEP_3) | instskip(NEXT) | instid1(VALU_DEP_3)
	v_cndmask_b32_e64 v28, v28, v15, s3
	v_cndmask_b32_e64 v29, v29, v14, s3
	v_cmp_eq_u32_e64 s3, 8, v22
	s_delay_alu instid0(VALU_DEP_3) | instskip(NEXT) | instid1(VALU_DEP_3)
	v_cndmask_b32_e64 v28, v28, v17, s2
	v_cndmask_b32_e64 v30, v29, v16, s2
	v_add_co_u32 v22, s2, v22, 1
	s_delay_alu instid0(VALU_DEP_1) | instskip(NEXT) | instid1(VALU_DEP_4)
	v_add_co_ci_u32_e64 v23, s2, 0, v23, s2
	v_cndmask_b32_e64 v29, v28, v19, s3
	s_delay_alu instid0(VALU_DEP_4) | instskip(SKIP_1) | instid1(VALU_DEP_1)
	v_cndmask_b32_e64 v28, v30, v18, s3
	s_waitcnt lgkmcnt(0)
	v_fma_f64 v[20:21], v[28:29], v[26:27], v[20:21]
	v_add_nc_u32_e32 v26, -1, v22
	s_delay_alu instid0(VALU_DEP_1) | instskip(NEXT) | instid1(VALU_DEP_1)
	v_cmp_lt_u32_e64 s2, 4, v26
	s_or_b32 s5, s2, s5
	s_delay_alu instid0(SALU_CYCLE_1)
	s_and_not1_b32 exec_lo, exec_lo, s5
	s_cbranch_execnz .LBB8_37
; %bb.38:
	s_or_b32 exec_lo, exec_lo, s5
	v_mov_b32_e32 v14, 0
	ds_load_b64 v[14:15], v14 offset:48
	s_waitcnt lgkmcnt(0)
	v_mul_f64 v[14:15], v[20:21], v[14:15]
.LBB8_39:
	s_or_b32 exec_lo, exec_lo, s4
	v_cmp_gt_u32_e64 s2, 7, v0
	s_barrier
	buffer_gl0_inv
	ds_store_b64 v24, v[16:17]
	s_waitcnt lgkmcnt(0)
	s_barrier
	buffer_gl0_inv
	s_and_saveexec_b32 s5, s2
	s_cbranch_execz .LBB8_43
; %bb.40:
	v_dual_mov_b32 v20, 0 :: v_dual_mov_b32 v23, v1
	v_lshl_add_u32 v25, v0, 3, 0x50
	v_dual_mov_b32 v21, 0 :: v_dual_mov_b32 v22, v0
	s_mov_b32 s6, 0
.LBB8_41:                               ; =>This Inner Loop Header: Depth=1
	s_delay_alu instid0(VALU_DEP_1) | instskip(SKIP_1) | instid1(VALU_DEP_2)
	v_cmp_eq_u32_e64 s3, 1, v22
	v_cmp_eq_u32_e64 s4, 2, v22
	v_cndmask_b32_e64 v1, v3, v5, s3
	v_cndmask_b32_e64 v26, v2, v4, s3
	v_cmp_eq_u32_e64 s3, 3, v22
	s_delay_alu instid0(VALU_DEP_3) | instskip(NEXT) | instid1(VALU_DEP_3)
	v_cndmask_b32_e64 v1, v1, v7, s4
	v_cndmask_b32_e64 v26, v26, v6, s4
	v_cmp_eq_u32_e64 s4, 4, v22
	s_delay_alu instid0(VALU_DEP_3) | instskip(NEXT) | instid1(VALU_DEP_3)
	;; [unrolled: 4-line block ×3, first 2 shown]
	v_cndmask_b32_e64 v1, v1, v11, s4
	v_cndmask_b32_e64 v28, v26, v10, s4
	ds_load_b64 v[26:27], v25
	v_cmp_eq_u32_e64 s4, 6, v22
	v_add_nc_u32_e32 v25, 8, v25
	v_cndmask_b32_e64 v1, v1, v13, s3
	v_cndmask_b32_e64 v28, v28, v12, s3
	v_cmp_eq_u32_e64 s3, 7, v22
	s_delay_alu instid0(VALU_DEP_3) | instskip(NEXT) | instid1(VALU_DEP_3)
	v_cndmask_b32_e64 v1, v1, v15, s4
	v_cndmask_b32_e64 v28, v28, v14, s4
	v_cmp_eq_u32_e64 s4, 8, v22
	s_delay_alu instid0(VALU_DEP_3) | instskip(NEXT) | instid1(VALU_DEP_3)
	v_cndmask_b32_e64 v1, v1, v17, s3
	v_cndmask_b32_e64 v28, v28, v16, s3
	v_add_co_u32 v22, s3, v22, 1
	s_delay_alu instid0(VALU_DEP_1) | instskip(NEXT) | instid1(VALU_DEP_4)
	v_add_co_ci_u32_e64 v23, s3, 0, v23, s3
	v_cndmask_b32_e64 v29, v1, v19, s4
	s_delay_alu instid0(VALU_DEP_4) | instskip(NEXT) | instid1(VALU_DEP_4)
	v_cndmask_b32_e64 v28, v28, v18, s4
	v_add_nc_u32_e32 v1, -1, v22
	s_waitcnt lgkmcnt(0)
	s_delay_alu instid0(VALU_DEP_2) | instskip(NEXT) | instid1(VALU_DEP_2)
	v_fma_f64 v[20:21], v[28:29], v[26:27], v[20:21]
	v_cmp_lt_u32_e64 s3, 5, v1
	s_delay_alu instid0(VALU_DEP_1) | instskip(NEXT) | instid1(SALU_CYCLE_1)
	s_or_b32 s6, s3, s6
	s_and_not1_b32 exec_lo, exec_lo, s6
	s_cbranch_execnz .LBB8_41
; %bb.42:
	s_or_b32 exec_lo, exec_lo, s6
	v_mov_b32_e32 v1, 0
	ds_load_b64 v[16:17], v1 offset:56
	s_waitcnt lgkmcnt(0)
	v_mul_f64 v[16:17], v[20:21], v[16:17]
.LBB8_43:
	s_or_b32 exec_lo, exec_lo, s5
	s_delay_alu instid0(SALU_CYCLE_1)
	s_mov_b32 s4, exec_lo
	s_barrier
	buffer_gl0_inv
	ds_store_b64 v24, v[18:19]
	s_waitcnt lgkmcnt(0)
	s_barrier
	buffer_gl0_inv
	v_cmpx_ne_u32_e32 8, v0
	s_cbranch_execz .LBB8_59
; %bb.44:
	v_cmp_eq_u32_e64 s3, 1, v0
	s_delay_alu instid0(VALU_DEP_1) | instskip(SKIP_2) | instid1(VALU_DEP_1)
	v_cndmask_b32_e64 v1, v3, v5, s3
	v_cndmask_b32_e64 v20, v2, v4, s3
	v_cmp_eq_u32_e64 s3, 2, v0
	v_cndmask_b32_e64 v1, v1, v7, s3
	s_delay_alu instid0(VALU_DEP_3) | instskip(SKIP_1) | instid1(VALU_DEP_1)
	v_cndmask_b32_e64 v20, v20, v6, s3
	v_cmp_eq_u32_e64 s3, 3, v0
	v_cndmask_b32_e64 v1, v1, v9, s3
	s_delay_alu instid0(VALU_DEP_3) | instskip(SKIP_1) | instid1(VALU_DEP_1)
	v_cndmask_b32_e64 v20, v20, v8, s3
	v_cmp_eq_u32_e64 s3, 4, v0
	v_cndmask_b32_e64 v1, v1, v11, s3
	s_delay_alu instid0(VALU_DEP_3) | instskip(SKIP_1) | instid1(VALU_DEP_1)
	v_cndmask_b32_e64 v20, v20, v10, s3
	v_cmp_eq_u32_e64 s3, 5, v0
	v_cndmask_b32_e64 v1, v1, v13, s3
	s_delay_alu instid0(VALU_DEP_3)
	v_cndmask_b32_e64 v22, v20, v12, s3
	v_cmp_eq_u32_e64 s3, 6, v0
	ds_load_b64 v[20:21], v24
	v_cndmask_b32_e64 v1, v1, v15, s3
	v_cndmask_b32_e64 v22, v22, v14, s3
	v_cmp_eq_u32_e64 s3, 7, v0
	s_delay_alu instid0(VALU_DEP_1) | instskip(NEXT) | instid1(VALU_DEP_3)
	v_cndmask_b32_e64 v1, v1, v17, s3
	v_cndmask_b32_e64 v22, v22, v16, s3
	v_cmp_eq_u32_e64 s3, 8, v0
	s_delay_alu instid0(VALU_DEP_1) | instskip(NEXT) | instid1(VALU_DEP_3)
	v_cndmask_b32_e64 v23, v1, v19, s3
	v_cndmask_b32_e64 v22, v22, v18, s3
	s_waitcnt lgkmcnt(0)
	s_delay_alu instid0(VALU_DEP_1)
	v_fma_f64 v[20:21], v[22:23], v[20:21], 0
	s_and_saveexec_b32 s3, s2
	s_cbranch_execz .LBB8_58
; %bb.45:
	v_add_nc_u32_e32 v1, 1, v0
	s_mov_b32 s5, exec_lo
	s_delay_alu instid0(VALU_DEP_1) | instskip(NEXT) | instid1(VALU_DEP_1)
	v_cmp_eq_u32_e64 s2, 1, v1
	v_cndmask_b32_e64 v22, v3, v5, s2
	v_cndmask_b32_e64 v23, v2, v4, s2
	v_cmp_eq_u32_e64 s2, 2, v1
	s_delay_alu instid0(VALU_DEP_1) | instskip(NEXT) | instid1(VALU_DEP_3)
	v_cndmask_b32_e64 v22, v22, v7, s2
	v_cndmask_b32_e64 v23, v23, v6, s2
	v_cmp_eq_u32_e64 s2, 3, v1
	s_delay_alu instid0(VALU_DEP_1) | instskip(NEXT) | instid1(VALU_DEP_3)
	;; [unrolled: 4-line block ×4, first 2 shown]
	v_cndmask_b32_e64 v25, v22, v13, s2
	v_cndmask_b32_e64 v26, v23, v12, s2
	v_cmp_eq_u32_e64 s2, 6, v1
	ds_load_b64 v[22:23], v24 offset:8
	v_cndmask_b32_e64 v25, v25, v15, s2
	v_cndmask_b32_e64 v26, v26, v14, s2
	v_cmp_eq_u32_e64 s2, 7, v1
	s_delay_alu instid0(VALU_DEP_1) | instskip(NEXT) | instid1(VALU_DEP_3)
	v_cndmask_b32_e64 v25, v25, v17, s2
	v_cndmask_b32_e64 v27, v26, v16, s2
	v_cmp_eq_u32_e64 s2, 8, v1
	s_delay_alu instid0(VALU_DEP_1) | instskip(NEXT) | instid1(VALU_DEP_3)
	v_cndmask_b32_e64 v26, v25, v19, s2
	v_cndmask_b32_e64 v25, v27, v18, s2
	s_waitcnt lgkmcnt(0)
	s_delay_alu instid0(VALU_DEP_1)
	v_fma_f64 v[20:21], v[25:26], v[22:23], v[20:21]
	v_cmpx_ne_u32_e32 6, v0
	s_cbranch_execz .LBB8_57
; %bb.46:
	v_add_nc_u32_e32 v1, 2, v0
	s_delay_alu instid0(VALU_DEP_1) | instskip(NEXT) | instid1(VALU_DEP_1)
	v_cmp_eq_u32_e64 s2, 1, v1
	v_cndmask_b32_e64 v22, v3, v5, s2
	v_cndmask_b32_e64 v23, v2, v4, s2
	v_cmp_eq_u32_e64 s2, 2, v1
	s_delay_alu instid0(VALU_DEP_1) | instskip(NEXT) | instid1(VALU_DEP_3)
	v_cndmask_b32_e64 v22, v22, v7, s2
	v_cndmask_b32_e64 v23, v23, v6, s2
	v_cmp_eq_u32_e64 s2, 3, v1
	s_delay_alu instid0(VALU_DEP_1) | instskip(NEXT) | instid1(VALU_DEP_3)
	;; [unrolled: 4-line block ×4, first 2 shown]
	v_cndmask_b32_e64 v25, v22, v13, s2
	v_cndmask_b32_e64 v26, v23, v12, s2
	v_cmp_eq_u32_e64 s2, 6, v1
	ds_load_b64 v[22:23], v24 offset:16
	v_cndmask_b32_e64 v25, v25, v15, s2
	v_cndmask_b32_e64 v26, v26, v14, s2
	v_cmp_eq_u32_e64 s2, 7, v1
	s_delay_alu instid0(VALU_DEP_1) | instskip(NEXT) | instid1(VALU_DEP_3)
	v_cndmask_b32_e64 v25, v25, v17, s2
	v_cndmask_b32_e64 v27, v26, v16, s2
	v_cmp_eq_u32_e64 s2, 8, v1
	s_delay_alu instid0(VALU_DEP_1) | instskip(NEXT) | instid1(VALU_DEP_3)
	v_cndmask_b32_e64 v26, v25, v19, s2
	v_cndmask_b32_e64 v25, v27, v18, s2
	s_waitcnt lgkmcnt(0)
	s_delay_alu instid0(VALU_DEP_1)
	v_fma_f64 v[20:21], v[25:26], v[22:23], v[20:21]
	s_and_saveexec_b32 s2, s1
	s_cbranch_execz .LBB8_56
; %bb.47:
	v_add_nc_u32_e32 v1, 3, v0
	s_mov_b32 s6, exec_lo
	s_delay_alu instid0(VALU_DEP_1) | instskip(NEXT) | instid1(VALU_DEP_1)
	v_cmp_eq_u32_e64 s1, 1, v1
	v_cndmask_b32_e64 v22, v3, v5, s1
	v_cndmask_b32_e64 v23, v2, v4, s1
	v_cmp_eq_u32_e64 s1, 2, v1
	s_delay_alu instid0(VALU_DEP_1) | instskip(NEXT) | instid1(VALU_DEP_3)
	v_cndmask_b32_e64 v22, v22, v7, s1
	v_cndmask_b32_e64 v23, v23, v6, s1
	v_cmp_eq_u32_e64 s1, 3, v1
	s_delay_alu instid0(VALU_DEP_1) | instskip(NEXT) | instid1(VALU_DEP_3)
	;; [unrolled: 4-line block ×4, first 2 shown]
	v_cndmask_b32_e64 v25, v22, v13, s1
	v_cndmask_b32_e64 v26, v23, v12, s1
	v_cmp_eq_u32_e64 s1, 6, v1
	ds_load_b64 v[22:23], v24 offset:24
	v_cndmask_b32_e64 v25, v25, v15, s1
	v_cndmask_b32_e64 v26, v26, v14, s1
	v_cmp_eq_u32_e64 s1, 7, v1
	s_delay_alu instid0(VALU_DEP_1) | instskip(NEXT) | instid1(VALU_DEP_3)
	v_cndmask_b32_e64 v25, v25, v17, s1
	v_cndmask_b32_e64 v27, v26, v16, s1
	v_cmp_eq_u32_e64 s1, 8, v1
	s_delay_alu instid0(VALU_DEP_1) | instskip(NEXT) | instid1(VALU_DEP_3)
	v_cndmask_b32_e64 v26, v25, v19, s1
	v_cndmask_b32_e64 v25, v27, v18, s1
	s_waitcnt lgkmcnt(0)
	s_delay_alu instid0(VALU_DEP_1)
	v_fma_f64 v[20:21], v[25:26], v[22:23], v[20:21]
	v_cmpx_ne_u32_e32 4, v0
	s_cbranch_execz .LBB8_55
; %bb.48:
	v_add_nc_u32_e32 v1, 4, v0
	s_delay_alu instid0(VALU_DEP_1) | instskip(NEXT) | instid1(VALU_DEP_1)
	v_cmp_eq_u32_e64 s1, 1, v1
	v_cndmask_b32_e64 v22, v3, v5, s1
	v_cndmask_b32_e64 v23, v2, v4, s1
	v_cmp_eq_u32_e64 s1, 2, v1
	s_delay_alu instid0(VALU_DEP_1) | instskip(NEXT) | instid1(VALU_DEP_3)
	v_cndmask_b32_e64 v22, v22, v7, s1
	v_cndmask_b32_e64 v23, v23, v6, s1
	v_cmp_eq_u32_e64 s1, 3, v1
	s_delay_alu instid0(VALU_DEP_1) | instskip(NEXT) | instid1(VALU_DEP_3)
	;; [unrolled: 4-line block ×4, first 2 shown]
	v_cndmask_b32_e64 v25, v22, v13, s1
	v_cndmask_b32_e64 v26, v23, v12, s1
	v_cmp_eq_u32_e64 s1, 6, v1
	ds_load_b64 v[22:23], v24 offset:32
	v_cndmask_b32_e64 v25, v25, v15, s1
	v_cndmask_b32_e64 v26, v26, v14, s1
	v_cmp_eq_u32_e64 s1, 7, v1
	s_delay_alu instid0(VALU_DEP_1) | instskip(NEXT) | instid1(VALU_DEP_3)
	v_cndmask_b32_e64 v25, v25, v17, s1
	v_cndmask_b32_e64 v27, v26, v16, s1
	v_cmp_eq_u32_e64 s1, 8, v1
	s_delay_alu instid0(VALU_DEP_1) | instskip(NEXT) | instid1(VALU_DEP_3)
	v_cndmask_b32_e64 v26, v25, v19, s1
	v_cndmask_b32_e64 v25, v27, v18, s1
	s_waitcnt lgkmcnt(0)
	s_delay_alu instid0(VALU_DEP_1)
	v_fma_f64 v[20:21], v[25:26], v[22:23], v[20:21]
	s_and_saveexec_b32 s1, vcc_lo
	s_cbranch_execz .LBB8_54
; %bb.49:
	v_add_nc_u32_e32 v1, 5, v0
	s_mov_b32 s7, exec_lo
	s_delay_alu instid0(VALU_DEP_1) | instskip(SKIP_2) | instid1(VALU_DEP_2)
	v_cmp_eq_u32_e32 vcc_lo, 1, v1
	v_dual_cndmask_b32 v22, v3, v5 :: v_dual_cndmask_b32 v23, v2, v4
	v_cmp_eq_u32_e32 vcc_lo, 2, v1
	v_dual_cndmask_b32 v22, v22, v7 :: v_dual_cndmask_b32 v23, v23, v6
	v_cmp_eq_u32_e32 vcc_lo, 3, v1
	s_delay_alu instid0(VALU_DEP_2) | instskip(SKIP_1) | instid1(VALU_DEP_2)
	v_dual_cndmask_b32 v22, v22, v9 :: v_dual_cndmask_b32 v23, v23, v8
	v_cmp_eq_u32_e32 vcc_lo, 4, v1
	v_dual_cndmask_b32 v22, v22, v11 :: v_dual_cndmask_b32 v23, v23, v10
	v_cmp_eq_u32_e32 vcc_lo, 5, v1
	s_delay_alu instid0(VALU_DEP_2) | instskip(SKIP_4) | instid1(VALU_DEP_2)
	v_dual_cndmask_b32 v25, v22, v13 :: v_dual_cndmask_b32 v26, v23, v12
	v_cmp_eq_u32_e32 vcc_lo, 6, v1
	ds_load_b64 v[22:23], v24 offset:40
	v_dual_cndmask_b32 v25, v25, v15 :: v_dual_cndmask_b32 v26, v26, v14
	v_cmp_eq_u32_e32 vcc_lo, 7, v1
	v_cndmask_b32_e32 v25, v25, v17, vcc_lo
	s_delay_alu instid0(VALU_DEP_3) | instskip(SKIP_1) | instid1(VALU_DEP_2)
	v_cndmask_b32_e32 v27, v26, v16, vcc_lo
	v_cmp_eq_u32_e32 vcc_lo, 8, v1
	v_dual_cndmask_b32 v26, v25, v19 :: v_dual_cndmask_b32 v25, v27, v18
	s_waitcnt lgkmcnt(0)
	s_delay_alu instid0(VALU_DEP_1)
	v_fma_f64 v[20:21], v[25:26], v[22:23], v[20:21]
	v_cmpx_ne_u32_e32 2, v0
	s_cbranch_execz .LBB8_53
; %bb.50:
	v_add_nc_u32_e32 v1, 6, v0
	s_delay_alu instid0(VALU_DEP_1) | instskip(SKIP_2) | instid1(VALU_DEP_2)
	v_cmp_eq_u32_e32 vcc_lo, 1, v1
	v_dual_cndmask_b32 v22, v3, v5 :: v_dual_cndmask_b32 v23, v2, v4
	v_cmp_eq_u32_e32 vcc_lo, 2, v1
	v_dual_cndmask_b32 v22, v22, v7 :: v_dual_cndmask_b32 v23, v23, v6
	v_cmp_eq_u32_e32 vcc_lo, 3, v1
	s_delay_alu instid0(VALU_DEP_2) | instskip(SKIP_1) | instid1(VALU_DEP_2)
	v_dual_cndmask_b32 v22, v22, v9 :: v_dual_cndmask_b32 v23, v23, v8
	v_cmp_eq_u32_e32 vcc_lo, 4, v1
	v_dual_cndmask_b32 v22, v22, v11 :: v_dual_cndmask_b32 v23, v23, v10
	v_cmp_eq_u32_e32 vcc_lo, 5, v1
	s_delay_alu instid0(VALU_DEP_2) | instskip(SKIP_4) | instid1(VALU_DEP_2)
	v_dual_cndmask_b32 v25, v22, v13 :: v_dual_cndmask_b32 v26, v23, v12
	v_cmp_eq_u32_e32 vcc_lo, 6, v1
	ds_load_b64 v[22:23], v24 offset:48
	v_dual_cndmask_b32 v25, v25, v15 :: v_dual_cndmask_b32 v26, v26, v14
	v_cmp_eq_u32_e32 vcc_lo, 7, v1
	v_dual_cndmask_b32 v25, v25, v17 :: v_dual_cndmask_b32 v26, v26, v16
	v_cmp_eq_u32_e32 vcc_lo, 8, v1
	s_delay_alu instid0(VALU_DEP_2) | instskip(SKIP_1) | instid1(VALU_DEP_1)
	v_dual_cndmask_b32 v19, v25, v19 :: v_dual_cndmask_b32 v18, v26, v18
	s_waitcnt lgkmcnt(0)
	v_fma_f64 v[20:21], v[18:19], v[22:23], v[20:21]
	s_and_saveexec_b32 s8, s0
	s_cbranch_execz .LBB8_52
; %bb.51:
	ds_load_b64 v[18:19], v24 offset:56
	s_waitcnt lgkmcnt(0)
	v_fma_f64 v[20:21], v[16:17], v[18:19], v[20:21]
.LBB8_52:
	s_or_b32 exec_lo, exec_lo, s8
.LBB8_53:
	s_delay_alu instid0(SALU_CYCLE_1)
	s_or_b32 exec_lo, exec_lo, s7
.LBB8_54:
	s_delay_alu instid0(SALU_CYCLE_1)
	s_or_b32 exec_lo, exec_lo, s1
.LBB8_55:
	s_delay_alu instid0(SALU_CYCLE_1)
	s_or_b32 exec_lo, exec_lo, s6
.LBB8_56:
	s_delay_alu instid0(SALU_CYCLE_1)
	s_or_b32 exec_lo, exec_lo, s2
.LBB8_57:
	s_delay_alu instid0(SALU_CYCLE_1)
	s_or_b32 exec_lo, exec_lo, s5
.LBB8_58:
	s_delay_alu instid0(SALU_CYCLE_1)
	s_or_b32 exec_lo, exec_lo, s3
	v_mov_b32_e32 v1, 0
	ds_load_b64 v[18:19], v1 offset:64
	s_waitcnt lgkmcnt(0)
	v_mul_f64 v[18:19], v[20:21], v[18:19]
.LBB8_59:
	s_or_b32 exec_lo, exec_lo, s4
	s_barrier
	buffer_gl0_inv
	s_cbranch_execnz .LBB8_15
	s_branch .LBB8_16
.LBB8_60:
	v_lshl_add_u32 v1, v0, 3, 0x50
	s_mov_b32 s0, exec_lo
	v_cmpx_eq_u32_e32 8, v0
	s_cbranch_execz .LBB8_62
; %bb.61:
	v_dual_mov_b32 v34, 0 :: v_dual_mov_b32 v21, v3
	v_dual_mov_b32 v20, v2 :: v_dual_mov_b32 v23, v5
	;; [unrolled: 1-line block ×3, first 2 shown]
	s_delay_alu instid0(VALU_DEP_3)
	v_mov_b32_e32 v35, v34
	v_mov_b32_e32 v36, v18
	v_dual_mov_b32 v22, v4 :: v_dual_mov_b32 v25, v7
	v_dual_mov_b32 v24, v6 :: v_dual_mov_b32 v27, v9
	;; [unrolled: 1-line block ×5, first 2 shown]
	ds_store_b64 v1, v[16:17]
	v_mov_b32_e32 v2, v20
	v_dual_mov_b32 v3, v21 :: v_dual_mov_b32 v4, v22
	v_dual_mov_b32 v5, v23 :: v_dual_mov_b32 v6, v24
	;; [unrolled: 1-line block ×9, first 2 shown]
	v_mov_b32_e32 v21, v39
	v_mov_b32_e32 v22, v40
	;; [unrolled: 1-line block ×13, first 2 shown]
.LBB8_62:
	s_or_b32 exec_lo, exec_lo, s0
	v_mov_b32_e32 v34, 0
	s_waitcnt lgkmcnt(0)
	s_waitcnt_vscnt null, 0x0
	s_barrier
	buffer_gl0_inv
	s_mov_b32 s0, exec_lo
	ds_load_b64 v[20:21], v34 offset:144
	s_waitcnt lgkmcnt(0)
	v_fma_f64 v[20:21], v[18:19], v[20:21], 0
	s_delay_alu instid0(VALU_DEP_1)
	v_add_f64 v[16:17], v[16:17], -v[20:21]
	v_cmpx_lt_u32_e32 6, v0
	s_cbranch_execz .LBB8_64
; %bb.63:
	v_dual_mov_b32 v22, v2 :: v_dual_mov_b32 v23, v3
	s_delay_alu instid0(VALU_DEP_3) | instskip(NEXT) | instid1(VALU_DEP_4)
	v_dual_mov_b32 v35, v34 :: v_dual_mov_b32 v36, v16
	v_dual_mov_b32 v37, v17 :: v_dual_mov_b32 v38, v18
	;; [unrolled: 1-line block ×7, first 2 shown]
	v_mov_b32_e32 v33, v13
	ds_store_b64 v1, v[14:15]
	v_mov_b32_e32 v2, v22
	v_dual_mov_b32 v3, v23 :: v_dual_mov_b32 v4, v24
	v_dual_mov_b32 v5, v25 :: v_dual_mov_b32 v6, v26
	;; [unrolled: 1-line block ×10, first 2 shown]
	v_mov_b32_e32 v23, v43
	v_mov_b32_e32 v24, v44
	;; [unrolled: 1-line block ×11, first 2 shown]
.LBB8_64:
	s_or_b32 exec_lo, exec_lo, s0
	s_waitcnt lgkmcnt(0)
	s_barrier
	buffer_gl0_inv
	ds_load_2addr_b64 v[20:23], v34 offset0:17 offset1:18
	s_mov_b32 s0, exec_lo
	s_waitcnt lgkmcnt(0)
	v_fma_f64 v[20:21], v[16:17], v[20:21], 0
	s_delay_alu instid0(VALU_DEP_1) | instskip(NEXT) | instid1(VALU_DEP_1)
	v_fma_f64 v[20:21], v[18:19], v[22:23], v[20:21]
	v_add_f64 v[14:15], v[14:15], -v[20:21]
	v_cmpx_lt_u32_e32 5, v0
	s_cbranch_execz .LBB8_66
; %bb.65:
	v_dual_mov_b32 v30, 0 :: v_dual_mov_b32 v21, v3
	v_dual_mov_b32 v20, v2 :: v_dual_mov_b32 v23, v5
	s_delay_alu instid0(VALU_DEP_4) | instskip(NEXT) | instid1(VALU_DEP_3)
	v_dual_mov_b32 v32, v14 :: v_dual_mov_b32 v35, v17
	v_dual_mov_b32 v31, v30 :: v_dual_mov_b32 v34, v16
	;; [unrolled: 1-line block ×7, first 2 shown]
	ds_store_b64 v1, v[12:13]
	v_mov_b32_e32 v2, v20
	v_dual_mov_b32 v3, v21 :: v_dual_mov_b32 v4, v22
	v_dual_mov_b32 v5, v23 :: v_dual_mov_b32 v6, v24
	;; [unrolled: 1-line block ×9, first 2 shown]
	v_mov_b32_e32 v21, v39
	v_mov_b32_e32 v22, v40
	;; [unrolled: 1-line block ×13, first 2 shown]
.LBB8_66:
	s_or_b32 exec_lo, exec_lo, s0
	v_mov_b32_e32 v34, 0
	s_waitcnt lgkmcnt(0)
	s_barrier
	buffer_gl0_inv
	s_mov_b32 s0, exec_lo
	ds_load_b128 v[20:23], v34 offset:128
	ds_load_b64 v[24:25], v34 offset:144
	s_waitcnt lgkmcnt(1)
	v_fma_f64 v[20:21], v[14:15], v[20:21], 0
	s_delay_alu instid0(VALU_DEP_1) | instskip(SKIP_1) | instid1(VALU_DEP_1)
	v_fma_f64 v[20:21], v[16:17], v[22:23], v[20:21]
	s_waitcnt lgkmcnt(0)
	v_fma_f64 v[20:21], v[18:19], v[24:25], v[20:21]
	s_delay_alu instid0(VALU_DEP_1)
	v_add_f64 v[12:13], v[12:13], -v[20:21]
	v_cmpx_lt_u32_e32 4, v0
	s_cbranch_execz .LBB8_68
; %bb.67:
	v_dual_mov_b32 v26, v2 :: v_dual_mov_b32 v27, v3
	s_delay_alu instid0(VALU_DEP_3) | instskip(NEXT) | instid1(VALU_DEP_4)
	v_dual_mov_b32 v35, v34 :: v_dual_mov_b32 v36, v12
	v_dual_mov_b32 v37, v13 :: v_dual_mov_b32 v38, v14
	;; [unrolled: 1-line block ×7, first 2 shown]
	v_mov_b32_e32 v33, v9
	ds_store_b64 v1, v[10:11]
	v_mov_b32_e32 v2, v26
	v_dual_mov_b32 v3, v27 :: v_dual_mov_b32 v4, v28
	v_dual_mov_b32 v5, v29 :: v_dual_mov_b32 v6, v30
	v_dual_mov_b32 v7, v31 :: v_dual_mov_b32 v8, v32
	v_dual_mov_b32 v9, v33 :: v_dual_mov_b32 v10, v34
	v_dual_mov_b32 v11, v35 :: v_dual_mov_b32 v12, v36
	v_dual_mov_b32 v13, v37 :: v_dual_mov_b32 v14, v38
	v_dual_mov_b32 v15, v39 :: v_dual_mov_b32 v16, v40
	v_dual_mov_b32 v17, v41 :: v_dual_mov_b32 v18, v42
	v_dual_mov_b32 v19, v43 :: v_dual_mov_b32 v20, v44
	v_dual_mov_b32 v21, v45 :: v_dual_mov_b32 v22, v46
	v_dual_mov_b32 v23, v47 :: v_dual_mov_b32 v24, v48
	v_dual_mov_b32 v25, v49 :: v_dual_mov_b32 v26, v50
	v_mov_b32_e32 v27, v51
	v_mov_b32_e32 v28, v52
	;; [unrolled: 1-line block ×7, first 2 shown]
.LBB8_68:
	s_or_b32 exec_lo, exec_lo, s0
	s_waitcnt lgkmcnt(0)
	s_barrier
	buffer_gl0_inv
	ds_load_2addr_b64 v[20:23], v34 offset0:15 offset1:16
	ds_load_2addr_b64 v[24:27], v34 offset0:17 offset1:18
	s_mov_b32 s0, exec_lo
	s_waitcnt lgkmcnt(1)
	v_fma_f64 v[20:21], v[12:13], v[20:21], 0
	s_delay_alu instid0(VALU_DEP_1) | instskip(SKIP_1) | instid1(VALU_DEP_1)
	v_fma_f64 v[20:21], v[14:15], v[22:23], v[20:21]
	s_waitcnt lgkmcnt(0)
	v_fma_f64 v[20:21], v[16:17], v[24:25], v[20:21]
	s_delay_alu instid0(VALU_DEP_1) | instskip(NEXT) | instid1(VALU_DEP_1)
	v_fma_f64 v[20:21], v[18:19], v[26:27], v[20:21]
	v_add_f64 v[10:11], v[10:11], -v[20:21]
	v_cmpx_lt_u32_e32 3, v0
	s_cbranch_execz .LBB8_70
; %bb.69:
	v_dual_mov_b32 v26, 0 :: v_dual_mov_b32 v21, v3
	v_dual_mov_b32 v20, v2 :: v_dual_mov_b32 v23, v5
	;; [unrolled: 1-line block ×9, first 2 shown]
	ds_store_b64 v1, v[8:9]
	v_mov_b32_e32 v2, v20
	v_dual_mov_b32 v3, v21 :: v_dual_mov_b32 v4, v22
	v_dual_mov_b32 v5, v23 :: v_dual_mov_b32 v6, v24
	;; [unrolled: 1-line block ×9, first 2 shown]
	v_mov_b32_e32 v21, v39
	v_mov_b32_e32 v22, v40
	;; [unrolled: 1-line block ×13, first 2 shown]
.LBB8_70:
	s_or_b32 exec_lo, exec_lo, s0
	v_mov_b32_e32 v34, 0
	s_waitcnt lgkmcnt(0)
	s_barrier
	buffer_gl0_inv
	s_mov_b32 s0, exec_lo
	ds_load_b128 v[20:23], v34 offset:112
	ds_load_b128 v[24:27], v34 offset:128
	s_waitcnt lgkmcnt(1)
	v_fma_f64 v[20:21], v[10:11], v[20:21], 0
	s_delay_alu instid0(VALU_DEP_1) | instskip(SKIP_3) | instid1(VALU_DEP_1)
	v_fma_f64 v[20:21], v[12:13], v[22:23], v[20:21]
	ds_load_b64 v[22:23], v34 offset:144
	s_waitcnt lgkmcnt(1)
	v_fma_f64 v[20:21], v[14:15], v[24:25], v[20:21]
	v_fma_f64 v[20:21], v[16:17], v[26:27], v[20:21]
	s_waitcnt lgkmcnt(0)
	s_delay_alu instid0(VALU_DEP_1) | instskip(NEXT) | instid1(VALU_DEP_1)
	v_fma_f64 v[20:21], v[18:19], v[22:23], v[20:21]
	v_add_f64 v[8:9], v[8:9], -v[20:21]
	v_cmpx_lt_u32_e32 2, v0
	s_cbranch_execz .LBB8_72
; %bb.71:
	v_dual_mov_b32 v30, v2 :: v_dual_mov_b32 v31, v3
	s_delay_alu instid0(VALU_DEP_3) | instskip(NEXT) | instid1(VALU_DEP_4)
	v_dual_mov_b32 v35, v34 :: v_dual_mov_b32 v36, v8
	v_dual_mov_b32 v37, v9 :: v_dual_mov_b32 v38, v10
	;; [unrolled: 1-line block ×7, first 2 shown]
	v_mov_b32_e32 v33, v5
	ds_store_b64 v1, v[6:7]
	v_mov_b32_e32 v2, v30
	v_dual_mov_b32 v3, v31 :: v_dual_mov_b32 v4, v32
	v_dual_mov_b32 v5, v33 :: v_dual_mov_b32 v6, v34
	;; [unrolled: 1-line block ×14, first 2 shown]
	v_mov_b32_e32 v31, v59
	v_mov_b32_e32 v32, v60
	v_mov_b32_e32 v33, v61
.LBB8_72:
	s_or_b32 exec_lo, exec_lo, s0
	s_waitcnt lgkmcnt(0)
	s_barrier
	buffer_gl0_inv
	ds_load_2addr_b64 v[20:23], v34 offset0:13 offset1:14
	ds_load_2addr_b64 v[24:27], v34 offset0:15 offset1:16
	s_mov_b32 s0, exec_lo
	s_waitcnt lgkmcnt(1)
	v_fma_f64 v[20:21], v[8:9], v[20:21], 0
	s_delay_alu instid0(VALU_DEP_1) | instskip(SKIP_1) | instid1(VALU_DEP_1)
	v_fma_f64 v[20:21], v[10:11], v[22:23], v[20:21]
	s_waitcnt lgkmcnt(0)
	v_fma_f64 v[20:21], v[12:13], v[24:25], v[20:21]
	s_delay_alu instid0(VALU_DEP_1) | instskip(SKIP_3) | instid1(VALU_DEP_1)
	v_fma_f64 v[24:25], v[14:15], v[26:27], v[20:21]
	ds_load_2addr_b64 v[20:23], v34 offset0:17 offset1:18
	s_waitcnt lgkmcnt(0)
	v_fma_f64 v[20:21], v[16:17], v[20:21], v[24:25]
	v_fma_f64 v[20:21], v[18:19], v[22:23], v[20:21]
	s_delay_alu instid0(VALU_DEP_1)
	v_add_f64 v[6:7], v[6:7], -v[20:21]
	v_cmpx_lt_u32_e32 1, v0
	s_cbranch_execz .LBB8_74
; %bb.73:
	v_dual_mov_b32 v22, 0 :: v_dual_mov_b32 v21, v3
	s_delay_alu instid0(VALU_DEP_3)
	v_dual_mov_b32 v20, v2 :: v_dual_mov_b32 v25, v7
	v_dual_mov_b32 v34, v16 :: v_dual_mov_b32 v35, v17
	;; [unrolled: 1-line block ×8, first 2 shown]
	ds_store_b64 v1, v[4:5]
	v_mov_b32_e32 v2, v20
	v_dual_mov_b32 v3, v21 :: v_dual_mov_b32 v4, v22
	v_dual_mov_b32 v5, v23 :: v_dual_mov_b32 v6, v24
	;; [unrolled: 1-line block ×9, first 2 shown]
	v_mov_b32_e32 v21, v39
	v_mov_b32_e32 v22, v40
	;; [unrolled: 1-line block ×13, first 2 shown]
.LBB8_74:
	s_or_b32 exec_lo, exec_lo, s0
	v_mov_b32_e32 v34, 0
	s_waitcnt lgkmcnt(0)
	s_barrier
	buffer_gl0_inv
	s_mov_b32 s0, exec_lo
	ds_load_b128 v[20:23], v34 offset:96
	ds_load_b128 v[24:27], v34 offset:112
	s_waitcnt lgkmcnt(1)
	v_fma_f64 v[20:21], v[6:7], v[20:21], 0
	s_delay_alu instid0(VALU_DEP_1) | instskip(SKIP_1) | instid1(VALU_DEP_1)
	v_fma_f64 v[20:21], v[8:9], v[22:23], v[20:21]
	s_waitcnt lgkmcnt(0)
	v_fma_f64 v[20:21], v[10:11], v[24:25], v[20:21]
	s_delay_alu instid0(VALU_DEP_1) | instskip(SKIP_4) | instid1(VALU_DEP_1)
	v_fma_f64 v[24:25], v[12:13], v[26:27], v[20:21]
	ds_load_b128 v[20:23], v34 offset:128
	ds_load_b64 v[26:27], v34 offset:144
	s_waitcnt lgkmcnt(1)
	v_fma_f64 v[20:21], v[14:15], v[20:21], v[24:25]
	v_fma_f64 v[20:21], v[16:17], v[22:23], v[20:21]
	s_waitcnt lgkmcnt(0)
	s_delay_alu instid0(VALU_DEP_1) | instskip(NEXT) | instid1(VALU_DEP_1)
	v_fma_f64 v[20:21], v[18:19], v[26:27], v[20:21]
	v_add_f64 v[4:5], v[4:5], -v[20:21]
	v_cmpx_ne_u32_e32 0, v0
	s_cbranch_execz .LBB8_76
; %bb.75:
	s_delay_alu instid0(VALU_DEP_2) | instskip(NEXT) | instid1(VALU_DEP_3)
	v_dual_mov_b32 v35, v34 :: v_dual_mov_b32 v36, v4
	v_dual_mov_b32 v37, v5 :: v_dual_mov_b32 v38, v6
	;; [unrolled: 1-line block ×8, first 2 shown]
	v_mov_b32_e32 v51, v19
	ds_store_b64 v1, v[2:3]
	v_dual_mov_b32 v2, v34 :: v_dual_mov_b32 v3, v35
	v_dual_mov_b32 v4, v36 :: v_dual_mov_b32 v5, v37
	;; [unrolled: 1-line block ×16, first 2 shown]
.LBB8_76:
	s_or_b32 exec_lo, exec_lo, s0
	s_waitcnt lgkmcnt(0)
	s_barrier
	buffer_gl0_inv
	ds_load_2addr_b64 v[20:23], v34 offset0:11 offset1:12
	ds_load_2addr_b64 v[24:27], v34 offset0:13 offset1:14
	s_and_b32 vcc_lo, exec_lo, s16
	s_waitcnt lgkmcnt(1)
	v_fma_f64 v[0:1], v[4:5], v[20:21], 0
	s_delay_alu instid0(VALU_DEP_1) | instskip(SKIP_1) | instid1(VALU_DEP_1)
	v_fma_f64 v[0:1], v[6:7], v[22:23], v[0:1]
	s_waitcnt lgkmcnt(0)
	v_fma_f64 v[0:1], v[8:9], v[24:25], v[0:1]
	s_delay_alu instid0(VALU_DEP_1) | instskip(SKIP_4) | instid1(VALU_DEP_1)
	v_fma_f64 v[0:1], v[10:11], v[26:27], v[0:1]
	ds_load_2addr_b64 v[20:23], v34 offset0:15 offset1:16
	ds_load_2addr_b64 v[24:27], v34 offset0:17 offset1:18
	s_waitcnt lgkmcnt(1)
	v_fma_f64 v[0:1], v[12:13], v[20:21], v[0:1]
	v_fma_f64 v[0:1], v[14:15], v[22:23], v[0:1]
	s_waitcnt lgkmcnt(0)
	s_delay_alu instid0(VALU_DEP_1) | instskip(NEXT) | instid1(VALU_DEP_1)
	v_fma_f64 v[0:1], v[16:17], v[24:25], v[0:1]
	v_fma_f64 v[0:1], v[18:19], v[26:27], v[0:1]
	s_delay_alu instid0(VALU_DEP_1)
	v_add_f64 v[2:3], v[2:3], -v[0:1]
	s_cbranch_vccz .LBB8_94
; %bb.77:
	v_dual_mov_b32 v0, s12 :: v_dual_mov_b32 v1, s13
	s_mov_b32 s5, exec_lo
	flat_load_b32 v0, v[0:1] offset:28
	s_waitcnt vmcnt(0) lgkmcnt(0)
	v_add_nc_u32_e32 v0, -1, v0
	s_delay_alu instid0(VALU_DEP_1)
	v_cmpx_ne_u32_e32 7, v0
	s_cbranch_execz .LBB8_79
; %bb.78:
	v_cmp_eq_u32_e32 vcc_lo, 1, v0
	v_cmp_eq_u32_e64 s0, 2, v0
	v_cmp_eq_u32_e64 s1, 3, v0
	;; [unrolled: 1-line block ×4, first 2 shown]
	v_dual_cndmask_b32 v1, v2, v4 :: v_dual_cndmask_b32 v20, v3, v5
	v_cmp_eq_u32_e64 s4, 0, v0
	v_cndmask_b32_e64 v24, v7, v17, s0
	v_cndmask_b32_e64 v23, v6, v16, s0
	s_delay_alu instid0(VALU_DEP_4)
	v_cndmask_b32_e64 v1, v1, v6, s0
	v_cndmask_b32_e64 v20, v20, v7, s0
	v_cmp_eq_u32_e64 s0, 6, v0
	v_cndmask_b32_e32 v22, v5, v17, vcc_lo
	v_cndmask_b32_e64 v26, v9, v17, s1
	v_cndmask_b32_e64 v1, v1, v8, s1
	;; [unrolled: 1-line block ×4, first 2 shown]
	v_cmp_eq_u32_e64 s1, 8, v0
	v_cndmask_b32_e64 v28, v11, v17, s2
	v_cndmask_b32_e64 v1, v1, v10, s2
	;; [unrolled: 1-line block ×8, first 2 shown]
	v_cndmask_b32_e32 v21, v4, v16, vcc_lo
	v_cmp_eq_u32_e32 vcc_lo, 7, v0
	v_cndmask_b32_e64 v29, v12, v16, s3
	v_cndmask_b32_e64 v1, v1, v14, s0
	;; [unrolled: 1-line block ×7, first 2 shown]
	v_cndmask_b32_e32 v1, v1, v16, vcc_lo
	v_cndmask_b32_e32 v3, v3, v17, vcc_lo
	s_delay_alu instid0(VALU_DEP_2) | instskip(NEXT) | instid1(VALU_DEP_2)
	v_cndmask_b32_e64 v0, v1, v18, s1
	v_cndmask_b32_e64 v1, v3, v19, s1
	;; [unrolled: 1-line block ×3, first 2 shown]
	s_delay_alu instid0(VALU_DEP_2) | instskip(NEXT) | instid1(VALU_DEP_2)
	v_dual_cndmask_b32 v33, v0, v16 :: v_dual_cndmask_b32 v34, v1, v17
	v_mov_b32_e32 v2, v19
	v_dual_mov_b32 v3, v20 :: v_dual_mov_b32 v6, v23
	v_dual_mov_b32 v4, v21 :: v_dual_mov_b32 v5, v22
	;; [unrolled: 1-line block ×8, first 2 shown]
	v_mov_b32_e32 v19, v36
	v_mov_b32_e32 v20, v37
	;; [unrolled: 1-line block ×15, first 2 shown]
.LBB8_79:
	s_or_b32 exec_lo, exec_lo, s5
	v_dual_mov_b32 v0, s12 :: v_dual_mov_b32 v1, s13
	s_mov_b32 s5, exec_lo
	flat_load_b32 v0, v[0:1] offset:24
	s_waitcnt vmcnt(0) lgkmcnt(0)
	v_add_nc_u32_e32 v0, -1, v0
	s_delay_alu instid0(VALU_DEP_1)
	v_cmpx_ne_u32_e32 6, v0
	s_cbranch_execz .LBB8_81
; %bb.80:
	v_cmp_eq_u32_e32 vcc_lo, 1, v0
	v_cmp_eq_u32_e64 s0, 2, v0
	v_cmp_eq_u32_e64 s1, 3, v0
	;; [unrolled: 1-line block ×4, first 2 shown]
	v_dual_cndmask_b32 v1, v2, v4 :: v_dual_cndmask_b32 v20, v3, v5
	v_cmp_eq_u32_e64 s4, 0, v0
	v_cndmask_b32_e64 v24, v7, v15, s0
	v_cndmask_b32_e64 v23, v6, v14, s0
	s_delay_alu instid0(VALU_DEP_4)
	v_cndmask_b32_e64 v1, v1, v6, s0
	v_cndmask_b32_e64 v20, v20, v7, s0
	v_cmp_eq_u32_e64 s0, 6, v0
	v_cndmask_b32_e32 v22, v5, v15, vcc_lo
	v_cndmask_b32_e64 v26, v9, v15, s1
	v_cndmask_b32_e64 v1, v1, v8, s1
	;; [unrolled: 1-line block ×4, first 2 shown]
	v_cmp_eq_u32_e64 s1, 8, v0
	v_cndmask_b32_e64 v28, v11, v15, s2
	v_cndmask_b32_e64 v1, v1, v10, s2
	;; [unrolled: 1-line block ×8, first 2 shown]
	v_cndmask_b32_e32 v21, v4, v14, vcc_lo
	v_cmp_eq_u32_e32 vcc_lo, 7, v0
	v_cndmask_b32_e64 v29, v12, v14, s3
	v_cndmask_b32_e64 v1, v1, v14, s0
	;; [unrolled: 1-line block ×4, first 2 shown]
	v_cndmask_b32_e32 v33, v16, v14, vcc_lo
	v_cndmask_b32_e64 v35, v18, v14, s1
	v_cndmask_b32_e32 v34, v17, v15, vcc_lo
	v_cndmask_b32_e32 v1, v1, v16, vcc_lo
	;; [unrolled: 1-line block ×3, first 2 shown]
	s_delay_alu instid0(VALU_DEP_2) | instskip(NEXT) | instid1(VALU_DEP_2)
	v_cndmask_b32_e64 v0, v1, v18, s1
	v_cndmask_b32_e64 v1, v3, v19, s1
	;; [unrolled: 1-line block ×3, first 2 shown]
	s_delay_alu instid0(VALU_DEP_3) | instskip(NEXT) | instid1(VALU_DEP_3)
	v_cndmask_b32_e64 v31, v0, v14, s0
	v_cndmask_b32_e64 v32, v1, v15, s0
	s_delay_alu instid0(VALU_DEP_3)
	v_mov_b32_e32 v2, v19
	v_dual_mov_b32 v3, v20 :: v_dual_mov_b32 v4, v21
	v_dual_mov_b32 v5, v22 :: v_dual_mov_b32 v6, v23
	;; [unrolled: 1-line block ×8, first 2 shown]
	v_mov_b32_e32 v19, v36
	v_mov_b32_e32 v20, v37
	;; [unrolled: 1-line block ×15, first 2 shown]
.LBB8_81:
	s_or_b32 exec_lo, exec_lo, s5
	v_dual_mov_b32 v0, s12 :: v_dual_mov_b32 v1, s13
	s_mov_b32 s5, exec_lo
	flat_load_b32 v0, v[0:1] offset:20
	s_waitcnt vmcnt(0) lgkmcnt(0)
	v_add_nc_u32_e32 v0, -1, v0
	s_delay_alu instid0(VALU_DEP_1)
	v_cmpx_ne_u32_e32 5, v0
	s_cbranch_execz .LBB8_83
; %bb.82:
	v_cmp_eq_u32_e32 vcc_lo, 1, v0
	v_cmp_eq_u32_e64 s0, 2, v0
	v_cmp_eq_u32_e64 s1, 3, v0
	v_cmp_eq_u32_e64 s2, 4, v0
	v_cmp_eq_u32_e64 s3, 5, v0
	v_dual_cndmask_b32 v1, v2, v4 :: v_dual_cndmask_b32 v20, v3, v5
	v_cmp_eq_u32_e64 s4, 0, v0
	v_cndmask_b32_e64 v24, v7, v13, s0
	v_cndmask_b32_e64 v23, v6, v12, s0
	s_delay_alu instid0(VALU_DEP_4)
	v_cndmask_b32_e64 v1, v1, v6, s0
	v_cndmask_b32_e64 v20, v20, v7, s0
	v_cmp_eq_u32_e64 s0, 6, v0
	v_cndmask_b32_e32 v22, v5, v13, vcc_lo
	v_cndmask_b32_e64 v26, v9, v13, s1
	v_cndmask_b32_e64 v1, v1, v8, s1
	;; [unrolled: 1-line block ×4, first 2 shown]
	v_cmp_eq_u32_e64 s1, 8, v0
	v_cndmask_b32_e64 v28, v11, v13, s2
	v_cndmask_b32_e64 v1, v1, v10, s2
	;; [unrolled: 1-line block ×8, first 2 shown]
	v_cndmask_b32_e32 v21, v4, v12, vcc_lo
	v_cmp_eq_u32_e32 vcc_lo, 7, v0
	v_cndmask_b32_e64 v31, v14, v12, s0
	v_cndmask_b32_e64 v1, v1, v14, s0
	;; [unrolled: 1-line block ×4, first 2 shown]
	v_dual_cndmask_b32 v34, v17, v13 :: v_dual_cndmask_b32 v33, v16, v12
	v_cndmask_b32_e64 v35, v18, v12, s1
	v_cndmask_b32_e32 v1, v1, v16, vcc_lo
	v_cndmask_b32_e32 v3, v3, v17, vcc_lo
	s_delay_alu instid0(VALU_DEP_2) | instskip(NEXT) | instid1(VALU_DEP_2)
	v_cndmask_b32_e64 v0, v1, v18, s1
	v_cndmask_b32_e64 v1, v3, v19, s1
	;; [unrolled: 1-line block ×3, first 2 shown]
	s_delay_alu instid0(VALU_DEP_3) | instskip(NEXT) | instid1(VALU_DEP_3)
	v_cndmask_b32_e64 v29, v0, v12, s3
	v_cndmask_b32_e64 v30, v1, v13, s3
	s_delay_alu instid0(VALU_DEP_3)
	v_mov_b32_e32 v2, v19
	v_dual_mov_b32 v4, v21 :: v_dual_mov_b32 v3, v20
	v_dual_mov_b32 v6, v23 :: v_dual_mov_b32 v5, v22
	;; [unrolled: 1-line block ×8, first 2 shown]
	v_mov_b32_e32 v19, v36
	v_mov_b32_e32 v20, v37
	;; [unrolled: 1-line block ×15, first 2 shown]
.LBB8_83:
	s_or_b32 exec_lo, exec_lo, s5
	v_dual_mov_b32 v0, s12 :: v_dual_mov_b32 v1, s13
	s_mov_b32 s5, exec_lo
	flat_load_b32 v0, v[0:1] offset:16
	s_waitcnt vmcnt(0) lgkmcnt(0)
	v_add_nc_u32_e32 v0, -1, v0
	s_delay_alu instid0(VALU_DEP_1)
	v_cmpx_ne_u32_e32 4, v0
	s_cbranch_execz .LBB8_85
; %bb.84:
	v_cmp_eq_u32_e32 vcc_lo, 1, v0
	v_cmp_eq_u32_e64 s0, 2, v0
	v_cmp_eq_u32_e64 s1, 3, v0
	;; [unrolled: 1-line block ×4, first 2 shown]
	v_dual_cndmask_b32 v1, v2, v4 :: v_dual_cndmask_b32 v20, v3, v5
	v_cmp_eq_u32_e64 s4, 0, v0
	v_cndmask_b32_e64 v24, v7, v11, s0
	v_cndmask_b32_e64 v23, v6, v10, s0
	s_delay_alu instid0(VALU_DEP_4)
	v_cndmask_b32_e64 v1, v1, v6, s0
	v_cndmask_b32_e64 v20, v20, v7, s0
	v_cmp_eq_u32_e64 s0, 6, v0
	v_cndmask_b32_e32 v22, v5, v11, vcc_lo
	v_cndmask_b32_e64 v26, v9, v11, s1
	v_cndmask_b32_e64 v1, v1, v8, s1
	v_cndmask_b32_e64 v20, v20, v9, s1
	v_cndmask_b32_e64 v25, v8, v10, s1
	v_cmp_eq_u32_e64 s1, 8, v0
	v_cndmask_b32_e64 v30, v13, v11, s3
	v_cndmask_b32_e64 v1, v1, v10, s2
	v_cndmask_b32_e64 v21, v20, v11, s2
	v_cndmask_b32_e64 v20, v3, v11, s4
	v_cndmask_b32_e64 v29, v12, v10, s3
	v_cndmask_b32_e64 v32, v15, v11, s0
	v_cndmask_b32_e64 v1, v1, v12, s3
	v_cndmask_b32_e64 v3, v21, v13, s3
	v_cndmask_b32_e32 v21, v4, v10, vcc_lo
	v_cmp_eq_u32_e32 vcc_lo, 7, v0
	v_cndmask_b32_e64 v31, v14, v10, s0
	v_cndmask_b32_e64 v1, v1, v14, s0
	;; [unrolled: 1-line block ×4, first 2 shown]
	v_cndmask_b32_e32 v33, v16, v10, vcc_lo
	v_cndmask_b32_e64 v35, v18, v10, s1
	v_cndmask_b32_e32 v34, v17, v11, vcc_lo
	v_cndmask_b32_e32 v1, v1, v16, vcc_lo
	;; [unrolled: 1-line block ×3, first 2 shown]
	s_delay_alu instid0(VALU_DEP_2) | instskip(NEXT) | instid1(VALU_DEP_2)
	v_cndmask_b32_e64 v0, v1, v18, s1
	v_cndmask_b32_e64 v1, v3, v19, s1
	;; [unrolled: 1-line block ×3, first 2 shown]
	s_delay_alu instid0(VALU_DEP_3) | instskip(NEXT) | instid1(VALU_DEP_3)
	v_cndmask_b32_e64 v27, v0, v10, s2
	v_cndmask_b32_e64 v28, v1, v11, s2
	s_delay_alu instid0(VALU_DEP_3)
	v_mov_b32_e32 v2, v19
	v_dual_mov_b32 v3, v20 :: v_dual_mov_b32 v4, v21
	v_dual_mov_b32 v5, v22 :: v_dual_mov_b32 v6, v23
	;; [unrolled: 1-line block ×8, first 2 shown]
	v_mov_b32_e32 v19, v36
	v_mov_b32_e32 v20, v37
	;; [unrolled: 1-line block ×15, first 2 shown]
.LBB8_85:
	s_or_b32 exec_lo, exec_lo, s5
	v_dual_mov_b32 v0, s12 :: v_dual_mov_b32 v1, s13
	s_mov_b32 s5, exec_lo
	flat_load_b32 v0, v[0:1] offset:12
	s_waitcnt vmcnt(0) lgkmcnt(0)
	v_add_nc_u32_e32 v0, -1, v0
	s_delay_alu instid0(VALU_DEP_1)
	v_cmpx_ne_u32_e32 3, v0
	s_cbranch_execz .LBB8_87
; %bb.86:
	v_cmp_eq_u32_e32 vcc_lo, 1, v0
	v_cmp_eq_u32_e64 s0, 2, v0
	v_cmp_eq_u32_e64 s1, 3, v0
	;; [unrolled: 1-line block ×4, first 2 shown]
	v_dual_cndmask_b32 v1, v2, v4 :: v_dual_cndmask_b32 v20, v3, v5
	v_cmp_eq_u32_e64 s4, 0, v0
	v_cndmask_b32_e64 v24, v7, v9, s0
	v_cndmask_b32_e64 v23, v6, v8, s0
	s_delay_alu instid0(VALU_DEP_4)
	v_cndmask_b32_e64 v1, v1, v6, s0
	v_cndmask_b32_e64 v20, v20, v7, s0
	v_cmp_eq_u32_e64 s0, 6, v0
	v_cndmask_b32_e32 v22, v5, v9, vcc_lo
	v_cndmask_b32_e64 v28, v11, v9, s2
	v_cndmask_b32_e64 v1, v1, v8, s1
	;; [unrolled: 1-line block ×9, first 2 shown]
	v_cmp_eq_u32_e64 s2, 8, v0
	v_cndmask_b32_e64 v32, v15, v9, s0
	v_cndmask_b32_e64 v1, v1, v12, s3
	;; [unrolled: 1-line block ×3, first 2 shown]
	v_cndmask_b32_e32 v21, v4, v8, vcc_lo
	v_cmp_eq_u32_e32 vcc_lo, 7, v0
	v_cndmask_b32_e64 v31, v14, v8, s0
	v_cndmask_b32_e64 v1, v1, v14, s0
	;; [unrolled: 1-line block ×4, first 2 shown]
	v_dual_cndmask_b32 v34, v17, v9 :: v_dual_cndmask_b32 v33, v16, v8
	v_cndmask_b32_e64 v35, v18, v8, s2
	v_cndmask_b32_e32 v1, v1, v16, vcc_lo
	v_cndmask_b32_e32 v3, v3, v17, vcc_lo
	s_delay_alu instid0(VALU_DEP_2) | instskip(NEXT) | instid1(VALU_DEP_2)
	v_cndmask_b32_e64 v0, v1, v18, s2
	v_cndmask_b32_e64 v1, v3, v19, s2
	;; [unrolled: 1-line block ×3, first 2 shown]
	s_delay_alu instid0(VALU_DEP_3) | instskip(NEXT) | instid1(VALU_DEP_3)
	v_cndmask_b32_e64 v25, v0, v8, s1
	v_cndmask_b32_e64 v26, v1, v9, s1
	s_delay_alu instid0(VALU_DEP_3)
	v_mov_b32_e32 v2, v19
	v_dual_mov_b32 v4, v21 :: v_dual_mov_b32 v3, v20
	v_dual_mov_b32 v6, v23 :: v_dual_mov_b32 v5, v22
	;; [unrolled: 1-line block ×8, first 2 shown]
	v_mov_b32_e32 v19, v36
	v_mov_b32_e32 v20, v37
	;; [unrolled: 1-line block ×15, first 2 shown]
.LBB8_87:
	s_or_b32 exec_lo, exec_lo, s5
	v_dual_mov_b32 v0, s12 :: v_dual_mov_b32 v1, s13
	s_mov_b32 s5, exec_lo
	flat_load_b32 v0, v[0:1] offset:8
	s_waitcnt vmcnt(0) lgkmcnt(0)
	v_add_nc_u32_e32 v0, -1, v0
	s_delay_alu instid0(VALU_DEP_1)
	v_cmpx_ne_u32_e32 2, v0
	s_cbranch_execz .LBB8_89
; %bb.88:
	v_cmp_eq_u32_e32 vcc_lo, 1, v0
	v_cmp_eq_u32_e64 s0, 2, v0
	v_cmp_eq_u32_e64 s1, 3, v0
	v_cmp_eq_u32_e64 s2, 4, v0
	v_cmp_eq_u32_e64 s3, 5, v0
	v_dual_cndmask_b32 v1, v2, v4 :: v_dual_cndmask_b32 v20, v3, v5
	v_cmp_eq_u32_e64 s4, 0, v0
	v_dual_cndmask_b32 v22, v5, v7 :: v_dual_cndmask_b32 v21, v4, v6
	s_delay_alu instid0(VALU_DEP_3) | instskip(NEXT) | instid1(VALU_DEP_4)
	v_cndmask_b32_e64 v1, v1, v6, s0
	v_cndmask_b32_e64 v20, v20, v7, s0
	v_cmp_eq_u32_e32 vcc_lo, 6, v0
	v_cndmask_b32_e64 v26, v9, v7, s1
	v_cndmask_b32_e64 v25, v8, v6, s1
	;; [unrolled: 1-line block ×5, first 2 shown]
	v_cmp_eq_u32_e64 s1, 7, v0
	v_cndmask_b32_e64 v27, v10, v6, s2
	v_cndmask_b32_e64 v1, v1, v10, s2
	;; [unrolled: 1-line block ×4, first 2 shown]
	v_cmp_eq_u32_e64 s2, 8, v0
	v_cndmask_b32_e64 v34, v17, v7, s1
	v_cndmask_b32_e64 v1, v1, v12, s3
	;; [unrolled: 1-line block ×6, first 2 shown]
	v_dual_cndmask_b32 v1, v1, v14 :: v_dual_cndmask_b32 v32, v15, v7
	v_cndmask_b32_e32 v3, v3, v15, vcc_lo
	v_cndmask_b32_e64 v29, v12, v6, s3
	v_cndmask_b32_e32 v31, v14, v6, vcc_lo
	s_delay_alu instid0(VALU_DEP_4) | instskip(SKIP_2) | instid1(VALU_DEP_3)
	v_cndmask_b32_e64 v1, v1, v16, s1
	v_cndmask_b32_e64 v33, v16, v6, s1
	;; [unrolled: 1-line block ×4, first 2 shown]
	s_delay_alu instid0(VALU_DEP_2) | instskip(SKIP_1) | instid1(VALU_DEP_3)
	v_cndmask_b32_e64 v1, v3, v19, s2
	v_cndmask_b32_e64 v19, v2, v6, s4
	;; [unrolled: 1-line block ×3, first 2 shown]
	s_delay_alu instid0(VALU_DEP_3) | instskip(NEXT) | instid1(VALU_DEP_3)
	v_cndmask_b32_e64 v24, v1, v7, s0
	v_mov_b32_e32 v2, v19
	v_dual_mov_b32 v4, v21 :: v_dual_mov_b32 v3, v20
	s_delay_alu instid0(VALU_DEP_4) | instskip(NEXT) | instid1(VALU_DEP_4)
	v_dual_mov_b32 v6, v23 :: v_dual_mov_b32 v5, v22
	v_dual_mov_b32 v8, v25 :: v_dual_mov_b32 v7, v24
	;; [unrolled: 1-line block ×7, first 2 shown]
	v_mov_b32_e32 v19, v36
	v_mov_b32_e32 v20, v37
	;; [unrolled: 1-line block ×15, first 2 shown]
.LBB8_89:
	s_or_b32 exec_lo, exec_lo, s5
	v_dual_mov_b32 v0, s12 :: v_dual_mov_b32 v1, s13
	s_mov_b32 s5, exec_lo
	flat_load_b32 v0, v[0:1] offset:4
	s_waitcnt vmcnt(0) lgkmcnt(0)
	v_add_nc_u32_e32 v0, -1, v0
	s_delay_alu instid0(VALU_DEP_1)
	v_cmpx_ne_u32_e32 1, v0
	s_cbranch_execz .LBB8_91
; %bb.90:
	v_cmp_eq_u32_e32 vcc_lo, 1, v0
	v_cmp_eq_u32_e64 s0, 2, v0
	v_cmp_eq_u32_e64 s1, 3, v0
	;; [unrolled: 1-line block ×4, first 2 shown]
	v_dual_cndmask_b32 v1, v2, v4 :: v_dual_cndmask_b32 v20, v3, v5
	v_cmp_eq_u32_e64 s4, 0, v0
	v_cndmask_b32_e64 v24, v7, v5, s0
	v_cndmask_b32_e64 v23, v6, v4, s0
	s_delay_alu instid0(VALU_DEP_4)
	v_cndmask_b32_e64 v1, v1, v6, s0
	v_cndmask_b32_e64 v20, v20, v7, s0
	v_cmp_eq_u32_e64 s0, 6, v0
	v_cndmask_b32_e64 v26, v9, v5, s1
	v_cndmask_b32_e64 v25, v8, v4, s1
	v_cndmask_b32_e64 v1, v1, v8, s1
	v_cndmask_b32_e64 v20, v20, v9, s1
	v_cmp_eq_u32_e64 s1, 7, v0
	v_cndmask_b32_e64 v28, v11, v5, s2
	v_cndmask_b32_e64 v27, v10, v4, s2
	;; [unrolled: 1-line block ×5, first 2 shown]
	v_cmp_eq_u32_e64 s2, 8, v0
	v_cndmask_b32_e64 v34, v17, v5, s1
	v_cndmask_b32_e64 v1, v1, v12, s3
	;; [unrolled: 1-line block ×14, first 2 shown]
	s_delay_alu instid0(VALU_DEP_3) | instskip(NEXT) | instid1(VALU_DEP_3)
	v_cndmask_b32_e64 v0, v1, v18, s2
	v_cndmask_b32_e64 v1, v3, v19, s2
	;; [unrolled: 1-line block ×3, first 2 shown]
	s_delay_alu instid0(VALU_DEP_2) | instskip(NEXT) | instid1(VALU_DEP_2)
	v_dual_cndmask_b32 v21, v0, v4 :: v_dual_cndmask_b32 v22, v1, v5
	v_mov_b32_e32 v2, v19
	s_delay_alu instid0(VALU_DEP_2) | instskip(NEXT) | instid1(VALU_DEP_3)
	v_dual_mov_b32 v3, v20 :: v_dual_mov_b32 v4, v21
	v_dual_mov_b32 v5, v22 :: v_dual_mov_b32 v6, v23
	;; [unrolled: 1-line block ×8, first 2 shown]
	v_mov_b32_e32 v19, v36
	v_mov_b32_e32 v20, v37
	;; [unrolled: 1-line block ×15, first 2 shown]
.LBB8_91:
	s_or_b32 exec_lo, exec_lo, s5
	v_dual_mov_b32 v0, s12 :: v_dual_mov_b32 v1, s13
	s_mov_b32 s4, exec_lo
	flat_load_b32 v0, v[0:1]
	s_waitcnt vmcnt(0) lgkmcnt(0)
	v_add_nc_u32_e32 v0, -1, v0
	s_delay_alu instid0(VALU_DEP_1)
	v_cmpx_ne_u32_e32 0, v0
	s_cbranch_execz .LBB8_93
; %bb.92:
	v_cmp_eq_u32_e32 vcc_lo, 1, v0
	v_cmp_eq_u32_e64 s0, 2, v0
	v_cmp_eq_u32_e64 s1, 3, v0
	;; [unrolled: 1-line block ×4, first 2 shown]
	v_dual_cndmask_b32 v1, v2, v4 :: v_dual_cndmask_b32 v20, v3, v5
	v_cndmask_b32_e64 v22, v7, v3, s0
	v_cndmask_b32_e64 v21, v6, v2, s0
	;; [unrolled: 1-line block ×3, first 2 shown]
	s_delay_alu instid0(VALU_DEP_4)
	v_cndmask_b32_e64 v1, v1, v6, s0
	v_cndmask_b32_e64 v20, v20, v7, s0
	v_cmp_eq_u32_e64 s0, 6, v0
	v_cndmask_b32_e64 v26, v11, v3, s2
	v_cndmask_b32_e64 v25, v10, v2, s2
	v_cndmask_b32_e64 v1, v1, v8, s1
	v_cndmask_b32_e64 v20, v20, v9, s1
	v_cndmask_b32_e64 v30, v15, v3, s0
	v_cndmask_b32_e64 v29, v14, v2, s0
	v_cndmask_b32_e64 v28, v13, v3, s3
	v_cndmask_b32_e64 v1, v1, v10, s2
	v_cndmask_b32_e64 v23, v20, v11, s2
	v_cndmask_b32_e32 v20, v5, v3, vcc_lo
	v_cmp_eq_u32_e64 s2, 8, v0
	v_cndmask_b32_e64 v27, v12, v2, s3
	v_cndmask_b32_e64 v1, v1, v12, s3
	;; [unrolled: 1-line block ×4, first 2 shown]
	v_cmp_eq_u32_e64 s1, 7, v0
	v_cndmask_b32_e64 v34, v19, v3, s2
	v_cndmask_b32_e64 v1, v1, v14, s0
	;; [unrolled: 1-line block ×3, first 2 shown]
	v_cmp_eq_u32_e64 s0, 0, v0
	v_cndmask_b32_e64 v32, v17, v3, s1
	v_cndmask_b32_e64 v31, v16, v2, s1
	;; [unrolled: 1-line block ×5, first 2 shown]
	s_delay_alu instid0(VALU_DEP_3) | instskip(NEXT) | instid1(VALU_DEP_3)
	v_cndmask_b32_e64 v1, v1, v18, s2
	v_cndmask_b32_e64 v5, v5, v19, s2
	v_cndmask_b32_e32 v19, v4, v2, vcc_lo
	s_delay_alu instid0(VALU_DEP_3) | instskip(NEXT) | instid1(VALU_DEP_3)
	v_cndmask_b32_e64 v17, v1, v2, s0
	v_cndmask_b32_e64 v18, v5, v3, s0
	s_delay_alu instid0(VALU_DEP_2) | instskip(NEXT) | instid1(VALU_DEP_2)
	v_mov_b32_e32 v2, v17
	v_dual_mov_b32 v3, v18 :: v_dual_mov_b32 v4, v19
	v_dual_mov_b32 v5, v20 :: v_dual_mov_b32 v6, v21
	;; [unrolled: 1-line block ×7, first 2 shown]
	v_mov_b32_e32 v17, v32
	v_mov_b32_e32 v18, v33
	;; [unrolled: 1-line block ×17, first 2 shown]
.LBB8_93:
	s_or_b32 exec_lo, exec_lo, s4
.LBB8_94:
	s_clause 0x8
	global_store_b64 v[52:53], v[2:3], off
	global_store_b64 v[54:55], v[4:5], off
	;; [unrolled: 1-line block ×9, first 2 shown]
	s_nop 0
	s_sendmsg sendmsg(MSG_DEALLOC_VGPRS)
	s_endpgm
	.section	.rodata,"a",@progbits
	.p2align	6, 0x0
	.amdhsa_kernel _ZN9rocsolver6v33100L18getri_kernel_smallILi9EdPdEEvT1_iilPiilS4_bb
		.amdhsa_group_segment_fixed_size 152
		.amdhsa_private_segment_fixed_size 0
		.amdhsa_kernarg_size 60
		.amdhsa_user_sgpr_count 15
		.amdhsa_user_sgpr_dispatch_ptr 0
		.amdhsa_user_sgpr_queue_ptr 0
		.amdhsa_user_sgpr_kernarg_segment_ptr 1
		.amdhsa_user_sgpr_dispatch_id 0
		.amdhsa_user_sgpr_private_segment_size 0
		.amdhsa_wavefront_size32 1
		.amdhsa_uses_dynamic_stack 0
		.amdhsa_enable_private_segment 0
		.amdhsa_system_sgpr_workgroup_id_x 1
		.amdhsa_system_sgpr_workgroup_id_y 0
		.amdhsa_system_sgpr_workgroup_id_z 0
		.amdhsa_system_sgpr_workgroup_info 0
		.amdhsa_system_vgpr_workitem_id 0
		.amdhsa_next_free_vgpr 70
		.amdhsa_next_free_sgpr 18
		.amdhsa_reserve_vcc 1
		.amdhsa_float_round_mode_32 0
		.amdhsa_float_round_mode_16_64 0
		.amdhsa_float_denorm_mode_32 3
		.amdhsa_float_denorm_mode_16_64 3
		.amdhsa_dx10_clamp 1
		.amdhsa_ieee_mode 1
		.amdhsa_fp16_overflow 0
		.amdhsa_workgroup_processor_mode 1
		.amdhsa_memory_ordered 1
		.amdhsa_forward_progress 0
		.amdhsa_shared_vgpr_count 0
		.amdhsa_exception_fp_ieee_invalid_op 0
		.amdhsa_exception_fp_denorm_src 0
		.amdhsa_exception_fp_ieee_div_zero 0
		.amdhsa_exception_fp_ieee_overflow 0
		.amdhsa_exception_fp_ieee_underflow 0
		.amdhsa_exception_fp_ieee_inexact 0
		.amdhsa_exception_int_div_zero 0
	.end_amdhsa_kernel
	.section	.text._ZN9rocsolver6v33100L18getri_kernel_smallILi9EdPdEEvT1_iilPiilS4_bb,"axG",@progbits,_ZN9rocsolver6v33100L18getri_kernel_smallILi9EdPdEEvT1_iilPiilS4_bb,comdat
.Lfunc_end8:
	.size	_ZN9rocsolver6v33100L18getri_kernel_smallILi9EdPdEEvT1_iilPiilS4_bb, .Lfunc_end8-_ZN9rocsolver6v33100L18getri_kernel_smallILi9EdPdEEvT1_iilPiilS4_bb
                                        ; -- End function
	.section	.AMDGPU.csdata,"",@progbits
; Kernel info:
; codeLenInByte = 12168
; NumSgprs: 20
; NumVgprs: 70
; ScratchSize: 0
; MemoryBound: 0
; FloatMode: 240
; IeeeMode: 1
; LDSByteSize: 152 bytes/workgroup (compile time only)
; SGPRBlocks: 2
; VGPRBlocks: 8
; NumSGPRsForWavesPerEU: 20
; NumVGPRsForWavesPerEU: 70
; Occupancy: 16
; WaveLimiterHint : 0
; COMPUTE_PGM_RSRC2:SCRATCH_EN: 0
; COMPUTE_PGM_RSRC2:USER_SGPR: 15
; COMPUTE_PGM_RSRC2:TRAP_HANDLER: 0
; COMPUTE_PGM_RSRC2:TGID_X_EN: 1
; COMPUTE_PGM_RSRC2:TGID_Y_EN: 0
; COMPUTE_PGM_RSRC2:TGID_Z_EN: 0
; COMPUTE_PGM_RSRC2:TIDIG_COMP_CNT: 0
	.section	.text._ZN9rocsolver6v33100L18getri_kernel_smallILi10EdPdEEvT1_iilPiilS4_bb,"axG",@progbits,_ZN9rocsolver6v33100L18getri_kernel_smallILi10EdPdEEvT1_iilPiilS4_bb,comdat
	.globl	_ZN9rocsolver6v33100L18getri_kernel_smallILi10EdPdEEvT1_iilPiilS4_bb ; -- Begin function _ZN9rocsolver6v33100L18getri_kernel_smallILi10EdPdEEvT1_iilPiilS4_bb
	.p2align	8
	.type	_ZN9rocsolver6v33100L18getri_kernel_smallILi10EdPdEEvT1_iilPiilS4_bb,@function
_ZN9rocsolver6v33100L18getri_kernel_smallILi10EdPdEEvT1_iilPiilS4_bb: ; @_ZN9rocsolver6v33100L18getri_kernel_smallILi10EdPdEEvT1_iilPiilS4_bb
; %bb.0:
	s_mov_b32 s2, exec_lo
	v_cmpx_gt_u32_e32 10, v0
	s_cbranch_execz .LBB9_16
; %bb.1:
	s_clause 0x2
	s_load_b32 s17, s[0:1], 0x38
	s_load_b128 s[4:7], s[0:1], 0x10
	s_load_b128 s[8:11], s[0:1], 0x28
	s_mov_b32 s14, s15
                                        ; implicit-def: $sgpr12_sgpr13
	s_waitcnt lgkmcnt(0)
	s_bitcmp1_b32 s17, 8
	s_cselect_b32 s16, -1, 0
	s_bfe_u32 s2, s17, 0x10008
	s_ashr_i32 s15, s15, 31
	s_cmp_eq_u32 s2, 0
	s_cbranch_scc1 .LBB9_3
; %bb.2:
	s_load_b32 s2, s[0:1], 0x20
	s_mul_i32 s3, s14, s9
	s_mul_hi_u32 s9, s14, s8
	s_mul_i32 s12, s15, s8
	s_add_i32 s3, s9, s3
	s_mul_i32 s8, s14, s8
	s_add_i32 s9, s3, s12
	s_delay_alu instid0(SALU_CYCLE_1)
	s_lshl_b64 s[8:9], s[8:9], 2
	s_waitcnt lgkmcnt(0)
	s_ashr_i32 s3, s2, 31
	s_add_u32 s6, s6, s8
	s_addc_u32 s7, s7, s9
	s_lshl_b64 s[2:3], s[2:3], 2
	s_delay_alu instid0(SALU_CYCLE_1)
	s_add_u32 s12, s6, s2
	s_addc_u32 s13, s7, s3
.LBB9_3:
	s_load_b128 s[0:3], s[0:1], 0x0
	s_mul_i32 s5, s14, s5
	s_mul_hi_u32 s6, s14, s4
	s_mul_i32 s7, s15, s4
	s_add_i32 s5, s6, s5
	s_mul_i32 s4, s14, s4
	s_add_i32 s5, s5, s7
	v_lshlrev_b32_e32 v24, 3, v0
	s_lshl_b64 s[4:5], s[4:5], 3
	s_waitcnt lgkmcnt(0)
	v_add3_u32 v1, s3, s3, v0
	s_ashr_i32 s7, s2, 31
	s_mov_b32 s6, s2
	s_add_u32 s2, s0, s4
	s_addc_u32 s5, s1, s5
	v_add_nc_u32_e32 v3, s3, v1
	s_lshl_b64 s[0:1], s[6:7], 3
	v_ashrrev_i32_e32 v2, 31, v1
	s_add_u32 s0, s2, s0
	s_addc_u32 s1, s5, s1
	v_add_co_u32 v52, s2, s0, v24
	v_add_nc_u32_e32 v5, s3, v3
	s_mov_b32 s4, s3
	s_ashr_i32 s5, s3, 31
	v_add_co_ci_u32_e64 v53, null, s1, 0, s2
	v_lshlrev_b64 v[1:2], 3, v[1:2]
	v_ashrrev_i32_e32 v4, 31, v3
	s_lshl_b64 s[4:5], s[4:5], 3
	v_ashrrev_i32_e32 v6, 31, v5
	v_add_co_u32 v54, vcc_lo, v52, s4
	v_add_nc_u32_e32 v7, s3, v5
	v_add_co_ci_u32_e32 v55, vcc_lo, s5, v53, vcc_lo
	v_lshlrev_b64 v[3:4], 3, v[3:4]
	v_add_co_u32 v58, vcc_lo, s0, v1
	v_add_co_ci_u32_e32 v59, vcc_lo, s1, v2, vcc_lo
	v_lshlrev_b64 v[1:2], 3, v[5:6]
	v_add_nc_u32_e32 v12, s3, v7
	v_add_co_u32 v56, vcc_lo, s0, v3
	v_ashrrev_i32_e32 v8, 31, v7
	v_add_co_ci_u32_e32 v57, vcc_lo, s1, v4, vcc_lo
	v_add_co_u32 v60, vcc_lo, s0, v1
	v_add_nc_u32_e32 v14, s3, v12
	v_add_co_ci_u32_e32 v61, vcc_lo, s1, v2, vcc_lo
	v_lshlrev_b64 v[1:2], 3, v[7:8]
	v_ashrrev_i32_e32 v13, 31, v12
	s_delay_alu instid0(VALU_DEP_4)
	v_ashrrev_i32_e32 v15, 31, v14
	v_add_nc_u32_e32 v16, s3, v14
	s_clause 0x3
	global_load_b64 v[4:5], v[54:55], off
	global_load_b64 v[6:7], v[58:59], off
	;; [unrolled: 1-line block ×4, first 2 shown]
	s_bitcmp0_b32 s17, 0
	v_add_co_u32 v62, vcc_lo, s0, v1
	v_lshlrev_b64 v[12:13], 3, v[12:13]
	v_add_co_ci_u32_e32 v63, vcc_lo, s1, v2, vcc_lo
	v_lshlrev_b64 v[1:2], 3, v[14:15]
	v_add_nc_u32_e32 v14, s3, v16
	v_ashrrev_i32_e32 v17, 31, v16
	v_add_co_u32 v70, vcc_lo, s0, v12
	v_add_co_ci_u32_e32 v71, vcc_lo, s1, v13, vcc_lo
	s_delay_alu instid0(VALU_DEP_4) | instskip(NEXT) | instid1(VALU_DEP_4)
	v_ashrrev_i32_e32 v15, 31, v14
	v_lshlrev_b64 v[12:13], 3, v[16:17]
	v_add_co_u32 v66, vcc_lo, s0, v1
	v_add_co_ci_u32_e32 v67, vcc_lo, s1, v2, vcc_lo
	s_delay_alu instid0(VALU_DEP_4) | instskip(NEXT) | instid1(VALU_DEP_4)
	v_lshlrev_b64 v[1:2], 3, v[14:15]
	v_add_co_u32 v68, vcc_lo, s0, v12
	v_add_co_ci_u32_e32 v69, vcc_lo, s1, v13, vcc_lo
	s_delay_alu instid0(VALU_DEP_3)
	v_add_co_u32 v64, vcc_lo, s0, v1
	v_mov_b32_e32 v1, 0
	v_add_co_ci_u32_e32 v65, vcc_lo, s1, v2, vcc_lo
	s_clause 0x5
	global_load_b64 v[12:13], v[62:63], off
	global_load_b64 v[14:15], v[70:71], off
	;; [unrolled: 1-line block ×4, first 2 shown]
	global_load_b64 v[2:3], v24, s[0:1]
	global_load_b64 v[20:21], v[64:65], off
	s_mov_b32 s0, -1
	s_cbranch_scc1 .LBB9_14
; %bb.4:
	v_cmp_eq_u32_e64 s0, 0, v0
	s_delay_alu instid0(VALU_DEP_1)
	s_and_saveexec_b32 s1, s0
	s_cbranch_execz .LBB9_6
; %bb.5:
	v_mov_b32_e32 v22, 0
	ds_store_b32 v22, v22 offset:160
.LBB9_6:
	s_or_b32 exec_lo, exec_lo, s1
	v_cmp_eq_u32_e32 vcc_lo, 1, v0
	s_mov_b32 s2, exec_lo
	s_waitcnt vmcnt(0) lgkmcnt(0)
	s_barrier
	buffer_gl0_inv
	v_dual_cndmask_b32 v22, v3, v5 :: v_dual_cndmask_b32 v23, v2, v4
	v_cmp_eq_u32_e32 vcc_lo, 2, v0
	s_delay_alu instid0(VALU_DEP_2) | instskip(SKIP_1) | instid1(VALU_DEP_2)
	v_dual_cndmask_b32 v22, v22, v7 :: v_dual_cndmask_b32 v23, v23, v6
	v_cmp_eq_u32_e32 vcc_lo, 3, v0
	v_dual_cndmask_b32 v22, v22, v9 :: v_dual_cndmask_b32 v23, v23, v8
	v_cmp_eq_u32_e32 vcc_lo, 4, v0
	s_delay_alu instid0(VALU_DEP_2) | instskip(SKIP_1) | instid1(VALU_DEP_2)
	v_dual_cndmask_b32 v22, v22, v11 :: v_dual_cndmask_b32 v23, v23, v10
	v_cmp_eq_u32_e32 vcc_lo, 5, v0
	;; [unrolled: 5-line block ×4, first 2 shown]
	v_dual_cndmask_b32 v23, v22, v21 :: v_dual_cndmask_b32 v22, v25, v20
	s_delay_alu instid0(VALU_DEP_1)
	v_cmpx_eq_f64_e32 0, v[22:23]
	s_cbranch_execz .LBB9_10
; %bb.7:
	v_mov_b32_e32 v25, 0
	s_mov_b32 s3, 0
	ds_load_b32 v26, v25 offset:160
	s_waitcnt lgkmcnt(0)
	v_readfirstlane_b32 s1, v26
	v_add_nc_u32_e32 v26, 1, v0
	s_delay_alu instid0(VALU_DEP_2) | instskip(NEXT) | instid1(VALU_DEP_1)
	s_cmp_eq_u32 s1, 0
	v_cmp_gt_i32_e32 vcc_lo, s1, v26
	s_cselect_b32 s4, -1, 0
	s_delay_alu instid0(SALU_CYCLE_1) | instskip(NEXT) | instid1(SALU_CYCLE_1)
	s_or_b32 s4, s4, vcc_lo
	s_and_b32 exec_lo, exec_lo, s4
	s_cbranch_execz .LBB9_10
; %bb.8:
	v_mov_b32_e32 v27, s1
.LBB9_9:                                ; =>This Inner Loop Header: Depth=1
	ds_cmpstore_rtn_b32 v27, v25, v26, v27 offset:160
	s_waitcnt lgkmcnt(0)
	v_cmp_ne_u32_e32 vcc_lo, 0, v27
	v_cmp_le_i32_e64 s1, v27, v26
	s_delay_alu instid0(VALU_DEP_1) | instskip(NEXT) | instid1(SALU_CYCLE_1)
	s_and_b32 s1, vcc_lo, s1
	s_and_b32 s1, exec_lo, s1
	s_delay_alu instid0(SALU_CYCLE_1) | instskip(NEXT) | instid1(SALU_CYCLE_1)
	s_or_b32 s3, s1, s3
	s_and_not1_b32 exec_lo, exec_lo, s3
	s_cbranch_execnz .LBB9_9
.LBB9_10:
	s_or_b32 exec_lo, exec_lo, s2
	v_mov_b32_e32 v25, 0
	s_barrier
	buffer_gl0_inv
	ds_load_b32 v26, v25 offset:160
	s_and_saveexec_b32 s1, s0
	s_cbranch_execz .LBB9_12
; %bb.11:
	s_lshl_b64 s[2:3], s[14:15], 2
	s_delay_alu instid0(SALU_CYCLE_1)
	s_add_u32 s2, s10, s2
	s_addc_u32 s3, s11, s3
	s_waitcnt lgkmcnt(0)
	global_store_b32 v25, v26, s[2:3]
.LBB9_12:
	s_or_b32 exec_lo, exec_lo, s1
	s_waitcnt lgkmcnt(0)
	v_cmp_ne_u32_e32 vcc_lo, 0, v26
	s_cbranch_vccz .LBB9_17
; %bb.13:
	s_mov_b32 s0, 0
                                        ; implicit-def: $vgpr2_vgpr3_vgpr4_vgpr5_vgpr6_vgpr7_vgpr8_vgpr9_vgpr10_vgpr11_vgpr12_vgpr13_vgpr14_vgpr15_vgpr16_vgpr17_vgpr18_vgpr19_vgpr20_vgpr21_vgpr22_vgpr23_vgpr24_vgpr25_vgpr26_vgpr27_vgpr28_vgpr29_vgpr30_vgpr31_vgpr32_vgpr33
.LBB9_14:
	s_delay_alu instid0(SALU_CYCLE_1)
	s_and_b32 vcc_lo, exec_lo, s0
	s_cbranch_vccz .LBB9_16
.LBB9_15:
	s_lshl_b64 s[0:1], s[14:15], 2
	v_mov_b32_e32 v1, 0
	s_add_u32 s0, s10, s0
	s_addc_u32 s1, s11, s1
	global_load_b32 v1, v1, s[0:1]
	s_waitcnt vmcnt(0)
	v_cmp_ne_u32_e32 vcc_lo, 0, v1
	s_cbranch_vccz .LBB9_64
.LBB9_16:
	s_nop 0
	s_sendmsg sendmsg(MSG_DEALLOC_VGPRS)
	s_endpgm
.LBB9_17:
	v_div_scale_f64 v[25:26], null, v[22:23], v[22:23], 1.0
	v_div_scale_f64 v[31:32], vcc_lo, 1.0, v[22:23], 1.0
	v_cmp_eq_u32_e64 s1, 7, v0
	v_cmp_eq_u32_e64 s2, 6, v0
	;; [unrolled: 1-line block ×8, first 2 shown]
	v_rcp_f64_e32 v[27:28], v[25:26]
	s_waitcnt_depctr 0xfff
	v_fma_f64 v[29:30], -v[25:26], v[27:28], 1.0
	s_delay_alu instid0(VALU_DEP_1) | instskip(NEXT) | instid1(VALU_DEP_1)
	v_fma_f64 v[27:28], v[27:28], v[29:30], v[27:28]
	v_fma_f64 v[29:30], -v[25:26], v[27:28], 1.0
	s_delay_alu instid0(VALU_DEP_1) | instskip(NEXT) | instid1(VALU_DEP_1)
	v_fma_f64 v[27:28], v[27:28], v[29:30], v[27:28]
	v_mul_f64 v[29:30], v[31:32], v[27:28]
	s_delay_alu instid0(VALU_DEP_1) | instskip(NEXT) | instid1(VALU_DEP_1)
	v_fma_f64 v[25:26], -v[25:26], v[29:30], v[31:32]
	v_div_fmas_f64 v[25:26], v[25:26], v[27:28], v[29:30]
	v_cmp_eq_u32_e32 vcc_lo, 8, v0
	s_delay_alu instid0(VALU_DEP_2) | instskip(NEXT) | instid1(VALU_DEP_1)
	v_div_fixup_f64 v[22:23], v[25:26], v[22:23], 1.0
	v_dual_cndmask_b32 v19, v19, v23 :: v_dual_add_nc_u32 v26, 0x50, v24
	s_delay_alu instid0(VALU_DEP_2)
	v_cndmask_b32_e32 v18, v18, v22, vcc_lo
	v_cmp_eq_u32_e32 vcc_lo, 2, v0
	v_cndmask_b32_e64 v21, v21, v23, s5
	v_cndmask_b32_e64 v20, v20, v22, s5
	;; [unrolled: 1-line block ×4, first 2 shown]
	v_cndmask_b32_e32 v7, v7, v23, vcc_lo
	v_cndmask_b32_e64 v15, v15, v23, s2
	v_cndmask_b32_e64 v14, v14, v22, s2
	;; [unrolled: 1-line block ×10, first 2 shown]
	v_xor_b32_e32 v28, 0x80000000, v23
	v_mov_b32_e32 v27, v22
	v_cndmask_b32_e32 v6, v6, v22, vcc_lo
	v_cndmask_b32_e64 v3, v3, v23, s8
	v_cndmask_b32_e64 v2, v2, v22, s8
	ds_store_2addr_b64 v24, v[27:28], v[4:5] offset1:10
	s_waitcnt lgkmcnt(0)
	s_waitcnt_vscnt null, 0x0
	s_barrier
	buffer_gl0_inv
	s_and_saveexec_b32 s1, s0
	s_cbranch_execz .LBB9_19
; %bb.18:
	ds_load_b64 v[4:5], v26
	v_mov_b32_e32 v24, 0
	ds_load_b64 v[24:25], v24 offset:8
	s_waitcnt lgkmcnt(1)
	v_fma_f64 v[4:5], v[22:23], v[4:5], 0
	s_waitcnt lgkmcnt(0)
	s_delay_alu instid0(VALU_DEP_1)
	v_mul_f64 v[4:5], v[4:5], v[24:25]
.LBB9_19:
	s_or_b32 exec_lo, exec_lo, s1
	v_cmp_gt_u32_e32 vcc_lo, 2, v0
	s_barrier
	buffer_gl0_inv
	ds_store_b64 v26, v[6:7]
	s_waitcnt lgkmcnt(0)
	s_barrier
	buffer_gl0_inv
	s_and_saveexec_b32 s2, vcc_lo
	s_cbranch_execz .LBB9_23
; %bb.20:
	v_cmp_eq_u32_e64 s1, 1, v0
	s_delay_alu instid0(VALU_DEP_1) | instskip(SKIP_2) | instid1(VALU_DEP_1)
	v_cndmask_b32_e64 v22, v3, v5, s1
	v_cndmask_b32_e64 v23, v2, v4, s1
	v_cmp_eq_u32_e64 s1, 2, v0
	v_cndmask_b32_e64 v7, v22, v7, s1
	s_delay_alu instid0(VALU_DEP_3) | instskip(SKIP_1) | instid1(VALU_DEP_1)
	v_cndmask_b32_e64 v6, v23, v6, s1
	v_cmp_eq_u32_e64 s1, 3, v0
	v_cndmask_b32_e64 v7, v7, v9, s1
	s_delay_alu instid0(VALU_DEP_3) | instskip(SKIP_1) | instid1(VALU_DEP_1)
	;; [unrolled: 4-line block ×4, first 2 shown]
	v_cndmask_b32_e64 v6, v6, v12, s1
	v_cmp_eq_u32_e64 s1, 6, v0
	v_cndmask_b32_e64 v22, v7, v15, s1
	s_delay_alu instid0(VALU_DEP_3)
	v_cndmask_b32_e64 v23, v6, v14, s1
	v_cmp_eq_u32_e64 s1, 7, v0
	ds_load_b64 v[6:7], v26
	v_cndmask_b32_e64 v22, v22, v17, s1
	v_cndmask_b32_e64 v23, v23, v16, s1
	v_cmp_eq_u32_e64 s1, 8, v0
	s_delay_alu instid0(VALU_DEP_1) | instskip(NEXT) | instid1(VALU_DEP_3)
	v_cndmask_b32_e64 v22, v22, v19, s1
	v_cndmask_b32_e64 v24, v23, v18, s1
	v_cmp_eq_u32_e64 s1, 9, v0
	s_delay_alu instid0(VALU_DEP_1) | instskip(NEXT) | instid1(VALU_DEP_3)
	v_cndmask_b32_e64 v23, v22, v21, s1
	v_cndmask_b32_e64 v22, v24, v20, s1
	s_waitcnt lgkmcnt(0)
	s_delay_alu instid0(VALU_DEP_1)
	v_fma_f64 v[6:7], v[22:23], v[6:7], 0
	s_and_saveexec_b32 s1, s0
	s_cbranch_execz .LBB9_22
; %bb.21:
	v_mov_b32_e32 v22, 0
	ds_load_b64 v[22:23], v22 offset:88
	s_waitcnt lgkmcnt(0)
	v_fma_f64 v[6:7], v[4:5], v[22:23], v[6:7]
.LBB9_22:
	s_or_b32 exec_lo, exec_lo, s1
	v_mov_b32_e32 v22, 0
	ds_load_b64 v[22:23], v22 offset:16
	s_waitcnt lgkmcnt(0)
	v_mul_f64 v[6:7], v[6:7], v[22:23]
.LBB9_23:
	s_or_b32 exec_lo, exec_lo, s2
	s_delay_alu instid0(SALU_CYCLE_1)
	s_mov_b32 s3, exec_lo
	s_barrier
	buffer_gl0_inv
	ds_store_b64 v26, v[8:9]
	s_waitcnt lgkmcnt(0)
	s_barrier
	buffer_gl0_inv
	v_cmpx_gt_u32_e32 3, v0
	s_cbranch_execz .LBB9_27
; %bb.24:
	v_dual_mov_b32 v22, 0 :: v_dual_mov_b32 v25, v1
	v_lshl_add_u32 v27, v0, 3, 0x50
	v_dual_mov_b32 v23, 0 :: v_dual_mov_b32 v24, v0
	s_mov_b32 s4, 0
.LBB9_25:                               ; =>This Inner Loop Header: Depth=1
	s_delay_alu instid0(VALU_DEP_1) | instskip(SKIP_1) | instid1(VALU_DEP_2)
	v_cmp_eq_u32_e64 s1, 1, v24
	v_cmp_eq_u32_e64 s2, 2, v24
	v_cndmask_b32_e64 v28, v3, v5, s1
	v_cndmask_b32_e64 v29, v2, v4, s1
	v_cmp_eq_u32_e64 s1, 3, v24
	s_delay_alu instid0(VALU_DEP_3) | instskip(NEXT) | instid1(VALU_DEP_3)
	v_cndmask_b32_e64 v28, v28, v7, s2
	v_cndmask_b32_e64 v29, v29, v6, s2
	v_cmp_eq_u32_e64 s2, 4, v24
	s_delay_alu instid0(VALU_DEP_3) | instskip(NEXT) | instid1(VALU_DEP_3)
	;; [unrolled: 4-line block ×4, first 2 shown]
	v_cndmask_b32_e64 v30, v28, v13, s1
	v_cndmask_b32_e64 v31, v29, v12, s1
	ds_load_b64 v[28:29], v27
	v_cmp_eq_u32_e64 s1, 7, v24
	v_add_nc_u32_e32 v27, 8, v27
	v_cndmask_b32_e64 v30, v30, v15, s2
	v_cndmask_b32_e64 v31, v31, v14, s2
	v_cmp_eq_u32_e64 s2, 8, v24
	s_delay_alu instid0(VALU_DEP_3) | instskip(NEXT) | instid1(VALU_DEP_3)
	v_cndmask_b32_e64 v30, v30, v17, s1
	v_cndmask_b32_e64 v31, v31, v16, s1
	v_cmp_eq_u32_e64 s1, 9, v24
	s_delay_alu instid0(VALU_DEP_3) | instskip(NEXT) | instid1(VALU_DEP_3)
	v_cndmask_b32_e64 v30, v30, v19, s2
	v_cndmask_b32_e64 v32, v31, v18, s2
	s_delay_alu instid0(VALU_DEP_2) | instskip(NEXT) | instid1(VALU_DEP_2)
	v_cndmask_b32_e64 v31, v30, v21, s1
	v_cndmask_b32_e64 v30, v32, v20, s1
	v_add_co_u32 v24, s1, v24, 1
	s_delay_alu instid0(VALU_DEP_1) | instskip(SKIP_1) | instid1(VALU_DEP_3)
	v_add_co_ci_u32_e64 v25, s1, 0, v25, s1
	s_waitcnt lgkmcnt(0)
	v_fma_f64 v[22:23], v[30:31], v[28:29], v[22:23]
	s_delay_alu instid0(VALU_DEP_3) | instskip(NEXT) | instid1(VALU_DEP_1)
	v_add_nc_u32_e32 v28, -1, v24
	v_cmp_lt_u32_e64 s1, 1, v28
	s_delay_alu instid0(VALU_DEP_1) | instskip(NEXT) | instid1(SALU_CYCLE_1)
	s_or_b32 s4, s1, s4
	s_and_not1_b32 exec_lo, exec_lo, s4
	s_cbranch_execnz .LBB9_25
; %bb.26:
	s_or_b32 exec_lo, exec_lo, s4
	v_mov_b32_e32 v8, 0
	ds_load_b64 v[8:9], v8 offset:24
	s_waitcnt lgkmcnt(0)
	v_mul_f64 v[8:9], v[22:23], v[8:9]
.LBB9_27:
	s_or_b32 exec_lo, exec_lo, s3
	v_cmp_gt_u32_e64 s1, 4, v0
	s_barrier
	buffer_gl0_inv
	ds_store_b64 v26, v[10:11]
	s_waitcnt lgkmcnt(0)
	s_barrier
	buffer_gl0_inv
	s_and_saveexec_b32 s4, s1
	s_cbranch_execz .LBB9_31
; %bb.28:
	v_dual_mov_b32 v22, 0 :: v_dual_mov_b32 v25, v1
	v_lshl_add_u32 v27, v0, 3, 0x50
	v_dual_mov_b32 v23, 0 :: v_dual_mov_b32 v24, v0
	s_mov_b32 s5, 0
.LBB9_29:                               ; =>This Inner Loop Header: Depth=1
	s_delay_alu instid0(VALU_DEP_1) | instskip(SKIP_1) | instid1(VALU_DEP_2)
	v_cmp_eq_u32_e64 s2, 1, v24
	v_cmp_eq_u32_e64 s3, 2, v24
	v_cndmask_b32_e64 v28, v3, v5, s2
	v_cndmask_b32_e64 v29, v2, v4, s2
	v_cmp_eq_u32_e64 s2, 3, v24
	s_delay_alu instid0(VALU_DEP_3) | instskip(NEXT) | instid1(VALU_DEP_3)
	v_cndmask_b32_e64 v28, v28, v7, s3
	v_cndmask_b32_e64 v29, v29, v6, s3
	v_cmp_eq_u32_e64 s3, 4, v24
	s_delay_alu instid0(VALU_DEP_3) | instskip(NEXT) | instid1(VALU_DEP_3)
	;; [unrolled: 4-line block ×4, first 2 shown]
	v_cndmask_b32_e64 v30, v28, v13, s2
	v_cndmask_b32_e64 v31, v29, v12, s2
	ds_load_b64 v[28:29], v27
	v_cmp_eq_u32_e64 s2, 7, v24
	v_add_nc_u32_e32 v27, 8, v27
	v_cndmask_b32_e64 v30, v30, v15, s3
	v_cndmask_b32_e64 v31, v31, v14, s3
	v_cmp_eq_u32_e64 s3, 8, v24
	s_delay_alu instid0(VALU_DEP_3) | instskip(NEXT) | instid1(VALU_DEP_3)
	v_cndmask_b32_e64 v30, v30, v17, s2
	v_cndmask_b32_e64 v31, v31, v16, s2
	v_cmp_eq_u32_e64 s2, 9, v24
	s_delay_alu instid0(VALU_DEP_3) | instskip(NEXT) | instid1(VALU_DEP_3)
	v_cndmask_b32_e64 v30, v30, v19, s3
	v_cndmask_b32_e64 v32, v31, v18, s3
	s_delay_alu instid0(VALU_DEP_2) | instskip(NEXT) | instid1(VALU_DEP_2)
	v_cndmask_b32_e64 v31, v30, v21, s2
	v_cndmask_b32_e64 v30, v32, v20, s2
	v_add_co_u32 v24, s2, v24, 1
	s_delay_alu instid0(VALU_DEP_1) | instskip(SKIP_1) | instid1(VALU_DEP_3)
	v_add_co_ci_u32_e64 v25, s2, 0, v25, s2
	s_waitcnt lgkmcnt(0)
	v_fma_f64 v[22:23], v[30:31], v[28:29], v[22:23]
	s_delay_alu instid0(VALU_DEP_3) | instskip(NEXT) | instid1(VALU_DEP_1)
	v_add_nc_u32_e32 v28, -1, v24
	v_cmp_lt_u32_e64 s2, 2, v28
	s_delay_alu instid0(VALU_DEP_1) | instskip(NEXT) | instid1(SALU_CYCLE_1)
	s_or_b32 s5, s2, s5
	s_and_not1_b32 exec_lo, exec_lo, s5
	s_cbranch_execnz .LBB9_29
; %bb.30:
	s_or_b32 exec_lo, exec_lo, s5
	v_mov_b32_e32 v10, 0
	ds_load_b64 v[10:11], v10 offset:32
	s_waitcnt lgkmcnt(0)
	v_mul_f64 v[10:11], v[22:23], v[10:11]
.LBB9_31:
	s_or_b32 exec_lo, exec_lo, s4
	s_delay_alu instid0(SALU_CYCLE_1)
	s_mov_b32 s4, exec_lo
	s_barrier
	buffer_gl0_inv
	ds_store_b64 v26, v[12:13]
	s_waitcnt lgkmcnt(0)
	s_barrier
	buffer_gl0_inv
	v_cmpx_gt_u32_e32 5, v0
	s_cbranch_execz .LBB9_35
; %bb.32:
	v_dual_mov_b32 v22, 0 :: v_dual_mov_b32 v25, v1
	v_lshl_add_u32 v27, v0, 3, 0x50
	v_dual_mov_b32 v23, 0 :: v_dual_mov_b32 v24, v0
	s_mov_b32 s5, 0
.LBB9_33:                               ; =>This Inner Loop Header: Depth=1
	s_delay_alu instid0(VALU_DEP_1) | instskip(SKIP_1) | instid1(VALU_DEP_2)
	v_cmp_eq_u32_e64 s2, 1, v24
	v_cmp_eq_u32_e64 s3, 2, v24
	v_cndmask_b32_e64 v28, v3, v5, s2
	v_cndmask_b32_e64 v29, v2, v4, s2
	v_cmp_eq_u32_e64 s2, 3, v24
	s_delay_alu instid0(VALU_DEP_3) | instskip(NEXT) | instid1(VALU_DEP_3)
	v_cndmask_b32_e64 v28, v28, v7, s3
	v_cndmask_b32_e64 v29, v29, v6, s3
	v_cmp_eq_u32_e64 s3, 4, v24
	s_delay_alu instid0(VALU_DEP_3) | instskip(NEXT) | instid1(VALU_DEP_3)
	;; [unrolled: 4-line block ×4, first 2 shown]
	v_cndmask_b32_e64 v30, v28, v13, s2
	v_cndmask_b32_e64 v31, v29, v12, s2
	ds_load_b64 v[28:29], v27
	v_cmp_eq_u32_e64 s2, 7, v24
	v_add_nc_u32_e32 v27, 8, v27
	v_cndmask_b32_e64 v30, v30, v15, s3
	v_cndmask_b32_e64 v31, v31, v14, s3
	v_cmp_eq_u32_e64 s3, 8, v24
	s_delay_alu instid0(VALU_DEP_3) | instskip(NEXT) | instid1(VALU_DEP_3)
	v_cndmask_b32_e64 v30, v30, v17, s2
	v_cndmask_b32_e64 v31, v31, v16, s2
	v_cmp_eq_u32_e64 s2, 9, v24
	s_delay_alu instid0(VALU_DEP_3) | instskip(NEXT) | instid1(VALU_DEP_3)
	v_cndmask_b32_e64 v30, v30, v19, s3
	v_cndmask_b32_e64 v32, v31, v18, s3
	s_delay_alu instid0(VALU_DEP_2) | instskip(NEXT) | instid1(VALU_DEP_2)
	v_cndmask_b32_e64 v31, v30, v21, s2
	v_cndmask_b32_e64 v30, v32, v20, s2
	v_add_co_u32 v24, s2, v24, 1
	s_delay_alu instid0(VALU_DEP_1) | instskip(SKIP_1) | instid1(VALU_DEP_3)
	v_add_co_ci_u32_e64 v25, s2, 0, v25, s2
	s_waitcnt lgkmcnt(0)
	v_fma_f64 v[22:23], v[30:31], v[28:29], v[22:23]
	s_delay_alu instid0(VALU_DEP_3) | instskip(NEXT) | instid1(VALU_DEP_1)
	v_add_nc_u32_e32 v28, -1, v24
	v_cmp_lt_u32_e64 s2, 3, v28
	s_delay_alu instid0(VALU_DEP_1) | instskip(NEXT) | instid1(SALU_CYCLE_1)
	s_or_b32 s5, s2, s5
	s_and_not1_b32 exec_lo, exec_lo, s5
	s_cbranch_execnz .LBB9_33
; %bb.34:
	s_or_b32 exec_lo, exec_lo, s5
	v_mov_b32_e32 v12, 0
	ds_load_b64 v[12:13], v12 offset:40
	s_waitcnt lgkmcnt(0)
	v_mul_f64 v[12:13], v[22:23], v[12:13]
.LBB9_35:
	s_or_b32 exec_lo, exec_lo, s4
	v_cmp_gt_u32_e64 s2, 6, v0
	s_barrier
	buffer_gl0_inv
	ds_store_b64 v26, v[14:15]
	s_waitcnt lgkmcnt(0)
	s_barrier
	buffer_gl0_inv
	s_and_saveexec_b32 s5, s2
	s_cbranch_execz .LBB9_39
; %bb.36:
	v_dual_mov_b32 v22, 0 :: v_dual_mov_b32 v25, v1
	v_lshl_add_u32 v27, v0, 3, 0x50
	v_dual_mov_b32 v23, 0 :: v_dual_mov_b32 v24, v0
	s_mov_b32 s6, 0
.LBB9_37:                               ; =>This Inner Loop Header: Depth=1
	s_delay_alu instid0(VALU_DEP_1) | instskip(SKIP_1) | instid1(VALU_DEP_2)
	v_cmp_eq_u32_e64 s3, 1, v24
	v_cmp_eq_u32_e64 s4, 2, v24
	v_cndmask_b32_e64 v28, v3, v5, s3
	v_cndmask_b32_e64 v29, v2, v4, s3
	v_cmp_eq_u32_e64 s3, 3, v24
	s_delay_alu instid0(VALU_DEP_3) | instskip(NEXT) | instid1(VALU_DEP_3)
	v_cndmask_b32_e64 v28, v28, v7, s4
	v_cndmask_b32_e64 v29, v29, v6, s4
	v_cmp_eq_u32_e64 s4, 4, v24
	s_delay_alu instid0(VALU_DEP_3) | instskip(NEXT) | instid1(VALU_DEP_3)
	;; [unrolled: 4-line block ×4, first 2 shown]
	v_cndmask_b32_e64 v30, v28, v13, s3
	v_cndmask_b32_e64 v31, v29, v12, s3
	ds_load_b64 v[28:29], v27
	v_cmp_eq_u32_e64 s3, 7, v24
	v_add_nc_u32_e32 v27, 8, v27
	v_cndmask_b32_e64 v30, v30, v15, s4
	v_cndmask_b32_e64 v31, v31, v14, s4
	v_cmp_eq_u32_e64 s4, 8, v24
	s_delay_alu instid0(VALU_DEP_3) | instskip(NEXT) | instid1(VALU_DEP_3)
	v_cndmask_b32_e64 v30, v30, v17, s3
	v_cndmask_b32_e64 v31, v31, v16, s3
	v_cmp_eq_u32_e64 s3, 9, v24
	s_delay_alu instid0(VALU_DEP_3) | instskip(NEXT) | instid1(VALU_DEP_3)
	v_cndmask_b32_e64 v30, v30, v19, s4
	v_cndmask_b32_e64 v32, v31, v18, s4
	s_delay_alu instid0(VALU_DEP_2) | instskip(NEXT) | instid1(VALU_DEP_2)
	v_cndmask_b32_e64 v31, v30, v21, s3
	v_cndmask_b32_e64 v30, v32, v20, s3
	v_add_co_u32 v24, s3, v24, 1
	s_delay_alu instid0(VALU_DEP_1) | instskip(SKIP_1) | instid1(VALU_DEP_3)
	v_add_co_ci_u32_e64 v25, s3, 0, v25, s3
	s_waitcnt lgkmcnt(0)
	v_fma_f64 v[22:23], v[30:31], v[28:29], v[22:23]
	s_delay_alu instid0(VALU_DEP_3) | instskip(NEXT) | instid1(VALU_DEP_1)
	v_add_nc_u32_e32 v28, -1, v24
	v_cmp_lt_u32_e64 s3, 4, v28
	s_delay_alu instid0(VALU_DEP_1) | instskip(NEXT) | instid1(SALU_CYCLE_1)
	s_or_b32 s6, s3, s6
	s_and_not1_b32 exec_lo, exec_lo, s6
	s_cbranch_execnz .LBB9_37
; %bb.38:
	s_or_b32 exec_lo, exec_lo, s6
	v_mov_b32_e32 v14, 0
	ds_load_b64 v[14:15], v14 offset:48
	s_waitcnt lgkmcnt(0)
	v_mul_f64 v[14:15], v[22:23], v[14:15]
.LBB9_39:
	s_or_b32 exec_lo, exec_lo, s5
	s_delay_alu instid0(SALU_CYCLE_1)
	s_mov_b32 s5, exec_lo
	s_barrier
	buffer_gl0_inv
	ds_store_b64 v26, v[16:17]
	s_waitcnt lgkmcnt(0)
	s_barrier
	buffer_gl0_inv
	v_cmpx_gt_u32_e32 7, v0
	s_cbranch_execz .LBB9_43
; %bb.40:
	v_dual_mov_b32 v22, 0 :: v_dual_mov_b32 v25, v1
	v_lshl_add_u32 v27, v0, 3, 0x50
	v_dual_mov_b32 v23, 0 :: v_dual_mov_b32 v24, v0
	s_mov_b32 s6, 0
.LBB9_41:                               ; =>This Inner Loop Header: Depth=1
	s_delay_alu instid0(VALU_DEP_1) | instskip(SKIP_1) | instid1(VALU_DEP_2)
	v_cmp_eq_u32_e64 s3, 1, v24
	v_cmp_eq_u32_e64 s4, 2, v24
	v_cndmask_b32_e64 v28, v3, v5, s3
	v_cndmask_b32_e64 v29, v2, v4, s3
	v_cmp_eq_u32_e64 s3, 3, v24
	s_delay_alu instid0(VALU_DEP_3) | instskip(NEXT) | instid1(VALU_DEP_3)
	v_cndmask_b32_e64 v28, v28, v7, s4
	v_cndmask_b32_e64 v29, v29, v6, s4
	v_cmp_eq_u32_e64 s4, 4, v24
	s_delay_alu instid0(VALU_DEP_3) | instskip(NEXT) | instid1(VALU_DEP_3)
	;; [unrolled: 4-line block ×4, first 2 shown]
	v_cndmask_b32_e64 v30, v28, v13, s3
	v_cndmask_b32_e64 v31, v29, v12, s3
	ds_load_b64 v[28:29], v27
	v_cmp_eq_u32_e64 s3, 7, v24
	v_add_nc_u32_e32 v27, 8, v27
	v_cndmask_b32_e64 v30, v30, v15, s4
	v_cndmask_b32_e64 v31, v31, v14, s4
	v_cmp_eq_u32_e64 s4, 8, v24
	s_delay_alu instid0(VALU_DEP_3) | instskip(NEXT) | instid1(VALU_DEP_3)
	v_cndmask_b32_e64 v30, v30, v17, s3
	v_cndmask_b32_e64 v31, v31, v16, s3
	v_cmp_eq_u32_e64 s3, 9, v24
	s_delay_alu instid0(VALU_DEP_3) | instskip(NEXT) | instid1(VALU_DEP_3)
	v_cndmask_b32_e64 v30, v30, v19, s4
	v_cndmask_b32_e64 v32, v31, v18, s4
	s_delay_alu instid0(VALU_DEP_2) | instskip(NEXT) | instid1(VALU_DEP_2)
	v_cndmask_b32_e64 v31, v30, v21, s3
	v_cndmask_b32_e64 v30, v32, v20, s3
	v_add_co_u32 v24, s3, v24, 1
	s_delay_alu instid0(VALU_DEP_1) | instskip(SKIP_1) | instid1(VALU_DEP_3)
	v_add_co_ci_u32_e64 v25, s3, 0, v25, s3
	s_waitcnt lgkmcnt(0)
	v_fma_f64 v[22:23], v[30:31], v[28:29], v[22:23]
	s_delay_alu instid0(VALU_DEP_3) | instskip(NEXT) | instid1(VALU_DEP_1)
	v_add_nc_u32_e32 v28, -1, v24
	v_cmp_lt_u32_e64 s3, 5, v28
	s_delay_alu instid0(VALU_DEP_1) | instskip(NEXT) | instid1(SALU_CYCLE_1)
	s_or_b32 s6, s3, s6
	s_and_not1_b32 exec_lo, exec_lo, s6
	s_cbranch_execnz .LBB9_41
; %bb.42:
	s_or_b32 exec_lo, exec_lo, s6
	v_mov_b32_e32 v16, 0
	ds_load_b64 v[16:17], v16 offset:56
	s_waitcnt lgkmcnt(0)
	v_mul_f64 v[16:17], v[22:23], v[16:17]
.LBB9_43:
	s_or_b32 exec_lo, exec_lo, s5
	s_delay_alu instid0(SALU_CYCLE_1)
	s_mov_b32 s4, exec_lo
	s_barrier
	buffer_gl0_inv
	ds_store_b64 v26, v[18:19]
	s_waitcnt lgkmcnt(0)
	s_barrier
	buffer_gl0_inv
	v_cmpx_gt_u32_e32 8, v0
	s_cbranch_execz .LBB9_59
; %bb.44:
	v_cmp_eq_u32_e64 s3, 1, v0
	s_mov_b32 s5, exec_lo
	s_delay_alu instid0(VALU_DEP_1) | instskip(SKIP_2) | instid1(VALU_DEP_1)
	v_cndmask_b32_e64 v22, v3, v5, s3
	v_cndmask_b32_e64 v23, v2, v4, s3
	v_cmp_eq_u32_e64 s3, 2, v0
	v_cndmask_b32_e64 v22, v22, v7, s3
	s_delay_alu instid0(VALU_DEP_3) | instskip(SKIP_1) | instid1(VALU_DEP_1)
	v_cndmask_b32_e64 v23, v23, v6, s3
	v_cmp_eq_u32_e64 s3, 3, v0
	v_cndmask_b32_e64 v22, v22, v9, s3
	s_delay_alu instid0(VALU_DEP_3) | instskip(SKIP_1) | instid1(VALU_DEP_1)
	;; [unrolled: 4-line block ×4, first 2 shown]
	v_cndmask_b32_e64 v23, v23, v12, s3
	v_cmp_eq_u32_e64 s3, 6, v0
	v_cndmask_b32_e64 v24, v22, v15, s3
	s_delay_alu instid0(VALU_DEP_3)
	v_cndmask_b32_e64 v25, v23, v14, s3
	v_cmp_eq_u32_e64 s3, 7, v0
	ds_load_b64 v[22:23], v26
	v_cndmask_b32_e64 v24, v24, v17, s3
	v_cndmask_b32_e64 v25, v25, v16, s3
	v_cmp_eq_u32_e64 s3, 8, v0
	s_delay_alu instid0(VALU_DEP_1) | instskip(NEXT) | instid1(VALU_DEP_3)
	v_cndmask_b32_e64 v24, v24, v19, s3
	v_cndmask_b32_e64 v27, v25, v18, s3
	v_cmp_eq_u32_e64 s3, 9, v0
	s_delay_alu instid0(VALU_DEP_1) | instskip(NEXT) | instid1(VALU_DEP_3)
	v_cndmask_b32_e64 v25, v24, v21, s3
	v_cndmask_b32_e64 v24, v27, v20, s3
	s_waitcnt lgkmcnt(0)
	s_delay_alu instid0(VALU_DEP_1)
	v_fma_f64 v[22:23], v[24:25], v[22:23], 0
	v_cmpx_ne_u32_e32 7, v0
	s_cbranch_execz .LBB9_58
; %bb.45:
	v_add_nc_u32_e32 v27, 1, v0
	s_delay_alu instid0(VALU_DEP_1) | instskip(NEXT) | instid1(VALU_DEP_1)
	v_cmp_eq_u32_e64 s3, 1, v27
	v_cndmask_b32_e64 v24, v3, v5, s3
	v_cndmask_b32_e64 v25, v2, v4, s3
	v_cmp_eq_u32_e64 s3, 2, v27
	s_delay_alu instid0(VALU_DEP_1) | instskip(NEXT) | instid1(VALU_DEP_3)
	v_cndmask_b32_e64 v24, v24, v7, s3
	v_cndmask_b32_e64 v25, v25, v6, s3
	v_cmp_eq_u32_e64 s3, 3, v27
	s_delay_alu instid0(VALU_DEP_1) | instskip(NEXT) | instid1(VALU_DEP_3)
	;; [unrolled: 4-line block ×5, first 2 shown]
	v_cndmask_b32_e64 v28, v24, v15, s3
	v_cndmask_b32_e64 v29, v25, v14, s3
	v_cmp_eq_u32_e64 s3, 7, v27
	ds_load_b64 v[24:25], v26 offset:8
	v_cndmask_b32_e64 v28, v28, v17, s3
	v_cndmask_b32_e64 v29, v29, v16, s3
	v_cmp_eq_u32_e64 s3, 8, v27
	s_delay_alu instid0(VALU_DEP_1) | instskip(NEXT) | instid1(VALU_DEP_3)
	v_cndmask_b32_e64 v28, v28, v19, s3
	v_cndmask_b32_e64 v29, v29, v18, s3
	v_cmp_eq_u32_e64 s3, 9, v27
	s_delay_alu instid0(VALU_DEP_1) | instskip(NEXT) | instid1(VALU_DEP_3)
	v_cndmask_b32_e64 v28, v28, v21, s3
	v_cndmask_b32_e64 v27, v29, v20, s3
	s_waitcnt lgkmcnt(0)
	s_delay_alu instid0(VALU_DEP_1)
	v_fma_f64 v[22:23], v[27:28], v[24:25], v[22:23]
	s_and_saveexec_b32 s3, s2
	s_cbranch_execz .LBB9_57
; %bb.46:
	v_add_nc_u32_e32 v27, 2, v0
	s_mov_b32 s6, exec_lo
	s_delay_alu instid0(VALU_DEP_1) | instskip(NEXT) | instid1(VALU_DEP_1)
	v_cmp_eq_u32_e64 s2, 1, v27
	v_cndmask_b32_e64 v24, v3, v5, s2
	v_cndmask_b32_e64 v25, v2, v4, s2
	v_cmp_eq_u32_e64 s2, 2, v27
	s_delay_alu instid0(VALU_DEP_1) | instskip(NEXT) | instid1(VALU_DEP_3)
	v_cndmask_b32_e64 v24, v24, v7, s2
	v_cndmask_b32_e64 v25, v25, v6, s2
	v_cmp_eq_u32_e64 s2, 3, v27
	s_delay_alu instid0(VALU_DEP_1) | instskip(NEXT) | instid1(VALU_DEP_3)
	;; [unrolled: 4-line block ×5, first 2 shown]
	v_cndmask_b32_e64 v28, v24, v15, s2
	v_cndmask_b32_e64 v29, v25, v14, s2
	v_cmp_eq_u32_e64 s2, 7, v27
	ds_load_b64 v[24:25], v26 offset:16
	v_cndmask_b32_e64 v28, v28, v17, s2
	v_cndmask_b32_e64 v29, v29, v16, s2
	v_cmp_eq_u32_e64 s2, 8, v27
	s_delay_alu instid0(VALU_DEP_1) | instskip(NEXT) | instid1(VALU_DEP_3)
	v_cndmask_b32_e64 v28, v28, v19, s2
	v_cndmask_b32_e64 v29, v29, v18, s2
	v_cmp_eq_u32_e64 s2, 9, v27
	s_delay_alu instid0(VALU_DEP_1) | instskip(NEXT) | instid1(VALU_DEP_3)
	v_cndmask_b32_e64 v28, v28, v21, s2
	v_cndmask_b32_e64 v27, v29, v20, s2
	s_waitcnt lgkmcnt(0)
	s_delay_alu instid0(VALU_DEP_1)
	v_fma_f64 v[22:23], v[27:28], v[24:25], v[22:23]
	v_cmpx_ne_u32_e32 5, v0
	s_cbranch_execz .LBB9_56
; %bb.47:
	v_add_nc_u32_e32 v27, 3, v0
	s_delay_alu instid0(VALU_DEP_1) | instskip(NEXT) | instid1(VALU_DEP_1)
	v_cmp_eq_u32_e64 s2, 1, v27
	v_cndmask_b32_e64 v24, v3, v5, s2
	v_cndmask_b32_e64 v25, v2, v4, s2
	v_cmp_eq_u32_e64 s2, 2, v27
	s_delay_alu instid0(VALU_DEP_1) | instskip(NEXT) | instid1(VALU_DEP_3)
	v_cndmask_b32_e64 v24, v24, v7, s2
	v_cndmask_b32_e64 v25, v25, v6, s2
	v_cmp_eq_u32_e64 s2, 3, v27
	s_delay_alu instid0(VALU_DEP_1) | instskip(NEXT) | instid1(VALU_DEP_3)
	;; [unrolled: 4-line block ×5, first 2 shown]
	v_cndmask_b32_e64 v28, v24, v15, s2
	v_cndmask_b32_e64 v29, v25, v14, s2
	v_cmp_eq_u32_e64 s2, 7, v27
	ds_load_b64 v[24:25], v26 offset:24
	v_cndmask_b32_e64 v28, v28, v17, s2
	v_cndmask_b32_e64 v29, v29, v16, s2
	v_cmp_eq_u32_e64 s2, 8, v27
	s_delay_alu instid0(VALU_DEP_1) | instskip(NEXT) | instid1(VALU_DEP_3)
	v_cndmask_b32_e64 v28, v28, v19, s2
	v_cndmask_b32_e64 v29, v29, v18, s2
	v_cmp_eq_u32_e64 s2, 9, v27
	s_delay_alu instid0(VALU_DEP_1) | instskip(NEXT) | instid1(VALU_DEP_3)
	v_cndmask_b32_e64 v28, v28, v21, s2
	v_cndmask_b32_e64 v27, v29, v20, s2
	s_waitcnt lgkmcnt(0)
	s_delay_alu instid0(VALU_DEP_1)
	v_fma_f64 v[22:23], v[27:28], v[24:25], v[22:23]
	s_and_saveexec_b32 s2, s1
	s_cbranch_execz .LBB9_55
; %bb.48:
	v_or_b32_e32 v27, 4, v0
	s_mov_b32 s7, exec_lo
	s_delay_alu instid0(VALU_DEP_1) | instskip(NEXT) | instid1(VALU_DEP_1)
	v_cmp_eq_u32_e64 s1, 1, v27
	v_cndmask_b32_e64 v24, v3, v5, s1
	v_cndmask_b32_e64 v25, v2, v4, s1
	v_cmp_eq_u32_e64 s1, 2, v27
	s_delay_alu instid0(VALU_DEP_1) | instskip(NEXT) | instid1(VALU_DEP_3)
	v_cndmask_b32_e64 v24, v24, v7, s1
	v_cndmask_b32_e64 v25, v25, v6, s1
	v_cmp_eq_u32_e64 s1, 3, v27
	s_delay_alu instid0(VALU_DEP_1) | instskip(NEXT) | instid1(VALU_DEP_3)
	;; [unrolled: 4-line block ×5, first 2 shown]
	v_cndmask_b32_e64 v28, v24, v15, s1
	v_cndmask_b32_e64 v29, v25, v14, s1
	v_cmp_eq_u32_e64 s1, 7, v27
	ds_load_b64 v[24:25], v26 offset:32
	v_cndmask_b32_e64 v28, v28, v17, s1
	v_cndmask_b32_e64 v29, v29, v16, s1
	v_cmp_eq_u32_e64 s1, 8, v27
	s_delay_alu instid0(VALU_DEP_1) | instskip(NEXT) | instid1(VALU_DEP_3)
	v_cndmask_b32_e64 v28, v28, v19, s1
	v_cndmask_b32_e64 v29, v29, v18, s1
	v_cmp_eq_u32_e64 s1, 9, v27
	s_delay_alu instid0(VALU_DEP_1) | instskip(NEXT) | instid1(VALU_DEP_3)
	v_cndmask_b32_e64 v28, v28, v21, s1
	v_cndmask_b32_e64 v27, v29, v20, s1
	s_waitcnt lgkmcnt(0)
	s_delay_alu instid0(VALU_DEP_1)
	v_fma_f64 v[22:23], v[27:28], v[24:25], v[22:23]
	v_cmpx_ne_u32_e32 3, v0
	s_cbranch_execz .LBB9_54
; %bb.49:
	v_add_nc_u32_e32 v27, 5, v0
	s_delay_alu instid0(VALU_DEP_1) | instskip(NEXT) | instid1(VALU_DEP_1)
	v_cmp_eq_u32_e64 s1, 1, v27
	v_cndmask_b32_e64 v24, v3, v5, s1
	v_cndmask_b32_e64 v25, v2, v4, s1
	v_cmp_eq_u32_e64 s1, 2, v27
	s_delay_alu instid0(VALU_DEP_1) | instskip(NEXT) | instid1(VALU_DEP_3)
	v_cndmask_b32_e64 v24, v24, v7, s1
	v_cndmask_b32_e64 v25, v25, v6, s1
	v_cmp_eq_u32_e64 s1, 3, v27
	s_delay_alu instid0(VALU_DEP_1) | instskip(NEXT) | instid1(VALU_DEP_3)
	v_cndmask_b32_e64 v24, v24, v9, s1
	v_cndmask_b32_e64 v25, v25, v8, s1
	v_cmp_eq_u32_e64 s1, 4, v27
	s_delay_alu instid0(VALU_DEP_1) | instskip(NEXT) | instid1(VALU_DEP_3)
	v_cndmask_b32_e64 v24, v24, v11, s1
	v_cndmask_b32_e64 v25, v25, v10, s1
	v_cmp_eq_u32_e64 s1, 5, v27
	s_delay_alu instid0(VALU_DEP_1) | instskip(NEXT) | instid1(VALU_DEP_3)
	v_cndmask_b32_e64 v24, v24, v13, s1
	v_cndmask_b32_e64 v25, v25, v12, s1
	v_cmp_eq_u32_e64 s1, 6, v27
	s_delay_alu instid0(VALU_DEP_1) | instskip(NEXT) | instid1(VALU_DEP_3)
	v_cndmask_b32_e64 v28, v24, v15, s1
	v_cndmask_b32_e64 v29, v25, v14, s1
	v_cmp_eq_u32_e64 s1, 7, v27
	ds_load_b64 v[24:25], v26 offset:40
	v_cndmask_b32_e64 v28, v28, v17, s1
	v_cndmask_b32_e64 v29, v29, v16, s1
	v_cmp_eq_u32_e64 s1, 8, v27
	s_delay_alu instid0(VALU_DEP_1) | instskip(NEXT) | instid1(VALU_DEP_3)
	v_cndmask_b32_e64 v28, v28, v19, s1
	v_cndmask_b32_e64 v29, v29, v18, s1
	v_cmp_eq_u32_e64 s1, 9, v27
	s_delay_alu instid0(VALU_DEP_1) | instskip(NEXT) | instid1(VALU_DEP_3)
	v_cndmask_b32_e64 v28, v28, v21, s1
	v_cndmask_b32_e64 v27, v29, v20, s1
	s_waitcnt lgkmcnt(0)
	s_delay_alu instid0(VALU_DEP_1)
	v_fma_f64 v[22:23], v[27:28], v[24:25], v[22:23]
	s_and_saveexec_b32 s1, vcc_lo
	s_cbranch_execz .LBB9_53
; %bb.50:
	v_or_b32_e32 v27, 6, v0
	s_delay_alu instid0(VALU_DEP_1) | instskip(SKIP_2) | instid1(VALU_DEP_2)
	v_cmp_eq_u32_e32 vcc_lo, 1, v27
	v_dual_cndmask_b32 v24, v3, v5 :: v_dual_cndmask_b32 v25, v2, v4
	v_cmp_eq_u32_e32 vcc_lo, 2, v27
	v_dual_cndmask_b32 v24, v24, v7 :: v_dual_cndmask_b32 v25, v25, v6
	v_cmp_eq_u32_e32 vcc_lo, 3, v27
	s_delay_alu instid0(VALU_DEP_2) | instskip(SKIP_1) | instid1(VALU_DEP_2)
	v_dual_cndmask_b32 v24, v24, v9 :: v_dual_cndmask_b32 v25, v25, v8
	v_cmp_eq_u32_e32 vcc_lo, 4, v27
	v_dual_cndmask_b32 v24, v24, v11 :: v_dual_cndmask_b32 v25, v25, v10
	v_cmp_eq_u32_e32 vcc_lo, 5, v27
	s_delay_alu instid0(VALU_DEP_2) | instskip(SKIP_1) | instid1(VALU_DEP_2)
	v_dual_cndmask_b32 v24, v24, v13 :: v_dual_cndmask_b32 v25, v25, v12
	v_cmp_eq_u32_e32 vcc_lo, 6, v27
	v_dual_cndmask_b32 v28, v24, v15 :: v_dual_cndmask_b32 v29, v25, v14
	v_cmp_eq_u32_e32 vcc_lo, 7, v27
	ds_load_b64 v[24:25], v26 offset:48
	v_dual_cndmask_b32 v28, v28, v17 :: v_dual_cndmask_b32 v29, v29, v16
	v_cmp_eq_u32_e32 vcc_lo, 8, v27
	s_delay_alu instid0(VALU_DEP_2) | instskip(SKIP_1) | instid1(VALU_DEP_2)
	v_dual_cndmask_b32 v19, v28, v19 :: v_dual_cndmask_b32 v18, v29, v18
	v_cmp_eq_u32_e32 vcc_lo, 9, v27
	v_dual_cndmask_b32 v19, v19, v21 :: v_dual_cndmask_b32 v18, v18, v20
	s_waitcnt lgkmcnt(0)
	s_delay_alu instid0(VALU_DEP_1)
	v_fma_f64 v[22:23], v[18:19], v[24:25], v[22:23]
	s_and_saveexec_b32 s8, s0
	s_cbranch_execz .LBB9_52
; %bb.51:
	ds_load_b64 v[18:19], v26 offset:56
	s_waitcnt lgkmcnt(0)
	v_fma_f64 v[22:23], v[16:17], v[18:19], v[22:23]
.LBB9_52:
	s_or_b32 exec_lo, exec_lo, s8
.LBB9_53:
	s_delay_alu instid0(SALU_CYCLE_1)
	s_or_b32 exec_lo, exec_lo, s1
.LBB9_54:
	s_delay_alu instid0(SALU_CYCLE_1)
	s_or_b32 exec_lo, exec_lo, s7
.LBB9_55:
	s_delay_alu instid0(SALU_CYCLE_1)
	s_or_b32 exec_lo, exec_lo, s2
.LBB9_56:
	s_delay_alu instid0(SALU_CYCLE_1)
	s_or_b32 exec_lo, exec_lo, s6
.LBB9_57:
	s_delay_alu instid0(SALU_CYCLE_1)
	s_or_b32 exec_lo, exec_lo, s3
.LBB9_58:
	s_delay_alu instid0(SALU_CYCLE_1)
	s_or_b32 exec_lo, exec_lo, s5
	v_mov_b32_e32 v18, 0
	ds_load_b64 v[18:19], v18 offset:64
	s_waitcnt lgkmcnt(0)
	v_mul_f64 v[18:19], v[22:23], v[18:19]
.LBB9_59:
	s_or_b32 exec_lo, exec_lo, s4
	s_delay_alu instid0(SALU_CYCLE_1)
	s_mov_b32 s1, exec_lo
	s_barrier
	buffer_gl0_inv
	ds_store_b64 v26, v[20:21]
	s_waitcnt lgkmcnt(0)
	s_barrier
	buffer_gl0_inv
	v_cmpx_ne_u32_e32 9, v0
	s_cbranch_execz .LBB9_63
; %bb.60:
	v_dual_mov_b32 v22, 0 :: v_dual_mov_b32 v25, v1
	v_lshl_add_u32 v26, v0, 3, 0x50
	v_dual_mov_b32 v23, 0 :: v_dual_mov_b32 v24, v0
	s_mov_b32 s2, 0
.LBB9_61:                               ; =>This Inner Loop Header: Depth=1
	s_delay_alu instid0(VALU_DEP_1) | instskip(SKIP_4) | instid1(VALU_DEP_3)
	v_cmp_eq_u32_e32 vcc_lo, 1, v24
	v_cmp_eq_u32_e64 s0, 2, v24
	v_cndmask_b32_e32 v1, v3, v5, vcc_lo
	v_cndmask_b32_e32 v27, v2, v4, vcc_lo
	v_cmp_eq_u32_e32 vcc_lo, 3, v24
	v_cndmask_b32_e64 v1, v1, v7, s0
	s_delay_alu instid0(VALU_DEP_3) | instskip(SKIP_1) | instid1(VALU_DEP_3)
	v_cndmask_b32_e64 v27, v27, v6, s0
	v_cmp_eq_u32_e64 s0, 4, v24
	v_cndmask_b32_e32 v1, v1, v9, vcc_lo
	s_delay_alu instid0(VALU_DEP_3) | instskip(SKIP_1) | instid1(VALU_DEP_3)
	v_cndmask_b32_e32 v27, v27, v8, vcc_lo
	v_cmp_eq_u32_e32 vcc_lo, 5, v24
	v_cndmask_b32_e64 v1, v1, v11, s0
	s_delay_alu instid0(VALU_DEP_3) | instskip(SKIP_1) | instid1(VALU_DEP_3)
	v_cndmask_b32_e64 v27, v27, v10, s0
	v_cmp_eq_u32_e64 s0, 6, v24
	v_cndmask_b32_e32 v1, v1, v13, vcc_lo
	s_delay_alu instid0(VALU_DEP_3)
	v_cndmask_b32_e32 v29, v27, v12, vcc_lo
	ds_load_b64 v[27:28], v26
	v_cmp_eq_u32_e32 vcc_lo, 7, v24
	v_add_nc_u32_e32 v26, 8, v26
	v_cndmask_b32_e64 v1, v1, v15, s0
	v_cndmask_b32_e64 v29, v29, v14, s0
	v_cmp_eq_u32_e64 s0, 8, v24
	s_delay_alu instid0(VALU_DEP_3) | instskip(NEXT) | instid1(VALU_DEP_3)
	v_cndmask_b32_e32 v1, v1, v17, vcc_lo
	v_cndmask_b32_e32 v29, v29, v16, vcc_lo
	v_cmp_eq_u32_e32 vcc_lo, 9, v24
	s_delay_alu instid0(VALU_DEP_3) | instskip(NEXT) | instid1(VALU_DEP_3)
	v_cndmask_b32_e64 v1, v1, v19, s0
	v_cndmask_b32_e64 v29, v29, v18, s0
	s_delay_alu instid0(VALU_DEP_2) | instskip(NEXT) | instid1(VALU_DEP_2)
	v_cndmask_b32_e32 v30, v1, v21, vcc_lo
	v_cndmask_b32_e32 v29, v29, v20, vcc_lo
	v_add_co_u32 v24, vcc_lo, v24, 1
	v_add_co_ci_u32_e32 v25, vcc_lo, 0, v25, vcc_lo
	s_waitcnt lgkmcnt(0)
	s_delay_alu instid0(VALU_DEP_3) | instskip(NEXT) | instid1(VALU_DEP_3)
	v_fma_f64 v[22:23], v[29:30], v[27:28], v[22:23]
	v_add_nc_u32_e32 v1, -1, v24
	s_delay_alu instid0(VALU_DEP_1) | instskip(SKIP_1) | instid1(SALU_CYCLE_1)
	v_cmp_lt_u32_e32 vcc_lo, 7, v1
	s_or_b32 s2, vcc_lo, s2
	s_and_not1_b32 exec_lo, exec_lo, s2
	s_cbranch_execnz .LBB9_61
; %bb.62:
	s_or_b32 exec_lo, exec_lo, s2
	v_mov_b32_e32 v1, 0
	ds_load_b64 v[20:21], v1 offset:72
	s_waitcnt lgkmcnt(0)
	v_mul_f64 v[20:21], v[22:23], v[20:21]
.LBB9_63:
	s_or_b32 exec_lo, exec_lo, s1
	s_barrier
	buffer_gl0_inv
	s_cbranch_execnz .LBB9_15
	s_branch .LBB9_16
.LBB9_64:
	v_lshl_add_u32 v1, v0, 3, 0x50
	s_mov_b32 s0, exec_lo
	v_cmpx_eq_u32_e32 9, v0
	s_cbranch_execz .LBB9_66
; %bb.65:
	v_dual_mov_b32 v38, 0 :: v_dual_mov_b32 v23, v3
	v_dual_mov_b32 v22, v2 :: v_dual_mov_b32 v25, v5
	;; [unrolled: 1-line block ×4, first 2 shown]
	s_delay_alu instid0(VALU_DEP_4)
	v_dual_mov_b32 v36, v16 :: v_dual_mov_b32 v39, v38
	v_dual_mov_b32 v40, v20 :: v_dual_mov_b32 v41, v21
	;; [unrolled: 1-line block ×6, first 2 shown]
	ds_store_b64 v1, v[18:19]
	v_mov_b32_e32 v2, v22
	v_dual_mov_b32 v3, v23 :: v_dual_mov_b32 v4, v24
	v_dual_mov_b32 v5, v25 :: v_dual_mov_b32 v6, v26
	;; [unrolled: 1-line block ×10, first 2 shown]
	v_mov_b32_e32 v23, v43
	v_mov_b32_e32 v24, v44
	;; [unrolled: 1-line block ×11, first 2 shown]
.LBB9_66:
	s_or_b32 exec_lo, exec_lo, s0
	v_mov_b32_e32 v36, 0
	s_waitcnt lgkmcnt(0)
	s_waitcnt_vscnt null, 0x0
	s_barrier
	buffer_gl0_inv
	s_mov_b32 s0, exec_lo
	ds_load_b64 v[22:23], v36 offset:152
	s_waitcnt lgkmcnt(0)
	v_fma_f64 v[22:23], v[20:21], v[22:23], 0
	s_delay_alu instid0(VALU_DEP_1)
	v_add_f64 v[18:19], v[18:19], -v[22:23]
	v_cmpx_lt_u32_e32 7, v0
	s_cbranch_execz .LBB9_68
; %bb.67:
	v_dual_mov_b32 v22, v2 :: v_dual_mov_b32 v23, v3
	v_dual_mov_b32 v34, v14 :: v_dual_mov_b32 v35, v15
	s_delay_alu instid0(VALU_DEP_4)
	v_dual_mov_b32 v37, v36 :: v_dual_mov_b32 v38, v18
	v_dual_mov_b32 v39, v19 :: v_dual_mov_b32 v40, v20
	;; [unrolled: 1-line block ×7, first 2 shown]
	v_mov_b32_e32 v33, v13
	ds_store_b64 v1, v[16:17]
	v_mov_b32_e32 v2, v22
	v_dual_mov_b32 v3, v23 :: v_dual_mov_b32 v4, v24
	v_dual_mov_b32 v5, v25 :: v_dual_mov_b32 v6, v26
	;; [unrolled: 1-line block ×10, first 2 shown]
	v_mov_b32_e32 v23, v43
	v_mov_b32_e32 v24, v44
	;; [unrolled: 1-line block ×11, first 2 shown]
.LBB9_68:
	s_or_b32 exec_lo, exec_lo, s0
	s_waitcnt lgkmcnt(0)
	s_barrier
	buffer_gl0_inv
	ds_load_b128 v[22:25], v36 offset:144
	s_mov_b32 s0, exec_lo
	s_waitcnt lgkmcnt(0)
	v_fma_f64 v[22:23], v[18:19], v[22:23], 0
	s_delay_alu instid0(VALU_DEP_1) | instskip(NEXT) | instid1(VALU_DEP_1)
	v_fma_f64 v[22:23], v[20:21], v[24:25], v[22:23]
	v_add_f64 v[16:17], v[16:17], -v[22:23]
	v_cmpx_lt_u32_e32 6, v0
	s_cbranch_execz .LBB9_70
; %bb.69:
	v_dual_mov_b32 v34, 0 :: v_dual_mov_b32 v23, v3
	v_dual_mov_b32 v22, v2 :: v_dual_mov_b32 v25, v5
	s_delay_alu instid0(VALU_DEP_2)
	v_dual_mov_b32 v32, v12 :: v_dual_mov_b32 v35, v34
	v_dual_mov_b32 v36, v16 :: v_dual_mov_b32 v37, v17
	;; [unrolled: 1-line block ×8, first 2 shown]
	ds_store_b64 v1, v[14:15]
	v_mov_b32_e32 v2, v22
	v_dual_mov_b32 v3, v23 :: v_dual_mov_b32 v4, v24
	v_dual_mov_b32 v5, v25 :: v_dual_mov_b32 v6, v26
	;; [unrolled: 1-line block ×10, first 2 shown]
	v_mov_b32_e32 v23, v43
	v_mov_b32_e32 v24, v44
	;; [unrolled: 1-line block ×11, first 2 shown]
.LBB9_70:
	s_or_b32 exec_lo, exec_lo, s0
	v_mov_b32_e32 v34, 0
	s_waitcnt lgkmcnt(0)
	s_barrier
	buffer_gl0_inv
	s_mov_b32 s0, exec_lo
	ds_load_2addr_b64 v[22:25], v34 offset0:17 offset1:18
	ds_load_b64 v[26:27], v34 offset:152
	s_waitcnt lgkmcnt(1)
	v_fma_f64 v[22:23], v[16:17], v[22:23], 0
	s_delay_alu instid0(VALU_DEP_1) | instskip(SKIP_1) | instid1(VALU_DEP_1)
	v_fma_f64 v[22:23], v[18:19], v[24:25], v[22:23]
	s_waitcnt lgkmcnt(0)
	v_fma_f64 v[22:23], v[20:21], v[26:27], v[22:23]
	s_delay_alu instid0(VALU_DEP_1)
	v_add_f64 v[14:15], v[14:15], -v[22:23]
	v_cmpx_lt_u32_e32 5, v0
	s_cbranch_execz .LBB9_72
; %bb.71:
	v_dual_mov_b32 v24, v2 :: v_dual_mov_b32 v25, v3
	v_dual_mov_b32 v35, v34 :: v_dual_mov_b32 v38, v16
	s_delay_alu instid0(VALU_DEP_4)
	v_dual_mov_b32 v36, v14 :: v_dual_mov_b32 v37, v15
	v_dual_mov_b32 v39, v17 :: v_dual_mov_b32 v40, v18
	;; [unrolled: 1-line block ×7, first 2 shown]
	v_mov_b32_e32 v33, v11
	ds_store_b64 v1, v[12:13]
	v_mov_b32_e32 v2, v24
	v_dual_mov_b32 v3, v25 :: v_dual_mov_b32 v4, v26
	v_dual_mov_b32 v5, v27 :: v_dual_mov_b32 v6, v28
	;; [unrolled: 1-line block ×11, first 2 shown]
	v_mov_b32_e32 v25, v47
	v_mov_b32_e32 v26, v48
	;; [unrolled: 1-line block ×9, first 2 shown]
.LBB9_72:
	s_or_b32 exec_lo, exec_lo, s0
	s_waitcnt lgkmcnt(0)
	s_barrier
	buffer_gl0_inv
	ds_load_b128 v[22:25], v34 offset:128
	ds_load_b128 v[26:29], v34 offset:144
	s_mov_b32 s0, exec_lo
	s_waitcnt lgkmcnt(1)
	v_fma_f64 v[22:23], v[14:15], v[22:23], 0
	s_delay_alu instid0(VALU_DEP_1) | instskip(SKIP_1) | instid1(VALU_DEP_1)
	v_fma_f64 v[22:23], v[16:17], v[24:25], v[22:23]
	s_waitcnt lgkmcnt(0)
	v_fma_f64 v[22:23], v[18:19], v[26:27], v[22:23]
	s_delay_alu instid0(VALU_DEP_1) | instskip(NEXT) | instid1(VALU_DEP_1)
	v_fma_f64 v[22:23], v[20:21], v[28:29], v[22:23]
	v_add_f64 v[12:13], v[12:13], -v[22:23]
	v_cmpx_lt_u32_e32 4, v0
	s_cbranch_execz .LBB9_74
; %bb.73:
	v_dual_mov_b32 v30, 0 :: v_dual_mov_b32 v23, v3
	v_dual_mov_b32 v22, v2 :: v_dual_mov_b32 v25, v5
	v_dual_mov_b32 v34, v14 :: v_dual_mov_b32 v35, v15
	v_dual_mov_b32 v36, v16 :: v_dual_mov_b32 v37, v17
	v_dual_mov_b32 v38, v18 :: v_dual_mov_b32 v39, v19
	v_dual_mov_b32 v40, v20 :: v_dual_mov_b32 v41, v21
	v_dual_mov_b32 v24, v4 :: v_dual_mov_b32 v27, v7
	v_dual_mov_b32 v26, v6 :: v_dual_mov_b32 v29, v9
	v_dual_mov_b32 v28, v8 :: v_dual_mov_b32 v31, v30
	v_dual_mov_b32 v32, v12 :: v_dual_mov_b32 v33, v13
	ds_store_b64 v1, v[10:11]
	v_mov_b32_e32 v2, v22
	v_dual_mov_b32 v3, v23 :: v_dual_mov_b32 v4, v24
	v_dual_mov_b32 v5, v25 :: v_dual_mov_b32 v6, v26
	;; [unrolled: 1-line block ×10, first 2 shown]
	v_mov_b32_e32 v23, v43
	v_mov_b32_e32 v24, v44
	;; [unrolled: 1-line block ×11, first 2 shown]
.LBB9_74:
	s_or_b32 exec_lo, exec_lo, s0
	v_mov_b32_e32 v34, 0
	s_waitcnt lgkmcnt(0)
	s_barrier
	buffer_gl0_inv
	s_mov_b32 s0, exec_lo
	ds_load_2addr_b64 v[22:25], v34 offset0:15 offset1:16
	ds_load_2addr_b64 v[26:29], v34 offset0:17 offset1:18
	s_waitcnt lgkmcnt(1)
	v_fma_f64 v[22:23], v[12:13], v[22:23], 0
	s_delay_alu instid0(VALU_DEP_1) | instskip(SKIP_3) | instid1(VALU_DEP_1)
	v_fma_f64 v[22:23], v[14:15], v[24:25], v[22:23]
	ds_load_b64 v[24:25], v34 offset:152
	s_waitcnt lgkmcnt(1)
	v_fma_f64 v[22:23], v[16:17], v[26:27], v[22:23]
	v_fma_f64 v[22:23], v[18:19], v[28:29], v[22:23]
	s_waitcnt lgkmcnt(0)
	s_delay_alu instid0(VALU_DEP_1) | instskip(NEXT) | instid1(VALU_DEP_1)
	v_fma_f64 v[22:23], v[20:21], v[24:25], v[22:23]
	v_add_f64 v[10:11], v[10:11], -v[22:23]
	v_cmpx_lt_u32_e32 3, v0
	s_cbranch_execz .LBB9_76
; %bb.75:
	v_dual_mov_b32 v28, v2 :: v_dual_mov_b32 v29, v3
	v_dual_mov_b32 v35, v34 :: v_dual_mov_b32 v38, v12
	s_delay_alu instid0(VALU_DEP_4)
	v_dual_mov_b32 v36, v10 :: v_dual_mov_b32 v37, v11
	v_dual_mov_b32 v39, v13 :: v_dual_mov_b32 v40, v14
	;; [unrolled: 1-line block ×7, first 2 shown]
	v_mov_b32_e32 v33, v7
	ds_store_b64 v1, v[8:9]
	v_mov_b32_e32 v2, v28
	v_dual_mov_b32 v3, v29 :: v_dual_mov_b32 v4, v30
	v_dual_mov_b32 v5, v31 :: v_dual_mov_b32 v6, v32
	;; [unrolled: 1-line block ×13, first 2 shown]
	v_mov_b32_e32 v29, v55
	v_mov_b32_e32 v30, v56
	;; [unrolled: 1-line block ×5, first 2 shown]
.LBB9_76:
	s_or_b32 exec_lo, exec_lo, s0
	s_waitcnt lgkmcnt(0)
	s_barrier
	buffer_gl0_inv
	ds_load_b128 v[22:25], v34 offset:112
	ds_load_b128 v[26:29], v34 offset:128
	s_mov_b32 s0, exec_lo
	s_waitcnt lgkmcnt(1)
	v_fma_f64 v[22:23], v[10:11], v[22:23], 0
	s_delay_alu instid0(VALU_DEP_1) | instskip(SKIP_1) | instid1(VALU_DEP_1)
	v_fma_f64 v[22:23], v[12:13], v[24:25], v[22:23]
	s_waitcnt lgkmcnt(0)
	v_fma_f64 v[22:23], v[14:15], v[26:27], v[22:23]
	s_delay_alu instid0(VALU_DEP_1) | instskip(SKIP_3) | instid1(VALU_DEP_1)
	v_fma_f64 v[26:27], v[16:17], v[28:29], v[22:23]
	ds_load_b128 v[22:25], v34 offset:144
	s_waitcnt lgkmcnt(0)
	v_fma_f64 v[22:23], v[18:19], v[22:23], v[26:27]
	v_fma_f64 v[22:23], v[20:21], v[24:25], v[22:23]
	s_delay_alu instid0(VALU_DEP_1)
	v_add_f64 v[8:9], v[8:9], -v[22:23]
	v_cmpx_lt_u32_e32 2, v0
	s_cbranch_execz .LBB9_78
; %bb.77:
	v_dual_mov_b32 v26, 0 :: v_dual_mov_b32 v23, v3
	v_dual_mov_b32 v22, v2 :: v_dual_mov_b32 v25, v5
	;; [unrolled: 1-line block ×10, first 2 shown]
	ds_store_b64 v1, v[6:7]
	v_mov_b32_e32 v2, v22
	v_dual_mov_b32 v3, v23 :: v_dual_mov_b32 v4, v24
	v_dual_mov_b32 v5, v25 :: v_dual_mov_b32 v6, v26
	;; [unrolled: 1-line block ×10, first 2 shown]
	v_mov_b32_e32 v23, v43
	v_mov_b32_e32 v24, v44
	;; [unrolled: 1-line block ×11, first 2 shown]
.LBB9_78:
	s_or_b32 exec_lo, exec_lo, s0
	v_mov_b32_e32 v34, 0
	s_waitcnt lgkmcnt(0)
	s_barrier
	buffer_gl0_inv
	s_mov_b32 s0, exec_lo
	ds_load_2addr_b64 v[22:25], v34 offset0:13 offset1:14
	ds_load_2addr_b64 v[26:29], v34 offset0:15 offset1:16
	s_waitcnt lgkmcnt(1)
	v_fma_f64 v[22:23], v[8:9], v[22:23], 0
	s_delay_alu instid0(VALU_DEP_1) | instskip(SKIP_1) | instid1(VALU_DEP_1)
	v_fma_f64 v[22:23], v[10:11], v[24:25], v[22:23]
	s_waitcnt lgkmcnt(0)
	v_fma_f64 v[22:23], v[12:13], v[26:27], v[22:23]
	s_delay_alu instid0(VALU_DEP_1) | instskip(SKIP_4) | instid1(VALU_DEP_1)
	v_fma_f64 v[26:27], v[14:15], v[28:29], v[22:23]
	ds_load_2addr_b64 v[22:25], v34 offset0:17 offset1:18
	ds_load_b64 v[28:29], v34 offset:152
	s_waitcnt lgkmcnt(1)
	v_fma_f64 v[22:23], v[16:17], v[22:23], v[26:27]
	v_fma_f64 v[22:23], v[18:19], v[24:25], v[22:23]
	s_waitcnt lgkmcnt(0)
	s_delay_alu instid0(VALU_DEP_1) | instskip(NEXT) | instid1(VALU_DEP_1)
	v_fma_f64 v[22:23], v[20:21], v[28:29], v[22:23]
	v_add_f64 v[6:7], v[6:7], -v[22:23]
	v_cmpx_lt_u32_e32 1, v0
	s_cbranch_execz .LBB9_80
; %bb.79:
	v_dual_mov_b32 v32, v2 :: v_dual_mov_b32 v33, v3
	v_dual_mov_b32 v35, v34 :: v_dual_mov_b32 v38, v8
	s_delay_alu instid0(VALU_DEP_4)
	v_dual_mov_b32 v36, v6 :: v_dual_mov_b32 v37, v7
	v_dual_mov_b32 v39, v9 :: v_dual_mov_b32 v40, v10
	;; [unrolled: 1-line block ×7, first 2 shown]
	v_mov_b32_e32 v51, v21
	ds_store_b64 v1, v[4:5]
	v_mov_b32_e32 v2, v32
	v_dual_mov_b32 v3, v33 :: v_dual_mov_b32 v4, v34
	v_dual_mov_b32 v5, v35 :: v_dual_mov_b32 v6, v36
	;; [unrolled: 1-line block ×15, first 2 shown]
	v_mov_b32_e32 v33, v63
.LBB9_80:
	s_or_b32 exec_lo, exec_lo, s0
	s_waitcnt lgkmcnt(0)
	s_barrier
	buffer_gl0_inv
	ds_load_b128 v[22:25], v34 offset:96
	ds_load_b128 v[26:29], v34 offset:112
	s_mov_b32 s0, exec_lo
	s_waitcnt lgkmcnt(1)
	v_fma_f64 v[22:23], v[6:7], v[22:23], 0
	s_delay_alu instid0(VALU_DEP_1) | instskip(SKIP_1) | instid1(VALU_DEP_1)
	v_fma_f64 v[22:23], v[8:9], v[24:25], v[22:23]
	s_waitcnt lgkmcnt(0)
	v_fma_f64 v[22:23], v[10:11], v[26:27], v[22:23]
	s_delay_alu instid0(VALU_DEP_1) | instskip(SKIP_4) | instid1(VALU_DEP_1)
	v_fma_f64 v[30:31], v[12:13], v[28:29], v[22:23]
	ds_load_b128 v[22:25], v34 offset:128
	ds_load_b128 v[26:29], v34 offset:144
	s_waitcnt lgkmcnt(1)
	v_fma_f64 v[22:23], v[14:15], v[22:23], v[30:31]
	v_fma_f64 v[22:23], v[16:17], v[24:25], v[22:23]
	s_waitcnt lgkmcnt(0)
	s_delay_alu instid0(VALU_DEP_1) | instskip(NEXT) | instid1(VALU_DEP_1)
	v_fma_f64 v[22:23], v[18:19], v[26:27], v[22:23]
	v_fma_f64 v[22:23], v[20:21], v[28:29], v[22:23]
	s_delay_alu instid0(VALU_DEP_1)
	v_add_f64 v[4:5], v[4:5], -v[22:23]
	v_cmpx_ne_u32_e32 0, v0
	s_cbranch_execz .LBB9_82
; %bb.81:
	s_delay_alu instid0(VALU_DEP_2)
	v_dual_mov_b32 v22, 0 :: v_dual_mov_b32 v25, v5
	v_dual_mov_b32 v34, v14 :: v_dual_mov_b32 v35, v15
	;; [unrolled: 1-line block ×10, first 2 shown]
	ds_store_b64 v1, v[2:3]
	v_mov_b32_e32 v2, v22
	v_dual_mov_b32 v3, v23 :: v_dual_mov_b32 v4, v24
	v_dual_mov_b32 v5, v25 :: v_dual_mov_b32 v6, v26
	;; [unrolled: 1-line block ×10, first 2 shown]
	v_mov_b32_e32 v23, v43
	v_mov_b32_e32 v24, v44
	;; [unrolled: 1-line block ×11, first 2 shown]
.LBB9_82:
	s_or_b32 exec_lo, exec_lo, s0
	v_mov_b32_e32 v30, 0
	s_waitcnt lgkmcnt(0)
	s_barrier
	buffer_gl0_inv
	s_and_b32 vcc_lo, exec_lo, s16
	ds_load_2addr_b64 v[22:25], v30 offset0:11 offset1:12
	ds_load_2addr_b64 v[26:29], v30 offset0:13 offset1:14
	s_waitcnt lgkmcnt(1)
	v_fma_f64 v[0:1], v[4:5], v[22:23], 0
	s_delay_alu instid0(VALU_DEP_1) | instskip(SKIP_1) | instid1(VALU_DEP_1)
	v_fma_f64 v[0:1], v[6:7], v[24:25], v[0:1]
	s_waitcnt lgkmcnt(0)
	v_fma_f64 v[0:1], v[8:9], v[26:27], v[0:1]
	s_delay_alu instid0(VALU_DEP_1)
	v_fma_f64 v[0:1], v[10:11], v[28:29], v[0:1]
	ds_load_2addr_b64 v[22:25], v30 offset0:15 offset1:16
	ds_load_2addr_b64 v[26:29], v30 offset0:17 offset1:18
	s_waitcnt lgkmcnt(1)
	v_fma_f64 v[0:1], v[12:13], v[22:23], v[0:1]
	ds_load_b64 v[22:23], v30 offset:152
	v_fma_f64 v[0:1], v[14:15], v[24:25], v[0:1]
	s_waitcnt lgkmcnt(1)
	s_delay_alu instid0(VALU_DEP_1) | instskip(NEXT) | instid1(VALU_DEP_1)
	v_fma_f64 v[0:1], v[16:17], v[26:27], v[0:1]
	v_fma_f64 v[0:1], v[18:19], v[28:29], v[0:1]
	s_waitcnt lgkmcnt(0)
	s_delay_alu instid0(VALU_DEP_1) | instskip(NEXT) | instid1(VALU_DEP_1)
	v_fma_f64 v[0:1], v[20:21], v[22:23], v[0:1]
	v_add_f64 v[2:3], v[2:3], -v[0:1]
	s_cbranch_vccz .LBB9_102
; %bb.83:
	v_dual_mov_b32 v0, s12 :: v_dual_mov_b32 v1, s13
	s_mov_b32 s6, exec_lo
	flat_load_b32 v0, v[0:1] offset:32
	s_waitcnt vmcnt(0) lgkmcnt(0)
	v_add_nc_u32_e32 v0, -1, v0
	s_delay_alu instid0(VALU_DEP_1)
	v_cmpx_ne_u32_e32 8, v0
	s_cbranch_execz .LBB9_85
; %bb.84:
	v_cmp_eq_u32_e32 vcc_lo, 1, v0
	v_cmp_eq_u32_e64 s0, 2, v0
	v_cmp_eq_u32_e64 s1, 3, v0
	;; [unrolled: 1-line block ×4, first 2 shown]
	v_dual_cndmask_b32 v1, v2, v4 :: v_dual_cndmask_b32 v22, v3, v5
	v_cmp_eq_u32_e64 s4, 0, v0
	v_cmp_eq_u32_e64 s5, 6, v0
	v_cndmask_b32_e32 v24, v5, v19, vcc_lo
	s_delay_alu instid0(VALU_DEP_4)
	v_cndmask_b32_e64 v1, v1, v6, s0
	v_cndmask_b32_e64 v22, v22, v7, s0
	;; [unrolled: 1-line block ×7, first 2 shown]
	v_cmp_eq_u32_e64 s1, 9, v0
	v_cndmask_b32_e64 v25, v6, v18, s0
	v_cmp_eq_u32_e64 s0, 8, v0
	v_cndmask_b32_e64 v1, v1, v10, s2
	v_cndmask_b32_e64 v23, v22, v11, s2
	;; [unrolled: 1-line block ×7, first 2 shown]
	v_cndmask_b32_e32 v23, v4, v18, vcc_lo
	v_cmp_eq_u32_e32 vcc_lo, 7, v0
	v_cndmask_b32_e64 v39, v20, v18, s1
	v_cndmask_b32_e64 v1, v1, v14, s5
	;; [unrolled: 1-line block ×4, first 2 shown]
	v_cndmask_b32_e32 v35, v16, v18, vcc_lo
	v_cndmask_b32_e64 v29, v10, v18, s2
	v_cndmask_b32_e32 v36, v17, v19, vcc_lo
	v_cndmask_b32_e32 v1, v1, v16, vcc_lo
	;; [unrolled: 1-line block ×3, first 2 shown]
	v_cndmask_b32_e64 v32, v13, v19, s3
	v_cndmask_b32_e64 v31, v12, v18, s3
	;; [unrolled: 1-line block ×5, first 2 shown]
	s_delay_alu instid0(VALU_DEP_2) | instskip(NEXT) | instid1(VALU_DEP_2)
	v_cndmask_b32_e64 v0, v1, v20, s1
	v_cndmask_b32_e64 v1, v3, v21, s1
	;; [unrolled: 1-line block ×3, first 2 shown]
	s_delay_alu instid0(VALU_DEP_3) | instskip(NEXT) | instid1(VALU_DEP_3)
	v_cndmask_b32_e64 v37, v0, v18, s0
	v_cndmask_b32_e64 v38, v1, v19, s0
	s_delay_alu instid0(VALU_DEP_3)
	v_mov_b32_e32 v2, v21
	v_dual_mov_b32 v3, v22 :: v_dual_mov_b32 v6, v25
	v_dual_mov_b32 v4, v23 :: v_dual_mov_b32 v5, v24
	;; [unrolled: 1-line block ×9, first 2 shown]
	v_mov_b32_e32 v21, v40
	v_mov_b32_e32 v22, v41
	;; [unrolled: 1-line block ×13, first 2 shown]
.LBB9_85:
	s_or_b32 exec_lo, exec_lo, s6
	v_dual_mov_b32 v0, s12 :: v_dual_mov_b32 v1, s13
	s_mov_b32 s6, exec_lo
	flat_load_b32 v0, v[0:1] offset:28
	s_waitcnt vmcnt(0) lgkmcnt(0)
	v_add_nc_u32_e32 v0, -1, v0
	s_delay_alu instid0(VALU_DEP_1)
	v_cmpx_ne_u32_e32 7, v0
	s_cbranch_execz .LBB9_87
; %bb.86:
	v_cmp_eq_u32_e32 vcc_lo, 1, v0
	v_cmp_eq_u32_e64 s0, 2, v0
	v_cmp_eq_u32_e64 s1, 3, v0
	v_cmp_eq_u32_e64 s2, 4, v0
	v_cmp_eq_u32_e64 s3, 5, v0
	v_dual_cndmask_b32 v1, v2, v4 :: v_dual_cndmask_b32 v22, v3, v5
	v_cmp_eq_u32_e64 s4, 0, v0
	v_cmp_eq_u32_e64 s5, 6, v0
	v_cndmask_b32_e64 v26, v7, v17, s0
	s_delay_alu instid0(VALU_DEP_4)
	v_cndmask_b32_e64 v1, v1, v6, s0
	v_cndmask_b32_e64 v22, v22, v7, s0
	;; [unrolled: 1-line block ×3, first 2 shown]
	v_cndmask_b32_e32 v24, v5, v17, vcc_lo
	v_cndmask_b32_e64 v28, v9, v17, s1
	v_cndmask_b32_e64 v1, v1, v8, s1
	;; [unrolled: 1-line block ×4, first 2 shown]
	v_cmp_eq_u32_e64 s0, 8, v0
	v_cmp_eq_u32_e64 s1, 9, v0
	v_cndmask_b32_e64 v1, v1, v10, s2
	v_cndmask_b32_e64 v23, v22, v11, s2
	;; [unrolled: 1-line block ×7, first 2 shown]
	v_cndmask_b32_e32 v23, v4, v16, vcc_lo
	v_cmp_eq_u32_e32 vcc_lo, 7, v0
	v_cndmask_b32_e64 v37, v18, v16, s0
	v_cndmask_b32_e64 v1, v1, v14, s5
	;; [unrolled: 1-line block ×6, first 2 shown]
	v_cndmask_b32_e32 v1, v1, v16, vcc_lo
	v_cndmask_b32_e64 v29, v10, v16, s2
	v_cndmask_b32_e64 v32, v13, v17, s3
	v_cndmask_b32_e64 v31, v12, v16, s3
	v_cndmask_b32_e64 v33, v14, v16, s5
	v_cndmask_b32_e64 v1, v1, v18, s0
	s_delay_alu instid0(VALU_DEP_1) | instskip(NEXT) | instid1(VALU_DEP_1)
	v_cndmask_b32_e64 v0, v1, v20, s1
	v_cndmask_b32_e32 v35, v0, v16, vcc_lo
	v_cndmask_b32_e32 v3, v3, v17, vcc_lo
	s_delay_alu instid0(VALU_DEP_1) | instskip(NEXT) | instid1(VALU_DEP_1)
	v_cndmask_b32_e64 v3, v3, v19, s0
	v_cndmask_b32_e64 v1, v3, v21, s1
	;; [unrolled: 1-line block ×3, first 2 shown]
	s_delay_alu instid0(VALU_DEP_2) | instskip(NEXT) | instid1(VALU_DEP_2)
	v_cndmask_b32_e32 v36, v1, v17, vcc_lo
	v_mov_b32_e32 v2, v21
	v_dual_mov_b32 v6, v25 :: v_dual_mov_b32 v3, v22
	v_mov_b32_e32 v8, v27
	v_dual_mov_b32 v4, v23 :: v_dual_mov_b32 v5, v24
	v_dual_mov_b32 v10, v29 :: v_dual_mov_b32 v7, v26
	;; [unrolled: 1-line block ×7, first 2 shown]
	v_mov_b32_e32 v19, v38
	v_mov_b32_e32 v21, v40
	;; [unrolled: 1-line block ×14, first 2 shown]
.LBB9_87:
	s_or_b32 exec_lo, exec_lo, s6
	v_dual_mov_b32 v0, s12 :: v_dual_mov_b32 v1, s13
	s_mov_b32 s6, exec_lo
	flat_load_b32 v0, v[0:1] offset:24
	s_waitcnt vmcnt(0) lgkmcnt(0)
	v_add_nc_u32_e32 v0, -1, v0
	s_delay_alu instid0(VALU_DEP_1)
	v_cmpx_ne_u32_e32 6, v0
	s_cbranch_execz .LBB9_89
; %bb.88:
	v_cmp_eq_u32_e32 vcc_lo, 1, v0
	v_cmp_eq_u32_e64 s0, 2, v0
	v_cmp_eq_u32_e64 s1, 3, v0
	;; [unrolled: 1-line block ×4, first 2 shown]
	v_dual_cndmask_b32 v1, v2, v4 :: v_dual_cndmask_b32 v22, v3, v5
	v_cmp_eq_u32_e64 s4, 0, v0
	v_cmp_eq_u32_e64 s5, 6, v0
	v_cndmask_b32_e64 v26, v7, v15, s0
	s_delay_alu instid0(VALU_DEP_4)
	v_cndmask_b32_e64 v1, v1, v6, s0
	v_cndmask_b32_e64 v22, v22, v7, s0
	;; [unrolled: 1-line block ×3, first 2 shown]
	v_cndmask_b32_e32 v24, v5, v15, vcc_lo
	v_cndmask_b32_e64 v28, v9, v15, s1
	v_cndmask_b32_e64 v1, v1, v8, s1
	;; [unrolled: 1-line block ×4, first 2 shown]
	v_cmp_eq_u32_e64 s0, 8, v0
	v_cmp_eq_u32_e64 s1, 9, v0
	v_cndmask_b32_e64 v1, v1, v10, s2
	v_cndmask_b32_e64 v23, v22, v11, s2
	;; [unrolled: 1-line block ×7, first 2 shown]
	v_cndmask_b32_e32 v23, v4, v14, vcc_lo
	v_cmp_eq_u32_e32 vcc_lo, 7, v0
	v_cndmask_b32_e64 v40, v21, v15, s1
	v_cndmask_b32_e64 v1, v1, v14, s5
	;; [unrolled: 1-line block ×4, first 2 shown]
	v_cndmask_b32_e32 v35, v16, v14, vcc_lo
	v_cndmask_b32_e64 v30, v11, v15, s2
	v_cndmask_b32_e32 v36, v17, v15, vcc_lo
	v_cndmask_b32_e32 v1, v1, v16, vcc_lo
	;; [unrolled: 1-line block ×3, first 2 shown]
	v_cndmask_b32_e64 v29, v10, v14, s2
	v_cndmask_b32_e64 v32, v13, v15, s3
	;; [unrolled: 1-line block ×5, first 2 shown]
	s_delay_alu instid0(VALU_DEP_2) | instskip(NEXT) | instid1(VALU_DEP_2)
	v_cndmask_b32_e64 v0, v1, v20, s1
	v_cndmask_b32_e64 v1, v3, v21, s1
	;; [unrolled: 1-line block ×3, first 2 shown]
	s_delay_alu instid0(VALU_DEP_3) | instskip(NEXT) | instid1(VALU_DEP_3)
	v_cndmask_b32_e64 v33, v0, v14, s5
	v_cndmask_b32_e64 v34, v1, v15, s5
	s_delay_alu instid0(VALU_DEP_3)
	v_mov_b32_e32 v2, v21
	v_dual_mov_b32 v3, v22 :: v_dual_mov_b32 v6, v25
	v_dual_mov_b32 v4, v23 :: v_dual_mov_b32 v5, v24
	;; [unrolled: 1-line block ×9, first 2 shown]
	v_mov_b32_e32 v21, v40
	v_mov_b32_e32 v22, v41
	;; [unrolled: 1-line block ×13, first 2 shown]
.LBB9_89:
	s_or_b32 exec_lo, exec_lo, s6
	v_dual_mov_b32 v0, s12 :: v_dual_mov_b32 v1, s13
	s_mov_b32 s6, exec_lo
	flat_load_b32 v0, v[0:1] offset:20
	s_waitcnt vmcnt(0) lgkmcnt(0)
	v_add_nc_u32_e32 v0, -1, v0
	s_delay_alu instid0(VALU_DEP_1)
	v_cmpx_ne_u32_e32 5, v0
	s_cbranch_execz .LBB9_91
; %bb.90:
	v_cmp_eq_u32_e32 vcc_lo, 1, v0
	v_cmp_eq_u32_e64 s0, 2, v0
	v_cmp_eq_u32_e64 s1, 3, v0
	;; [unrolled: 1-line block ×4, first 2 shown]
	v_dual_cndmask_b32 v1, v2, v4 :: v_dual_cndmask_b32 v22, v3, v5
	v_cmp_eq_u32_e64 s4, 0, v0
	v_cmp_eq_u32_e64 s5, 6, v0
	v_cndmask_b32_e64 v26, v7, v13, s0
	s_delay_alu instid0(VALU_DEP_4)
	v_cndmask_b32_e64 v1, v1, v6, s0
	v_cndmask_b32_e64 v22, v22, v7, s0
	;; [unrolled: 1-line block ×3, first 2 shown]
	v_cndmask_b32_e32 v24, v5, v13, vcc_lo
	v_cndmask_b32_e64 v28, v9, v13, s1
	v_cndmask_b32_e64 v1, v1, v8, s1
	;; [unrolled: 1-line block ×4, first 2 shown]
	v_cmp_eq_u32_e64 s0, 8, v0
	v_cmp_eq_u32_e64 s1, 9, v0
	v_cndmask_b32_e64 v1, v1, v10, s2
	v_cndmask_b32_e64 v23, v22, v11, s2
	;; [unrolled: 1-line block ×7, first 2 shown]
	v_cndmask_b32_e32 v23, v4, v12, vcc_lo
	v_cmp_eq_u32_e32 vcc_lo, 7, v0
	v_cndmask_b32_e64 v37, v18, v12, s0
	v_cndmask_b32_e64 v1, v1, v14, s5
	v_cndmask_b32_e64 v3, v3, v15, s5
	v_cndmask_b32_e64 v40, v21, v13, s1
	v_dual_cndmask_b32 v36, v17, v13 :: v_dual_cndmask_b32 v35, v16, v12
	v_cndmask_b32_e64 v39, v20, v12, s1
	v_cndmask_b32_e32 v1, v1, v16, vcc_lo
	v_cndmask_b32_e32 v3, v3, v17, vcc_lo
	v_cndmask_b32_e64 v30, v11, v13, s2
	v_cndmask_b32_e64 v29, v10, v12, s2
	;; [unrolled: 1-line block ×5, first 2 shown]
	s_delay_alu instid0(VALU_DEP_2) | instskip(NEXT) | instid1(VALU_DEP_2)
	v_cndmask_b32_e64 v0, v1, v20, s1
	v_cndmask_b32_e64 v1, v3, v21, s1
	;; [unrolled: 1-line block ×3, first 2 shown]
	s_delay_alu instid0(VALU_DEP_3) | instskip(NEXT) | instid1(VALU_DEP_3)
	v_cndmask_b32_e64 v31, v0, v12, s3
	v_cndmask_b32_e64 v32, v1, v13, s3
	s_delay_alu instid0(VALU_DEP_3)
	v_mov_b32_e32 v2, v21
	v_dual_mov_b32 v6, v25 :: v_dual_mov_b32 v3, v22
	v_mov_b32_e32 v8, v27
	v_dual_mov_b32 v4, v23 :: v_dual_mov_b32 v5, v24
	v_dual_mov_b32 v10, v29 :: v_dual_mov_b32 v7, v26
	;; [unrolled: 1-line block ×7, first 2 shown]
	v_mov_b32_e32 v19, v38
	v_mov_b32_e32 v21, v40
	;; [unrolled: 1-line block ×14, first 2 shown]
.LBB9_91:
	s_or_b32 exec_lo, exec_lo, s6
	v_dual_mov_b32 v0, s12 :: v_dual_mov_b32 v1, s13
	s_mov_b32 s6, exec_lo
	flat_load_b32 v0, v[0:1] offset:16
	s_waitcnt vmcnt(0) lgkmcnt(0)
	v_add_nc_u32_e32 v0, -1, v0
	s_delay_alu instid0(VALU_DEP_1)
	v_cmpx_ne_u32_e32 4, v0
	s_cbranch_execz .LBB9_93
; %bb.92:
	v_cmp_eq_u32_e32 vcc_lo, 1, v0
	v_cmp_eq_u32_e64 s0, 2, v0
	v_cmp_eq_u32_e64 s1, 3, v0
	;; [unrolled: 1-line block ×4, first 2 shown]
	v_dual_cndmask_b32 v1, v2, v4 :: v_dual_cndmask_b32 v22, v3, v5
	v_cmp_eq_u32_e64 s4, 0, v0
	v_cmp_eq_u32_e64 s5, 6, v0
	v_cndmask_b32_e64 v26, v7, v11, s0
	s_delay_alu instid0(VALU_DEP_4)
	v_cndmask_b32_e64 v1, v1, v6, s0
	v_cndmask_b32_e64 v22, v22, v7, s0
	;; [unrolled: 1-line block ×3, first 2 shown]
	v_cndmask_b32_e32 v24, v5, v11, vcc_lo
	v_cndmask_b32_e64 v28, v9, v11, s1
	v_cndmask_b32_e64 v1, v1, v8, s1
	;; [unrolled: 1-line block ×4, first 2 shown]
	v_cmp_eq_u32_e64 s0, 8, v0
	v_cmp_eq_u32_e64 s1, 9, v0
	v_cndmask_b32_e64 v1, v1, v10, s2
	v_cndmask_b32_e64 v23, v22, v11, s2
	;; [unrolled: 1-line block ×7, first 2 shown]
	v_cndmask_b32_e32 v23, v4, v10, vcc_lo
	v_cmp_eq_u32_e32 vcc_lo, 7, v0
	v_cndmask_b32_e64 v37, v18, v10, s0
	v_cndmask_b32_e64 v1, v1, v14, s5
	;; [unrolled: 1-line block ×4, first 2 shown]
	v_cndmask_b32_e32 v35, v16, v10, vcc_lo
	v_cndmask_b32_e64 v39, v20, v10, s1
	v_cndmask_b32_e32 v36, v17, v11, vcc_lo
	v_cndmask_b32_e32 v1, v1, v16, vcc_lo
	;; [unrolled: 1-line block ×3, first 2 shown]
	v_cndmask_b32_e64 v32, v13, v11, s3
	v_cndmask_b32_e64 v31, v12, v10, s3
	;; [unrolled: 1-line block ×5, first 2 shown]
	s_delay_alu instid0(VALU_DEP_2) | instskip(NEXT) | instid1(VALU_DEP_2)
	v_cndmask_b32_e64 v0, v1, v20, s1
	v_cndmask_b32_e64 v1, v3, v21, s1
	v_cndmask_b32_e64 v21, v2, v10, s4
	s_delay_alu instid0(VALU_DEP_3) | instskip(NEXT) | instid1(VALU_DEP_3)
	v_cndmask_b32_e64 v29, v0, v10, s2
	v_cndmask_b32_e64 v30, v1, v11, s2
	s_delay_alu instid0(VALU_DEP_3)
	v_mov_b32_e32 v2, v21
	v_dual_mov_b32 v3, v22 :: v_dual_mov_b32 v6, v25
	v_dual_mov_b32 v4, v23 :: v_dual_mov_b32 v5, v24
	v_dual_mov_b32 v8, v27 :: v_dual_mov_b32 v7, v26
	v_dual_mov_b32 v10, v29 :: v_dual_mov_b32 v9, v28
	v_dual_mov_b32 v12, v31 :: v_dual_mov_b32 v11, v30
	v_dual_mov_b32 v14, v33 :: v_dual_mov_b32 v13, v32
	v_dual_mov_b32 v16, v35 :: v_dual_mov_b32 v15, v34
	v_dual_mov_b32 v18, v37 :: v_dual_mov_b32 v17, v36
	v_dual_mov_b32 v20, v39 :: v_dual_mov_b32 v19, v38
	v_mov_b32_e32 v21, v40
	v_mov_b32_e32 v22, v41
	;; [unrolled: 1-line block ×13, first 2 shown]
.LBB9_93:
	s_or_b32 exec_lo, exec_lo, s6
	v_dual_mov_b32 v0, s12 :: v_dual_mov_b32 v1, s13
	s_mov_b32 s6, exec_lo
	flat_load_b32 v0, v[0:1] offset:12
	s_waitcnt vmcnt(0) lgkmcnt(0)
	v_add_nc_u32_e32 v0, -1, v0
	s_delay_alu instid0(VALU_DEP_1)
	v_cmpx_ne_u32_e32 3, v0
	s_cbranch_execz .LBB9_95
; %bb.94:
	v_cmp_eq_u32_e32 vcc_lo, 1, v0
	v_cmp_eq_u32_e64 s0, 2, v0
	v_cmp_eq_u32_e64 s1, 3, v0
	;; [unrolled: 1-line block ×4, first 2 shown]
	v_dual_cndmask_b32 v1, v2, v4 :: v_dual_cndmask_b32 v22, v3, v5
	v_cmp_eq_u32_e64 s4, 0, v0
	v_cmp_eq_u32_e64 s5, 6, v0
	v_cndmask_b32_e64 v26, v7, v9, s0
	s_delay_alu instid0(VALU_DEP_4)
	v_cndmask_b32_e64 v1, v1, v6, s0
	v_cndmask_b32_e64 v22, v22, v7, s0
	;; [unrolled: 1-line block ×3, first 2 shown]
	v_cndmask_b32_e32 v24, v5, v9, vcc_lo
	v_cndmask_b32_e64 v30, v11, v9, s2
	v_cndmask_b32_e64 v1, v1, v8, s1
	;; [unrolled: 1-line block ×4, first 2 shown]
	v_cmp_eq_u32_e64 s0, 8, v0
	v_cndmask_b32_e64 v34, v15, v9, s5
	v_cndmask_b32_e64 v1, v1, v10, s2
	;; [unrolled: 1-line block ×4, first 2 shown]
	v_cmp_eq_u32_e64 s2, 9, v0
	v_cndmask_b32_e64 v38, v19, v9, s0
	v_cndmask_b32_e64 v1, v1, v12, s3
	;; [unrolled: 1-line block ×3, first 2 shown]
	v_cndmask_b32_e32 v23, v4, v8, vcc_lo
	v_cmp_eq_u32_e32 vcc_lo, 7, v0
	v_cndmask_b32_e64 v37, v18, v8, s0
	v_cndmask_b32_e64 v1, v1, v14, s5
	;; [unrolled: 1-line block ×4, first 2 shown]
	v_dual_cndmask_b32 v36, v17, v9 :: v_dual_cndmask_b32 v35, v16, v8
	v_cndmask_b32_e64 v39, v20, v8, s2
	v_cndmask_b32_e32 v1, v1, v16, vcc_lo
	v_cndmask_b32_e32 v3, v3, v17, vcc_lo
	v_cndmask_b32_e64 v32, v13, v9, s3
	v_cndmask_b32_e64 v31, v12, v8, s3
	;; [unrolled: 1-line block ×5, first 2 shown]
	s_delay_alu instid0(VALU_DEP_2) | instskip(NEXT) | instid1(VALU_DEP_2)
	v_cndmask_b32_e64 v0, v1, v20, s2
	v_cndmask_b32_e64 v1, v3, v21, s2
	;; [unrolled: 1-line block ×3, first 2 shown]
	s_delay_alu instid0(VALU_DEP_3) | instskip(NEXT) | instid1(VALU_DEP_3)
	v_cndmask_b32_e64 v27, v0, v8, s1
	v_cndmask_b32_e64 v28, v1, v9, s1
	s_delay_alu instid0(VALU_DEP_3) | instskip(SKIP_1) | instid1(VALU_DEP_4)
	v_mov_b32_e32 v2, v21
	v_dual_mov_b32 v6, v25 :: v_dual_mov_b32 v3, v22
	v_mov_b32_e32 v8, v27
	v_dual_mov_b32 v4, v23 :: v_dual_mov_b32 v5, v24
	v_dual_mov_b32 v10, v29 :: v_dual_mov_b32 v7, v26
	;; [unrolled: 1-line block ×7, first 2 shown]
	v_mov_b32_e32 v19, v38
	v_mov_b32_e32 v21, v40
	v_mov_b32_e32 v22, v41
	v_mov_b32_e32 v23, v42
	v_mov_b32_e32 v24, v43
	v_mov_b32_e32 v25, v44
	v_mov_b32_e32 v26, v45
	v_mov_b32_e32 v27, v46
	v_mov_b32_e32 v28, v47
	v_mov_b32_e32 v29, v48
	v_mov_b32_e32 v30, v49
	v_mov_b32_e32 v31, v50
	v_mov_b32_e32 v32, v51
	v_mov_b32_e32 v33, v52
.LBB9_95:
	s_or_b32 exec_lo, exec_lo, s6
	v_dual_mov_b32 v0, s12 :: v_dual_mov_b32 v1, s13
	s_mov_b32 s6, exec_lo
	flat_load_b32 v0, v[0:1] offset:8
	s_waitcnt vmcnt(0) lgkmcnt(0)
	v_add_nc_u32_e32 v0, -1, v0
	s_delay_alu instid0(VALU_DEP_1)
	v_cmpx_ne_u32_e32 2, v0
	s_cbranch_execz .LBB9_97
; %bb.96:
	v_cmp_eq_u32_e32 vcc_lo, 1, v0
	v_cmp_eq_u32_e64 s0, 2, v0
	v_cmp_eq_u32_e64 s1, 3, v0
	;; [unrolled: 1-line block ×4, first 2 shown]
	v_dual_cndmask_b32 v1, v2, v4 :: v_dual_cndmask_b32 v22, v3, v5
	v_cmp_eq_u32_e64 s4, 0, v0
	v_cmp_eq_u32_e64 s5, 6, v0
	v_cndmask_b32_e32 v24, v5, v7, vcc_lo
	s_delay_alu instid0(VALU_DEP_4)
	v_cndmask_b32_e64 v1, v1, v6, s0
	v_cndmask_b32_e64 v22, v22, v7, s0
	;; [unrolled: 1-line block ×8, first 2 shown]
	v_cmp_eq_u32_e64 s1, 8, v0
	v_cndmask_b32_e64 v34, v15, v7, s5
	v_cndmask_b32_e64 v1, v1, v10, s2
	;; [unrolled: 1-line block ×4, first 2 shown]
	v_cmp_eq_u32_e64 s2, 9, v0
	v_cndmask_b32_e64 v38, v19, v7, s1
	v_cndmask_b32_e64 v1, v1, v12, s3
	;; [unrolled: 1-line block ×3, first 2 shown]
	v_cndmask_b32_e32 v23, v4, v6, vcc_lo
	v_cmp_eq_u32_e32 vcc_lo, 7, v0
	v_cndmask_b32_e64 v37, v18, v6, s1
	v_cndmask_b32_e64 v1, v1, v14, s5
	;; [unrolled: 1-line block ×4, first 2 shown]
	v_cndmask_b32_e32 v35, v16, v6, vcc_lo
	v_cndmask_b32_e64 v39, v20, v6, s2
	v_cndmask_b32_e32 v36, v17, v7, vcc_lo
	v_cndmask_b32_e32 v1, v1, v16, vcc_lo
	;; [unrolled: 1-line block ×3, first 2 shown]
	v_cndmask_b32_e64 v32, v13, v7, s3
	v_cndmask_b32_e64 v31, v12, v6, s3
	;; [unrolled: 1-line block ×5, first 2 shown]
	s_delay_alu instid0(VALU_DEP_2) | instskip(NEXT) | instid1(VALU_DEP_2)
	v_cndmask_b32_e64 v0, v1, v20, s2
	v_cndmask_b32_e64 v1, v3, v21, s2
	;; [unrolled: 1-line block ×3, first 2 shown]
	s_delay_alu instid0(VALU_DEP_3) | instskip(NEXT) | instid1(VALU_DEP_3)
	v_cndmask_b32_e64 v25, v0, v6, s0
	v_cndmask_b32_e64 v26, v1, v7, s0
	s_delay_alu instid0(VALU_DEP_3) | instskip(NEXT) | instid1(VALU_DEP_3)
	v_mov_b32_e32 v2, v21
	v_dual_mov_b32 v3, v22 :: v_dual_mov_b32 v6, v25
	v_dual_mov_b32 v4, v23 :: v_dual_mov_b32 v5, v24
	s_delay_alu instid0(VALU_DEP_4)
	v_dual_mov_b32 v8, v27 :: v_dual_mov_b32 v7, v26
	v_dual_mov_b32 v10, v29 :: v_dual_mov_b32 v9, v28
	;; [unrolled: 1-line block ×7, first 2 shown]
	v_mov_b32_e32 v21, v40
	v_mov_b32_e32 v22, v41
	;; [unrolled: 1-line block ×13, first 2 shown]
.LBB9_97:
	s_or_b32 exec_lo, exec_lo, s6
	v_dual_mov_b32 v0, s12 :: v_dual_mov_b32 v1, s13
	s_mov_b32 s6, exec_lo
	flat_load_b32 v0, v[0:1] offset:4
	s_waitcnt vmcnt(0) lgkmcnt(0)
	v_add_nc_u32_e32 v0, -1, v0
	s_delay_alu instid0(VALU_DEP_1)
	v_cmpx_ne_u32_e32 1, v0
	s_cbranch_execz .LBB9_99
; %bb.98:
	v_cmp_eq_u32_e32 vcc_lo, 1, v0
	v_cmp_eq_u32_e64 s0, 2, v0
	v_cmp_eq_u32_e64 s1, 3, v0
	;; [unrolled: 1-line block ×4, first 2 shown]
	v_dual_cndmask_b32 v1, v2, v4 :: v_dual_cndmask_b32 v22, v3, v5
	v_cmp_eq_u32_e64 s4, 0, v0
	v_cmp_eq_u32_e64 s5, 6, v0
	v_cndmask_b32_e64 v26, v7, v5, s0
	s_delay_alu instid0(VALU_DEP_4)
	v_cndmask_b32_e64 v1, v1, v6, s0
	v_cndmask_b32_e64 v22, v22, v7, s0
	;; [unrolled: 1-line block ×3, first 2 shown]
	v_cmp_eq_u32_e64 s0, 7, v0
	v_cndmask_b32_e64 v28, v9, v5, s1
	v_cndmask_b32_e64 v1, v1, v8, s1
	;; [unrolled: 1-line block ×4, first 2 shown]
	v_cmp_eq_u32_e64 s1, 8, v0
	v_cndmask_b32_e64 v30, v11, v5, s2
	v_cndmask_b32_e64 v1, v1, v10, s2
	;; [unrolled: 1-line block ×5, first 2 shown]
	v_cmp_eq_u32_e64 s2, 9, v0
	v_cndmask_b32_e64 v1, v1, v12, s3
	v_cndmask_b32_e64 v3, v23, v13, s3
	;; [unrolled: 1-line block ×18, first 2 shown]
	s_delay_alu instid0(VALU_DEP_3) | instskip(NEXT) | instid1(VALU_DEP_3)
	v_cndmask_b32_e64 v0, v1, v20, s2
	v_cndmask_b32_e64 v1, v3, v21, s2
	;; [unrolled: 1-line block ×3, first 2 shown]
	s_delay_alu instid0(VALU_DEP_2) | instskip(NEXT) | instid1(VALU_DEP_2)
	v_dual_cndmask_b32 v23, v0, v4 :: v_dual_cndmask_b32 v24, v1, v5
	v_mov_b32_e32 v2, v21
	s_delay_alu instid0(VALU_DEP_2) | instskip(NEXT) | instid1(VALU_DEP_3)
	v_dual_mov_b32 v3, v22 :: v_dual_mov_b32 v4, v23
	v_dual_mov_b32 v5, v24 :: v_dual_mov_b32 v6, v25
	;; [unrolled: 1-line block ×9, first 2 shown]
	v_mov_b32_e32 v21, v40
	v_mov_b32_e32 v22, v41
	;; [unrolled: 1-line block ×13, first 2 shown]
.LBB9_99:
	s_or_b32 exec_lo, exec_lo, s6
	v_dual_mov_b32 v0, s12 :: v_dual_mov_b32 v1, s13
	s_mov_b32 s4, exec_lo
	flat_load_b32 v0, v[0:1]
	s_waitcnt vmcnt(0) lgkmcnt(0)
	v_add_nc_u32_e32 v0, -1, v0
	s_delay_alu instid0(VALU_DEP_1)
	v_cmpx_ne_u32_e32 0, v0
	s_cbranch_execz .LBB9_101
; %bb.100:
	v_cmp_eq_u32_e32 vcc_lo, 1, v0
	v_cmp_eq_u32_e64 s0, 2, v0
	v_cmp_eq_u32_e64 s1, 3, v0
	;; [unrolled: 1-line block ×4, first 2 shown]
	v_dual_cndmask_b32 v1, v2, v4 :: v_dual_cndmask_b32 v22, v3, v5
	v_cndmask_b32_e64 v24, v7, v3, s0
	v_cndmask_b32_e64 v23, v6, v2, s0
	;; [unrolled: 1-line block ×3, first 2 shown]
	s_delay_alu instid0(VALU_DEP_4)
	v_cndmask_b32_e64 v1, v1, v6, s0
	v_cndmask_b32_e64 v22, v22, v7, s0
	v_cmp_eq_u32_e64 s0, 6, v0
	v_cndmask_b32_e64 v25, v8, v2, s1
	v_cndmask_b32_e64 v28, v11, v3, s2
	v_cndmask_b32_e64 v1, v1, v8, s1
	v_cndmask_b32_e64 v22, v22, v9, s1
	v_cmp_eq_u32_e64 s1, 7, v0
	v_cndmask_b32_e64 v27, v10, v2, s2
	v_cndmask_b32_e64 v32, v15, v3, s0
	;; [unrolled: 5-line block ×3, first 2 shown]
	v_cndmask_b32_e64 v1, v1, v12, s3
	v_cndmask_b32_e64 v6, v22, v13, s3
	v_cndmask_b32_e32 v22, v5, v3, vcc_lo
	v_cndmask_b32_e64 v33, v16, v2, s1
	v_cndmask_b32_e64 v36, v19, v3, s2
	;; [unrolled: 1-line block ×4, first 2 shown]
	v_cmp_eq_u32_e64 s0, 9, v0
	v_cndmask_b32_e64 v35, v18, v2, s2
	v_cndmask_b32_e64 v30, v13, v3, s3
	v_cndmask_b32_e64 v1, v1, v16, s1
	v_cndmask_b32_e64 v5, v5, v17, s1
	v_cmp_eq_u32_e64 s1, 0, v0
	v_cndmask_b32_e64 v38, v21, v3, s0
	v_cndmask_b32_e64 v37, v20, v2, s0
	;; [unrolled: 1-line block ×5, first 2 shown]
	s_delay_alu instid0(VALU_DEP_3) | instskip(NEXT) | instid1(VALU_DEP_3)
	v_cndmask_b32_e64 v1, v1, v20, s0
	v_cndmask_b32_e64 v5, v5, v21, s0
	v_cndmask_b32_e32 v21, v4, v2, vcc_lo
	s_delay_alu instid0(VALU_DEP_3) | instskip(NEXT) | instid1(VALU_DEP_3)
	v_cndmask_b32_e64 v19, v1, v2, s1
	v_cndmask_b32_e64 v20, v5, v3, s1
	s_delay_alu instid0(VALU_DEP_2) | instskip(NEXT) | instid1(VALU_DEP_2)
	v_mov_b32_e32 v2, v19
	v_dual_mov_b32 v3, v20 :: v_dual_mov_b32 v4, v21
	v_dual_mov_b32 v5, v22 :: v_dual_mov_b32 v6, v23
	;; [unrolled: 1-line block ×8, first 2 shown]
	v_mov_b32_e32 v19, v36
	v_mov_b32_e32 v20, v37
	;; [unrolled: 1-line block ×15, first 2 shown]
.LBB9_101:
	s_or_b32 exec_lo, exec_lo, s4
.LBB9_102:
	s_clause 0x9
	global_store_b64 v[52:53], v[2:3], off
	global_store_b64 v[54:55], v[4:5], off
	;; [unrolled: 1-line block ×10, first 2 shown]
	s_nop 0
	s_sendmsg sendmsg(MSG_DEALLOC_VGPRS)
	s_endpgm
	.section	.rodata,"a",@progbits
	.p2align	6, 0x0
	.amdhsa_kernel _ZN9rocsolver6v33100L18getri_kernel_smallILi10EdPdEEvT1_iilPiilS4_bb
		.amdhsa_group_segment_fixed_size 168
		.amdhsa_private_segment_fixed_size 0
		.amdhsa_kernarg_size 60
		.amdhsa_user_sgpr_count 15
		.amdhsa_user_sgpr_dispatch_ptr 0
		.amdhsa_user_sgpr_queue_ptr 0
		.amdhsa_user_sgpr_kernarg_segment_ptr 1
		.amdhsa_user_sgpr_dispatch_id 0
		.amdhsa_user_sgpr_private_segment_size 0
		.amdhsa_wavefront_size32 1
		.amdhsa_uses_dynamic_stack 0
		.amdhsa_enable_private_segment 0
		.amdhsa_system_sgpr_workgroup_id_x 1
		.amdhsa_system_sgpr_workgroup_id_y 0
		.amdhsa_system_sgpr_workgroup_id_z 0
		.amdhsa_system_sgpr_workgroup_info 0
		.amdhsa_system_vgpr_workitem_id 0
		.amdhsa_next_free_vgpr 72
		.amdhsa_next_free_sgpr 18
		.amdhsa_reserve_vcc 1
		.amdhsa_float_round_mode_32 0
		.amdhsa_float_round_mode_16_64 0
		.amdhsa_float_denorm_mode_32 3
		.amdhsa_float_denorm_mode_16_64 3
		.amdhsa_dx10_clamp 1
		.amdhsa_ieee_mode 1
		.amdhsa_fp16_overflow 0
		.amdhsa_workgroup_processor_mode 1
		.amdhsa_memory_ordered 1
		.amdhsa_forward_progress 0
		.amdhsa_shared_vgpr_count 0
		.amdhsa_exception_fp_ieee_invalid_op 0
		.amdhsa_exception_fp_denorm_src 0
		.amdhsa_exception_fp_ieee_div_zero 0
		.amdhsa_exception_fp_ieee_overflow 0
		.amdhsa_exception_fp_ieee_underflow 0
		.amdhsa_exception_fp_ieee_inexact 0
		.amdhsa_exception_int_div_zero 0
	.end_amdhsa_kernel
	.section	.text._ZN9rocsolver6v33100L18getri_kernel_smallILi10EdPdEEvT1_iilPiilS4_bb,"axG",@progbits,_ZN9rocsolver6v33100L18getri_kernel_smallILi10EdPdEEvT1_iilPiilS4_bb,comdat
.Lfunc_end9:
	.size	_ZN9rocsolver6v33100L18getri_kernel_smallILi10EdPdEEvT1_iilPiilS4_bb, .Lfunc_end9-_ZN9rocsolver6v33100L18getri_kernel_smallILi10EdPdEEvT1_iilPiilS4_bb
                                        ; -- End function
	.section	.AMDGPU.csdata,"",@progbits
; Kernel info:
; codeLenInByte = 14524
; NumSgprs: 20
; NumVgprs: 72
; ScratchSize: 0
; MemoryBound: 0
; FloatMode: 240
; IeeeMode: 1
; LDSByteSize: 168 bytes/workgroup (compile time only)
; SGPRBlocks: 2
; VGPRBlocks: 8
; NumSGPRsForWavesPerEU: 20
; NumVGPRsForWavesPerEU: 72
; Occupancy: 16
; WaveLimiterHint : 0
; COMPUTE_PGM_RSRC2:SCRATCH_EN: 0
; COMPUTE_PGM_RSRC2:USER_SGPR: 15
; COMPUTE_PGM_RSRC2:TRAP_HANDLER: 0
; COMPUTE_PGM_RSRC2:TGID_X_EN: 1
; COMPUTE_PGM_RSRC2:TGID_Y_EN: 0
; COMPUTE_PGM_RSRC2:TGID_Z_EN: 0
; COMPUTE_PGM_RSRC2:TIDIG_COMP_CNT: 0
	.section	.text._ZN9rocsolver6v33100L18getri_kernel_smallILi11EdPdEEvT1_iilPiilS4_bb,"axG",@progbits,_ZN9rocsolver6v33100L18getri_kernel_smallILi11EdPdEEvT1_iilPiilS4_bb,comdat
	.globl	_ZN9rocsolver6v33100L18getri_kernel_smallILi11EdPdEEvT1_iilPiilS4_bb ; -- Begin function _ZN9rocsolver6v33100L18getri_kernel_smallILi11EdPdEEvT1_iilPiilS4_bb
	.p2align	8
	.type	_ZN9rocsolver6v33100L18getri_kernel_smallILi11EdPdEEvT1_iilPiilS4_bb,@function
_ZN9rocsolver6v33100L18getri_kernel_smallILi11EdPdEEvT1_iilPiilS4_bb: ; @_ZN9rocsolver6v33100L18getri_kernel_smallILi11EdPdEEvT1_iilPiilS4_bb
; %bb.0:
	s_mov_b32 s2, exec_lo
	v_cmpx_gt_u32_e32 11, v0
	s_cbranch_execz .LBB10_16
; %bb.1:
	s_clause 0x2
	s_load_b32 s17, s[0:1], 0x38
	s_load_b128 s[4:7], s[0:1], 0x10
	s_load_b128 s[8:11], s[0:1], 0x28
	s_mov_b32 s14, s15
                                        ; implicit-def: $sgpr12_sgpr13
	s_waitcnt lgkmcnt(0)
	s_bitcmp1_b32 s17, 8
	s_cselect_b32 s16, -1, 0
	s_bfe_u32 s2, s17, 0x10008
	s_ashr_i32 s15, s15, 31
	s_cmp_eq_u32 s2, 0
	s_cbranch_scc1 .LBB10_3
; %bb.2:
	s_load_b32 s2, s[0:1], 0x20
	s_mul_i32 s3, s14, s9
	s_mul_hi_u32 s9, s14, s8
	s_mul_i32 s12, s15, s8
	s_add_i32 s3, s9, s3
	s_mul_i32 s8, s14, s8
	s_add_i32 s9, s3, s12
	s_delay_alu instid0(SALU_CYCLE_1)
	s_lshl_b64 s[8:9], s[8:9], 2
	s_waitcnt lgkmcnt(0)
	s_ashr_i32 s3, s2, 31
	s_add_u32 s6, s6, s8
	s_addc_u32 s7, s7, s9
	s_lshl_b64 s[2:3], s[2:3], 2
	s_delay_alu instid0(SALU_CYCLE_1)
	s_add_u32 s12, s6, s2
	s_addc_u32 s13, s7, s3
.LBB10_3:
	s_load_b128 s[0:3], s[0:1], 0x0
	s_mul_i32 s5, s14, s5
	s_mul_hi_u32 s6, s14, s4
	s_mul_i32 s7, s15, s4
	s_add_i32 s5, s6, s5
	s_mul_i32 s4, s14, s4
	s_add_i32 s5, s5, s7
	v_lshlrev_b32_e32 v26, 3, v0
	s_lshl_b64 s[4:5], s[4:5], 3
	s_waitcnt lgkmcnt(0)
	v_add3_u32 v1, s3, s3, v0
	s_ashr_i32 s7, s2, 31
	s_mov_b32 s6, s2
	s_add_u32 s2, s0, s4
	s_addc_u32 s5, s1, s5
	v_add_nc_u32_e32 v3, s3, v1
	s_lshl_b64 s[0:1], s[6:7], 3
	v_ashrrev_i32_e32 v2, 31, v1
	s_add_u32 s0, s2, s0
	s_addc_u32 s1, s5, s1
	v_add_co_u32 v58, s2, s0, v26
	v_add_nc_u32_e32 v5, s3, v3
	s_mov_b32 s4, s3
	s_ashr_i32 s5, s3, 31
	v_add_co_ci_u32_e64 v59, null, s1, 0, s2
	v_lshlrev_b64 v[1:2], 3, v[1:2]
	v_ashrrev_i32_e32 v4, 31, v3
	s_lshl_b64 s[4:5], s[4:5], 3
	v_ashrrev_i32_e32 v6, 31, v5
	v_add_co_u32 v56, vcc_lo, v58, s4
	v_add_nc_u32_e32 v7, s3, v5
	v_add_co_ci_u32_e32 v57, vcc_lo, s5, v59, vcc_lo
	v_lshlrev_b64 v[3:4], 3, v[3:4]
	v_add_co_u32 v60, vcc_lo, s0, v1
	v_add_co_ci_u32_e32 v61, vcc_lo, s1, v2, vcc_lo
	v_lshlrev_b64 v[1:2], 3, v[5:6]
	v_add_nc_u32_e32 v12, s3, v7
	v_add_co_u32 v62, vcc_lo, s0, v3
	v_ashrrev_i32_e32 v8, 31, v7
	v_add_co_ci_u32_e32 v63, vcc_lo, s1, v4, vcc_lo
	v_add_co_u32 v64, vcc_lo, s0, v1
	v_add_nc_u32_e32 v14, s3, v12
	v_add_co_ci_u32_e32 v65, vcc_lo, s1, v2, vcc_lo
	v_lshlrev_b64 v[1:2], 3, v[7:8]
	v_ashrrev_i32_e32 v13, 31, v12
	s_delay_alu instid0(VALU_DEP_4)
	v_ashrrev_i32_e32 v15, 31, v14
	v_add_nc_u32_e32 v16, s3, v14
	s_clause 0x3
	global_load_b64 v[4:5], v[56:57], off
	global_load_b64 v[6:7], v[60:61], off
	;; [unrolled: 1-line block ×4, first 2 shown]
	s_bitcmp0_b32 s17, 0
	v_lshlrev_b64 v[12:13], 3, v[12:13]
	v_add_co_u32 v68, vcc_lo, s0, v1
	v_add_co_ci_u32_e32 v69, vcc_lo, s1, v2, vcc_lo
	v_lshlrev_b64 v[1:2], 3, v[14:15]
	v_ashrrev_i32_e32 v17, 31, v16
	v_add_nc_u32_e32 v14, s3, v16
	v_add_co_u32 v66, vcc_lo, s0, v12
	v_add_co_ci_u32_e32 v67, vcc_lo, s1, v13, vcc_lo
	s_delay_alu instid0(VALU_DEP_4) | instskip(NEXT) | instid1(VALU_DEP_4)
	v_lshlrev_b64 v[12:13], 3, v[16:17]
	v_add_nc_u32_e32 v16, s3, v14
	v_ashrrev_i32_e32 v15, 31, v14
	v_add_co_u32 v70, vcc_lo, s0, v1
	v_add_co_ci_u32_e32 v71, vcc_lo, s1, v2, vcc_lo
	s_delay_alu instid0(VALU_DEP_4) | instskip(NEXT) | instid1(VALU_DEP_4)
	v_ashrrev_i32_e32 v17, 31, v16
	v_lshlrev_b64 v[1:2], 3, v[14:15]
	v_add_co_u32 v72, vcc_lo, s0, v12
	v_add_co_ci_u32_e32 v73, vcc_lo, s1, v13, vcc_lo
	s_delay_alu instid0(VALU_DEP_4) | instskip(NEXT) | instid1(VALU_DEP_4)
	v_lshlrev_b64 v[12:13], 3, v[16:17]
	v_add_co_u32 v76, vcc_lo, s0, v1
	v_mov_b32_e32 v1, 0
	v_add_co_ci_u32_e32 v77, vcc_lo, s1, v2, vcc_lo
	s_delay_alu instid0(VALU_DEP_4)
	v_add_co_u32 v74, vcc_lo, s0, v12
	v_add_co_ci_u32_e32 v75, vcc_lo, s1, v13, vcc_lo
	s_clause 0x6
	global_load_b64 v[12:13], v[68:69], off
	global_load_b64 v[14:15], v[66:67], off
	;; [unrolled: 1-line block ×5, first 2 shown]
	global_load_b64 v[2:3], v26, s[0:1]
	global_load_b64 v[22:23], v[74:75], off
	s_mov_b32 s0, -1
	s_cbranch_scc1 .LBB10_14
; %bb.4:
	v_cmp_eq_u32_e64 s0, 0, v0
	s_delay_alu instid0(VALU_DEP_1)
	s_and_saveexec_b32 s1, s0
	s_cbranch_execz .LBB10_6
; %bb.5:
	v_mov_b32_e32 v24, 0
	ds_store_b32 v24, v24 offset:88
.LBB10_6:
	s_or_b32 exec_lo, exec_lo, s1
	v_cmp_eq_u32_e32 vcc_lo, 1, v0
	s_mov_b32 s2, exec_lo
	s_waitcnt vmcnt(0) lgkmcnt(0)
	s_barrier
	buffer_gl0_inv
	v_dual_cndmask_b32 v24, v3, v5 :: v_dual_cndmask_b32 v25, v2, v4
	v_cmp_eq_u32_e32 vcc_lo, 2, v0
	s_delay_alu instid0(VALU_DEP_2) | instskip(SKIP_1) | instid1(VALU_DEP_2)
	v_dual_cndmask_b32 v24, v24, v7 :: v_dual_cndmask_b32 v25, v25, v6
	v_cmp_eq_u32_e32 vcc_lo, 3, v0
	v_dual_cndmask_b32 v24, v24, v9 :: v_dual_cndmask_b32 v25, v25, v8
	v_cmp_eq_u32_e32 vcc_lo, 4, v0
	s_delay_alu instid0(VALU_DEP_2) | instskip(SKIP_1) | instid1(VALU_DEP_2)
	v_dual_cndmask_b32 v24, v24, v11 :: v_dual_cndmask_b32 v25, v25, v10
	v_cmp_eq_u32_e32 vcc_lo, 5, v0
	v_dual_cndmask_b32 v24, v24, v13 :: v_dual_cndmask_b32 v25, v25, v12
	v_cmp_eq_u32_e32 vcc_lo, 6, v0
	s_delay_alu instid0(VALU_DEP_2) | instskip(SKIP_1) | instid1(VALU_DEP_2)
	v_dual_cndmask_b32 v24, v24, v15 :: v_dual_cndmask_b32 v25, v25, v14
	v_cmp_eq_u32_e32 vcc_lo, 7, v0
	v_dual_cndmask_b32 v24, v24, v17 :: v_dual_cndmask_b32 v25, v25, v16
	v_cmp_eq_u32_e32 vcc_lo, 8, v0
	s_delay_alu instid0(VALU_DEP_2) | instskip(SKIP_1) | instid1(VALU_DEP_2)
	v_dual_cndmask_b32 v24, v24, v19 :: v_dual_cndmask_b32 v25, v25, v18
	v_cmp_eq_u32_e32 vcc_lo, 9, v0
	v_dual_cndmask_b32 v24, v24, v21 :: v_dual_cndmask_b32 v27, v25, v20
	v_cmp_eq_u32_e32 vcc_lo, 10, v0
	s_delay_alu instid0(VALU_DEP_2) | instskip(NEXT) | instid1(VALU_DEP_1)
	v_dual_cndmask_b32 v25, v24, v23 :: v_dual_cndmask_b32 v24, v27, v22
	v_cmpx_eq_f64_e32 0, v[24:25]
	s_cbranch_execz .LBB10_10
; %bb.7:
	v_mov_b32_e32 v27, 0
	s_mov_b32 s3, 0
	ds_load_b32 v28, v27 offset:88
	s_waitcnt lgkmcnt(0)
	v_readfirstlane_b32 s1, v28
	v_add_nc_u32_e32 v28, 1, v0
	s_delay_alu instid0(VALU_DEP_2) | instskip(NEXT) | instid1(VALU_DEP_1)
	s_cmp_eq_u32 s1, 0
	v_cmp_gt_i32_e32 vcc_lo, s1, v28
	s_cselect_b32 s4, -1, 0
	s_delay_alu instid0(SALU_CYCLE_1) | instskip(NEXT) | instid1(SALU_CYCLE_1)
	s_or_b32 s4, s4, vcc_lo
	s_and_b32 exec_lo, exec_lo, s4
	s_cbranch_execz .LBB10_10
; %bb.8:
	v_mov_b32_e32 v29, s1
.LBB10_9:                               ; =>This Inner Loop Header: Depth=1
	ds_cmpstore_rtn_b32 v29, v27, v28, v29 offset:88
	s_waitcnt lgkmcnt(0)
	v_cmp_ne_u32_e32 vcc_lo, 0, v29
	v_cmp_le_i32_e64 s1, v29, v28
	s_delay_alu instid0(VALU_DEP_1) | instskip(NEXT) | instid1(SALU_CYCLE_1)
	s_and_b32 s1, vcc_lo, s1
	s_and_b32 s1, exec_lo, s1
	s_delay_alu instid0(SALU_CYCLE_1) | instskip(NEXT) | instid1(SALU_CYCLE_1)
	s_or_b32 s3, s1, s3
	s_and_not1_b32 exec_lo, exec_lo, s3
	s_cbranch_execnz .LBB10_9
.LBB10_10:
	s_or_b32 exec_lo, exec_lo, s2
	v_mov_b32_e32 v27, 0
	s_barrier
	buffer_gl0_inv
	ds_load_b32 v28, v27 offset:88
	s_and_saveexec_b32 s1, s0
	s_cbranch_execz .LBB10_12
; %bb.11:
	s_lshl_b64 s[2:3], s[14:15], 2
	s_delay_alu instid0(SALU_CYCLE_1)
	s_add_u32 s2, s10, s2
	s_addc_u32 s3, s11, s3
	s_waitcnt lgkmcnt(0)
	global_store_b32 v27, v28, s[2:3]
.LBB10_12:
	s_or_b32 exec_lo, exec_lo, s1
	s_waitcnt lgkmcnt(0)
	v_cmp_ne_u32_e32 vcc_lo, 0, v28
	s_cbranch_vccz .LBB10_17
; %bb.13:
	s_mov_b32 s0, 0
                                        ; implicit-def: $vgpr2_vgpr3_vgpr4_vgpr5_vgpr6_vgpr7_vgpr8_vgpr9_vgpr10_vgpr11_vgpr12_vgpr13_vgpr14_vgpr15_vgpr16_vgpr17_vgpr18_vgpr19_vgpr20_vgpr21_vgpr22_vgpr23_vgpr24_vgpr25_vgpr26_vgpr27_vgpr28_vgpr29_vgpr30_vgpr31_vgpr32_vgpr33
.LBB10_14:
	s_delay_alu instid0(SALU_CYCLE_1)
	s_and_b32 vcc_lo, exec_lo, s0
	s_cbranch_vccz .LBB10_16
.LBB10_15:
	s_lshl_b64 s[0:1], s[14:15], 2
	v_mov_b32_e32 v1, 0
	s_add_u32 s0, s10, s0
	s_addc_u32 s1, s11, s1
	global_load_b32 v1, v1, s[0:1]
	s_waitcnt vmcnt(0)
	v_cmp_ne_u32_e32 vcc_lo, 0, v1
	s_cbranch_vccz .LBB10_68
.LBB10_16:
	s_nop 0
	s_sendmsg sendmsg(MSG_DEALLOC_VGPRS)
	s_endpgm
.LBB10_17:
	v_div_scale_f64 v[27:28], null, v[24:25], v[24:25], 1.0
	v_div_scale_f64 v[33:34], vcc_lo, 1.0, v[24:25], 1.0
	v_cmp_eq_u32_e64 s1, 8, v0
	v_cmp_eq_u32_e64 s2, 7, v0
	v_cmp_eq_u32_e64 s3, 6, v0
	v_cmp_eq_u32_e64 s4, 5, v0
	v_cmp_eq_u32_e64 s5, 4, v0
	v_cmp_eq_u32_e64 s6, 10, v0
	v_cmp_eq_u32_e64 s7, 3, v0
	v_cmp_eq_u32_e64 s8, 1, v0
	v_cmp_eq_u32_e64 s9, 0, v0
	v_rcp_f64_e32 v[29:30], v[27:28]
	s_waitcnt_depctr 0xfff
	v_fma_f64 v[31:32], -v[27:28], v[29:30], 1.0
	s_delay_alu instid0(VALU_DEP_1) | instskip(NEXT) | instid1(VALU_DEP_1)
	v_fma_f64 v[29:30], v[29:30], v[31:32], v[29:30]
	v_fma_f64 v[31:32], -v[27:28], v[29:30], 1.0
	s_delay_alu instid0(VALU_DEP_1) | instskip(NEXT) | instid1(VALU_DEP_1)
	v_fma_f64 v[29:30], v[29:30], v[31:32], v[29:30]
	v_mul_f64 v[31:32], v[33:34], v[29:30]
	s_delay_alu instid0(VALU_DEP_1) | instskip(NEXT) | instid1(VALU_DEP_1)
	v_fma_f64 v[27:28], -v[27:28], v[31:32], v[33:34]
	v_div_fmas_f64 v[27:28], v[27:28], v[29:30], v[31:32]
	v_cmp_eq_u32_e32 vcc_lo, 9, v0
	s_delay_alu instid0(VALU_DEP_2) | instskip(NEXT) | instid1(VALU_DEP_1)
	v_div_fixup_f64 v[24:25], v[27:28], v[24:25], 1.0
	v_dual_cndmask_b32 v21, v21, v25 :: v_dual_add_nc_u32 v28, 0x60, v26
	s_delay_alu instid0(VALU_DEP_2)
	v_cndmask_b32_e32 v20, v20, v24, vcc_lo
	v_cmp_eq_u32_e32 vcc_lo, 2, v0
	v_cndmask_b32_e64 v23, v23, v25, s6
	v_cndmask_b32_e64 v22, v22, v24, s6
	;; [unrolled: 1-line block ×4, first 2 shown]
	v_cndmask_b32_e32 v7, v7, v25, vcc_lo
	v_cndmask_b32_e64 v17, v17, v25, s2
	v_cndmask_b32_e64 v16, v16, v24, s2
	;; [unrolled: 1-line block ×12, first 2 shown]
	v_xor_b32_e32 v30, 0x80000000, v25
	v_dual_mov_b32 v29, v24 :: v_dual_cndmask_b32 v6, v6, v24
	v_cndmask_b32_e64 v3, v3, v25, s9
	v_cndmask_b32_e64 v2, v2, v24, s9
	ds_store_2addr_b64 v26, v[29:30], v[4:5] offset1:12
	s_waitcnt lgkmcnt(0)
	s_waitcnt_vscnt null, 0x0
	s_barrier
	buffer_gl0_inv
	s_and_saveexec_b32 s1, s0
	s_cbranch_execz .LBB10_19
; %bb.18:
	ds_load_b64 v[4:5], v28
	v_mov_b32_e32 v26, 0
	ds_load_b64 v[26:27], v26 offset:8
	s_waitcnt lgkmcnt(1)
	v_fma_f64 v[4:5], v[24:25], v[4:5], 0
	s_waitcnt lgkmcnt(0)
	s_delay_alu instid0(VALU_DEP_1)
	v_mul_f64 v[4:5], v[4:5], v[26:27]
.LBB10_19:
	s_or_b32 exec_lo, exec_lo, s1
	v_cmp_gt_u32_e32 vcc_lo, 2, v0
	s_barrier
	buffer_gl0_inv
	ds_store_b64 v28, v[6:7]
	s_waitcnt lgkmcnt(0)
	s_barrier
	buffer_gl0_inv
	s_and_saveexec_b32 s2, vcc_lo
	s_cbranch_execz .LBB10_23
; %bb.20:
	v_cmp_eq_u32_e64 s1, 1, v0
	s_delay_alu instid0(VALU_DEP_1) | instskip(SKIP_2) | instid1(VALU_DEP_1)
	v_cndmask_b32_e64 v24, v3, v5, s1
	v_cndmask_b32_e64 v25, v2, v4, s1
	v_cmp_eq_u32_e64 s1, 2, v0
	v_cndmask_b32_e64 v7, v24, v7, s1
	s_delay_alu instid0(VALU_DEP_3) | instskip(SKIP_1) | instid1(VALU_DEP_1)
	v_cndmask_b32_e64 v6, v25, v6, s1
	v_cmp_eq_u32_e64 s1, 3, v0
	v_cndmask_b32_e64 v7, v7, v9, s1
	s_delay_alu instid0(VALU_DEP_3) | instskip(SKIP_1) | instid1(VALU_DEP_1)
	;; [unrolled: 4-line block ×5, first 2 shown]
	v_cndmask_b32_e64 v6, v6, v14, s1
	v_cmp_eq_u32_e64 s1, 7, v0
	v_cndmask_b32_e64 v24, v7, v17, s1
	s_delay_alu instid0(VALU_DEP_3)
	v_cndmask_b32_e64 v25, v6, v16, s1
	v_cmp_eq_u32_e64 s1, 8, v0
	ds_load_b64 v[6:7], v28
	v_cndmask_b32_e64 v24, v24, v19, s1
	v_cndmask_b32_e64 v25, v25, v18, s1
	v_cmp_eq_u32_e64 s1, 9, v0
	s_delay_alu instid0(VALU_DEP_1) | instskip(NEXT) | instid1(VALU_DEP_3)
	v_cndmask_b32_e64 v24, v24, v21, s1
	v_cndmask_b32_e64 v26, v25, v20, s1
	v_cmp_eq_u32_e64 s1, 10, v0
	s_delay_alu instid0(VALU_DEP_1) | instskip(NEXT) | instid1(VALU_DEP_3)
	v_cndmask_b32_e64 v25, v24, v23, s1
	v_cndmask_b32_e64 v24, v26, v22, s1
	s_waitcnt lgkmcnt(0)
	s_delay_alu instid0(VALU_DEP_1)
	v_fma_f64 v[6:7], v[24:25], v[6:7], 0
	s_and_saveexec_b32 s1, s0
	s_cbranch_execz .LBB10_22
; %bb.21:
	v_mov_b32_e32 v24, 0
	ds_load_b64 v[24:25], v24 offset:104
	s_waitcnt lgkmcnt(0)
	v_fma_f64 v[6:7], v[4:5], v[24:25], v[6:7]
.LBB10_22:
	s_or_b32 exec_lo, exec_lo, s1
	v_mov_b32_e32 v24, 0
	ds_load_b64 v[24:25], v24 offset:16
	s_waitcnt lgkmcnt(0)
	v_mul_f64 v[6:7], v[6:7], v[24:25]
.LBB10_23:
	s_or_b32 exec_lo, exec_lo, s2
	s_delay_alu instid0(SALU_CYCLE_1)
	s_mov_b32 s3, exec_lo
	s_barrier
	buffer_gl0_inv
	ds_store_b64 v28, v[8:9]
	s_waitcnt lgkmcnt(0)
	s_barrier
	buffer_gl0_inv
	v_cmpx_gt_u32_e32 3, v0
	s_cbranch_execz .LBB10_27
; %bb.24:
	v_dual_mov_b32 v24, 0 :: v_dual_mov_b32 v27, v1
	v_lshl_add_u32 v29, v0, 3, 0x60
	v_dual_mov_b32 v25, 0 :: v_dual_mov_b32 v26, v0
	s_mov_b32 s4, 0
.LBB10_25:                              ; =>This Inner Loop Header: Depth=1
	s_delay_alu instid0(VALU_DEP_1) | instskip(SKIP_1) | instid1(VALU_DEP_2)
	v_cmp_eq_u32_e64 s1, 1, v26
	v_cmp_eq_u32_e64 s2, 2, v26
	v_cndmask_b32_e64 v30, v3, v5, s1
	v_cndmask_b32_e64 v31, v2, v4, s1
	v_cmp_eq_u32_e64 s1, 3, v26
	s_delay_alu instid0(VALU_DEP_3) | instskip(NEXT) | instid1(VALU_DEP_3)
	v_cndmask_b32_e64 v30, v30, v7, s2
	v_cndmask_b32_e64 v31, v31, v6, s2
	v_cmp_eq_u32_e64 s2, 4, v26
	s_delay_alu instid0(VALU_DEP_3) | instskip(NEXT) | instid1(VALU_DEP_3)
	;; [unrolled: 4-line block ×5, first 2 shown]
	v_cndmask_b32_e64 v32, v30, v15, s2
	v_cndmask_b32_e64 v33, v31, v14, s2
	ds_load_b64 v[30:31], v29
	v_cmp_eq_u32_e64 s2, 8, v26
	v_add_nc_u32_e32 v29, 8, v29
	v_cndmask_b32_e64 v32, v32, v17, s1
	v_cndmask_b32_e64 v33, v33, v16, s1
	v_cmp_eq_u32_e64 s1, 9, v26
	s_delay_alu instid0(VALU_DEP_3) | instskip(NEXT) | instid1(VALU_DEP_3)
	v_cndmask_b32_e64 v32, v32, v19, s2
	v_cndmask_b32_e64 v33, v33, v18, s2
	v_cmp_eq_u32_e64 s2, 10, v26
	s_delay_alu instid0(VALU_DEP_3) | instskip(NEXT) | instid1(VALU_DEP_3)
	v_cndmask_b32_e64 v32, v32, v21, s1
	v_cndmask_b32_e64 v34, v33, v20, s1
	v_add_co_u32 v26, s1, v26, 1
	s_delay_alu instid0(VALU_DEP_1) | instskip(NEXT) | instid1(VALU_DEP_4)
	v_add_co_ci_u32_e64 v27, s1, 0, v27, s1
	v_cndmask_b32_e64 v33, v32, v23, s2
	s_delay_alu instid0(VALU_DEP_4) | instskip(SKIP_1) | instid1(VALU_DEP_1)
	v_cndmask_b32_e64 v32, v34, v22, s2
	s_waitcnt lgkmcnt(0)
	v_fma_f64 v[24:25], v[32:33], v[30:31], v[24:25]
	v_add_nc_u32_e32 v30, -1, v26
	s_delay_alu instid0(VALU_DEP_1) | instskip(NEXT) | instid1(VALU_DEP_1)
	v_cmp_lt_u32_e64 s1, 1, v30
	s_or_b32 s4, s1, s4
	s_delay_alu instid0(SALU_CYCLE_1)
	s_and_not1_b32 exec_lo, exec_lo, s4
	s_cbranch_execnz .LBB10_25
; %bb.26:
	s_or_b32 exec_lo, exec_lo, s4
	v_mov_b32_e32 v8, 0
	ds_load_b64 v[8:9], v8 offset:24
	s_waitcnt lgkmcnt(0)
	v_mul_f64 v[8:9], v[24:25], v[8:9]
.LBB10_27:
	s_or_b32 exec_lo, exec_lo, s3
	v_cmp_gt_u32_e64 s1, 4, v0
	s_barrier
	buffer_gl0_inv
	ds_store_b64 v28, v[10:11]
	s_waitcnt lgkmcnt(0)
	s_barrier
	buffer_gl0_inv
	s_and_saveexec_b32 s4, s1
	s_cbranch_execz .LBB10_31
; %bb.28:
	v_dual_mov_b32 v24, 0 :: v_dual_mov_b32 v27, v1
	v_lshl_add_u32 v29, v0, 3, 0x60
	v_dual_mov_b32 v25, 0 :: v_dual_mov_b32 v26, v0
	s_mov_b32 s5, 0
.LBB10_29:                              ; =>This Inner Loop Header: Depth=1
	s_delay_alu instid0(VALU_DEP_1) | instskip(SKIP_1) | instid1(VALU_DEP_2)
	v_cmp_eq_u32_e64 s2, 1, v26
	v_cmp_eq_u32_e64 s3, 2, v26
	v_cndmask_b32_e64 v30, v3, v5, s2
	v_cndmask_b32_e64 v31, v2, v4, s2
	v_cmp_eq_u32_e64 s2, 3, v26
	s_delay_alu instid0(VALU_DEP_3) | instskip(NEXT) | instid1(VALU_DEP_3)
	v_cndmask_b32_e64 v30, v30, v7, s3
	v_cndmask_b32_e64 v31, v31, v6, s3
	v_cmp_eq_u32_e64 s3, 4, v26
	s_delay_alu instid0(VALU_DEP_3) | instskip(NEXT) | instid1(VALU_DEP_3)
	;; [unrolled: 4-line block ×5, first 2 shown]
	v_cndmask_b32_e64 v32, v30, v15, s3
	v_cndmask_b32_e64 v33, v31, v14, s3
	ds_load_b64 v[30:31], v29
	v_cmp_eq_u32_e64 s3, 8, v26
	v_add_nc_u32_e32 v29, 8, v29
	v_cndmask_b32_e64 v32, v32, v17, s2
	v_cndmask_b32_e64 v33, v33, v16, s2
	v_cmp_eq_u32_e64 s2, 9, v26
	s_delay_alu instid0(VALU_DEP_3) | instskip(NEXT) | instid1(VALU_DEP_3)
	v_cndmask_b32_e64 v32, v32, v19, s3
	v_cndmask_b32_e64 v33, v33, v18, s3
	v_cmp_eq_u32_e64 s3, 10, v26
	s_delay_alu instid0(VALU_DEP_3) | instskip(NEXT) | instid1(VALU_DEP_3)
	v_cndmask_b32_e64 v32, v32, v21, s2
	v_cndmask_b32_e64 v34, v33, v20, s2
	v_add_co_u32 v26, s2, v26, 1
	s_delay_alu instid0(VALU_DEP_1) | instskip(NEXT) | instid1(VALU_DEP_4)
	v_add_co_ci_u32_e64 v27, s2, 0, v27, s2
	v_cndmask_b32_e64 v33, v32, v23, s3
	s_delay_alu instid0(VALU_DEP_4) | instskip(SKIP_1) | instid1(VALU_DEP_1)
	v_cndmask_b32_e64 v32, v34, v22, s3
	s_waitcnt lgkmcnt(0)
	v_fma_f64 v[24:25], v[32:33], v[30:31], v[24:25]
	v_add_nc_u32_e32 v30, -1, v26
	s_delay_alu instid0(VALU_DEP_1) | instskip(NEXT) | instid1(VALU_DEP_1)
	v_cmp_lt_u32_e64 s2, 2, v30
	s_or_b32 s5, s2, s5
	s_delay_alu instid0(SALU_CYCLE_1)
	s_and_not1_b32 exec_lo, exec_lo, s5
	s_cbranch_execnz .LBB10_29
; %bb.30:
	s_or_b32 exec_lo, exec_lo, s5
	v_mov_b32_e32 v10, 0
	ds_load_b64 v[10:11], v10 offset:32
	s_waitcnt lgkmcnt(0)
	v_mul_f64 v[10:11], v[24:25], v[10:11]
.LBB10_31:
	s_or_b32 exec_lo, exec_lo, s4
	s_delay_alu instid0(SALU_CYCLE_1)
	s_mov_b32 s4, exec_lo
	s_barrier
	buffer_gl0_inv
	ds_store_b64 v28, v[12:13]
	s_waitcnt lgkmcnt(0)
	s_barrier
	buffer_gl0_inv
	v_cmpx_gt_u32_e32 5, v0
	s_cbranch_execz .LBB10_35
; %bb.32:
	v_dual_mov_b32 v24, 0 :: v_dual_mov_b32 v27, v1
	v_lshl_add_u32 v29, v0, 3, 0x60
	v_dual_mov_b32 v25, 0 :: v_dual_mov_b32 v26, v0
	s_mov_b32 s5, 0
.LBB10_33:                              ; =>This Inner Loop Header: Depth=1
	s_delay_alu instid0(VALU_DEP_1) | instskip(SKIP_1) | instid1(VALU_DEP_2)
	v_cmp_eq_u32_e64 s2, 1, v26
	v_cmp_eq_u32_e64 s3, 2, v26
	v_cndmask_b32_e64 v30, v3, v5, s2
	v_cndmask_b32_e64 v31, v2, v4, s2
	v_cmp_eq_u32_e64 s2, 3, v26
	s_delay_alu instid0(VALU_DEP_3) | instskip(NEXT) | instid1(VALU_DEP_3)
	v_cndmask_b32_e64 v30, v30, v7, s3
	v_cndmask_b32_e64 v31, v31, v6, s3
	v_cmp_eq_u32_e64 s3, 4, v26
	s_delay_alu instid0(VALU_DEP_3) | instskip(NEXT) | instid1(VALU_DEP_3)
	;; [unrolled: 4-line block ×5, first 2 shown]
	v_cndmask_b32_e64 v32, v30, v15, s3
	v_cndmask_b32_e64 v33, v31, v14, s3
	ds_load_b64 v[30:31], v29
	v_cmp_eq_u32_e64 s3, 8, v26
	v_add_nc_u32_e32 v29, 8, v29
	v_cndmask_b32_e64 v32, v32, v17, s2
	v_cndmask_b32_e64 v33, v33, v16, s2
	v_cmp_eq_u32_e64 s2, 9, v26
	s_delay_alu instid0(VALU_DEP_3) | instskip(NEXT) | instid1(VALU_DEP_3)
	v_cndmask_b32_e64 v32, v32, v19, s3
	v_cndmask_b32_e64 v33, v33, v18, s3
	v_cmp_eq_u32_e64 s3, 10, v26
	s_delay_alu instid0(VALU_DEP_3) | instskip(NEXT) | instid1(VALU_DEP_3)
	v_cndmask_b32_e64 v32, v32, v21, s2
	v_cndmask_b32_e64 v34, v33, v20, s2
	v_add_co_u32 v26, s2, v26, 1
	s_delay_alu instid0(VALU_DEP_1) | instskip(NEXT) | instid1(VALU_DEP_4)
	v_add_co_ci_u32_e64 v27, s2, 0, v27, s2
	v_cndmask_b32_e64 v33, v32, v23, s3
	s_delay_alu instid0(VALU_DEP_4) | instskip(SKIP_1) | instid1(VALU_DEP_1)
	v_cndmask_b32_e64 v32, v34, v22, s3
	s_waitcnt lgkmcnt(0)
	v_fma_f64 v[24:25], v[32:33], v[30:31], v[24:25]
	v_add_nc_u32_e32 v30, -1, v26
	s_delay_alu instid0(VALU_DEP_1) | instskip(NEXT) | instid1(VALU_DEP_1)
	v_cmp_lt_u32_e64 s2, 3, v30
	s_or_b32 s5, s2, s5
	s_delay_alu instid0(SALU_CYCLE_1)
	s_and_not1_b32 exec_lo, exec_lo, s5
	s_cbranch_execnz .LBB10_33
; %bb.34:
	s_or_b32 exec_lo, exec_lo, s5
	v_mov_b32_e32 v12, 0
	ds_load_b64 v[12:13], v12 offset:40
	s_waitcnt lgkmcnt(0)
	v_mul_f64 v[12:13], v[24:25], v[12:13]
.LBB10_35:
	s_or_b32 exec_lo, exec_lo, s4
	v_cmp_gt_u32_e64 s2, 6, v0
	s_barrier
	buffer_gl0_inv
	ds_store_b64 v28, v[14:15]
	s_waitcnt lgkmcnt(0)
	s_barrier
	buffer_gl0_inv
	s_and_saveexec_b32 s5, s2
	s_cbranch_execz .LBB10_39
; %bb.36:
	v_dual_mov_b32 v24, 0 :: v_dual_mov_b32 v27, v1
	v_lshl_add_u32 v29, v0, 3, 0x60
	v_dual_mov_b32 v25, 0 :: v_dual_mov_b32 v26, v0
	s_mov_b32 s6, 0
.LBB10_37:                              ; =>This Inner Loop Header: Depth=1
	s_delay_alu instid0(VALU_DEP_1) | instskip(SKIP_1) | instid1(VALU_DEP_2)
	v_cmp_eq_u32_e64 s3, 1, v26
	v_cmp_eq_u32_e64 s4, 2, v26
	v_cndmask_b32_e64 v30, v3, v5, s3
	v_cndmask_b32_e64 v31, v2, v4, s3
	v_cmp_eq_u32_e64 s3, 3, v26
	s_delay_alu instid0(VALU_DEP_3) | instskip(NEXT) | instid1(VALU_DEP_3)
	v_cndmask_b32_e64 v30, v30, v7, s4
	v_cndmask_b32_e64 v31, v31, v6, s4
	v_cmp_eq_u32_e64 s4, 4, v26
	s_delay_alu instid0(VALU_DEP_3) | instskip(NEXT) | instid1(VALU_DEP_3)
	;; [unrolled: 4-line block ×5, first 2 shown]
	v_cndmask_b32_e64 v32, v30, v15, s4
	v_cndmask_b32_e64 v33, v31, v14, s4
	ds_load_b64 v[30:31], v29
	v_cmp_eq_u32_e64 s4, 8, v26
	v_add_nc_u32_e32 v29, 8, v29
	v_cndmask_b32_e64 v32, v32, v17, s3
	v_cndmask_b32_e64 v33, v33, v16, s3
	v_cmp_eq_u32_e64 s3, 9, v26
	s_delay_alu instid0(VALU_DEP_3) | instskip(NEXT) | instid1(VALU_DEP_3)
	v_cndmask_b32_e64 v32, v32, v19, s4
	v_cndmask_b32_e64 v33, v33, v18, s4
	v_cmp_eq_u32_e64 s4, 10, v26
	s_delay_alu instid0(VALU_DEP_3) | instskip(NEXT) | instid1(VALU_DEP_3)
	v_cndmask_b32_e64 v32, v32, v21, s3
	v_cndmask_b32_e64 v34, v33, v20, s3
	v_add_co_u32 v26, s3, v26, 1
	s_delay_alu instid0(VALU_DEP_1) | instskip(NEXT) | instid1(VALU_DEP_4)
	v_add_co_ci_u32_e64 v27, s3, 0, v27, s3
	v_cndmask_b32_e64 v33, v32, v23, s4
	s_delay_alu instid0(VALU_DEP_4) | instskip(SKIP_1) | instid1(VALU_DEP_1)
	v_cndmask_b32_e64 v32, v34, v22, s4
	s_waitcnt lgkmcnt(0)
	v_fma_f64 v[24:25], v[32:33], v[30:31], v[24:25]
	v_add_nc_u32_e32 v30, -1, v26
	s_delay_alu instid0(VALU_DEP_1) | instskip(NEXT) | instid1(VALU_DEP_1)
	v_cmp_lt_u32_e64 s3, 4, v30
	s_or_b32 s6, s3, s6
	s_delay_alu instid0(SALU_CYCLE_1)
	s_and_not1_b32 exec_lo, exec_lo, s6
	s_cbranch_execnz .LBB10_37
; %bb.38:
	s_or_b32 exec_lo, exec_lo, s6
	v_mov_b32_e32 v14, 0
	ds_load_b64 v[14:15], v14 offset:48
	s_waitcnt lgkmcnt(0)
	v_mul_f64 v[14:15], v[24:25], v[14:15]
.LBB10_39:
	s_or_b32 exec_lo, exec_lo, s5
	s_delay_alu instid0(SALU_CYCLE_1)
	s_mov_b32 s5, exec_lo
	s_barrier
	buffer_gl0_inv
	ds_store_b64 v28, v[16:17]
	s_waitcnt lgkmcnt(0)
	s_barrier
	buffer_gl0_inv
	v_cmpx_gt_u32_e32 7, v0
	s_cbranch_execz .LBB10_43
; %bb.40:
	v_dual_mov_b32 v24, 0 :: v_dual_mov_b32 v27, v1
	v_lshl_add_u32 v29, v0, 3, 0x60
	v_dual_mov_b32 v25, 0 :: v_dual_mov_b32 v26, v0
	s_mov_b32 s6, 0
.LBB10_41:                              ; =>This Inner Loop Header: Depth=1
	s_delay_alu instid0(VALU_DEP_1) | instskip(SKIP_1) | instid1(VALU_DEP_2)
	v_cmp_eq_u32_e64 s3, 1, v26
	v_cmp_eq_u32_e64 s4, 2, v26
	v_cndmask_b32_e64 v30, v3, v5, s3
	v_cndmask_b32_e64 v31, v2, v4, s3
	v_cmp_eq_u32_e64 s3, 3, v26
	s_delay_alu instid0(VALU_DEP_3) | instskip(NEXT) | instid1(VALU_DEP_3)
	v_cndmask_b32_e64 v30, v30, v7, s4
	v_cndmask_b32_e64 v31, v31, v6, s4
	v_cmp_eq_u32_e64 s4, 4, v26
	s_delay_alu instid0(VALU_DEP_3) | instskip(NEXT) | instid1(VALU_DEP_3)
	;; [unrolled: 4-line block ×5, first 2 shown]
	v_cndmask_b32_e64 v32, v30, v15, s4
	v_cndmask_b32_e64 v33, v31, v14, s4
	ds_load_b64 v[30:31], v29
	v_cmp_eq_u32_e64 s4, 8, v26
	v_add_nc_u32_e32 v29, 8, v29
	v_cndmask_b32_e64 v32, v32, v17, s3
	v_cndmask_b32_e64 v33, v33, v16, s3
	v_cmp_eq_u32_e64 s3, 9, v26
	s_delay_alu instid0(VALU_DEP_3) | instskip(NEXT) | instid1(VALU_DEP_3)
	v_cndmask_b32_e64 v32, v32, v19, s4
	v_cndmask_b32_e64 v33, v33, v18, s4
	v_cmp_eq_u32_e64 s4, 10, v26
	s_delay_alu instid0(VALU_DEP_3) | instskip(NEXT) | instid1(VALU_DEP_3)
	v_cndmask_b32_e64 v32, v32, v21, s3
	v_cndmask_b32_e64 v34, v33, v20, s3
	v_add_co_u32 v26, s3, v26, 1
	s_delay_alu instid0(VALU_DEP_1) | instskip(NEXT) | instid1(VALU_DEP_4)
	v_add_co_ci_u32_e64 v27, s3, 0, v27, s3
	v_cndmask_b32_e64 v33, v32, v23, s4
	s_delay_alu instid0(VALU_DEP_4) | instskip(SKIP_1) | instid1(VALU_DEP_1)
	v_cndmask_b32_e64 v32, v34, v22, s4
	s_waitcnt lgkmcnt(0)
	v_fma_f64 v[24:25], v[32:33], v[30:31], v[24:25]
	v_add_nc_u32_e32 v30, -1, v26
	s_delay_alu instid0(VALU_DEP_1) | instskip(NEXT) | instid1(VALU_DEP_1)
	v_cmp_lt_u32_e64 s3, 5, v30
	s_or_b32 s6, s3, s6
	s_delay_alu instid0(SALU_CYCLE_1)
	s_and_not1_b32 exec_lo, exec_lo, s6
	s_cbranch_execnz .LBB10_41
; %bb.42:
	s_or_b32 exec_lo, exec_lo, s6
	v_mov_b32_e32 v16, 0
	ds_load_b64 v[16:17], v16 offset:56
	s_waitcnt lgkmcnt(0)
	v_mul_f64 v[16:17], v[24:25], v[16:17]
.LBB10_43:
	s_or_b32 exec_lo, exec_lo, s5
	s_delay_alu instid0(SALU_CYCLE_1)
	s_mov_b32 s4, exec_lo
	s_barrier
	buffer_gl0_inv
	ds_store_b64 v28, v[18:19]
	s_waitcnt lgkmcnt(0)
	s_barrier
	buffer_gl0_inv
	v_cmpx_gt_u32_e32 8, v0
	s_cbranch_execz .LBB10_59
; %bb.44:
	v_cmp_eq_u32_e64 s3, 1, v0
	s_mov_b32 s5, exec_lo
	s_delay_alu instid0(VALU_DEP_1) | instskip(SKIP_2) | instid1(VALU_DEP_1)
	v_cndmask_b32_e64 v24, v3, v5, s3
	v_cndmask_b32_e64 v25, v2, v4, s3
	v_cmp_eq_u32_e64 s3, 2, v0
	v_cndmask_b32_e64 v24, v24, v7, s3
	s_delay_alu instid0(VALU_DEP_3) | instskip(SKIP_1) | instid1(VALU_DEP_1)
	v_cndmask_b32_e64 v25, v25, v6, s3
	v_cmp_eq_u32_e64 s3, 3, v0
	v_cndmask_b32_e64 v24, v24, v9, s3
	s_delay_alu instid0(VALU_DEP_3) | instskip(SKIP_1) | instid1(VALU_DEP_1)
	;; [unrolled: 4-line block ×5, first 2 shown]
	v_cndmask_b32_e64 v25, v25, v14, s3
	v_cmp_eq_u32_e64 s3, 7, v0
	v_cndmask_b32_e64 v26, v24, v17, s3
	s_delay_alu instid0(VALU_DEP_3)
	v_cndmask_b32_e64 v27, v25, v16, s3
	v_cmp_eq_u32_e64 s3, 8, v0
	ds_load_b64 v[24:25], v28
	v_cndmask_b32_e64 v26, v26, v19, s3
	v_cndmask_b32_e64 v27, v27, v18, s3
	v_cmp_eq_u32_e64 s3, 9, v0
	s_delay_alu instid0(VALU_DEP_1) | instskip(NEXT) | instid1(VALU_DEP_3)
	v_cndmask_b32_e64 v26, v26, v21, s3
	v_cndmask_b32_e64 v29, v27, v20, s3
	v_cmp_eq_u32_e64 s3, 10, v0
	s_delay_alu instid0(VALU_DEP_1) | instskip(NEXT) | instid1(VALU_DEP_3)
	v_cndmask_b32_e64 v27, v26, v23, s3
	v_cndmask_b32_e64 v26, v29, v22, s3
	s_waitcnt lgkmcnt(0)
	s_delay_alu instid0(VALU_DEP_1)
	v_fma_f64 v[24:25], v[26:27], v[24:25], 0
	v_cmpx_ne_u32_e32 7, v0
	s_cbranch_execz .LBB10_58
; %bb.45:
	v_add_nc_u32_e32 v29, 1, v0
	s_delay_alu instid0(VALU_DEP_1) | instskip(NEXT) | instid1(VALU_DEP_1)
	v_cmp_eq_u32_e64 s3, 1, v29
	v_cndmask_b32_e64 v26, v3, v5, s3
	v_cndmask_b32_e64 v27, v2, v4, s3
	v_cmp_eq_u32_e64 s3, 2, v29
	s_delay_alu instid0(VALU_DEP_1) | instskip(NEXT) | instid1(VALU_DEP_3)
	v_cndmask_b32_e64 v26, v26, v7, s3
	v_cndmask_b32_e64 v27, v27, v6, s3
	v_cmp_eq_u32_e64 s3, 3, v29
	s_delay_alu instid0(VALU_DEP_1) | instskip(NEXT) | instid1(VALU_DEP_3)
	;; [unrolled: 4-line block ×6, first 2 shown]
	v_cndmask_b32_e64 v30, v26, v17, s3
	v_cndmask_b32_e64 v31, v27, v16, s3
	v_cmp_eq_u32_e64 s3, 8, v29
	ds_load_b64 v[26:27], v28 offset:8
	v_cndmask_b32_e64 v30, v30, v19, s3
	v_cndmask_b32_e64 v31, v31, v18, s3
	v_cmp_eq_u32_e64 s3, 9, v29
	s_delay_alu instid0(VALU_DEP_1) | instskip(NEXT) | instid1(VALU_DEP_3)
	v_cndmask_b32_e64 v30, v30, v21, s3
	v_cndmask_b32_e64 v31, v31, v20, s3
	v_cmp_eq_u32_e64 s3, 10, v29
	s_delay_alu instid0(VALU_DEP_1) | instskip(NEXT) | instid1(VALU_DEP_3)
	v_cndmask_b32_e64 v30, v30, v23, s3
	v_cndmask_b32_e64 v29, v31, v22, s3
	s_waitcnt lgkmcnt(0)
	s_delay_alu instid0(VALU_DEP_1)
	v_fma_f64 v[24:25], v[29:30], v[26:27], v[24:25]
	s_and_saveexec_b32 s3, s2
	s_cbranch_execz .LBB10_57
; %bb.46:
	v_add_nc_u32_e32 v29, 2, v0
	s_mov_b32 s6, exec_lo
	s_delay_alu instid0(VALU_DEP_1) | instskip(NEXT) | instid1(VALU_DEP_1)
	v_cmp_eq_u32_e64 s2, 1, v29
	v_cndmask_b32_e64 v26, v3, v5, s2
	v_cndmask_b32_e64 v27, v2, v4, s2
	v_cmp_eq_u32_e64 s2, 2, v29
	s_delay_alu instid0(VALU_DEP_1) | instskip(NEXT) | instid1(VALU_DEP_3)
	v_cndmask_b32_e64 v26, v26, v7, s2
	v_cndmask_b32_e64 v27, v27, v6, s2
	v_cmp_eq_u32_e64 s2, 3, v29
	s_delay_alu instid0(VALU_DEP_1) | instskip(NEXT) | instid1(VALU_DEP_3)
	;; [unrolled: 4-line block ×6, first 2 shown]
	v_cndmask_b32_e64 v30, v26, v17, s2
	v_cndmask_b32_e64 v31, v27, v16, s2
	v_cmp_eq_u32_e64 s2, 8, v29
	ds_load_b64 v[26:27], v28 offset:16
	v_cndmask_b32_e64 v30, v30, v19, s2
	v_cndmask_b32_e64 v31, v31, v18, s2
	v_cmp_eq_u32_e64 s2, 9, v29
	s_delay_alu instid0(VALU_DEP_1) | instskip(NEXT) | instid1(VALU_DEP_3)
	v_cndmask_b32_e64 v30, v30, v21, s2
	v_cndmask_b32_e64 v31, v31, v20, s2
	v_cmp_eq_u32_e64 s2, 10, v29
	s_delay_alu instid0(VALU_DEP_1) | instskip(NEXT) | instid1(VALU_DEP_3)
	v_cndmask_b32_e64 v30, v30, v23, s2
	v_cndmask_b32_e64 v29, v31, v22, s2
	s_waitcnt lgkmcnt(0)
	s_delay_alu instid0(VALU_DEP_1)
	v_fma_f64 v[24:25], v[29:30], v[26:27], v[24:25]
	v_cmpx_ne_u32_e32 5, v0
	s_cbranch_execz .LBB10_56
; %bb.47:
	v_add_nc_u32_e32 v29, 3, v0
	s_delay_alu instid0(VALU_DEP_1) | instskip(NEXT) | instid1(VALU_DEP_1)
	v_cmp_eq_u32_e64 s2, 1, v29
	v_cndmask_b32_e64 v26, v3, v5, s2
	v_cndmask_b32_e64 v27, v2, v4, s2
	v_cmp_eq_u32_e64 s2, 2, v29
	s_delay_alu instid0(VALU_DEP_1) | instskip(NEXT) | instid1(VALU_DEP_3)
	v_cndmask_b32_e64 v26, v26, v7, s2
	v_cndmask_b32_e64 v27, v27, v6, s2
	v_cmp_eq_u32_e64 s2, 3, v29
	s_delay_alu instid0(VALU_DEP_1) | instskip(NEXT) | instid1(VALU_DEP_3)
	v_cndmask_b32_e64 v26, v26, v9, s2
	v_cndmask_b32_e64 v27, v27, v8, s2
	v_cmp_eq_u32_e64 s2, 4, v29
	s_delay_alu instid0(VALU_DEP_1) | instskip(NEXT) | instid1(VALU_DEP_3)
	v_cndmask_b32_e64 v26, v26, v11, s2
	v_cndmask_b32_e64 v27, v27, v10, s2
	v_cmp_eq_u32_e64 s2, 5, v29
	s_delay_alu instid0(VALU_DEP_1) | instskip(NEXT) | instid1(VALU_DEP_3)
	v_cndmask_b32_e64 v26, v26, v13, s2
	v_cndmask_b32_e64 v27, v27, v12, s2
	v_cmp_eq_u32_e64 s2, 6, v29
	s_delay_alu instid0(VALU_DEP_1) | instskip(NEXT) | instid1(VALU_DEP_3)
	v_cndmask_b32_e64 v26, v26, v15, s2
	v_cndmask_b32_e64 v27, v27, v14, s2
	v_cmp_eq_u32_e64 s2, 7, v29
	s_delay_alu instid0(VALU_DEP_1) | instskip(NEXT) | instid1(VALU_DEP_3)
	v_cndmask_b32_e64 v30, v26, v17, s2
	v_cndmask_b32_e64 v31, v27, v16, s2
	v_cmp_eq_u32_e64 s2, 8, v29
	ds_load_b64 v[26:27], v28 offset:24
	v_cndmask_b32_e64 v30, v30, v19, s2
	v_cndmask_b32_e64 v31, v31, v18, s2
	v_cmp_eq_u32_e64 s2, 9, v29
	s_delay_alu instid0(VALU_DEP_1) | instskip(NEXT) | instid1(VALU_DEP_3)
	v_cndmask_b32_e64 v30, v30, v21, s2
	v_cndmask_b32_e64 v31, v31, v20, s2
	v_cmp_eq_u32_e64 s2, 10, v29
	s_delay_alu instid0(VALU_DEP_1) | instskip(NEXT) | instid1(VALU_DEP_3)
	v_cndmask_b32_e64 v30, v30, v23, s2
	v_cndmask_b32_e64 v29, v31, v22, s2
	s_waitcnt lgkmcnt(0)
	s_delay_alu instid0(VALU_DEP_1)
	v_fma_f64 v[24:25], v[29:30], v[26:27], v[24:25]
	s_and_saveexec_b32 s2, s1
	s_cbranch_execz .LBB10_55
; %bb.48:
	v_or_b32_e32 v29, 4, v0
	s_mov_b32 s7, exec_lo
	s_delay_alu instid0(VALU_DEP_1) | instskip(NEXT) | instid1(VALU_DEP_1)
	v_cmp_eq_u32_e64 s1, 1, v29
	v_cndmask_b32_e64 v26, v3, v5, s1
	v_cndmask_b32_e64 v27, v2, v4, s1
	v_cmp_eq_u32_e64 s1, 2, v29
	s_delay_alu instid0(VALU_DEP_1) | instskip(NEXT) | instid1(VALU_DEP_3)
	v_cndmask_b32_e64 v26, v26, v7, s1
	v_cndmask_b32_e64 v27, v27, v6, s1
	v_cmp_eq_u32_e64 s1, 3, v29
	s_delay_alu instid0(VALU_DEP_1) | instskip(NEXT) | instid1(VALU_DEP_3)
	;; [unrolled: 4-line block ×6, first 2 shown]
	v_cndmask_b32_e64 v30, v26, v17, s1
	v_cndmask_b32_e64 v31, v27, v16, s1
	v_cmp_eq_u32_e64 s1, 8, v29
	ds_load_b64 v[26:27], v28 offset:32
	v_cndmask_b32_e64 v30, v30, v19, s1
	v_cndmask_b32_e64 v31, v31, v18, s1
	v_cmp_eq_u32_e64 s1, 9, v29
	s_delay_alu instid0(VALU_DEP_1) | instskip(NEXT) | instid1(VALU_DEP_3)
	v_cndmask_b32_e64 v30, v30, v21, s1
	v_cndmask_b32_e64 v31, v31, v20, s1
	v_cmp_eq_u32_e64 s1, 10, v29
	s_delay_alu instid0(VALU_DEP_1) | instskip(NEXT) | instid1(VALU_DEP_3)
	v_cndmask_b32_e64 v30, v30, v23, s1
	v_cndmask_b32_e64 v29, v31, v22, s1
	s_waitcnt lgkmcnt(0)
	s_delay_alu instid0(VALU_DEP_1)
	v_fma_f64 v[24:25], v[29:30], v[26:27], v[24:25]
	v_cmpx_ne_u32_e32 3, v0
	s_cbranch_execz .LBB10_54
; %bb.49:
	v_add_nc_u32_e32 v29, 5, v0
	s_delay_alu instid0(VALU_DEP_1) | instskip(NEXT) | instid1(VALU_DEP_1)
	v_cmp_eq_u32_e64 s1, 1, v29
	v_cndmask_b32_e64 v26, v3, v5, s1
	v_cndmask_b32_e64 v27, v2, v4, s1
	v_cmp_eq_u32_e64 s1, 2, v29
	s_delay_alu instid0(VALU_DEP_1) | instskip(NEXT) | instid1(VALU_DEP_3)
	v_cndmask_b32_e64 v26, v26, v7, s1
	v_cndmask_b32_e64 v27, v27, v6, s1
	v_cmp_eq_u32_e64 s1, 3, v29
	s_delay_alu instid0(VALU_DEP_1) | instskip(NEXT) | instid1(VALU_DEP_3)
	;; [unrolled: 4-line block ×6, first 2 shown]
	v_cndmask_b32_e64 v30, v26, v17, s1
	v_cndmask_b32_e64 v31, v27, v16, s1
	v_cmp_eq_u32_e64 s1, 8, v29
	ds_load_b64 v[26:27], v28 offset:40
	v_cndmask_b32_e64 v30, v30, v19, s1
	v_cndmask_b32_e64 v31, v31, v18, s1
	v_cmp_eq_u32_e64 s1, 9, v29
	s_delay_alu instid0(VALU_DEP_1) | instskip(NEXT) | instid1(VALU_DEP_3)
	v_cndmask_b32_e64 v30, v30, v21, s1
	v_cndmask_b32_e64 v31, v31, v20, s1
	v_cmp_eq_u32_e64 s1, 10, v29
	s_delay_alu instid0(VALU_DEP_1) | instskip(NEXT) | instid1(VALU_DEP_3)
	v_cndmask_b32_e64 v30, v30, v23, s1
	v_cndmask_b32_e64 v29, v31, v22, s1
	s_waitcnt lgkmcnt(0)
	s_delay_alu instid0(VALU_DEP_1)
	v_fma_f64 v[24:25], v[29:30], v[26:27], v[24:25]
	s_and_saveexec_b32 s1, vcc_lo
	s_cbranch_execz .LBB10_53
; %bb.50:
	v_or_b32_e32 v29, 6, v0
	s_delay_alu instid0(VALU_DEP_1) | instskip(SKIP_2) | instid1(VALU_DEP_2)
	v_cmp_eq_u32_e32 vcc_lo, 1, v29
	v_dual_cndmask_b32 v26, v3, v5 :: v_dual_cndmask_b32 v27, v2, v4
	v_cmp_eq_u32_e32 vcc_lo, 2, v29
	v_dual_cndmask_b32 v26, v26, v7 :: v_dual_cndmask_b32 v27, v27, v6
	v_cmp_eq_u32_e32 vcc_lo, 3, v29
	s_delay_alu instid0(VALU_DEP_2) | instskip(SKIP_1) | instid1(VALU_DEP_2)
	v_dual_cndmask_b32 v26, v26, v9 :: v_dual_cndmask_b32 v27, v27, v8
	v_cmp_eq_u32_e32 vcc_lo, 4, v29
	v_dual_cndmask_b32 v26, v26, v11 :: v_dual_cndmask_b32 v27, v27, v10
	v_cmp_eq_u32_e32 vcc_lo, 5, v29
	s_delay_alu instid0(VALU_DEP_2) | instskip(SKIP_1) | instid1(VALU_DEP_2)
	v_dual_cndmask_b32 v26, v26, v13 :: v_dual_cndmask_b32 v27, v27, v12
	v_cmp_eq_u32_e32 vcc_lo, 6, v29
	v_dual_cndmask_b32 v26, v26, v15 :: v_dual_cndmask_b32 v27, v27, v14
	v_cmp_eq_u32_e32 vcc_lo, 7, v29
	s_delay_alu instid0(VALU_DEP_2) | instskip(SKIP_4) | instid1(VALU_DEP_2)
	v_dual_cndmask_b32 v30, v26, v17 :: v_dual_cndmask_b32 v31, v27, v16
	v_cmp_eq_u32_e32 vcc_lo, 8, v29
	ds_load_b64 v[26:27], v28 offset:48
	v_dual_cndmask_b32 v19, v30, v19 :: v_dual_cndmask_b32 v18, v31, v18
	v_cmp_eq_u32_e32 vcc_lo, 9, v29
	v_dual_cndmask_b32 v19, v19, v21 :: v_dual_cndmask_b32 v18, v18, v20
	v_cmp_eq_u32_e32 vcc_lo, 10, v29
	s_delay_alu instid0(VALU_DEP_2) | instskip(SKIP_1) | instid1(VALU_DEP_1)
	v_dual_cndmask_b32 v19, v19, v23 :: v_dual_cndmask_b32 v18, v18, v22
	s_waitcnt lgkmcnt(0)
	v_fma_f64 v[24:25], v[18:19], v[26:27], v[24:25]
	s_and_saveexec_b32 s8, s0
	s_cbranch_execz .LBB10_52
; %bb.51:
	ds_load_b64 v[18:19], v28 offset:56
	s_waitcnt lgkmcnt(0)
	v_fma_f64 v[24:25], v[16:17], v[18:19], v[24:25]
.LBB10_52:
	s_or_b32 exec_lo, exec_lo, s8
.LBB10_53:
	s_delay_alu instid0(SALU_CYCLE_1)
	s_or_b32 exec_lo, exec_lo, s1
.LBB10_54:
	s_delay_alu instid0(SALU_CYCLE_1)
	s_or_b32 exec_lo, exec_lo, s7
.LBB10_55:
	s_delay_alu instid0(SALU_CYCLE_1)
	s_or_b32 exec_lo, exec_lo, s2
.LBB10_56:
	s_delay_alu instid0(SALU_CYCLE_1)
	s_or_b32 exec_lo, exec_lo, s6
.LBB10_57:
	s_delay_alu instid0(SALU_CYCLE_1)
	s_or_b32 exec_lo, exec_lo, s3
.LBB10_58:
	s_delay_alu instid0(SALU_CYCLE_1)
	s_or_b32 exec_lo, exec_lo, s5
	v_mov_b32_e32 v18, 0
	ds_load_b64 v[18:19], v18 offset:64
	s_waitcnt lgkmcnt(0)
	v_mul_f64 v[18:19], v[24:25], v[18:19]
.LBB10_59:
	s_or_b32 exec_lo, exec_lo, s4
	s_delay_alu instid0(SALU_CYCLE_1)
	s_mov_b32 s1, exec_lo
	s_barrier
	buffer_gl0_inv
	ds_store_b64 v28, v[20:21]
	s_waitcnt lgkmcnt(0)
	s_barrier
	buffer_gl0_inv
	v_cmpx_gt_u32_e32 9, v0
	s_cbranch_execz .LBB10_63
; %bb.60:
	v_dual_mov_b32 v24, 0 :: v_dual_mov_b32 v27, v1
	v_lshl_add_u32 v29, v0, 3, 0x60
	v_dual_mov_b32 v25, 0 :: v_dual_mov_b32 v26, v0
	s_mov_b32 s2, 0
.LBB10_61:                              ; =>This Inner Loop Header: Depth=1
	s_delay_alu instid0(VALU_DEP_1) | instskip(SKIP_3) | instid1(VALU_DEP_2)
	v_cmp_eq_u32_e32 vcc_lo, 1, v26
	v_cmp_eq_u32_e64 s0, 2, v26
	v_dual_cndmask_b32 v30, v3, v5 :: v_dual_cndmask_b32 v31, v2, v4
	v_cmp_eq_u32_e32 vcc_lo, 3, v26
	v_cndmask_b32_e64 v30, v30, v7, s0
	s_delay_alu instid0(VALU_DEP_3) | instskip(SKIP_1) | instid1(VALU_DEP_2)
	v_cndmask_b32_e64 v31, v31, v6, s0
	v_cmp_eq_u32_e64 s0, 4, v26
	v_dual_cndmask_b32 v30, v30, v9 :: v_dual_cndmask_b32 v31, v31, v8
	v_cmp_eq_u32_e32 vcc_lo, 5, v26
	s_delay_alu instid0(VALU_DEP_2) | instskip(NEXT) | instid1(VALU_DEP_3)
	v_cndmask_b32_e64 v30, v30, v11, s0
	v_cndmask_b32_e64 v31, v31, v10, s0
	v_cmp_eq_u32_e64 s0, 6, v26
	s_delay_alu instid0(VALU_DEP_2) | instskip(SKIP_1) | instid1(VALU_DEP_2)
	v_dual_cndmask_b32 v30, v30, v13 :: v_dual_cndmask_b32 v31, v31, v12
	v_cmp_eq_u32_e32 vcc_lo, 7, v26
	v_cndmask_b32_e64 v32, v30, v15, s0
	s_delay_alu instid0(VALU_DEP_3)
	v_cndmask_b32_e64 v33, v31, v14, s0
	ds_load_b64 v[30:31], v29
	v_cmp_eq_u32_e64 s0, 8, v26
	v_add_nc_u32_e32 v29, 8, v29
	v_dual_cndmask_b32 v32, v32, v17 :: v_dual_cndmask_b32 v33, v33, v16
	v_cmp_eq_u32_e32 vcc_lo, 9, v26
	s_delay_alu instid0(VALU_DEP_2) | instskip(NEXT) | instid1(VALU_DEP_3)
	v_cndmask_b32_e64 v32, v32, v19, s0
	v_cndmask_b32_e64 v33, v33, v18, s0
	v_cmp_eq_u32_e64 s0, 10, v26
	s_delay_alu instid0(VALU_DEP_3) | instskip(NEXT) | instid1(VALU_DEP_3)
	v_cndmask_b32_e32 v32, v32, v21, vcc_lo
	v_cndmask_b32_e32 v34, v33, v20, vcc_lo
	v_add_co_u32 v26, vcc_lo, v26, 1
	v_add_co_ci_u32_e32 v27, vcc_lo, 0, v27, vcc_lo
	s_delay_alu instid0(VALU_DEP_4) | instskip(NEXT) | instid1(VALU_DEP_4)
	v_cndmask_b32_e64 v33, v32, v23, s0
	v_cndmask_b32_e64 v32, v34, v22, s0
	s_waitcnt lgkmcnt(0)
	s_delay_alu instid0(VALU_DEP_1) | instskip(SKIP_1) | instid1(VALU_DEP_1)
	v_fma_f64 v[24:25], v[32:33], v[30:31], v[24:25]
	v_add_nc_u32_e32 v30, -1, v26
	v_cmp_lt_u32_e32 vcc_lo, 7, v30
	s_or_b32 s2, vcc_lo, s2
	s_delay_alu instid0(SALU_CYCLE_1)
	s_and_not1_b32 exec_lo, exec_lo, s2
	s_cbranch_execnz .LBB10_61
; %bb.62:
	s_or_b32 exec_lo, exec_lo, s2
	v_mov_b32_e32 v20, 0
	ds_load_b64 v[20:21], v20 offset:72
	s_waitcnt lgkmcnt(0)
	v_mul_f64 v[20:21], v[24:25], v[20:21]
.LBB10_63:
	s_or_b32 exec_lo, exec_lo, s1
	s_delay_alu instid0(SALU_CYCLE_1)
	s_mov_b32 s1, exec_lo
	s_barrier
	buffer_gl0_inv
	ds_store_b64 v28, v[22:23]
	s_waitcnt lgkmcnt(0)
	s_barrier
	buffer_gl0_inv
	v_cmpx_ne_u32_e32 10, v0
	s_cbranch_execz .LBB10_67
; %bb.64:
	v_dual_mov_b32 v24, 0 :: v_dual_mov_b32 v27, v1
	v_lshl_add_u32 v28, v0, 3, 0x60
	v_dual_mov_b32 v25, 0 :: v_dual_mov_b32 v26, v0
	s_mov_b32 s2, 0
.LBB10_65:                              ; =>This Inner Loop Header: Depth=1
	s_delay_alu instid0(VALU_DEP_1) | instskip(SKIP_4) | instid1(VALU_DEP_3)
	v_cmp_eq_u32_e32 vcc_lo, 1, v26
	v_cmp_eq_u32_e64 s0, 2, v26
	v_cndmask_b32_e32 v1, v3, v5, vcc_lo
	v_cndmask_b32_e32 v29, v2, v4, vcc_lo
	v_cmp_eq_u32_e32 vcc_lo, 3, v26
	v_cndmask_b32_e64 v1, v1, v7, s0
	s_delay_alu instid0(VALU_DEP_3) | instskip(SKIP_1) | instid1(VALU_DEP_3)
	v_cndmask_b32_e64 v29, v29, v6, s0
	v_cmp_eq_u32_e64 s0, 4, v26
	v_cndmask_b32_e32 v1, v1, v9, vcc_lo
	s_delay_alu instid0(VALU_DEP_3) | instskip(SKIP_1) | instid1(VALU_DEP_3)
	v_cndmask_b32_e32 v29, v29, v8, vcc_lo
	v_cmp_eq_u32_e32 vcc_lo, 5, v26
	v_cndmask_b32_e64 v1, v1, v11, s0
	s_delay_alu instid0(VALU_DEP_3) | instskip(SKIP_1) | instid1(VALU_DEP_3)
	v_cndmask_b32_e64 v29, v29, v10, s0
	v_cmp_eq_u32_e64 s0, 6, v26
	v_cndmask_b32_e32 v1, v1, v13, vcc_lo
	s_delay_alu instid0(VALU_DEP_3) | instskip(SKIP_1) | instid1(VALU_DEP_3)
	v_cndmask_b32_e32 v29, v29, v12, vcc_lo
	v_cmp_eq_u32_e32 vcc_lo, 7, v26
	v_cndmask_b32_e64 v1, v1, v15, s0
	s_delay_alu instid0(VALU_DEP_3)
	v_cndmask_b32_e64 v31, v29, v14, s0
	ds_load_b64 v[29:30], v28
	v_add_nc_u32_e32 v28, 8, v28
	v_cmp_eq_u32_e64 s0, 8, v26
	v_cndmask_b32_e32 v1, v1, v17, vcc_lo
	v_cndmask_b32_e32 v31, v31, v16, vcc_lo
	v_cmp_eq_u32_e32 vcc_lo, 9, v26
	s_delay_alu instid0(VALU_DEP_3) | instskip(NEXT) | instid1(VALU_DEP_3)
	v_cndmask_b32_e64 v1, v1, v19, s0
	v_cndmask_b32_e64 v31, v31, v18, s0
	v_cmp_eq_u32_e64 s0, 10, v26
	s_delay_alu instid0(VALU_DEP_3) | instskip(NEXT) | instid1(VALU_DEP_3)
	v_cndmask_b32_e32 v1, v1, v21, vcc_lo
	v_cndmask_b32_e32 v31, v31, v20, vcc_lo
	v_add_co_u32 v26, vcc_lo, v26, 1
	v_add_co_ci_u32_e32 v27, vcc_lo, 0, v27, vcc_lo
	s_delay_alu instid0(VALU_DEP_4) | instskip(NEXT) | instid1(VALU_DEP_4)
	v_cndmask_b32_e64 v32, v1, v23, s0
	v_cndmask_b32_e64 v31, v31, v22, s0
	s_delay_alu instid0(VALU_DEP_4) | instskip(SKIP_1) | instid1(VALU_DEP_2)
	v_add_nc_u32_e32 v1, -1, v26
	s_waitcnt lgkmcnt(0)
	v_fma_f64 v[24:25], v[31:32], v[29:30], v[24:25]
	s_delay_alu instid0(VALU_DEP_2) | instskip(SKIP_1) | instid1(SALU_CYCLE_1)
	v_cmp_lt_u32_e32 vcc_lo, 8, v1
	s_or_b32 s2, vcc_lo, s2
	s_and_not1_b32 exec_lo, exec_lo, s2
	s_cbranch_execnz .LBB10_65
; %bb.66:
	s_or_b32 exec_lo, exec_lo, s2
	v_mov_b32_e32 v1, 0
	ds_load_b64 v[22:23], v1 offset:80
	s_waitcnt lgkmcnt(0)
	v_mul_f64 v[22:23], v[24:25], v[22:23]
.LBB10_67:
	s_or_b32 exec_lo, exec_lo, s1
	s_barrier
	buffer_gl0_inv
	s_cbranch_execnz .LBB10_15
	s_branch .LBB10_16
.LBB10_68:
	v_lshl_add_u32 v1, v0, 3, 0x60
	s_mov_b32 s0, exec_lo
	v_cmpx_eq_u32_e32 10, v0
	s_cbranch_execz .LBB10_70
; %bb.69:
	v_dual_mov_b32 v42, 0 :: v_dual_mov_b32 v25, v3
	v_dual_mov_b32 v24, v2 :: v_dual_mov_b32 v27, v5
	;; [unrolled: 1-line block ×7, first 2 shown]
	v_mov_b32_e32 v43, v42
	v_mov_b32_e32 v44, v22
	v_dual_mov_b32 v26, v4 :: v_dual_mov_b32 v29, v7
	v_dual_mov_b32 v28, v6 :: v_dual_mov_b32 v31, v9
	;; [unrolled: 1-line block ×3, first 2 shown]
	ds_store_b64 v1, v[20:21]
	v_mov_b32_e32 v2, v24
	v_dual_mov_b32 v3, v25 :: v_dual_mov_b32 v4, v26
	v_dual_mov_b32 v5, v27 :: v_dual_mov_b32 v6, v28
	;; [unrolled: 1-line block ×11, first 2 shown]
	v_mov_b32_e32 v25, v47
	v_mov_b32_e32 v26, v48
	;; [unrolled: 1-line block ×9, first 2 shown]
.LBB10_70:
	s_or_b32 exec_lo, exec_lo, s0
	v_mov_b32_e32 v40, 0
	s_waitcnt lgkmcnt(0)
	s_waitcnt_vscnt null, 0x0
	s_barrier
	buffer_gl0_inv
	s_mov_b32 s0, exec_lo
	ds_load_b64 v[24:25], v40 offset:176
	s_waitcnt lgkmcnt(0)
	v_fma_f64 v[24:25], v[22:23], v[24:25], 0
	s_delay_alu instid0(VALU_DEP_1)
	v_add_f64 v[20:21], v[20:21], -v[24:25]
	v_cmpx_lt_u32_e32 8, v0
	s_cbranch_execz .LBB10_72
; %bb.71:
	v_dual_mov_b32 v24, v2 :: v_dual_mov_b32 v25, v3
	v_dual_mov_b32 v34, v12 :: v_dual_mov_b32 v35, v13
	;; [unrolled: 1-line block ×10, first 2 shown]
	v_mov_b32_e32 v33, v11
	ds_store_b64 v1, v[18:19]
	v_mov_b32_e32 v2, v24
	v_dual_mov_b32 v3, v25 :: v_dual_mov_b32 v4, v26
	v_dual_mov_b32 v5, v27 :: v_dual_mov_b32 v6, v28
	;; [unrolled: 1-line block ×11, first 2 shown]
	v_mov_b32_e32 v25, v47
	v_mov_b32_e32 v26, v48
	;; [unrolled: 1-line block ×9, first 2 shown]
.LBB10_72:
	s_or_b32 exec_lo, exec_lo, s0
	s_waitcnt lgkmcnt(0)
	s_barrier
	buffer_gl0_inv
	ds_load_2addr_b64 v[24:27], v40 offset0:21 offset1:22
	s_mov_b32 s0, exec_lo
	s_waitcnt lgkmcnt(0)
	v_fma_f64 v[24:25], v[20:21], v[24:25], 0
	s_delay_alu instid0(VALU_DEP_1) | instskip(NEXT) | instid1(VALU_DEP_1)
	v_fma_f64 v[24:25], v[22:23], v[26:27], v[24:25]
	v_add_f64 v[18:19], v[18:19], -v[24:25]
	v_cmpx_lt_u32_e32 7, v0
	s_cbranch_execz .LBB10_74
; %bb.73:
	v_dual_mov_b32 v38, 0 :: v_dual_mov_b32 v25, v3
	v_dual_mov_b32 v24, v2 :: v_dual_mov_b32 v27, v5
	;; [unrolled: 1-line block ×11, first 2 shown]
	ds_store_b64 v1, v[16:17]
	v_mov_b32_e32 v2, v24
	v_dual_mov_b32 v3, v25 :: v_dual_mov_b32 v4, v26
	v_dual_mov_b32 v5, v27 :: v_dual_mov_b32 v6, v28
	;; [unrolled: 1-line block ×11, first 2 shown]
	v_mov_b32_e32 v25, v47
	v_mov_b32_e32 v26, v48
	;; [unrolled: 1-line block ×9, first 2 shown]
.LBB10_74:
	s_or_b32 exec_lo, exec_lo, s0
	v_mov_b32_e32 v36, 0
	s_waitcnt lgkmcnt(0)
	s_barrier
	buffer_gl0_inv
	s_mov_b32 s0, exec_lo
	ds_load_b128 v[24:27], v36 offset:160
	ds_load_b64 v[28:29], v36 offset:176
	s_waitcnt lgkmcnt(1)
	v_fma_f64 v[24:25], v[18:19], v[24:25], 0
	s_delay_alu instid0(VALU_DEP_1) | instskip(SKIP_1) | instid1(VALU_DEP_1)
	v_fma_f64 v[24:25], v[20:21], v[26:27], v[24:25]
	s_waitcnt lgkmcnt(0)
	v_fma_f64 v[24:25], v[22:23], v[28:29], v[24:25]
	s_delay_alu instid0(VALU_DEP_1)
	v_add_f64 v[16:17], v[16:17], -v[24:25]
	v_cmpx_lt_u32_e32 6, v0
	s_cbranch_execz .LBB10_76
; %bb.75:
	v_dual_mov_b32 v24, v2 :: v_dual_mov_b32 v25, v3
	v_dual_mov_b32 v34, v12 :: v_dual_mov_b32 v35, v13
	;; [unrolled: 1-line block ×10, first 2 shown]
	v_mov_b32_e32 v33, v11
	ds_store_b64 v1, v[14:15]
	v_mov_b32_e32 v2, v24
	v_dual_mov_b32 v3, v25 :: v_dual_mov_b32 v4, v26
	v_dual_mov_b32 v5, v27 :: v_dual_mov_b32 v6, v28
	;; [unrolled: 1-line block ×11, first 2 shown]
	v_mov_b32_e32 v25, v47
	v_mov_b32_e32 v26, v48
	;; [unrolled: 1-line block ×9, first 2 shown]
.LBB10_76:
	s_or_b32 exec_lo, exec_lo, s0
	s_waitcnt lgkmcnt(0)
	s_barrier
	buffer_gl0_inv
	ds_load_2addr_b64 v[24:27], v36 offset0:19 offset1:20
	ds_load_2addr_b64 v[28:31], v36 offset0:21 offset1:22
	s_mov_b32 s0, exec_lo
	s_waitcnt lgkmcnt(1)
	v_fma_f64 v[24:25], v[16:17], v[24:25], 0
	s_delay_alu instid0(VALU_DEP_1) | instskip(SKIP_1) | instid1(VALU_DEP_1)
	v_fma_f64 v[24:25], v[18:19], v[26:27], v[24:25]
	s_waitcnt lgkmcnt(0)
	v_fma_f64 v[24:25], v[20:21], v[28:29], v[24:25]
	s_delay_alu instid0(VALU_DEP_1) | instskip(NEXT) | instid1(VALU_DEP_1)
	v_fma_f64 v[24:25], v[22:23], v[30:31], v[24:25]
	v_add_f64 v[14:15], v[14:15], -v[24:25]
	v_cmpx_lt_u32_e32 5, v0
	s_cbranch_execz .LBB10_78
; %bb.77:
	v_dual_mov_b32 v34, 0 :: v_dual_mov_b32 v25, v3
	v_dual_mov_b32 v24, v2 :: v_dual_mov_b32 v27, v5
	s_delay_alu instid0(VALU_DEP_4) | instskip(NEXT) | instid1(VALU_DEP_3)
	v_dual_mov_b32 v32, v10 :: v_dual_mov_b32 v37, v15
	v_dual_mov_b32 v35, v34 :: v_dual_mov_b32 v38, v16
	;; [unrolled: 1-line block ×9, first 2 shown]
	ds_store_b64 v1, v[12:13]
	v_mov_b32_e32 v2, v24
	v_dual_mov_b32 v3, v25 :: v_dual_mov_b32 v4, v26
	v_dual_mov_b32 v5, v27 :: v_dual_mov_b32 v6, v28
	;; [unrolled: 1-line block ×11, first 2 shown]
	v_mov_b32_e32 v25, v47
	v_mov_b32_e32 v26, v48
	;; [unrolled: 1-line block ×9, first 2 shown]
.LBB10_78:
	s_or_b32 exec_lo, exec_lo, s0
	v_mov_b32_e32 v34, 0
	s_waitcnt lgkmcnt(0)
	s_barrier
	buffer_gl0_inv
	s_mov_b32 s0, exec_lo
	ds_load_b128 v[24:27], v34 offset:144
	ds_load_b128 v[28:31], v34 offset:160
	s_waitcnt lgkmcnt(1)
	v_fma_f64 v[24:25], v[14:15], v[24:25], 0
	s_delay_alu instid0(VALU_DEP_1) | instskip(SKIP_3) | instid1(VALU_DEP_1)
	v_fma_f64 v[24:25], v[16:17], v[26:27], v[24:25]
	ds_load_b64 v[26:27], v34 offset:176
	s_waitcnt lgkmcnt(1)
	v_fma_f64 v[24:25], v[18:19], v[28:29], v[24:25]
	v_fma_f64 v[24:25], v[20:21], v[30:31], v[24:25]
	s_waitcnt lgkmcnt(0)
	s_delay_alu instid0(VALU_DEP_1) | instskip(NEXT) | instid1(VALU_DEP_1)
	v_fma_f64 v[24:25], v[22:23], v[26:27], v[24:25]
	v_add_f64 v[12:13], v[12:13], -v[24:25]
	v_cmpx_lt_u32_e32 4, v0
	s_cbranch_execz .LBB10_80
; %bb.79:
	v_dual_mov_b32 v26, v2 :: v_dual_mov_b32 v27, v3
	s_delay_alu instid0(VALU_DEP_3) | instskip(NEXT) | instid1(VALU_DEP_4)
	v_dual_mov_b32 v35, v34 :: v_dual_mov_b32 v36, v12
	v_dual_mov_b32 v37, v13 :: v_dual_mov_b32 v38, v14
	;; [unrolled: 1-line block ×9, first 2 shown]
	v_mov_b32_e32 v33, v9
	ds_store_b64 v1, v[10:11]
	v_mov_b32_e32 v2, v26
	v_dual_mov_b32 v3, v27 :: v_dual_mov_b32 v4, v28
	v_dual_mov_b32 v5, v29 :: v_dual_mov_b32 v6, v30
	v_dual_mov_b32 v7, v31 :: v_dual_mov_b32 v8, v32
	v_dual_mov_b32 v9, v33 :: v_dual_mov_b32 v10, v34
	v_dual_mov_b32 v11, v35 :: v_dual_mov_b32 v12, v36
	v_dual_mov_b32 v13, v37 :: v_dual_mov_b32 v14, v38
	v_dual_mov_b32 v15, v39 :: v_dual_mov_b32 v16, v40
	v_dual_mov_b32 v17, v41 :: v_dual_mov_b32 v18, v42
	v_dual_mov_b32 v19, v43 :: v_dual_mov_b32 v20, v44
	v_dual_mov_b32 v21, v45 :: v_dual_mov_b32 v22, v46
	v_dual_mov_b32 v23, v47 :: v_dual_mov_b32 v24, v48
	v_dual_mov_b32 v25, v49 :: v_dual_mov_b32 v26, v50
	v_mov_b32_e32 v27, v51
	v_mov_b32_e32 v28, v52
	;; [unrolled: 1-line block ×7, first 2 shown]
.LBB10_80:
	s_or_b32 exec_lo, exec_lo, s0
	s_waitcnt lgkmcnt(0)
	s_barrier
	buffer_gl0_inv
	ds_load_2addr_b64 v[24:27], v34 offset0:17 offset1:18
	ds_load_2addr_b64 v[28:31], v34 offset0:19 offset1:20
	s_mov_b32 s0, exec_lo
	s_waitcnt lgkmcnt(1)
	v_fma_f64 v[24:25], v[12:13], v[24:25], 0
	s_delay_alu instid0(VALU_DEP_1) | instskip(SKIP_1) | instid1(VALU_DEP_1)
	v_fma_f64 v[24:25], v[14:15], v[26:27], v[24:25]
	s_waitcnt lgkmcnt(0)
	v_fma_f64 v[24:25], v[16:17], v[28:29], v[24:25]
	s_delay_alu instid0(VALU_DEP_1) | instskip(SKIP_3) | instid1(VALU_DEP_1)
	v_fma_f64 v[28:29], v[18:19], v[30:31], v[24:25]
	ds_load_2addr_b64 v[24:27], v34 offset0:21 offset1:22
	s_waitcnt lgkmcnt(0)
	v_fma_f64 v[24:25], v[20:21], v[24:25], v[28:29]
	v_fma_f64 v[24:25], v[22:23], v[26:27], v[24:25]
	s_delay_alu instid0(VALU_DEP_1)
	v_add_f64 v[10:11], v[10:11], -v[24:25]
	v_cmpx_lt_u32_e32 3, v0
	s_cbranch_execz .LBB10_82
; %bb.81:
	v_dual_mov_b32 v30, 0 :: v_dual_mov_b32 v25, v3
	v_dual_mov_b32 v24, v2 :: v_dual_mov_b32 v27, v5
	s_delay_alu instid0(VALU_DEP_4) | instskip(NEXT) | instid1(VALU_DEP_3)
	v_dual_mov_b32 v32, v10 :: v_dual_mov_b32 v35, v13
	v_dual_mov_b32 v31, v30 :: v_dual_mov_b32 v34, v12
	;; [unrolled: 1-line block ×9, first 2 shown]
	ds_store_b64 v1, v[8:9]
	v_mov_b32_e32 v2, v24
	v_dual_mov_b32 v3, v25 :: v_dual_mov_b32 v4, v26
	v_dual_mov_b32 v5, v27 :: v_dual_mov_b32 v6, v28
	v_dual_mov_b32 v7, v29 :: v_dual_mov_b32 v8, v30
	v_dual_mov_b32 v9, v31 :: v_dual_mov_b32 v10, v32
	v_dual_mov_b32 v11, v33 :: v_dual_mov_b32 v12, v34
	v_dual_mov_b32 v13, v35 :: v_dual_mov_b32 v14, v36
	v_dual_mov_b32 v15, v37 :: v_dual_mov_b32 v16, v38
	v_dual_mov_b32 v17, v39 :: v_dual_mov_b32 v18, v40
	v_dual_mov_b32 v19, v41 :: v_dual_mov_b32 v20, v42
	v_dual_mov_b32 v21, v43 :: v_dual_mov_b32 v22, v44
	v_dual_mov_b32 v23, v45 :: v_dual_mov_b32 v24, v46
	v_mov_b32_e32 v25, v47
	v_mov_b32_e32 v26, v48
	;; [unrolled: 1-line block ×9, first 2 shown]
.LBB10_82:
	s_or_b32 exec_lo, exec_lo, s0
	v_mov_b32_e32 v34, 0
	s_waitcnt lgkmcnt(0)
	s_barrier
	buffer_gl0_inv
	s_mov_b32 s0, exec_lo
	ds_load_b128 v[24:27], v34 offset:128
	ds_load_b128 v[28:31], v34 offset:144
	s_waitcnt lgkmcnt(1)
	v_fma_f64 v[24:25], v[10:11], v[24:25], 0
	s_delay_alu instid0(VALU_DEP_1) | instskip(SKIP_1) | instid1(VALU_DEP_1)
	v_fma_f64 v[24:25], v[12:13], v[26:27], v[24:25]
	s_waitcnt lgkmcnt(0)
	v_fma_f64 v[24:25], v[14:15], v[28:29], v[24:25]
	s_delay_alu instid0(VALU_DEP_1) | instskip(SKIP_4) | instid1(VALU_DEP_1)
	v_fma_f64 v[28:29], v[16:17], v[30:31], v[24:25]
	ds_load_b128 v[24:27], v34 offset:160
	ds_load_b64 v[30:31], v34 offset:176
	s_waitcnt lgkmcnt(1)
	v_fma_f64 v[24:25], v[18:19], v[24:25], v[28:29]
	v_fma_f64 v[24:25], v[20:21], v[26:27], v[24:25]
	s_waitcnt lgkmcnt(0)
	s_delay_alu instid0(VALU_DEP_1) | instskip(NEXT) | instid1(VALU_DEP_1)
	v_fma_f64 v[24:25], v[22:23], v[30:31], v[24:25]
	v_add_f64 v[8:9], v[8:9], -v[24:25]
	v_cmpx_lt_u32_e32 2, v0
	s_cbranch_execz .LBB10_84
; %bb.83:
	v_dual_mov_b32 v30, v2 :: v_dual_mov_b32 v31, v3
	s_delay_alu instid0(VALU_DEP_3) | instskip(NEXT) | instid1(VALU_DEP_4)
	v_dual_mov_b32 v35, v34 :: v_dual_mov_b32 v36, v8
	v_dual_mov_b32 v37, v9 :: v_dual_mov_b32 v38, v10
	;; [unrolled: 1-line block ×9, first 2 shown]
	v_mov_b32_e32 v33, v5
	ds_store_b64 v1, v[6:7]
	v_mov_b32_e32 v2, v30
	v_dual_mov_b32 v3, v31 :: v_dual_mov_b32 v4, v32
	v_dual_mov_b32 v5, v33 :: v_dual_mov_b32 v6, v34
	;; [unrolled: 1-line block ×14, first 2 shown]
	v_mov_b32_e32 v31, v59
	v_mov_b32_e32 v32, v60
	;; [unrolled: 1-line block ×3, first 2 shown]
.LBB10_84:
	s_or_b32 exec_lo, exec_lo, s0
	s_waitcnt lgkmcnt(0)
	s_barrier
	buffer_gl0_inv
	ds_load_2addr_b64 v[24:27], v34 offset0:15 offset1:16
	ds_load_2addr_b64 v[28:31], v34 offset0:17 offset1:18
	s_mov_b32 s0, exec_lo
	s_waitcnt lgkmcnt(1)
	v_fma_f64 v[24:25], v[8:9], v[24:25], 0
	s_delay_alu instid0(VALU_DEP_1) | instskip(SKIP_1) | instid1(VALU_DEP_1)
	v_fma_f64 v[24:25], v[10:11], v[26:27], v[24:25]
	s_waitcnt lgkmcnt(0)
	v_fma_f64 v[24:25], v[12:13], v[28:29], v[24:25]
	s_delay_alu instid0(VALU_DEP_1) | instskip(SKIP_4) | instid1(VALU_DEP_1)
	v_fma_f64 v[32:33], v[14:15], v[30:31], v[24:25]
	ds_load_2addr_b64 v[24:27], v34 offset0:19 offset1:20
	ds_load_2addr_b64 v[28:31], v34 offset0:21 offset1:22
	s_waitcnt lgkmcnt(1)
	v_fma_f64 v[24:25], v[16:17], v[24:25], v[32:33]
	v_fma_f64 v[24:25], v[18:19], v[26:27], v[24:25]
	s_waitcnt lgkmcnt(0)
	s_delay_alu instid0(VALU_DEP_1) | instskip(NEXT) | instid1(VALU_DEP_1)
	v_fma_f64 v[24:25], v[20:21], v[28:29], v[24:25]
	v_fma_f64 v[24:25], v[22:23], v[30:31], v[24:25]
	s_delay_alu instid0(VALU_DEP_1)
	v_add_f64 v[6:7], v[6:7], -v[24:25]
	v_cmpx_lt_u32_e32 1, v0
	s_cbranch_execz .LBB10_86
; %bb.85:
	v_dual_mov_b32 v26, 0 :: v_dual_mov_b32 v25, v3
	s_delay_alu instid0(VALU_DEP_3)
	v_dual_mov_b32 v24, v2 :: v_dual_mov_b32 v29, v7
	v_dual_mov_b32 v34, v12 :: v_dual_mov_b32 v35, v13
	;; [unrolled: 1-line block ×10, first 2 shown]
	ds_store_b64 v1, v[4:5]
	v_mov_b32_e32 v2, v24
	v_dual_mov_b32 v3, v25 :: v_dual_mov_b32 v4, v26
	v_dual_mov_b32 v5, v27 :: v_dual_mov_b32 v6, v28
	;; [unrolled: 1-line block ×11, first 2 shown]
	v_mov_b32_e32 v25, v47
	v_mov_b32_e32 v26, v48
	v_mov_b32_e32 v27, v49
	v_mov_b32_e32 v28, v50
	v_mov_b32_e32 v29, v51
	v_mov_b32_e32 v30, v52
	v_mov_b32_e32 v31, v53
	v_mov_b32_e32 v32, v54
	v_mov_b32_e32 v33, v55
.LBB10_86:
	s_or_b32 exec_lo, exec_lo, s0
	v_mov_b32_e32 v34, 0
	s_waitcnt lgkmcnt(0)
	s_barrier
	buffer_gl0_inv
	s_mov_b32 s0, exec_lo
	ds_load_b128 v[24:27], v34 offset:112
	ds_load_b128 v[28:31], v34 offset:128
	s_waitcnt lgkmcnt(1)
	v_fma_f64 v[24:25], v[6:7], v[24:25], 0
	s_delay_alu instid0(VALU_DEP_1) | instskip(SKIP_1) | instid1(VALU_DEP_1)
	v_fma_f64 v[24:25], v[8:9], v[26:27], v[24:25]
	s_waitcnt lgkmcnt(0)
	v_fma_f64 v[24:25], v[10:11], v[28:29], v[24:25]
	s_delay_alu instid0(VALU_DEP_1) | instskip(SKIP_4) | instid1(VALU_DEP_1)
	v_fma_f64 v[32:33], v[12:13], v[30:31], v[24:25]
	ds_load_b128 v[24:27], v34 offset:144
	ds_load_b128 v[28:31], v34 offset:160
	s_waitcnt lgkmcnt(1)
	v_fma_f64 v[24:25], v[14:15], v[24:25], v[32:33]
	v_fma_f64 v[24:25], v[16:17], v[26:27], v[24:25]
	ds_load_b64 v[26:27], v34 offset:176
	s_waitcnt lgkmcnt(1)
	v_fma_f64 v[24:25], v[18:19], v[28:29], v[24:25]
	s_delay_alu instid0(VALU_DEP_1) | instskip(SKIP_1) | instid1(VALU_DEP_1)
	v_fma_f64 v[24:25], v[20:21], v[30:31], v[24:25]
	s_waitcnt lgkmcnt(0)
	v_fma_f64 v[24:25], v[22:23], v[26:27], v[24:25]
	s_delay_alu instid0(VALU_DEP_1)
	v_add_f64 v[4:5], v[4:5], -v[24:25]
	v_cmpx_ne_u32_e32 0, v0
	s_cbranch_execz .LBB10_88
; %bb.87:
	s_delay_alu instid0(VALU_DEP_2) | instskip(NEXT) | instid1(VALU_DEP_3)
	v_dual_mov_b32 v35, v34 :: v_dual_mov_b32 v36, v4
	v_dual_mov_b32 v37, v5 :: v_dual_mov_b32 v38, v6
	;; [unrolled: 1-line block ×27, first 2 shown]
	v_mov_b32_e32 v33, v65
	ds_store_b64 v1, v[78:79]
.LBB10_88:
	s_or_b32 exec_lo, exec_lo, s0
	s_waitcnt lgkmcnt(0)
	s_barrier
	buffer_gl0_inv
	ds_load_2addr_b64 v[24:27], v34 offset0:13 offset1:14
	ds_load_2addr_b64 v[28:31], v34 offset0:15 offset1:16
	s_and_b32 vcc_lo, exec_lo, s16
	s_waitcnt lgkmcnt(1)
	v_fma_f64 v[0:1], v[4:5], v[24:25], 0
	s_delay_alu instid0(VALU_DEP_1) | instskip(SKIP_1) | instid1(VALU_DEP_1)
	v_fma_f64 v[0:1], v[6:7], v[26:27], v[0:1]
	s_waitcnt lgkmcnt(0)
	v_fma_f64 v[0:1], v[8:9], v[28:29], v[0:1]
	s_delay_alu instid0(VALU_DEP_1) | instskip(SKIP_4) | instid1(VALU_DEP_1)
	v_fma_f64 v[0:1], v[10:11], v[30:31], v[0:1]
	ds_load_2addr_b64 v[24:27], v34 offset0:17 offset1:18
	ds_load_2addr_b64 v[28:31], v34 offset0:19 offset1:20
	s_waitcnt lgkmcnt(1)
	v_fma_f64 v[0:1], v[12:13], v[24:25], v[0:1]
	v_fma_f64 v[0:1], v[14:15], v[26:27], v[0:1]
	ds_load_2addr_b64 v[24:27], v34 offset0:21 offset1:22
	s_waitcnt lgkmcnt(1)
	v_fma_f64 v[0:1], v[16:17], v[28:29], v[0:1]
	s_delay_alu instid0(VALU_DEP_1) | instskip(SKIP_1) | instid1(VALU_DEP_1)
	v_fma_f64 v[0:1], v[18:19], v[30:31], v[0:1]
	s_waitcnt lgkmcnt(0)
	v_fma_f64 v[0:1], v[20:21], v[24:25], v[0:1]
	s_delay_alu instid0(VALU_DEP_1) | instskip(NEXT) | instid1(VALU_DEP_1)
	v_fma_f64 v[0:1], v[22:23], v[26:27], v[0:1]
	v_add_f64 v[2:3], v[2:3], -v[0:1]
	s_cbranch_vccz .LBB10_110
; %bb.89:
	v_dual_mov_b32 v0, s12 :: v_dual_mov_b32 v1, s13
	s_mov_b32 s6, exec_lo
	flat_load_b32 v0, v[0:1] offset:36
	s_waitcnt vmcnt(0) lgkmcnt(0)
	v_add_nc_u32_e32 v0, -1, v0
	s_delay_alu instid0(VALU_DEP_1)
	v_cmpx_ne_u32_e32 9, v0
	s_cbranch_execz .LBB10_91
; %bb.90:
	v_cmp_eq_u32_e32 vcc_lo, 1, v0
	v_cmp_eq_u32_e64 s0, 2, v0
	v_cmp_eq_u32_e64 s1, 3, v0
	;; [unrolled: 1-line block ×4, first 2 shown]
	v_dual_cndmask_b32 v1, v2, v4 :: v_dual_cndmask_b32 v24, v3, v5
	v_cmp_eq_u32_e64 s5, 6, v0
	v_cmp_eq_u32_e64 s4, 0, v0
	v_cndmask_b32_e64 v28, v7, v21, s0
	s_delay_alu instid0(VALU_DEP_4)
	v_cndmask_b32_e64 v1, v1, v6, s0
	v_cndmask_b32_e64 v24, v24, v7, s0
	;; [unrolled: 1-line block ×3, first 2 shown]
	v_cmp_eq_u32_e64 s0, 7, v0
	v_cndmask_b32_e32 v26, v5, v21, vcc_lo
	v_cndmask_b32_e64 v1, v1, v8, s1
	v_cndmask_b32_e64 v24, v24, v9, s1
	;; [unrolled: 1-line block ×4, first 2 shown]
	v_cmp_eq_u32_e64 s1, 9, v0
	v_cndmask_b32_e64 v1, v1, v10, s2
	v_cndmask_b32_e64 v25, v24, v11, s2
	;; [unrolled: 1-line block ×7, first 2 shown]
	v_cndmask_b32_e32 v25, v4, v20, vcc_lo
	v_cmp_eq_u32_e32 vcc_lo, 8, v0
	v_cmp_eq_u32_e64 s2, 10, v0
	v_cndmask_b32_e64 v1, v1, v14, s5
	v_cndmask_b32_e64 v3, v3, v15, s5
	;; [unrolled: 1-line block ×9, first 2 shown]
	v_cndmask_b32_e32 v39, v18, v20, vcc_lo
	v_dual_cndmask_b32 v1, v1, v18 :: v_dual_cndmask_b32 v40, v19, v21
	v_cndmask_b32_e64 v44, v23, v21, s2
	v_cndmask_b32_e64 v43, v22, v20, s2
	;; [unrolled: 1-line block ×3, first 2 shown]
	s_delay_alu instid0(VALU_DEP_4) | instskip(NEXT) | instid1(VALU_DEP_1)
	v_cndmask_b32_e64 v1, v1, v20, s1
	v_cndmask_b32_e64 v0, v1, v22, s2
	s_delay_alu instid0(VALU_DEP_1) | instskip(SKIP_1) | instid1(VALU_DEP_1)
	v_cndmask_b32_e64 v41, v0, v20, s1
	v_cndmask_b32_e32 v3, v3, v19, vcc_lo
	v_cndmask_b32_e64 v3, v3, v21, s1
	s_delay_alu instid0(VALU_DEP_1) | instskip(SKIP_1) | instid1(VALU_DEP_2)
	v_cndmask_b32_e64 v1, v3, v23, s2
	v_cndmask_b32_e64 v23, v2, v20, s4
	;; [unrolled: 1-line block ×3, first 2 shown]
	s_delay_alu instid0(VALU_DEP_2)
	v_mov_b32_e32 v2, v23
	v_dual_mov_b32 v4, v25 :: v_dual_mov_b32 v3, v24
	v_dual_mov_b32 v6, v27 :: v_dual_mov_b32 v5, v26
	;; [unrolled: 1-line block ×10, first 2 shown]
	v_mov_b32_e32 v23, v44
	v_mov_b32_e32 v24, v45
	;; [unrolled: 1-line block ×11, first 2 shown]
.LBB10_91:
	s_or_b32 exec_lo, exec_lo, s6
	v_dual_mov_b32 v0, s12 :: v_dual_mov_b32 v1, s13
	s_mov_b32 s6, exec_lo
	flat_load_b32 v0, v[0:1] offset:32
	s_waitcnt vmcnt(0) lgkmcnt(0)
	v_add_nc_u32_e32 v0, -1, v0
	s_delay_alu instid0(VALU_DEP_1)
	v_cmpx_ne_u32_e32 8, v0
	s_cbranch_execz .LBB10_93
; %bb.92:
	v_cmp_eq_u32_e32 vcc_lo, 1, v0
	v_cmp_eq_u32_e64 s0, 2, v0
	v_cmp_eq_u32_e64 s1, 3, v0
	;; [unrolled: 1-line block ×4, first 2 shown]
	v_dual_cndmask_b32 v1, v2, v4 :: v_dual_cndmask_b32 v24, v3, v5
	v_cmp_eq_u32_e64 s5, 6, v0
	v_cmp_eq_u32_e64 s4, 0, v0
	v_cndmask_b32_e64 v28, v7, v19, s0
	s_delay_alu instid0(VALU_DEP_4)
	v_cndmask_b32_e64 v1, v1, v6, s0
	v_cndmask_b32_e64 v24, v24, v7, s0
	;; [unrolled: 1-line block ×3, first 2 shown]
	v_cmp_eq_u32_e64 s0, 7, v0
	v_cndmask_b32_e32 v26, v5, v19, vcc_lo
	v_cndmask_b32_e64 v1, v1, v8, s1
	v_cndmask_b32_e64 v24, v24, v9, s1
	;; [unrolled: 1-line block ×9, first 2 shown]
	v_cmp_eq_u32_e64 s1, 9, v0
	v_cndmask_b32_e64 v1, v1, v12, s3
	v_cndmask_b32_e64 v3, v25, v13, s3
	v_cndmask_b32_e32 v25, v4, v18, vcc_lo
	v_cmp_eq_u32_e32 vcc_lo, 8, v0
	v_cmp_eq_u32_e64 s2, 10, v0
	v_cndmask_b32_e64 v1, v1, v14, s5
	v_cndmask_b32_e64 v34, v13, v19, s3
	;; [unrolled: 1-line block ×12, first 2 shown]
	v_cndmask_b32_e32 v1, v1, v18, vcc_lo
	v_cndmask_b32_e64 v3, v3, v15, s5
	s_delay_alu instid0(VALU_DEP_2) | instskip(NEXT) | instid1(VALU_DEP_2)
	v_cndmask_b32_e64 v1, v1, v20, s1
	v_cndmask_b32_e64 v3, v3, v17, s0
	s_delay_alu instid0(VALU_DEP_2) | instskip(NEXT) | instid1(VALU_DEP_1)
	v_cndmask_b32_e64 v0, v1, v22, s2
	v_cndmask_b32_e32 v39, v0, v18, vcc_lo
	s_delay_alu instid0(VALU_DEP_3) | instskip(NEXT) | instid1(VALU_DEP_1)
	v_cndmask_b32_e32 v3, v3, v19, vcc_lo
	v_cndmask_b32_e64 v3, v3, v21, s1
	s_delay_alu instid0(VALU_DEP_1) | instskip(SKIP_1) | instid1(VALU_DEP_2)
	v_cndmask_b32_e64 v1, v3, v23, s2
	v_cndmask_b32_e64 v23, v2, v18, s4
	v_cndmask_b32_e32 v40, v1, v19, vcc_lo
	s_delay_alu instid0(VALU_DEP_2)
	v_mov_b32_e32 v2, v23
	v_dual_mov_b32 v4, v25 :: v_dual_mov_b32 v3, v24
	v_dual_mov_b32 v6, v27 :: v_dual_mov_b32 v5, v26
	v_dual_mov_b32 v8, v29 :: v_dual_mov_b32 v7, v28
	v_dual_mov_b32 v10, v31 :: v_dual_mov_b32 v9, v30
	v_dual_mov_b32 v12, v33 :: v_dual_mov_b32 v11, v32
	v_dual_mov_b32 v14, v35 :: v_dual_mov_b32 v13, v34
	v_dual_mov_b32 v16, v37 :: v_dual_mov_b32 v15, v36
	v_dual_mov_b32 v18, v39 :: v_dual_mov_b32 v17, v38
	v_dual_mov_b32 v20, v41 :: v_dual_mov_b32 v19, v40
	v_dual_mov_b32 v22, v43 :: v_dual_mov_b32 v21, v42
	v_mov_b32_e32 v23, v44
	v_mov_b32_e32 v24, v45
	;; [unrolled: 1-line block ×11, first 2 shown]
.LBB10_93:
	s_or_b32 exec_lo, exec_lo, s6
	v_dual_mov_b32 v0, s12 :: v_dual_mov_b32 v1, s13
	s_mov_b32 s6, exec_lo
	flat_load_b32 v0, v[0:1] offset:28
	s_waitcnt vmcnt(0) lgkmcnt(0)
	v_add_nc_u32_e32 v0, -1, v0
	s_delay_alu instid0(VALU_DEP_1)
	v_cmpx_ne_u32_e32 7, v0
	s_cbranch_execz .LBB10_95
; %bb.94:
	v_cmp_eq_u32_e32 vcc_lo, 1, v0
	v_cmp_eq_u32_e64 s0, 2, v0
	v_cmp_eq_u32_e64 s1, 3, v0
	;; [unrolled: 1-line block ×4, first 2 shown]
	v_dual_cndmask_b32 v1, v2, v4 :: v_dual_cndmask_b32 v24, v3, v5
	v_cmp_eq_u32_e64 s5, 6, v0
	v_cmp_eq_u32_e64 s4, 0, v0
	v_cndmask_b32_e64 v28, v7, v17, s0
	s_delay_alu instid0(VALU_DEP_4)
	v_cndmask_b32_e64 v1, v1, v6, s0
	v_cndmask_b32_e64 v24, v24, v7, s0
	;; [unrolled: 1-line block ×3, first 2 shown]
	v_cmp_eq_u32_e64 s0, 7, v0
	v_cndmask_b32_e32 v26, v5, v17, vcc_lo
	v_cndmask_b32_e64 v1, v1, v8, s1
	v_cndmask_b32_e64 v24, v24, v9, s1
	;; [unrolled: 1-line block ×4, first 2 shown]
	v_cmp_eq_u32_e64 s1, 9, v0
	v_cndmask_b32_e64 v1, v1, v10, s2
	v_cndmask_b32_e64 v25, v24, v11, s2
	v_cndmask_b32_e64 v24, v3, v17, s4
	v_cndmask_b32_e64 v32, v11, v17, s2
	v_cndmask_b32_e64 v31, v10, v16, s2
	v_cndmask_b32_e64 v1, v1, v12, s3
	v_cndmask_b32_e64 v3, v25, v13, s3
	v_cndmask_b32_e32 v25, v4, v16, vcc_lo
	v_cmp_eq_u32_e32 vcc_lo, 8, v0
	v_cmp_eq_u32_e64 s2, 10, v0
	v_cndmask_b32_e64 v1, v1, v14, s5
	v_cndmask_b32_e64 v3, v3, v15, s5
	v_cndmask_b32_e64 v34, v13, v17, s3
	v_cndmask_b32_e64 v36, v15, v17, s5
	v_cndmask_b32_e64 v35, v14, v16, s5
	v_cndmask_b32_e64 v1, v1, v16, s0
	v_cndmask_b32_e64 v3, v3, v17, s0
	v_cndmask_b32_e32 v39, v18, v16, vcc_lo
	v_cndmask_b32_e64 v42, v21, v17, s1
	v_cndmask_b32_e64 v41, v20, v16, s1
	v_dual_cndmask_b32 v1, v1, v18 :: v_dual_cndmask_b32 v40, v19, v17
	v_cndmask_b32_e64 v44, v23, v17, s2
	v_cndmask_b32_e64 v43, v22, v16, s2
	;; [unrolled: 1-line block ×3, first 2 shown]
	s_delay_alu instid0(VALU_DEP_4) | instskip(NEXT) | instid1(VALU_DEP_1)
	v_cndmask_b32_e64 v1, v1, v20, s1
	v_cndmask_b32_e64 v0, v1, v22, s2
	s_delay_alu instid0(VALU_DEP_1) | instskip(SKIP_1) | instid1(VALU_DEP_1)
	v_cndmask_b32_e64 v37, v0, v16, s0
	v_cndmask_b32_e32 v3, v3, v19, vcc_lo
	v_cndmask_b32_e64 v3, v3, v21, s1
	s_delay_alu instid0(VALU_DEP_1) | instskip(SKIP_1) | instid1(VALU_DEP_2)
	v_cndmask_b32_e64 v1, v3, v23, s2
	v_cndmask_b32_e64 v23, v2, v16, s4
	;; [unrolled: 1-line block ×3, first 2 shown]
	s_delay_alu instid0(VALU_DEP_2)
	v_mov_b32_e32 v2, v23
	v_dual_mov_b32 v4, v25 :: v_dual_mov_b32 v3, v24
	v_dual_mov_b32 v6, v27 :: v_dual_mov_b32 v5, v26
	;; [unrolled: 1-line block ×10, first 2 shown]
	v_mov_b32_e32 v23, v44
	v_mov_b32_e32 v24, v45
	;; [unrolled: 1-line block ×11, first 2 shown]
.LBB10_95:
	s_or_b32 exec_lo, exec_lo, s6
	v_dual_mov_b32 v0, s12 :: v_dual_mov_b32 v1, s13
	s_mov_b32 s6, exec_lo
	flat_load_b32 v0, v[0:1] offset:24
	s_waitcnt vmcnt(0) lgkmcnt(0)
	v_add_nc_u32_e32 v0, -1, v0
	s_delay_alu instid0(VALU_DEP_1)
	v_cmpx_ne_u32_e32 6, v0
	s_cbranch_execz .LBB10_97
; %bb.96:
	v_cmp_eq_u32_e32 vcc_lo, 1, v0
	v_cmp_eq_u32_e64 s0, 2, v0
	v_cmp_eq_u32_e64 s1, 3, v0
	;; [unrolled: 1-line block ×4, first 2 shown]
	v_dual_cndmask_b32 v1, v2, v4 :: v_dual_cndmask_b32 v24, v3, v5
	v_cmp_eq_u32_e64 s5, 6, v0
	v_cmp_eq_u32_e64 s4, 0, v0
	v_cndmask_b32_e64 v28, v7, v15, s0
	s_delay_alu instid0(VALU_DEP_4)
	v_cndmask_b32_e64 v1, v1, v6, s0
	v_cndmask_b32_e64 v24, v24, v7, s0
	;; [unrolled: 1-line block ×3, first 2 shown]
	v_cmp_eq_u32_e64 s0, 7, v0
	v_cndmask_b32_e32 v26, v5, v15, vcc_lo
	v_cndmask_b32_e64 v1, v1, v8, s1
	v_cndmask_b32_e64 v24, v24, v9, s1
	;; [unrolled: 1-line block ×4, first 2 shown]
	v_cmp_eq_u32_e64 s1, 9, v0
	v_cndmask_b32_e64 v1, v1, v10, s2
	v_cndmask_b32_e64 v25, v24, v11, s2
	;; [unrolled: 1-line block ×7, first 2 shown]
	v_cndmask_b32_e32 v25, v4, v14, vcc_lo
	v_cmp_eq_u32_e32 vcc_lo, 8, v0
	v_cndmask_b32_e64 v34, v13, v15, s3
	v_cndmask_b32_e64 v1, v1, v14, s5
	v_cndmask_b32_e64 v3, v3, v15, s5
	v_cndmask_b32_e64 v42, v21, v15, s1
	v_cndmask_b32_e32 v39, v18, v14, vcc_lo
	v_cndmask_b32_e64 v41, v20, v14, s1
	v_cndmask_b32_e64 v1, v1, v16, s0
	v_cndmask_b32_e64 v3, v3, v17, s0
	v_cmp_eq_u32_e64 s0, 10, v0
	v_cndmask_b32_e64 v32, v11, v15, s2
	v_cndmask_b32_e64 v31, v10, v14, s2
	v_dual_cndmask_b32 v1, v1, v18 :: v_dual_cndmask_b32 v40, v19, v15
	s_delay_alu instid0(VALU_DEP_4) | instskip(SKIP_2) | instid1(VALU_DEP_4)
	v_cndmask_b32_e64 v44, v23, v15, s0
	v_cndmask_b32_e64 v43, v22, v14, s0
	;; [unrolled: 1-line block ×4, first 2 shown]
	s_delay_alu instid0(VALU_DEP_1) | instskip(NEXT) | instid1(VALU_DEP_1)
	v_cndmask_b32_e64 v0, v1, v22, s0
	v_cndmask_b32_e64 v35, v0, v14, s5
	v_cndmask_b32_e32 v3, v3, v19, vcc_lo
	s_delay_alu instid0(VALU_DEP_1) | instskip(NEXT) | instid1(VALU_DEP_1)
	v_cndmask_b32_e64 v3, v3, v21, s1
	v_cndmask_b32_e64 v1, v3, v23, s0
	v_cndmask_b32_e64 v23, v2, v14, s4
	s_delay_alu instid0(VALU_DEP_2) | instskip(NEXT) | instid1(VALU_DEP_2)
	v_cndmask_b32_e64 v36, v1, v15, s5
	v_mov_b32_e32 v2, v23
	v_dual_mov_b32 v4, v25 :: v_dual_mov_b32 v3, v24
	v_dual_mov_b32 v6, v27 :: v_dual_mov_b32 v5, v26
	;; [unrolled: 1-line block ×10, first 2 shown]
	v_mov_b32_e32 v23, v44
	v_mov_b32_e32 v24, v45
	v_mov_b32_e32 v25, v46
	v_mov_b32_e32 v26, v47
	v_mov_b32_e32 v27, v48
	v_mov_b32_e32 v28, v49
	v_mov_b32_e32 v29, v50
	v_mov_b32_e32 v30, v51
	v_mov_b32_e32 v31, v52
	v_mov_b32_e32 v32, v53
	v_mov_b32_e32 v33, v54
.LBB10_97:
	s_or_b32 exec_lo, exec_lo, s6
	v_dual_mov_b32 v0, s12 :: v_dual_mov_b32 v1, s13
	s_mov_b32 s6, exec_lo
	flat_load_b32 v0, v[0:1] offset:20
	s_waitcnt vmcnt(0) lgkmcnt(0)
	v_add_nc_u32_e32 v0, -1, v0
	s_delay_alu instid0(VALU_DEP_1)
	v_cmpx_ne_u32_e32 5, v0
	s_cbranch_execz .LBB10_99
; %bb.98:
	v_cmp_eq_u32_e32 vcc_lo, 1, v0
	v_cmp_eq_u32_e64 s0, 2, v0
	v_cmp_eq_u32_e64 s1, 3, v0
	;; [unrolled: 1-line block ×4, first 2 shown]
	v_dual_cndmask_b32 v1, v2, v4 :: v_dual_cndmask_b32 v24, v3, v5
	v_cmp_eq_u32_e64 s4, 0, v0
	v_cmp_eq_u32_e64 s5, 6, v0
	v_cndmask_b32_e64 v28, v7, v13, s0
	s_delay_alu instid0(VALU_DEP_4)
	v_cndmask_b32_e64 v1, v1, v6, s0
	v_cndmask_b32_e64 v24, v24, v7, s0
	;; [unrolled: 1-line block ×3, first 2 shown]
	v_cmp_eq_u32_e64 s0, 7, v0
	v_cndmask_b32_e32 v26, v5, v13, vcc_lo
	v_cndmask_b32_e64 v1, v1, v8, s1
	v_cndmask_b32_e64 v24, v24, v9, s1
	;; [unrolled: 1-line block ×4, first 2 shown]
	v_cmp_eq_u32_e64 s1, 9, v0
	v_cndmask_b32_e64 v1, v1, v10, s2
	v_cndmask_b32_e64 v25, v24, v11, s2
	;; [unrolled: 1-line block ×7, first 2 shown]
	v_cndmask_b32_e32 v25, v4, v12, vcc_lo
	v_cmp_eq_u32_e32 vcc_lo, 8, v0
	v_cndmask_b32_e64 v36, v15, v13, s5
	v_cndmask_b32_e64 v1, v1, v14, s5
	;; [unrolled: 1-line block ×4, first 2 shown]
	v_cndmask_b32_e32 v39, v18, v12, vcc_lo
	v_cndmask_b32_e64 v42, v21, v13, s1
	v_cndmask_b32_e64 v1, v1, v16, s0
	;; [unrolled: 1-line block ×3, first 2 shown]
	v_cmp_eq_u32_e64 s0, 10, v0
	v_cndmask_b32_e64 v41, v20, v12, s1
	v_cndmask_b32_e64 v32, v11, v13, s2
	v_dual_cndmask_b32 v1, v1, v18 :: v_dual_cndmask_b32 v40, v19, v13
	s_delay_alu instid0(VALU_DEP_4) | instskip(SKIP_2) | instid1(VALU_DEP_4)
	v_cndmask_b32_e64 v44, v23, v13, s0
	v_cndmask_b32_e64 v43, v22, v12, s0
	v_cndmask_b32_e32 v3, v3, v19, vcc_lo
	v_cndmask_b32_e64 v1, v1, v20, s1
	v_cndmask_b32_e64 v31, v10, v12, s2
	s_delay_alu instid0(VALU_DEP_3) | instskip(NEXT) | instid1(VALU_DEP_3)
	v_cndmask_b32_e64 v3, v3, v21, s1
	v_cndmask_b32_e64 v0, v1, v22, s0
	s_delay_alu instid0(VALU_DEP_2) | instskip(SKIP_1) | instid1(VALU_DEP_3)
	v_cndmask_b32_e64 v1, v3, v23, s0
	v_cndmask_b32_e64 v23, v2, v12, s4
	;; [unrolled: 1-line block ×3, first 2 shown]
	s_delay_alu instid0(VALU_DEP_3) | instskip(NEXT) | instid1(VALU_DEP_3)
	v_cndmask_b32_e64 v34, v1, v13, s3
	v_mov_b32_e32 v2, v23
	v_dual_mov_b32 v4, v25 :: v_dual_mov_b32 v3, v24
	v_dual_mov_b32 v6, v27 :: v_dual_mov_b32 v5, v26
	;; [unrolled: 1-line block ×10, first 2 shown]
	v_mov_b32_e32 v23, v44
	v_mov_b32_e32 v24, v45
	;; [unrolled: 1-line block ×11, first 2 shown]
.LBB10_99:
	s_or_b32 exec_lo, exec_lo, s6
	v_dual_mov_b32 v0, s12 :: v_dual_mov_b32 v1, s13
	s_mov_b32 s6, exec_lo
	flat_load_b32 v0, v[0:1] offset:16
	s_waitcnt vmcnt(0) lgkmcnt(0)
	v_add_nc_u32_e32 v0, -1, v0
	s_delay_alu instid0(VALU_DEP_1)
	v_cmpx_ne_u32_e32 4, v0
	s_cbranch_execz .LBB10_101
; %bb.100:
	v_cmp_eq_u32_e32 vcc_lo, 1, v0
	v_cmp_eq_u32_e64 s0, 2, v0
	v_cmp_eq_u32_e64 s1, 3, v0
	;; [unrolled: 1-line block ×4, first 2 shown]
	v_dual_cndmask_b32 v1, v2, v4 :: v_dual_cndmask_b32 v24, v3, v5
	v_cmp_eq_u32_e64 s4, 0, v0
	v_cmp_eq_u32_e64 s5, 6, v0
	v_cndmask_b32_e64 v28, v7, v11, s0
	s_delay_alu instid0(VALU_DEP_4)
	v_cndmask_b32_e64 v1, v1, v6, s0
	v_cndmask_b32_e64 v24, v24, v7, s0
	;; [unrolled: 1-line block ×3, first 2 shown]
	v_cmp_eq_u32_e64 s0, 7, v0
	v_cndmask_b32_e32 v26, v5, v11, vcc_lo
	v_cndmask_b32_e64 v1, v1, v8, s1
	v_cndmask_b32_e64 v24, v24, v9, s1
	v_cndmask_b32_e64 v30, v9, v11, s1
	v_cndmask_b32_e64 v29, v8, v10, s1
	v_cmp_eq_u32_e64 s1, 9, v0
	v_cndmask_b32_e64 v1, v1, v10, s2
	v_cndmask_b32_e64 v25, v24, v11, s2
	;; [unrolled: 1-line block ×7, first 2 shown]
	v_cndmask_b32_e32 v25, v4, v10, vcc_lo
	v_cmp_eq_u32_e32 vcc_lo, 8, v0
	v_cndmask_b32_e64 v34, v13, v11, s3
	v_cndmask_b32_e64 v1, v1, v14, s5
	v_cndmask_b32_e64 v3, v3, v15, s5
	v_cndmask_b32_e64 v36, v15, v11, s5
	v_cndmask_b32_e64 v35, v14, v10, s5
	v_cndmask_b32_e32 v39, v18, v10, vcc_lo
	v_cndmask_b32_e64 v1, v1, v16, s0
	v_cndmask_b32_e64 v3, v3, v17, s0
	v_cmp_eq_u32_e64 s0, 10, v0
	v_cndmask_b32_e64 v42, v21, v11, s1
	v_cndmask_b32_e64 v41, v20, v10, s1
	v_dual_cndmask_b32 v1, v1, v18 :: v_dual_cndmask_b32 v40, v19, v11
	s_delay_alu instid0(VALU_DEP_4) | instskip(SKIP_2) | instid1(VALU_DEP_4)
	v_cndmask_b32_e64 v44, v23, v11, s0
	v_cndmask_b32_e64 v43, v22, v10, s0
	v_cndmask_b32_e32 v3, v3, v19, vcc_lo
	v_cndmask_b32_e64 v1, v1, v20, s1
	v_cndmask_b32_e64 v33, v12, v10, s3
	s_delay_alu instid0(VALU_DEP_3) | instskip(NEXT) | instid1(VALU_DEP_3)
	v_cndmask_b32_e64 v3, v3, v21, s1
	v_cndmask_b32_e64 v0, v1, v22, s0
	s_delay_alu instid0(VALU_DEP_2) | instskip(SKIP_1) | instid1(VALU_DEP_3)
	v_cndmask_b32_e64 v1, v3, v23, s0
	v_cndmask_b32_e64 v23, v2, v10, s4
	;; [unrolled: 1-line block ×3, first 2 shown]
	s_delay_alu instid0(VALU_DEP_3) | instskip(NEXT) | instid1(VALU_DEP_3)
	v_cndmask_b32_e64 v32, v1, v11, s2
	v_mov_b32_e32 v2, v23
	v_dual_mov_b32 v4, v25 :: v_dual_mov_b32 v3, v24
	v_dual_mov_b32 v6, v27 :: v_dual_mov_b32 v5, v26
	v_dual_mov_b32 v8, v29 :: v_dual_mov_b32 v7, v28
	v_dual_mov_b32 v10, v31 :: v_dual_mov_b32 v9, v30
	v_dual_mov_b32 v12, v33 :: v_dual_mov_b32 v11, v32
	v_dual_mov_b32 v14, v35 :: v_dual_mov_b32 v13, v34
	v_dual_mov_b32 v16, v37 :: v_dual_mov_b32 v15, v36
	v_dual_mov_b32 v18, v39 :: v_dual_mov_b32 v17, v38
	v_dual_mov_b32 v20, v41 :: v_dual_mov_b32 v19, v40
	v_dual_mov_b32 v22, v43 :: v_dual_mov_b32 v21, v42
	v_mov_b32_e32 v23, v44
	v_mov_b32_e32 v24, v45
	;; [unrolled: 1-line block ×11, first 2 shown]
.LBB10_101:
	s_or_b32 exec_lo, exec_lo, s6
	v_dual_mov_b32 v0, s12 :: v_dual_mov_b32 v1, s13
	s_mov_b32 s6, exec_lo
	flat_load_b32 v0, v[0:1] offset:12
	s_waitcnt vmcnt(0) lgkmcnt(0)
	v_add_nc_u32_e32 v0, -1, v0
	s_delay_alu instid0(VALU_DEP_1)
	v_cmpx_ne_u32_e32 3, v0
	s_cbranch_execz .LBB10_103
; %bb.102:
	v_cmp_eq_u32_e32 vcc_lo, 1, v0
	v_cmp_eq_u32_e64 s0, 2, v0
	v_cmp_eq_u32_e64 s1, 3, v0
	;; [unrolled: 1-line block ×4, first 2 shown]
	v_dual_cndmask_b32 v1, v2, v4 :: v_dual_cndmask_b32 v24, v3, v5
	v_cmp_eq_u32_e64 s4, 0, v0
	v_cmp_eq_u32_e64 s5, 6, v0
	v_cndmask_b32_e64 v28, v7, v9, s0
	s_delay_alu instid0(VALU_DEP_4)
	v_cndmask_b32_e64 v1, v1, v6, s0
	v_cndmask_b32_e64 v24, v24, v7, s0
	v_cndmask_b32_e64 v27, v6, v8, s0
	v_cmp_eq_u32_e64 s0, 7, v0
	v_cndmask_b32_e32 v26, v5, v9, vcc_lo
	v_cndmask_b32_e64 v1, v1, v8, s1
	v_cndmask_b32_e64 v24, v24, v9, s1
	;; [unrolled: 1-line block ×8, first 2 shown]
	v_cmp_eq_u32_e64 s2, 9, v0
	v_cndmask_b32_e64 v37, v16, v8, s0
	v_cndmask_b32_e64 v1, v1, v12, s3
	;; [unrolled: 1-line block ×3, first 2 shown]
	v_cndmask_b32_e32 v25, v4, v8, vcc_lo
	v_cmp_eq_u32_e32 vcc_lo, 8, v0
	v_cndmask_b32_e64 v34, v13, v9, s3
	v_cndmask_b32_e64 v1, v1, v14, s5
	;; [unrolled: 1-line block ×5, first 2 shown]
	v_cndmask_b32_e32 v39, v18, v8, vcc_lo
	v_cndmask_b32_e64 v1, v1, v16, s0
	v_cndmask_b32_e64 v3, v3, v17, s0
	v_cmp_eq_u32_e64 s0, 10, v0
	v_cndmask_b32_e64 v42, v21, v9, s2
	v_cndmask_b32_e64 v41, v20, v8, s2
	v_dual_cndmask_b32 v1, v1, v18 :: v_dual_cndmask_b32 v40, v19, v9
	s_delay_alu instid0(VALU_DEP_4) | instskip(SKIP_2) | instid1(VALU_DEP_4)
	v_cndmask_b32_e64 v44, v23, v9, s0
	v_cndmask_b32_e64 v43, v22, v8, s0
	v_cndmask_b32_e32 v3, v3, v19, vcc_lo
	v_cndmask_b32_e64 v1, v1, v20, s2
	v_cndmask_b32_e64 v33, v12, v8, s3
	s_delay_alu instid0(VALU_DEP_3) | instskip(NEXT) | instid1(VALU_DEP_3)
	v_cndmask_b32_e64 v3, v3, v21, s2
	v_cndmask_b32_e64 v0, v1, v22, s0
	s_delay_alu instid0(VALU_DEP_2) | instskip(SKIP_1) | instid1(VALU_DEP_3)
	v_cndmask_b32_e64 v1, v3, v23, s0
	v_cndmask_b32_e64 v23, v2, v8, s4
	v_cndmask_b32_e64 v29, v0, v8, s1
	s_delay_alu instid0(VALU_DEP_3) | instskip(NEXT) | instid1(VALU_DEP_3)
	v_cndmask_b32_e64 v30, v1, v9, s1
	v_mov_b32_e32 v2, v23
	v_dual_mov_b32 v4, v25 :: v_dual_mov_b32 v3, v24
	v_dual_mov_b32 v6, v27 :: v_dual_mov_b32 v5, v26
	;; [unrolled: 1-line block ×10, first 2 shown]
	v_mov_b32_e32 v23, v44
	v_mov_b32_e32 v24, v45
	;; [unrolled: 1-line block ×11, first 2 shown]
.LBB10_103:
	s_or_b32 exec_lo, exec_lo, s6
	v_dual_mov_b32 v0, s12 :: v_dual_mov_b32 v1, s13
	s_mov_b32 s6, exec_lo
	flat_load_b32 v0, v[0:1] offset:8
	s_waitcnt vmcnt(0) lgkmcnt(0)
	v_add_nc_u32_e32 v0, -1, v0
	s_delay_alu instid0(VALU_DEP_1)
	v_cmpx_ne_u32_e32 2, v0
	s_cbranch_execz .LBB10_105
; %bb.104:
	v_cmp_eq_u32_e32 vcc_lo, 1, v0
	v_cmp_eq_u32_e64 s0, 2, v0
	v_cmp_eq_u32_e64 s1, 3, v0
	v_cmp_eq_u32_e64 s2, 4, v0
	v_cmp_eq_u32_e64 s3, 5, v0
	v_dual_cndmask_b32 v1, v2, v4 :: v_dual_cndmask_b32 v24, v3, v5
	v_cmp_eq_u32_e64 s4, 0, v0
	v_cmp_eq_u32_e64 s5, 6, v0
	v_cndmask_b32_e32 v26, v5, v7, vcc_lo
	s_delay_alu instid0(VALU_DEP_4)
	v_cndmask_b32_e64 v1, v1, v6, s0
	v_cndmask_b32_e64 v24, v24, v7, s0
	;; [unrolled: 1-line block ×7, first 2 shown]
	v_cmp_eq_u32_e64 s1, 8, v0
	v_cndmask_b32_e64 v31, v10, v6, s2
	v_cndmask_b32_e64 v34, v13, v7, s3
	;; [unrolled: 1-line block ×5, first 2 shown]
	v_cmp_eq_u32_e64 s2, 9, v0
	v_cndmask_b32_e64 v36, v15, v7, s5
	v_cndmask_b32_e64 v1, v1, v12, s3
	;; [unrolled: 1-line block ×3, first 2 shown]
	v_cndmask_b32_e32 v25, v4, v6, vcc_lo
	v_cmp_eq_u32_e32 vcc_lo, 7, v0
	v_cndmask_b32_e64 v35, v14, v6, s5
	v_cndmask_b32_e64 v1, v1, v14, s5
	;; [unrolled: 1-line block ×4, first 2 shown]
	v_cndmask_b32_e32 v37, v16, v6, vcc_lo
	v_cndmask_b32_e64 v39, v18, v6, s1
	v_cndmask_b32_e32 v1, v1, v16, vcc_lo
	v_dual_cndmask_b32 v3, v3, v17 :: v_dual_cndmask_b32 v38, v17, v7
	v_cmp_eq_u32_e32 vcc_lo, 10, v0
	v_cndmask_b32_e64 v42, v21, v7, s2
	v_cndmask_b32_e64 v41, v20, v6, s2
	s_delay_alu instid0(VALU_DEP_4)
	v_cndmask_b32_e64 v3, v3, v19, s1
	v_cndmask_b32_e64 v33, v12, v6, s3
	v_cndmask_b32_e32 v44, v23, v7, vcc_lo
	v_cndmask_b32_e64 v1, v1, v18, s1
	v_cndmask_b32_e32 v43, v22, v6, vcc_lo
	v_cndmask_b32_e64 v3, v3, v21, s2
	s_delay_alu instid0(VALU_DEP_3) | instskip(NEXT) | instid1(VALU_DEP_1)
	v_cndmask_b32_e64 v1, v1, v20, s2
	v_dual_cndmask_b32 v0, v1, v22 :: v_dual_cndmask_b32 v1, v3, v23
	v_cndmask_b32_e64 v23, v2, v6, s4
	s_delay_alu instid0(VALU_DEP_2) | instskip(NEXT) | instid1(VALU_DEP_3)
	v_cndmask_b32_e64 v27, v0, v6, s0
	v_cndmask_b32_e64 v28, v1, v7, s0
	s_delay_alu instid0(VALU_DEP_3) | instskip(SKIP_1) | instid1(VALU_DEP_4)
	v_mov_b32_e32 v2, v23
	v_dual_mov_b32 v3, v24 :: v_dual_mov_b32 v4, v25
	v_dual_mov_b32 v5, v26 :: v_dual_mov_b32 v6, v27
	s_delay_alu instid0(VALU_DEP_4)
	v_dual_mov_b32 v7, v28 :: v_dual_mov_b32 v8, v29
	v_dual_mov_b32 v9, v30 :: v_dual_mov_b32 v10, v31
	;; [unrolled: 1-line block ×8, first 2 shown]
	v_mov_b32_e32 v23, v44
	v_mov_b32_e32 v24, v45
	;; [unrolled: 1-line block ×11, first 2 shown]
.LBB10_105:
	s_or_b32 exec_lo, exec_lo, s6
	v_dual_mov_b32 v0, s12 :: v_dual_mov_b32 v1, s13
	s_mov_b32 s6, exec_lo
	flat_load_b32 v0, v[0:1] offset:4
	s_waitcnt vmcnt(0) lgkmcnt(0)
	v_add_nc_u32_e32 v0, -1, v0
	s_delay_alu instid0(VALU_DEP_1)
	v_cmpx_ne_u32_e32 1, v0
	s_cbranch_execz .LBB10_107
; %bb.106:
	v_cmp_eq_u32_e32 vcc_lo, 1, v0
	v_cmp_eq_u32_e64 s0, 2, v0
	v_cmp_eq_u32_e64 s1, 3, v0
	;; [unrolled: 1-line block ×4, first 2 shown]
	v_dual_cndmask_b32 v1, v2, v4 :: v_dual_cndmask_b32 v24, v3, v5
	v_cmp_eq_u32_e64 s4, 0, v0
	v_cmp_eq_u32_e64 s5, 6, v0
	v_cndmask_b32_e64 v28, v7, v5, s0
	s_delay_alu instid0(VALU_DEP_4)
	v_cndmask_b32_e64 v1, v1, v6, s0
	v_cndmask_b32_e64 v24, v24, v7, s0
	;; [unrolled: 1-line block ×3, first 2 shown]
	v_cmp_eq_u32_e64 s0, 7, v0
	v_cndmask_b32_e64 v30, v9, v5, s1
	v_cndmask_b32_e64 v1, v1, v8, s1
	;; [unrolled: 1-line block ×4, first 2 shown]
	v_cmp_eq_u32_e64 s1, 8, v0
	v_cndmask_b32_e64 v32, v11, v5, s2
	v_cndmask_b32_e64 v1, v1, v10, s2
	;; [unrolled: 1-line block ×5, first 2 shown]
	v_cmp_eq_u32_e64 s2, 9, v0
	v_cndmask_b32_e64 v1, v1, v12, s3
	v_cndmask_b32_e64 v3, v25, v13, s3
	;; [unrolled: 1-line block ×12, first 2 shown]
	v_cmp_eq_u32_e64 s0, 10, v0
	v_cndmask_b32_e64 v39, v18, v4, s1
	v_cndmask_b32_e64 v42, v21, v5, s2
	;; [unrolled: 1-line block ×10, first 2 shown]
	s_delay_alu instid0(VALU_DEP_3) | instskip(NEXT) | instid1(VALU_DEP_3)
	v_cndmask_b32_e64 v0, v1, v22, s0
	v_cndmask_b32_e64 v1, v3, v23, s0
	;; [unrolled: 1-line block ×3, first 2 shown]
	s_delay_alu instid0(VALU_DEP_2) | instskip(NEXT) | instid1(VALU_DEP_2)
	v_dual_cndmask_b32 v25, v0, v4 :: v_dual_cndmask_b32 v26, v1, v5
	v_mov_b32_e32 v2, v23
	s_delay_alu instid0(VALU_DEP_2) | instskip(NEXT) | instid1(VALU_DEP_3)
	v_dual_mov_b32 v3, v24 :: v_dual_mov_b32 v4, v25
	v_dual_mov_b32 v5, v26 :: v_dual_mov_b32 v6, v27
	;; [unrolled: 1-line block ×10, first 2 shown]
	v_mov_b32_e32 v23, v44
	v_mov_b32_e32 v24, v45
	;; [unrolled: 1-line block ×11, first 2 shown]
.LBB10_107:
	s_or_b32 exec_lo, exec_lo, s6
	v_dual_mov_b32 v0, s12 :: v_dual_mov_b32 v1, s13
	s_mov_b32 s5, exec_lo
	flat_load_b32 v0, v[0:1]
	s_waitcnt vmcnt(0) lgkmcnt(0)
	v_add_nc_u32_e32 v0, -1, v0
	s_delay_alu instid0(VALU_DEP_1)
	v_cmpx_ne_u32_e32 0, v0
	s_cbranch_execz .LBB10_109
; %bb.108:
	v_cmp_eq_u32_e32 vcc_lo, 1, v0
	v_cmp_eq_u32_e64 s0, 2, v0
	v_cmp_eq_u32_e64 s1, 3, v0
	;; [unrolled: 1-line block ×4, first 2 shown]
	v_dual_cndmask_b32 v1, v2, v4 :: v_dual_cndmask_b32 v24, v3, v5
	v_cmp_eq_u32_e64 s4, 6, v0
	v_cndmask_b32_e64 v26, v7, v3, s0
	v_cndmask_b32_e64 v25, v6, v2, s0
	s_delay_alu instid0(VALU_DEP_4)
	v_cndmask_b32_e64 v1, v1, v6, s0
	v_cndmask_b32_e64 v24, v24, v7, s0
	v_cmp_eq_u32_e64 s0, 7, v0
	v_cndmask_b32_e64 v28, v9, v3, s1
	v_cndmask_b32_e64 v27, v8, v2, s1
	v_cndmask_b32_e64 v1, v1, v8, s1
	v_cndmask_b32_e64 v24, v24, v9, s1
	v_cmp_eq_u32_e64 s1, 8, v0
	v_cndmask_b32_e64 v30, v11, v3, s2
	v_cndmask_b32_e64 v29, v10, v2, s2
	v_cndmask_b32_e64 v1, v1, v10, s2
	v_cndmask_b32_e64 v24, v24, v11, s2
	v_cmp_eq_u32_e64 s2, 9, v0
	v_cndmask_b32_e64 v36, v17, v3, s0
	v_cndmask_b32_e64 v35, v16, v2, s0
	v_cndmask_b32_e64 v1, v1, v12, s3
	v_cndmask_b32_e64 v7, v24, v13, s3
	v_cndmask_b32_e32 v24, v5, v3, vcc_lo
	v_cndmask_b32_e64 v38, v19, v3, s1
	v_cndmask_b32_e64 v37, v18, v2, s1
	;; [unrolled: 1-line block ×9, first 2 shown]
	v_cmp_eq_u32_e64 s0, 10, v0
	v_cndmask_b32_e64 v32, v13, v3, s3
	v_cndmask_b32_e64 v31, v12, v2, s3
	v_cndmask_b32_e64 v1, v1, v18, s1
	v_cndmask_b32_e64 v5, v5, v19, s1
	v_cmp_eq_u32_e64 s1, 0, v0
	v_cndmask_b32_e64 v42, v23, v3, s0
	v_cndmask_b32_e64 v41, v22, v2, s0
	;; [unrolled: 1-line block ×5, first 2 shown]
	s_delay_alu instid0(VALU_DEP_3) | instskip(NEXT) | instid1(VALU_DEP_3)
	v_cndmask_b32_e64 v1, v1, v22, s0
	v_cndmask_b32_e64 v5, v5, v23, s0
	v_cndmask_b32_e32 v23, v4, v2, vcc_lo
	s_delay_alu instid0(VALU_DEP_3) | instskip(NEXT) | instid1(VALU_DEP_3)
	v_cndmask_b32_e64 v21, v1, v2, s1
	v_cndmask_b32_e64 v22, v5, v3, s1
	s_delay_alu instid0(VALU_DEP_2) | instskip(NEXT) | instid1(VALU_DEP_2)
	v_mov_b32_e32 v2, v21
	v_dual_mov_b32 v3, v22 :: v_dual_mov_b32 v4, v23
	v_dual_mov_b32 v5, v24 :: v_dual_mov_b32 v6, v25
	v_dual_mov_b32 v7, v26 :: v_dual_mov_b32 v8, v27
	v_dual_mov_b32 v9, v28 :: v_dual_mov_b32 v10, v29
	v_dual_mov_b32 v11, v30 :: v_dual_mov_b32 v12, v31
	v_dual_mov_b32 v13, v32 :: v_dual_mov_b32 v14, v33
	v_dual_mov_b32 v15, v34 :: v_dual_mov_b32 v16, v35
	v_dual_mov_b32 v17, v36 :: v_dual_mov_b32 v18, v37
	v_dual_mov_b32 v19, v38 :: v_dual_mov_b32 v20, v39
	v_mov_b32_e32 v21, v40
	v_mov_b32_e32 v22, v41
	;; [unrolled: 1-line block ×13, first 2 shown]
.LBB10_109:
	s_or_b32 exec_lo, exec_lo, s5
.LBB10_110:
	s_delay_alu instid0(VALU_DEP_1)
	v_dual_mov_b32 v1, v3 :: v_dual_mov_b32 v0, v2
	v_dual_mov_b32 v3, v5 :: v_dual_mov_b32 v2, v4
	;; [unrolled: 1-line block ×3, first 2 shown]
	global_store_b64 v[58:59], v[0:1], off
	v_dual_mov_b32 v1, v9 :: v_dual_mov_b32 v0, v8
	v_dual_mov_b32 v7, v11 :: v_dual_mov_b32 v6, v10
	;; [unrolled: 1-line block ×3, first 2 shown]
	s_clause 0x4
	global_store_b64 v[56:57], v[2:3], off
	global_store_b64 v[60:61], v[4:5], off
	;; [unrolled: 1-line block ×5, first 2 shown]
	v_dual_mov_b32 v1, v15 :: v_dual_mov_b32 v0, v14
	v_dual_mov_b32 v3, v17 :: v_dual_mov_b32 v2, v16
	;; [unrolled: 1-line block ×5, first 2 shown]
	s_clause 0x4
	global_store_b64 v[66:67], v[0:1], off
	global_store_b64 v[70:71], v[2:3], off
	global_store_b64 v[72:73], v[4:5], off
	global_store_b64 v[76:77], v[6:7], off
	global_store_b64 v[74:75], v[8:9], off
	s_nop 0
	s_sendmsg sendmsg(MSG_DEALLOC_VGPRS)
	s_endpgm
	.section	.rodata,"a",@progbits
	.p2align	6, 0x0
	.amdhsa_kernel _ZN9rocsolver6v33100L18getri_kernel_smallILi11EdPdEEvT1_iilPiilS4_bb
		.amdhsa_group_segment_fixed_size 184
		.amdhsa_private_segment_fixed_size 0
		.amdhsa_kernarg_size 60
		.amdhsa_user_sgpr_count 15
		.amdhsa_user_sgpr_dispatch_ptr 0
		.amdhsa_user_sgpr_queue_ptr 0
		.amdhsa_user_sgpr_kernarg_segment_ptr 1
		.amdhsa_user_sgpr_dispatch_id 0
		.amdhsa_user_sgpr_private_segment_size 0
		.amdhsa_wavefront_size32 1
		.amdhsa_uses_dynamic_stack 0
		.amdhsa_enable_private_segment 0
		.amdhsa_system_sgpr_workgroup_id_x 1
		.amdhsa_system_sgpr_workgroup_id_y 0
		.amdhsa_system_sgpr_workgroup_id_z 0
		.amdhsa_system_sgpr_workgroup_info 0
		.amdhsa_system_vgpr_workitem_id 0
		.amdhsa_next_free_vgpr 80
		.amdhsa_next_free_sgpr 18
		.amdhsa_reserve_vcc 1
		.amdhsa_float_round_mode_32 0
		.amdhsa_float_round_mode_16_64 0
		.amdhsa_float_denorm_mode_32 3
		.amdhsa_float_denorm_mode_16_64 3
		.amdhsa_dx10_clamp 1
		.amdhsa_ieee_mode 1
		.amdhsa_fp16_overflow 0
		.amdhsa_workgroup_processor_mode 1
		.amdhsa_memory_ordered 1
		.amdhsa_forward_progress 0
		.amdhsa_shared_vgpr_count 0
		.amdhsa_exception_fp_ieee_invalid_op 0
		.amdhsa_exception_fp_denorm_src 0
		.amdhsa_exception_fp_ieee_div_zero 0
		.amdhsa_exception_fp_ieee_overflow 0
		.amdhsa_exception_fp_ieee_underflow 0
		.amdhsa_exception_fp_ieee_inexact 0
		.amdhsa_exception_int_div_zero 0
	.end_amdhsa_kernel
	.section	.text._ZN9rocsolver6v33100L18getri_kernel_smallILi11EdPdEEvT1_iilPiilS4_bb,"axG",@progbits,_ZN9rocsolver6v33100L18getri_kernel_smallILi11EdPdEEvT1_iilPiilS4_bb,comdat
.Lfunc_end10:
	.size	_ZN9rocsolver6v33100L18getri_kernel_smallILi11EdPdEEvT1_iilPiilS4_bb, .Lfunc_end10-_ZN9rocsolver6v33100L18getri_kernel_smallILi11EdPdEEvT1_iilPiilS4_bb
                                        ; -- End function
	.section	.AMDGPU.csdata,"",@progbits
; Kernel info:
; codeLenInByte = 16912
; NumSgprs: 20
; NumVgprs: 80
; ScratchSize: 0
; MemoryBound: 0
; FloatMode: 240
; IeeeMode: 1
; LDSByteSize: 184 bytes/workgroup (compile time only)
; SGPRBlocks: 2
; VGPRBlocks: 9
; NumSGPRsForWavesPerEU: 20
; NumVGPRsForWavesPerEU: 80
; Occupancy: 16
; WaveLimiterHint : 0
; COMPUTE_PGM_RSRC2:SCRATCH_EN: 0
; COMPUTE_PGM_RSRC2:USER_SGPR: 15
; COMPUTE_PGM_RSRC2:TRAP_HANDLER: 0
; COMPUTE_PGM_RSRC2:TGID_X_EN: 1
; COMPUTE_PGM_RSRC2:TGID_Y_EN: 0
; COMPUTE_PGM_RSRC2:TGID_Z_EN: 0
; COMPUTE_PGM_RSRC2:TIDIG_COMP_CNT: 0
	.section	.text._ZN9rocsolver6v33100L18getri_kernel_smallILi12EdPdEEvT1_iilPiilS4_bb,"axG",@progbits,_ZN9rocsolver6v33100L18getri_kernel_smallILi12EdPdEEvT1_iilPiilS4_bb,comdat
	.globl	_ZN9rocsolver6v33100L18getri_kernel_smallILi12EdPdEEvT1_iilPiilS4_bb ; -- Begin function _ZN9rocsolver6v33100L18getri_kernel_smallILi12EdPdEEvT1_iilPiilS4_bb
	.p2align	8
	.type	_ZN9rocsolver6v33100L18getri_kernel_smallILi12EdPdEEvT1_iilPiilS4_bb,@function
_ZN9rocsolver6v33100L18getri_kernel_smallILi12EdPdEEvT1_iilPiilS4_bb: ; @_ZN9rocsolver6v33100L18getri_kernel_smallILi12EdPdEEvT1_iilPiilS4_bb
; %bb.0:
	s_mov_b32 s2, exec_lo
	v_cmpx_gt_u32_e32 12, v0
	s_cbranch_execz .LBB11_16
; %bb.1:
	s_mov_b32 s18, s15
	s_clause 0x2
	s_load_b32 s8, s[0:1], 0x38
	s_load_b128 s[4:7], s[0:1], 0x10
	s_load_b128 s[12:15], s[0:1], 0x28
                                        ; implicit-def: $sgpr16_sgpr17
	s_waitcnt lgkmcnt(0)
	s_bitcmp1_b32 s8, 8
	s_cselect_b32 s11, -1, 0
	s_bfe_u32 s2, s8, 0x10008
	s_ashr_i32 s19, s18, 31
	s_cmp_eq_u32 s2, 0
	s_cbranch_scc1 .LBB11_3
; %bb.2:
	s_load_b32 s2, s[0:1], 0x20
	s_mul_i32 s3, s18, s13
	s_mul_hi_u32 s9, s18, s12
	s_mul_i32 s10, s19, s12
	s_add_i32 s3, s9, s3
	s_mul_i32 s12, s18, s12
	s_add_i32 s13, s3, s10
	s_delay_alu instid0(SALU_CYCLE_1)
	s_lshl_b64 s[12:13], s[12:13], 2
	s_waitcnt lgkmcnt(0)
	s_ashr_i32 s3, s2, 31
	s_add_u32 s6, s6, s12
	s_addc_u32 s7, s7, s13
	s_lshl_b64 s[2:3], s[2:3], 2
	s_delay_alu instid0(SALU_CYCLE_1)
	s_add_u32 s16, s6, s2
	s_addc_u32 s17, s7, s3
.LBB11_3:
	s_load_b128 s[0:3], s[0:1], 0x0
	s_mul_i32 s5, s18, s5
	s_mul_hi_u32 s6, s18, s4
	s_mul_i32 s7, s19, s4
	s_add_i32 s5, s6, s5
	s_mul_i32 s4, s18, s4
	s_add_i32 s5, s5, s7
	v_lshlrev_b32_e32 v28, 3, v0
	s_lshl_b64 s[4:5], s[4:5], 3
	s_waitcnt lgkmcnt(0)
	v_add3_u32 v1, s3, s3, v0
	s_ashr_i32 s7, s2, 31
	s_mov_b32 s6, s2
	s_add_u32 s2, s0, s4
	s_addc_u32 s5, s1, s5
	v_add_nc_u32_e32 v3, s3, v1
	s_lshl_b64 s[0:1], s[6:7], 3
	v_ashrrev_i32_e32 v2, 31, v1
	s_add_u32 s0, s2, s0
	s_addc_u32 s1, s5, s1
	v_add_co_u32 v56, s2, s0, v28
	v_add_nc_u32_e32 v5, s3, v3
	s_mov_b32 s4, s3
	s_ashr_i32 s5, s3, 31
	v_add_co_ci_u32_e64 v57, null, s1, 0, s2
	v_lshlrev_b64 v[1:2], 3, v[1:2]
	v_ashrrev_i32_e32 v4, 31, v3
	s_lshl_b64 s[4:5], s[4:5], 3
	v_ashrrev_i32_e32 v6, 31, v5
	v_add_co_u32 v62, vcc_lo, v56, s4
	v_add_nc_u32_e32 v7, s3, v5
	v_add_co_ci_u32_e32 v63, vcc_lo, s5, v57, vcc_lo
	v_lshlrev_b64 v[3:4], 3, v[3:4]
	v_add_co_u32 v58, vcc_lo, s0, v1
	v_add_co_ci_u32_e32 v59, vcc_lo, s1, v2, vcc_lo
	v_lshlrev_b64 v[1:2], 3, v[5:6]
	v_add_nc_u32_e32 v12, s3, v7
	v_add_co_u32 v60, vcc_lo, s0, v3
	v_ashrrev_i32_e32 v8, 31, v7
	v_add_co_ci_u32_e32 v61, vcc_lo, s1, v4, vcc_lo
	v_add_co_u32 v64, vcc_lo, s0, v1
	v_add_nc_u32_e32 v14, s3, v12
	v_add_co_ci_u32_e32 v65, vcc_lo, s1, v2, vcc_lo
	v_lshlrev_b64 v[1:2], 3, v[7:8]
	v_ashrrev_i32_e32 v13, 31, v12
	s_delay_alu instid0(VALU_DEP_4)
	v_ashrrev_i32_e32 v15, 31, v14
	v_add_nc_u32_e32 v16, s3, v14
	s_clause 0x3
	global_load_b64 v[4:5], v[62:63], off
	global_load_b64 v[6:7], v[58:59], off
	;; [unrolled: 1-line block ×4, first 2 shown]
	s_bitcmp0_b32 s8, 0
	v_lshlrev_b64 v[12:13], 3, v[12:13]
	v_add_co_u32 v66, vcc_lo, s0, v1
	v_add_co_ci_u32_e32 v67, vcc_lo, s1, v2, vcc_lo
	v_lshlrev_b64 v[1:2], 3, v[14:15]
	v_ashrrev_i32_e32 v17, 31, v16
	v_add_nc_u32_e32 v14, s3, v16
	v_add_co_u32 v70, vcc_lo, s0, v12
	v_add_co_ci_u32_e32 v71, vcc_lo, s1, v13, vcc_lo
	s_delay_alu instid0(VALU_DEP_4) | instskip(NEXT) | instid1(VALU_DEP_4)
	v_lshlrev_b64 v[12:13], 3, v[16:17]
	v_ashrrev_i32_e32 v15, 31, v14
	v_add_nc_u32_e32 v16, s3, v14
	v_add_co_u32 v68, vcc_lo, s0, v1
	v_add_co_ci_u32_e32 v69, vcc_lo, s1, v2, vcc_lo
	s_delay_alu instid0(VALU_DEP_4) | instskip(NEXT) | instid1(VALU_DEP_4)
	v_lshlrev_b64 v[1:2], 3, v[14:15]
	v_add_nc_u32_e32 v14, s3, v16
	v_ashrrev_i32_e32 v17, 31, v16
	v_add_co_u32 v72, vcc_lo, s0, v12
	v_add_co_ci_u32_e32 v73, vcc_lo, s1, v13, vcc_lo
	s_delay_alu instid0(VALU_DEP_4) | instskip(NEXT) | instid1(VALU_DEP_4)
	v_ashrrev_i32_e32 v15, 31, v14
	v_lshlrev_b64 v[12:13], 3, v[16:17]
	v_add_co_u32 v74, vcc_lo, s0, v1
	v_add_co_ci_u32_e32 v75, vcc_lo, s1, v2, vcc_lo
	s_delay_alu instid0(VALU_DEP_4) | instskip(NEXT) | instid1(VALU_DEP_4)
	v_lshlrev_b64 v[1:2], 3, v[14:15]
	v_add_co_u32 v78, vcc_lo, s0, v12
	v_add_co_ci_u32_e32 v79, vcc_lo, s1, v13, vcc_lo
	s_delay_alu instid0(VALU_DEP_3)
	v_add_co_u32 v76, vcc_lo, s0, v1
	v_mov_b32_e32 v1, 0
	v_add_co_ci_u32_e32 v77, vcc_lo, s1, v2, vcc_lo
	s_clause 0x7
	global_load_b64 v[12:13], v[66:67], off
	global_load_b64 v[14:15], v[70:71], off
	;; [unrolled: 1-line block ×6, first 2 shown]
	global_load_b64 v[2:3], v28, s[0:1]
	global_load_b64 v[24:25], v[76:77], off
	s_mov_b32 s0, -1
	s_cbranch_scc1 .LBB11_14
; %bb.4:
	v_cmp_eq_u32_e64 s0, 0, v0
	s_delay_alu instid0(VALU_DEP_1)
	s_and_saveexec_b32 s1, s0
	s_cbranch_execz .LBB11_6
; %bb.5:
	v_mov_b32_e32 v26, 0
	ds_store_b32 v26, v26 offset:192
.LBB11_6:
	s_or_b32 exec_lo, exec_lo, s1
	v_cmp_eq_u32_e32 vcc_lo, 1, v0
	s_mov_b32 s2, exec_lo
	s_waitcnt vmcnt(0) lgkmcnt(0)
	s_barrier
	buffer_gl0_inv
	v_dual_cndmask_b32 v26, v3, v5 :: v_dual_cndmask_b32 v27, v2, v4
	v_cmp_eq_u32_e32 vcc_lo, 2, v0
	s_delay_alu instid0(VALU_DEP_2) | instskip(SKIP_1) | instid1(VALU_DEP_2)
	v_dual_cndmask_b32 v26, v26, v7 :: v_dual_cndmask_b32 v27, v27, v6
	v_cmp_eq_u32_e32 vcc_lo, 3, v0
	v_dual_cndmask_b32 v26, v26, v9 :: v_dual_cndmask_b32 v27, v27, v8
	v_cmp_eq_u32_e32 vcc_lo, 4, v0
	s_delay_alu instid0(VALU_DEP_2) | instskip(SKIP_1) | instid1(VALU_DEP_2)
	v_dual_cndmask_b32 v26, v26, v11 :: v_dual_cndmask_b32 v27, v27, v10
	v_cmp_eq_u32_e32 vcc_lo, 5, v0
	;; [unrolled: 5-line block ×5, first 2 shown]
	v_dual_cndmask_b32 v27, v26, v25 :: v_dual_cndmask_b32 v26, v29, v24
	s_delay_alu instid0(VALU_DEP_1)
	v_cmpx_eq_f64_e32 0, v[26:27]
	s_cbranch_execz .LBB11_10
; %bb.7:
	v_mov_b32_e32 v29, 0
	s_mov_b32 s3, 0
	ds_load_b32 v30, v29 offset:192
	s_waitcnt lgkmcnt(0)
	v_readfirstlane_b32 s1, v30
	v_add_nc_u32_e32 v30, 1, v0
	s_delay_alu instid0(VALU_DEP_2) | instskip(NEXT) | instid1(VALU_DEP_1)
	s_cmp_eq_u32 s1, 0
	v_cmp_gt_i32_e32 vcc_lo, s1, v30
	s_cselect_b32 s4, -1, 0
	s_delay_alu instid0(SALU_CYCLE_1) | instskip(NEXT) | instid1(SALU_CYCLE_1)
	s_or_b32 s4, s4, vcc_lo
	s_and_b32 exec_lo, exec_lo, s4
	s_cbranch_execz .LBB11_10
; %bb.8:
	v_mov_b32_e32 v31, s1
.LBB11_9:                               ; =>This Inner Loop Header: Depth=1
	ds_cmpstore_rtn_b32 v31, v29, v30, v31 offset:192
	s_waitcnt lgkmcnt(0)
	v_cmp_ne_u32_e32 vcc_lo, 0, v31
	v_cmp_le_i32_e64 s1, v31, v30
	s_delay_alu instid0(VALU_DEP_1) | instskip(NEXT) | instid1(SALU_CYCLE_1)
	s_and_b32 s1, vcc_lo, s1
	s_and_b32 s1, exec_lo, s1
	s_delay_alu instid0(SALU_CYCLE_1) | instskip(NEXT) | instid1(SALU_CYCLE_1)
	s_or_b32 s3, s1, s3
	s_and_not1_b32 exec_lo, exec_lo, s3
	s_cbranch_execnz .LBB11_9
.LBB11_10:
	s_or_b32 exec_lo, exec_lo, s2
	v_mov_b32_e32 v29, 0
	s_barrier
	buffer_gl0_inv
	ds_load_b32 v30, v29 offset:192
	s_and_saveexec_b32 s1, s0
	s_cbranch_execz .LBB11_12
; %bb.11:
	s_lshl_b64 s[2:3], s[18:19], 2
	s_delay_alu instid0(SALU_CYCLE_1)
	s_add_u32 s2, s14, s2
	s_addc_u32 s3, s15, s3
	s_waitcnt lgkmcnt(0)
	global_store_b32 v29, v30, s[2:3]
.LBB11_12:
	s_or_b32 exec_lo, exec_lo, s1
	s_waitcnt lgkmcnt(0)
	v_cmp_ne_u32_e32 vcc_lo, 0, v30
	s_cbranch_vccz .LBB11_17
; %bb.13:
	s_mov_b32 s0, 0
                                        ; implicit-def: $vgpr2_vgpr3_vgpr4_vgpr5_vgpr6_vgpr7_vgpr8_vgpr9_vgpr10_vgpr11_vgpr12_vgpr13_vgpr14_vgpr15_vgpr16_vgpr17_vgpr18_vgpr19_vgpr20_vgpr21_vgpr22_vgpr23_vgpr24_vgpr25_vgpr26_vgpr27_vgpr28_vgpr29_vgpr30_vgpr31_vgpr32_vgpr33
.LBB11_14:
	s_delay_alu instid0(SALU_CYCLE_1)
	s_and_b32 vcc_lo, exec_lo, s0
	s_cbranch_vccz .LBB11_16
.LBB11_15:
	s_lshl_b64 s[0:1], s[18:19], 2
	v_mov_b32_e32 v1, 0
	s_add_u32 s0, s14, s0
	s_addc_u32 s1, s15, s1
	global_load_b32 v1, v1, s[0:1]
	s_waitcnt vmcnt(0)
	v_cmp_ne_u32_e32 vcc_lo, 0, v1
	s_cbranch_vccz .LBB11_72
.LBB11_16:
	s_nop 0
	s_sendmsg sendmsg(MSG_DEALLOC_VGPRS)
	s_endpgm
.LBB11_17:
	v_div_scale_f64 v[29:30], null, v[26:27], v[26:27], 1.0
	v_div_scale_f64 v[35:36], vcc_lo, 1.0, v[26:27], 1.0
	v_cmp_eq_u32_e64 s1, 9, v0
	v_cmp_eq_u32_e64 s2, 8, v0
	;; [unrolled: 1-line block ×10, first 2 shown]
	v_rcp_f64_e32 v[31:32], v[29:30]
	s_waitcnt_depctr 0xfff
	v_fma_f64 v[33:34], -v[29:30], v[31:32], 1.0
	s_delay_alu instid0(VALU_DEP_1) | instskip(NEXT) | instid1(VALU_DEP_1)
	v_fma_f64 v[31:32], v[31:32], v[33:34], v[31:32]
	v_fma_f64 v[33:34], -v[29:30], v[31:32], 1.0
	s_delay_alu instid0(VALU_DEP_1) | instskip(NEXT) | instid1(VALU_DEP_1)
	v_fma_f64 v[31:32], v[31:32], v[33:34], v[31:32]
	v_mul_f64 v[33:34], v[35:36], v[31:32]
	s_delay_alu instid0(VALU_DEP_1) | instskip(NEXT) | instid1(VALU_DEP_1)
	v_fma_f64 v[29:30], -v[29:30], v[33:34], v[35:36]
	v_div_fmas_f64 v[29:30], v[29:30], v[31:32], v[33:34]
	v_cmp_eq_u32_e32 vcc_lo, 10, v0
	s_delay_alu instid0(VALU_DEP_2) | instskip(NEXT) | instid1(VALU_DEP_1)
	v_div_fixup_f64 v[26:27], v[29:30], v[26:27], 1.0
	v_dual_cndmask_b32 v23, v23, v27 :: v_dual_add_nc_u32 v30, 0x60, v28
	s_delay_alu instid0(VALU_DEP_2)
	v_cndmask_b32_e32 v22, v22, v26, vcc_lo
	v_cmp_eq_u32_e32 vcc_lo, 2, v0
	v_cndmask_b32_e64 v25, v25, v27, s7
	v_cndmask_b32_e64 v24, v24, v26, s7
	;; [unrolled: 1-line block ×4, first 2 shown]
	v_cndmask_b32_e32 v7, v7, v27, vcc_lo
	v_cndmask_b32_e64 v19, v19, v27, s2
	v_cndmask_b32_e64 v18, v18, v26, s2
	;; [unrolled: 1-line block ×14, first 2 shown]
	v_xor_b32_e32 v32, 0x80000000, v27
	v_mov_b32_e32 v31, v26
	v_cndmask_b32_e32 v6, v6, v26, vcc_lo
	v_cndmask_b32_e64 v3, v3, v27, s10
	v_cndmask_b32_e64 v2, v2, v26, s10
	ds_store_2addr_b64 v28, v[31:32], v[4:5] offset1:12
	s_waitcnt lgkmcnt(0)
	s_waitcnt_vscnt null, 0x0
	s_barrier
	buffer_gl0_inv
	s_and_saveexec_b32 s1, s0
	s_cbranch_execz .LBB11_19
; %bb.18:
	ds_load_b64 v[4:5], v30
	v_mov_b32_e32 v28, 0
	ds_load_b64 v[28:29], v28 offset:8
	s_waitcnt lgkmcnt(1)
	v_fma_f64 v[4:5], v[26:27], v[4:5], 0
	s_waitcnt lgkmcnt(0)
	s_delay_alu instid0(VALU_DEP_1)
	v_mul_f64 v[4:5], v[4:5], v[28:29]
.LBB11_19:
	s_or_b32 exec_lo, exec_lo, s1
	v_cmp_gt_u32_e32 vcc_lo, 2, v0
	s_barrier
	buffer_gl0_inv
	ds_store_b64 v30, v[6:7]
	s_waitcnt lgkmcnt(0)
	s_barrier
	buffer_gl0_inv
	s_and_saveexec_b32 s2, vcc_lo
	s_cbranch_execz .LBB11_23
; %bb.20:
	v_cmp_eq_u32_e64 s1, 1, v0
	s_delay_alu instid0(VALU_DEP_1) | instskip(SKIP_2) | instid1(VALU_DEP_1)
	v_cndmask_b32_e64 v26, v3, v5, s1
	v_cndmask_b32_e64 v27, v2, v4, s1
	v_cmp_eq_u32_e64 s1, 2, v0
	v_cndmask_b32_e64 v7, v26, v7, s1
	s_delay_alu instid0(VALU_DEP_3) | instskip(SKIP_1) | instid1(VALU_DEP_1)
	v_cndmask_b32_e64 v6, v27, v6, s1
	v_cmp_eq_u32_e64 s1, 3, v0
	v_cndmask_b32_e64 v7, v7, v9, s1
	s_delay_alu instid0(VALU_DEP_3) | instskip(SKIP_1) | instid1(VALU_DEP_1)
	;; [unrolled: 4-line block ×6, first 2 shown]
	v_cndmask_b32_e64 v6, v6, v16, s1
	v_cmp_eq_u32_e64 s1, 8, v0
	v_cndmask_b32_e64 v26, v7, v19, s1
	s_delay_alu instid0(VALU_DEP_3)
	v_cndmask_b32_e64 v27, v6, v18, s1
	v_cmp_eq_u32_e64 s1, 9, v0
	ds_load_b64 v[6:7], v30
	v_cndmask_b32_e64 v26, v26, v21, s1
	v_cndmask_b32_e64 v27, v27, v20, s1
	v_cmp_eq_u32_e64 s1, 10, v0
	s_delay_alu instid0(VALU_DEP_1) | instskip(NEXT) | instid1(VALU_DEP_3)
	v_cndmask_b32_e64 v26, v26, v23, s1
	v_cndmask_b32_e64 v28, v27, v22, s1
	v_cmp_eq_u32_e64 s1, 11, v0
	s_delay_alu instid0(VALU_DEP_1) | instskip(NEXT) | instid1(VALU_DEP_3)
	v_cndmask_b32_e64 v27, v26, v25, s1
	v_cndmask_b32_e64 v26, v28, v24, s1
	s_waitcnt lgkmcnt(0)
	s_delay_alu instid0(VALU_DEP_1)
	v_fma_f64 v[6:7], v[26:27], v[6:7], 0
	s_and_saveexec_b32 s1, s0
	s_cbranch_execz .LBB11_22
; %bb.21:
	v_mov_b32_e32 v26, 0
	ds_load_b64 v[26:27], v26 offset:104
	s_waitcnt lgkmcnt(0)
	v_fma_f64 v[6:7], v[4:5], v[26:27], v[6:7]
.LBB11_22:
	s_or_b32 exec_lo, exec_lo, s1
	v_mov_b32_e32 v26, 0
	ds_load_b64 v[26:27], v26 offset:16
	s_waitcnt lgkmcnt(0)
	v_mul_f64 v[6:7], v[6:7], v[26:27]
.LBB11_23:
	s_or_b32 exec_lo, exec_lo, s2
	s_delay_alu instid0(SALU_CYCLE_1)
	s_mov_b32 s3, exec_lo
	s_barrier
	buffer_gl0_inv
	ds_store_b64 v30, v[8:9]
	s_waitcnt lgkmcnt(0)
	s_barrier
	buffer_gl0_inv
	v_cmpx_gt_u32_e32 3, v0
	s_cbranch_execz .LBB11_27
; %bb.24:
	v_dual_mov_b32 v26, 0 :: v_dual_mov_b32 v29, v1
	v_lshl_add_u32 v31, v0, 3, 0x60
	v_dual_mov_b32 v27, 0 :: v_dual_mov_b32 v28, v0
	s_mov_b32 s4, 0
.LBB11_25:                              ; =>This Inner Loop Header: Depth=1
	s_delay_alu instid0(VALU_DEP_1) | instskip(SKIP_1) | instid1(VALU_DEP_2)
	v_cmp_eq_u32_e64 s1, 1, v28
	v_cmp_eq_u32_e64 s2, 2, v28
	v_cndmask_b32_e64 v32, v3, v5, s1
	v_cndmask_b32_e64 v33, v2, v4, s1
	v_cmp_eq_u32_e64 s1, 3, v28
	s_delay_alu instid0(VALU_DEP_3) | instskip(NEXT) | instid1(VALU_DEP_3)
	v_cndmask_b32_e64 v32, v32, v7, s2
	v_cndmask_b32_e64 v33, v33, v6, s2
	v_cmp_eq_u32_e64 s2, 4, v28
	s_delay_alu instid0(VALU_DEP_3) | instskip(NEXT) | instid1(VALU_DEP_3)
	;; [unrolled: 4-line block ×6, first 2 shown]
	v_cndmask_b32_e64 v34, v32, v17, s1
	v_cndmask_b32_e64 v35, v33, v16, s1
	ds_load_b64 v[32:33], v31
	v_cmp_eq_u32_e64 s1, 9, v28
	v_add_nc_u32_e32 v31, 8, v31
	v_cndmask_b32_e64 v34, v34, v19, s2
	v_cndmask_b32_e64 v35, v35, v18, s2
	v_cmp_eq_u32_e64 s2, 10, v28
	s_delay_alu instid0(VALU_DEP_3) | instskip(NEXT) | instid1(VALU_DEP_3)
	v_cndmask_b32_e64 v34, v34, v21, s1
	v_cndmask_b32_e64 v35, v35, v20, s1
	v_cmp_eq_u32_e64 s1, 11, v28
	s_delay_alu instid0(VALU_DEP_3) | instskip(NEXT) | instid1(VALU_DEP_3)
	v_cndmask_b32_e64 v34, v34, v23, s2
	v_cndmask_b32_e64 v36, v35, v22, s2
	s_delay_alu instid0(VALU_DEP_2) | instskip(NEXT) | instid1(VALU_DEP_2)
	v_cndmask_b32_e64 v35, v34, v25, s1
	v_cndmask_b32_e64 v34, v36, v24, s1
	v_add_co_u32 v28, s1, v28, 1
	s_delay_alu instid0(VALU_DEP_1) | instskip(SKIP_1) | instid1(VALU_DEP_3)
	v_add_co_ci_u32_e64 v29, s1, 0, v29, s1
	s_waitcnt lgkmcnt(0)
	v_fma_f64 v[26:27], v[34:35], v[32:33], v[26:27]
	s_delay_alu instid0(VALU_DEP_3) | instskip(NEXT) | instid1(VALU_DEP_1)
	v_add_nc_u32_e32 v32, -1, v28
	v_cmp_lt_u32_e64 s1, 1, v32
	s_delay_alu instid0(VALU_DEP_1) | instskip(NEXT) | instid1(SALU_CYCLE_1)
	s_or_b32 s4, s1, s4
	s_and_not1_b32 exec_lo, exec_lo, s4
	s_cbranch_execnz .LBB11_25
; %bb.26:
	s_or_b32 exec_lo, exec_lo, s4
	v_mov_b32_e32 v8, 0
	ds_load_b64 v[8:9], v8 offset:24
	s_waitcnt lgkmcnt(0)
	v_mul_f64 v[8:9], v[26:27], v[8:9]
.LBB11_27:
	s_or_b32 exec_lo, exec_lo, s3
	v_cmp_gt_u32_e64 s1, 4, v0
	s_barrier
	buffer_gl0_inv
	ds_store_b64 v30, v[10:11]
	s_waitcnt lgkmcnt(0)
	s_barrier
	buffer_gl0_inv
	s_and_saveexec_b32 s4, s1
	s_cbranch_execz .LBB11_31
; %bb.28:
	v_dual_mov_b32 v26, 0 :: v_dual_mov_b32 v29, v1
	v_lshl_add_u32 v31, v0, 3, 0x60
	v_dual_mov_b32 v27, 0 :: v_dual_mov_b32 v28, v0
	s_mov_b32 s5, 0
.LBB11_29:                              ; =>This Inner Loop Header: Depth=1
	s_delay_alu instid0(VALU_DEP_1) | instskip(SKIP_1) | instid1(VALU_DEP_2)
	v_cmp_eq_u32_e64 s2, 1, v28
	v_cmp_eq_u32_e64 s3, 2, v28
	v_cndmask_b32_e64 v32, v3, v5, s2
	v_cndmask_b32_e64 v33, v2, v4, s2
	v_cmp_eq_u32_e64 s2, 3, v28
	s_delay_alu instid0(VALU_DEP_3) | instskip(NEXT) | instid1(VALU_DEP_3)
	v_cndmask_b32_e64 v32, v32, v7, s3
	v_cndmask_b32_e64 v33, v33, v6, s3
	v_cmp_eq_u32_e64 s3, 4, v28
	s_delay_alu instid0(VALU_DEP_3) | instskip(NEXT) | instid1(VALU_DEP_3)
	;; [unrolled: 4-line block ×6, first 2 shown]
	v_cndmask_b32_e64 v34, v32, v17, s2
	v_cndmask_b32_e64 v35, v33, v16, s2
	ds_load_b64 v[32:33], v31
	v_cmp_eq_u32_e64 s2, 9, v28
	v_add_nc_u32_e32 v31, 8, v31
	v_cndmask_b32_e64 v34, v34, v19, s3
	v_cndmask_b32_e64 v35, v35, v18, s3
	v_cmp_eq_u32_e64 s3, 10, v28
	s_delay_alu instid0(VALU_DEP_3) | instskip(NEXT) | instid1(VALU_DEP_3)
	v_cndmask_b32_e64 v34, v34, v21, s2
	v_cndmask_b32_e64 v35, v35, v20, s2
	v_cmp_eq_u32_e64 s2, 11, v28
	s_delay_alu instid0(VALU_DEP_3) | instskip(NEXT) | instid1(VALU_DEP_3)
	v_cndmask_b32_e64 v34, v34, v23, s3
	v_cndmask_b32_e64 v36, v35, v22, s3
	s_delay_alu instid0(VALU_DEP_2) | instskip(NEXT) | instid1(VALU_DEP_2)
	v_cndmask_b32_e64 v35, v34, v25, s2
	v_cndmask_b32_e64 v34, v36, v24, s2
	v_add_co_u32 v28, s2, v28, 1
	s_delay_alu instid0(VALU_DEP_1) | instskip(SKIP_1) | instid1(VALU_DEP_3)
	v_add_co_ci_u32_e64 v29, s2, 0, v29, s2
	s_waitcnt lgkmcnt(0)
	v_fma_f64 v[26:27], v[34:35], v[32:33], v[26:27]
	s_delay_alu instid0(VALU_DEP_3) | instskip(NEXT) | instid1(VALU_DEP_1)
	v_add_nc_u32_e32 v32, -1, v28
	v_cmp_lt_u32_e64 s2, 2, v32
	s_delay_alu instid0(VALU_DEP_1) | instskip(NEXT) | instid1(SALU_CYCLE_1)
	s_or_b32 s5, s2, s5
	s_and_not1_b32 exec_lo, exec_lo, s5
	s_cbranch_execnz .LBB11_29
; %bb.30:
	s_or_b32 exec_lo, exec_lo, s5
	v_mov_b32_e32 v10, 0
	ds_load_b64 v[10:11], v10 offset:32
	s_waitcnt lgkmcnt(0)
	v_mul_f64 v[10:11], v[26:27], v[10:11]
.LBB11_31:
	s_or_b32 exec_lo, exec_lo, s4
	s_delay_alu instid0(SALU_CYCLE_1)
	s_mov_b32 s4, exec_lo
	s_barrier
	buffer_gl0_inv
	ds_store_b64 v30, v[12:13]
	s_waitcnt lgkmcnt(0)
	s_barrier
	buffer_gl0_inv
	v_cmpx_gt_u32_e32 5, v0
	s_cbranch_execz .LBB11_35
; %bb.32:
	v_dual_mov_b32 v26, 0 :: v_dual_mov_b32 v29, v1
	v_lshl_add_u32 v31, v0, 3, 0x60
	v_dual_mov_b32 v27, 0 :: v_dual_mov_b32 v28, v0
	s_mov_b32 s5, 0
.LBB11_33:                              ; =>This Inner Loop Header: Depth=1
	s_delay_alu instid0(VALU_DEP_1) | instskip(SKIP_1) | instid1(VALU_DEP_2)
	v_cmp_eq_u32_e64 s2, 1, v28
	v_cmp_eq_u32_e64 s3, 2, v28
	v_cndmask_b32_e64 v32, v3, v5, s2
	v_cndmask_b32_e64 v33, v2, v4, s2
	v_cmp_eq_u32_e64 s2, 3, v28
	s_delay_alu instid0(VALU_DEP_3) | instskip(NEXT) | instid1(VALU_DEP_3)
	v_cndmask_b32_e64 v32, v32, v7, s3
	v_cndmask_b32_e64 v33, v33, v6, s3
	v_cmp_eq_u32_e64 s3, 4, v28
	s_delay_alu instid0(VALU_DEP_3) | instskip(NEXT) | instid1(VALU_DEP_3)
	;; [unrolled: 4-line block ×6, first 2 shown]
	v_cndmask_b32_e64 v34, v32, v17, s2
	v_cndmask_b32_e64 v35, v33, v16, s2
	ds_load_b64 v[32:33], v31
	v_cmp_eq_u32_e64 s2, 9, v28
	v_add_nc_u32_e32 v31, 8, v31
	v_cndmask_b32_e64 v34, v34, v19, s3
	v_cndmask_b32_e64 v35, v35, v18, s3
	v_cmp_eq_u32_e64 s3, 10, v28
	s_delay_alu instid0(VALU_DEP_3) | instskip(NEXT) | instid1(VALU_DEP_3)
	v_cndmask_b32_e64 v34, v34, v21, s2
	v_cndmask_b32_e64 v35, v35, v20, s2
	v_cmp_eq_u32_e64 s2, 11, v28
	s_delay_alu instid0(VALU_DEP_3) | instskip(NEXT) | instid1(VALU_DEP_3)
	v_cndmask_b32_e64 v34, v34, v23, s3
	v_cndmask_b32_e64 v36, v35, v22, s3
	s_delay_alu instid0(VALU_DEP_2) | instskip(NEXT) | instid1(VALU_DEP_2)
	v_cndmask_b32_e64 v35, v34, v25, s2
	v_cndmask_b32_e64 v34, v36, v24, s2
	v_add_co_u32 v28, s2, v28, 1
	s_delay_alu instid0(VALU_DEP_1) | instskip(SKIP_1) | instid1(VALU_DEP_3)
	v_add_co_ci_u32_e64 v29, s2, 0, v29, s2
	s_waitcnt lgkmcnt(0)
	v_fma_f64 v[26:27], v[34:35], v[32:33], v[26:27]
	s_delay_alu instid0(VALU_DEP_3) | instskip(NEXT) | instid1(VALU_DEP_1)
	v_add_nc_u32_e32 v32, -1, v28
	v_cmp_lt_u32_e64 s2, 3, v32
	s_delay_alu instid0(VALU_DEP_1) | instskip(NEXT) | instid1(SALU_CYCLE_1)
	s_or_b32 s5, s2, s5
	s_and_not1_b32 exec_lo, exec_lo, s5
	s_cbranch_execnz .LBB11_33
; %bb.34:
	s_or_b32 exec_lo, exec_lo, s5
	v_mov_b32_e32 v12, 0
	ds_load_b64 v[12:13], v12 offset:40
	s_waitcnt lgkmcnt(0)
	v_mul_f64 v[12:13], v[26:27], v[12:13]
.LBB11_35:
	s_or_b32 exec_lo, exec_lo, s4
	v_cmp_gt_u32_e64 s2, 6, v0
	s_barrier
	buffer_gl0_inv
	ds_store_b64 v30, v[14:15]
	s_waitcnt lgkmcnt(0)
	s_barrier
	buffer_gl0_inv
	s_and_saveexec_b32 s5, s2
	s_cbranch_execz .LBB11_39
; %bb.36:
	v_dual_mov_b32 v26, 0 :: v_dual_mov_b32 v29, v1
	v_lshl_add_u32 v31, v0, 3, 0x60
	v_dual_mov_b32 v27, 0 :: v_dual_mov_b32 v28, v0
	s_mov_b32 s6, 0
.LBB11_37:                              ; =>This Inner Loop Header: Depth=1
	s_delay_alu instid0(VALU_DEP_1) | instskip(SKIP_1) | instid1(VALU_DEP_2)
	v_cmp_eq_u32_e64 s3, 1, v28
	v_cmp_eq_u32_e64 s4, 2, v28
	v_cndmask_b32_e64 v32, v3, v5, s3
	v_cndmask_b32_e64 v33, v2, v4, s3
	v_cmp_eq_u32_e64 s3, 3, v28
	s_delay_alu instid0(VALU_DEP_3) | instskip(NEXT) | instid1(VALU_DEP_3)
	v_cndmask_b32_e64 v32, v32, v7, s4
	v_cndmask_b32_e64 v33, v33, v6, s4
	v_cmp_eq_u32_e64 s4, 4, v28
	s_delay_alu instid0(VALU_DEP_3) | instskip(NEXT) | instid1(VALU_DEP_3)
	;; [unrolled: 4-line block ×6, first 2 shown]
	v_cndmask_b32_e64 v34, v32, v17, s3
	v_cndmask_b32_e64 v35, v33, v16, s3
	ds_load_b64 v[32:33], v31
	v_cmp_eq_u32_e64 s3, 9, v28
	v_add_nc_u32_e32 v31, 8, v31
	v_cndmask_b32_e64 v34, v34, v19, s4
	v_cndmask_b32_e64 v35, v35, v18, s4
	v_cmp_eq_u32_e64 s4, 10, v28
	s_delay_alu instid0(VALU_DEP_3) | instskip(NEXT) | instid1(VALU_DEP_3)
	v_cndmask_b32_e64 v34, v34, v21, s3
	v_cndmask_b32_e64 v35, v35, v20, s3
	v_cmp_eq_u32_e64 s3, 11, v28
	s_delay_alu instid0(VALU_DEP_3) | instskip(NEXT) | instid1(VALU_DEP_3)
	v_cndmask_b32_e64 v34, v34, v23, s4
	v_cndmask_b32_e64 v36, v35, v22, s4
	s_delay_alu instid0(VALU_DEP_2) | instskip(NEXT) | instid1(VALU_DEP_2)
	v_cndmask_b32_e64 v35, v34, v25, s3
	v_cndmask_b32_e64 v34, v36, v24, s3
	v_add_co_u32 v28, s3, v28, 1
	s_delay_alu instid0(VALU_DEP_1) | instskip(SKIP_1) | instid1(VALU_DEP_3)
	v_add_co_ci_u32_e64 v29, s3, 0, v29, s3
	s_waitcnt lgkmcnt(0)
	v_fma_f64 v[26:27], v[34:35], v[32:33], v[26:27]
	s_delay_alu instid0(VALU_DEP_3) | instskip(NEXT) | instid1(VALU_DEP_1)
	v_add_nc_u32_e32 v32, -1, v28
	v_cmp_lt_u32_e64 s3, 4, v32
	s_delay_alu instid0(VALU_DEP_1) | instskip(NEXT) | instid1(SALU_CYCLE_1)
	s_or_b32 s6, s3, s6
	s_and_not1_b32 exec_lo, exec_lo, s6
	s_cbranch_execnz .LBB11_37
; %bb.38:
	s_or_b32 exec_lo, exec_lo, s6
	v_mov_b32_e32 v14, 0
	ds_load_b64 v[14:15], v14 offset:48
	s_waitcnt lgkmcnt(0)
	v_mul_f64 v[14:15], v[26:27], v[14:15]
.LBB11_39:
	s_or_b32 exec_lo, exec_lo, s5
	s_delay_alu instid0(SALU_CYCLE_1)
	s_mov_b32 s5, exec_lo
	s_barrier
	buffer_gl0_inv
	ds_store_b64 v30, v[16:17]
	s_waitcnt lgkmcnt(0)
	s_barrier
	buffer_gl0_inv
	v_cmpx_gt_u32_e32 7, v0
	s_cbranch_execz .LBB11_43
; %bb.40:
	v_dual_mov_b32 v26, 0 :: v_dual_mov_b32 v29, v1
	v_lshl_add_u32 v31, v0, 3, 0x60
	v_dual_mov_b32 v27, 0 :: v_dual_mov_b32 v28, v0
	s_mov_b32 s6, 0
.LBB11_41:                              ; =>This Inner Loop Header: Depth=1
	s_delay_alu instid0(VALU_DEP_1) | instskip(SKIP_1) | instid1(VALU_DEP_2)
	v_cmp_eq_u32_e64 s3, 1, v28
	v_cmp_eq_u32_e64 s4, 2, v28
	v_cndmask_b32_e64 v32, v3, v5, s3
	v_cndmask_b32_e64 v33, v2, v4, s3
	v_cmp_eq_u32_e64 s3, 3, v28
	s_delay_alu instid0(VALU_DEP_3) | instskip(NEXT) | instid1(VALU_DEP_3)
	v_cndmask_b32_e64 v32, v32, v7, s4
	v_cndmask_b32_e64 v33, v33, v6, s4
	v_cmp_eq_u32_e64 s4, 4, v28
	s_delay_alu instid0(VALU_DEP_3) | instskip(NEXT) | instid1(VALU_DEP_3)
	;; [unrolled: 4-line block ×6, first 2 shown]
	v_cndmask_b32_e64 v34, v32, v17, s3
	v_cndmask_b32_e64 v35, v33, v16, s3
	ds_load_b64 v[32:33], v31
	v_cmp_eq_u32_e64 s3, 9, v28
	v_add_nc_u32_e32 v31, 8, v31
	v_cndmask_b32_e64 v34, v34, v19, s4
	v_cndmask_b32_e64 v35, v35, v18, s4
	v_cmp_eq_u32_e64 s4, 10, v28
	s_delay_alu instid0(VALU_DEP_3) | instskip(NEXT) | instid1(VALU_DEP_3)
	v_cndmask_b32_e64 v34, v34, v21, s3
	v_cndmask_b32_e64 v35, v35, v20, s3
	v_cmp_eq_u32_e64 s3, 11, v28
	s_delay_alu instid0(VALU_DEP_3) | instskip(NEXT) | instid1(VALU_DEP_3)
	v_cndmask_b32_e64 v34, v34, v23, s4
	v_cndmask_b32_e64 v36, v35, v22, s4
	s_delay_alu instid0(VALU_DEP_2) | instskip(NEXT) | instid1(VALU_DEP_2)
	v_cndmask_b32_e64 v35, v34, v25, s3
	v_cndmask_b32_e64 v34, v36, v24, s3
	v_add_co_u32 v28, s3, v28, 1
	s_delay_alu instid0(VALU_DEP_1) | instskip(SKIP_1) | instid1(VALU_DEP_3)
	v_add_co_ci_u32_e64 v29, s3, 0, v29, s3
	s_waitcnt lgkmcnt(0)
	v_fma_f64 v[26:27], v[34:35], v[32:33], v[26:27]
	s_delay_alu instid0(VALU_DEP_3) | instskip(NEXT) | instid1(VALU_DEP_1)
	v_add_nc_u32_e32 v32, -1, v28
	v_cmp_lt_u32_e64 s3, 5, v32
	s_delay_alu instid0(VALU_DEP_1) | instskip(NEXT) | instid1(SALU_CYCLE_1)
	s_or_b32 s6, s3, s6
	s_and_not1_b32 exec_lo, exec_lo, s6
	s_cbranch_execnz .LBB11_41
; %bb.42:
	s_or_b32 exec_lo, exec_lo, s6
	v_mov_b32_e32 v16, 0
	ds_load_b64 v[16:17], v16 offset:56
	s_waitcnt lgkmcnt(0)
	v_mul_f64 v[16:17], v[26:27], v[16:17]
.LBB11_43:
	s_or_b32 exec_lo, exec_lo, s5
	s_delay_alu instid0(SALU_CYCLE_1)
	s_mov_b32 s4, exec_lo
	s_barrier
	buffer_gl0_inv
	ds_store_b64 v30, v[18:19]
	s_waitcnt lgkmcnt(0)
	s_barrier
	buffer_gl0_inv
	v_cmpx_gt_u32_e32 8, v0
	s_cbranch_execz .LBB11_59
; %bb.44:
	v_cmp_eq_u32_e64 s3, 1, v0
	s_mov_b32 s5, exec_lo
	s_delay_alu instid0(VALU_DEP_1) | instskip(SKIP_2) | instid1(VALU_DEP_1)
	v_cndmask_b32_e64 v26, v3, v5, s3
	v_cndmask_b32_e64 v27, v2, v4, s3
	v_cmp_eq_u32_e64 s3, 2, v0
	v_cndmask_b32_e64 v26, v26, v7, s3
	s_delay_alu instid0(VALU_DEP_3) | instskip(SKIP_1) | instid1(VALU_DEP_1)
	v_cndmask_b32_e64 v27, v27, v6, s3
	v_cmp_eq_u32_e64 s3, 3, v0
	v_cndmask_b32_e64 v26, v26, v9, s3
	s_delay_alu instid0(VALU_DEP_3) | instskip(SKIP_1) | instid1(VALU_DEP_1)
	;; [unrolled: 4-line block ×6, first 2 shown]
	v_cndmask_b32_e64 v27, v27, v16, s3
	v_cmp_eq_u32_e64 s3, 8, v0
	v_cndmask_b32_e64 v28, v26, v19, s3
	s_delay_alu instid0(VALU_DEP_3)
	v_cndmask_b32_e64 v29, v27, v18, s3
	v_cmp_eq_u32_e64 s3, 9, v0
	ds_load_b64 v[26:27], v30
	v_cndmask_b32_e64 v28, v28, v21, s3
	v_cndmask_b32_e64 v29, v29, v20, s3
	v_cmp_eq_u32_e64 s3, 10, v0
	s_delay_alu instid0(VALU_DEP_1) | instskip(NEXT) | instid1(VALU_DEP_3)
	v_cndmask_b32_e64 v28, v28, v23, s3
	v_cndmask_b32_e64 v31, v29, v22, s3
	v_cmp_eq_u32_e64 s3, 11, v0
	s_delay_alu instid0(VALU_DEP_1) | instskip(NEXT) | instid1(VALU_DEP_3)
	v_cndmask_b32_e64 v29, v28, v25, s3
	v_cndmask_b32_e64 v28, v31, v24, s3
	s_waitcnt lgkmcnt(0)
	s_delay_alu instid0(VALU_DEP_1)
	v_fma_f64 v[26:27], v[28:29], v[26:27], 0
	v_cmpx_ne_u32_e32 7, v0
	s_cbranch_execz .LBB11_58
; %bb.45:
	v_add_nc_u32_e32 v31, 1, v0
	s_delay_alu instid0(VALU_DEP_1) | instskip(NEXT) | instid1(VALU_DEP_1)
	v_cmp_eq_u32_e64 s3, 1, v31
	v_cndmask_b32_e64 v28, v3, v5, s3
	v_cndmask_b32_e64 v29, v2, v4, s3
	v_cmp_eq_u32_e64 s3, 2, v31
	s_delay_alu instid0(VALU_DEP_1) | instskip(NEXT) | instid1(VALU_DEP_3)
	v_cndmask_b32_e64 v28, v28, v7, s3
	v_cndmask_b32_e64 v29, v29, v6, s3
	v_cmp_eq_u32_e64 s3, 3, v31
	s_delay_alu instid0(VALU_DEP_1) | instskip(NEXT) | instid1(VALU_DEP_3)
	v_cndmask_b32_e64 v28, v28, v9, s3
	v_cndmask_b32_e64 v29, v29, v8, s3
	v_cmp_eq_u32_e64 s3, 4, v31
	s_delay_alu instid0(VALU_DEP_1) | instskip(NEXT) | instid1(VALU_DEP_3)
	v_cndmask_b32_e64 v28, v28, v11, s3
	v_cndmask_b32_e64 v29, v29, v10, s3
	v_cmp_eq_u32_e64 s3, 5, v31
	s_delay_alu instid0(VALU_DEP_1) | instskip(NEXT) | instid1(VALU_DEP_3)
	v_cndmask_b32_e64 v28, v28, v13, s3
	v_cndmask_b32_e64 v29, v29, v12, s3
	v_cmp_eq_u32_e64 s3, 6, v31
	s_delay_alu instid0(VALU_DEP_1) | instskip(NEXT) | instid1(VALU_DEP_3)
	v_cndmask_b32_e64 v28, v28, v15, s3
	v_cndmask_b32_e64 v29, v29, v14, s3
	v_cmp_eq_u32_e64 s3, 7, v31
	s_delay_alu instid0(VALU_DEP_1) | instskip(NEXT) | instid1(VALU_DEP_3)
	v_cndmask_b32_e64 v28, v28, v17, s3
	v_cndmask_b32_e64 v29, v29, v16, s3
	v_cmp_eq_u32_e64 s3, 8, v31
	s_delay_alu instid0(VALU_DEP_1) | instskip(NEXT) | instid1(VALU_DEP_3)
	v_cndmask_b32_e64 v32, v28, v19, s3
	v_cndmask_b32_e64 v33, v29, v18, s3
	v_cmp_eq_u32_e64 s3, 9, v31
	ds_load_b64 v[28:29], v30 offset:8
	v_cndmask_b32_e64 v32, v32, v21, s3
	v_cndmask_b32_e64 v33, v33, v20, s3
	v_cmp_eq_u32_e64 s3, 10, v31
	s_delay_alu instid0(VALU_DEP_1) | instskip(NEXT) | instid1(VALU_DEP_3)
	v_cndmask_b32_e64 v32, v32, v23, s3
	v_cndmask_b32_e64 v33, v33, v22, s3
	v_cmp_eq_u32_e64 s3, 11, v31
	s_delay_alu instid0(VALU_DEP_1) | instskip(NEXT) | instid1(VALU_DEP_3)
	v_cndmask_b32_e64 v32, v32, v25, s3
	v_cndmask_b32_e64 v31, v33, v24, s3
	s_waitcnt lgkmcnt(0)
	s_delay_alu instid0(VALU_DEP_1)
	v_fma_f64 v[26:27], v[31:32], v[28:29], v[26:27]
	s_and_saveexec_b32 s3, s2
	s_cbranch_execz .LBB11_57
; %bb.46:
	v_add_nc_u32_e32 v31, 2, v0
	s_mov_b32 s6, exec_lo
	s_delay_alu instid0(VALU_DEP_1) | instskip(NEXT) | instid1(VALU_DEP_1)
	v_cmp_eq_u32_e64 s2, 1, v31
	v_cndmask_b32_e64 v28, v3, v5, s2
	v_cndmask_b32_e64 v29, v2, v4, s2
	v_cmp_eq_u32_e64 s2, 2, v31
	s_delay_alu instid0(VALU_DEP_1) | instskip(NEXT) | instid1(VALU_DEP_3)
	v_cndmask_b32_e64 v28, v28, v7, s2
	v_cndmask_b32_e64 v29, v29, v6, s2
	v_cmp_eq_u32_e64 s2, 3, v31
	s_delay_alu instid0(VALU_DEP_1) | instskip(NEXT) | instid1(VALU_DEP_3)
	;; [unrolled: 4-line block ×7, first 2 shown]
	v_cndmask_b32_e64 v32, v28, v19, s2
	v_cndmask_b32_e64 v33, v29, v18, s2
	v_cmp_eq_u32_e64 s2, 9, v31
	ds_load_b64 v[28:29], v30 offset:16
	v_cndmask_b32_e64 v32, v32, v21, s2
	v_cndmask_b32_e64 v33, v33, v20, s2
	v_cmp_eq_u32_e64 s2, 10, v31
	s_delay_alu instid0(VALU_DEP_1) | instskip(NEXT) | instid1(VALU_DEP_3)
	v_cndmask_b32_e64 v32, v32, v23, s2
	v_cndmask_b32_e64 v33, v33, v22, s2
	v_cmp_eq_u32_e64 s2, 11, v31
	s_delay_alu instid0(VALU_DEP_1) | instskip(NEXT) | instid1(VALU_DEP_3)
	v_cndmask_b32_e64 v32, v32, v25, s2
	v_cndmask_b32_e64 v31, v33, v24, s2
	s_waitcnt lgkmcnt(0)
	s_delay_alu instid0(VALU_DEP_1)
	v_fma_f64 v[26:27], v[31:32], v[28:29], v[26:27]
	v_cmpx_ne_u32_e32 5, v0
	s_cbranch_execz .LBB11_56
; %bb.47:
	v_add_nc_u32_e32 v31, 3, v0
	s_delay_alu instid0(VALU_DEP_1) | instskip(NEXT) | instid1(VALU_DEP_1)
	v_cmp_eq_u32_e64 s2, 1, v31
	v_cndmask_b32_e64 v28, v3, v5, s2
	v_cndmask_b32_e64 v29, v2, v4, s2
	v_cmp_eq_u32_e64 s2, 2, v31
	s_delay_alu instid0(VALU_DEP_1) | instskip(NEXT) | instid1(VALU_DEP_3)
	v_cndmask_b32_e64 v28, v28, v7, s2
	v_cndmask_b32_e64 v29, v29, v6, s2
	v_cmp_eq_u32_e64 s2, 3, v31
	s_delay_alu instid0(VALU_DEP_1) | instskip(NEXT) | instid1(VALU_DEP_3)
	;; [unrolled: 4-line block ×7, first 2 shown]
	v_cndmask_b32_e64 v32, v28, v19, s2
	v_cndmask_b32_e64 v33, v29, v18, s2
	v_cmp_eq_u32_e64 s2, 9, v31
	ds_load_b64 v[28:29], v30 offset:24
	v_cndmask_b32_e64 v32, v32, v21, s2
	v_cndmask_b32_e64 v33, v33, v20, s2
	v_cmp_eq_u32_e64 s2, 10, v31
	s_delay_alu instid0(VALU_DEP_1) | instskip(NEXT) | instid1(VALU_DEP_3)
	v_cndmask_b32_e64 v32, v32, v23, s2
	v_cndmask_b32_e64 v33, v33, v22, s2
	v_cmp_eq_u32_e64 s2, 11, v31
	s_delay_alu instid0(VALU_DEP_1) | instskip(NEXT) | instid1(VALU_DEP_3)
	v_cndmask_b32_e64 v32, v32, v25, s2
	v_cndmask_b32_e64 v31, v33, v24, s2
	s_waitcnt lgkmcnt(0)
	s_delay_alu instid0(VALU_DEP_1)
	v_fma_f64 v[26:27], v[31:32], v[28:29], v[26:27]
	s_and_saveexec_b32 s2, s1
	s_cbranch_execz .LBB11_55
; %bb.48:
	v_or_b32_e32 v31, 4, v0
	s_mov_b32 s7, exec_lo
	s_delay_alu instid0(VALU_DEP_1) | instskip(NEXT) | instid1(VALU_DEP_1)
	v_cmp_eq_u32_e64 s1, 1, v31
	v_cndmask_b32_e64 v28, v3, v5, s1
	v_cndmask_b32_e64 v29, v2, v4, s1
	v_cmp_eq_u32_e64 s1, 2, v31
	s_delay_alu instid0(VALU_DEP_1) | instskip(NEXT) | instid1(VALU_DEP_3)
	v_cndmask_b32_e64 v28, v28, v7, s1
	v_cndmask_b32_e64 v29, v29, v6, s1
	v_cmp_eq_u32_e64 s1, 3, v31
	s_delay_alu instid0(VALU_DEP_1) | instskip(NEXT) | instid1(VALU_DEP_3)
	;; [unrolled: 4-line block ×7, first 2 shown]
	v_cndmask_b32_e64 v32, v28, v19, s1
	v_cndmask_b32_e64 v33, v29, v18, s1
	v_cmp_eq_u32_e64 s1, 9, v31
	ds_load_b64 v[28:29], v30 offset:32
	v_cndmask_b32_e64 v32, v32, v21, s1
	v_cndmask_b32_e64 v33, v33, v20, s1
	v_cmp_eq_u32_e64 s1, 10, v31
	s_delay_alu instid0(VALU_DEP_1) | instskip(NEXT) | instid1(VALU_DEP_3)
	v_cndmask_b32_e64 v32, v32, v23, s1
	v_cndmask_b32_e64 v33, v33, v22, s1
	v_cmp_eq_u32_e64 s1, 11, v31
	s_delay_alu instid0(VALU_DEP_1) | instskip(NEXT) | instid1(VALU_DEP_3)
	v_cndmask_b32_e64 v32, v32, v25, s1
	v_cndmask_b32_e64 v31, v33, v24, s1
	s_waitcnt lgkmcnt(0)
	s_delay_alu instid0(VALU_DEP_1)
	v_fma_f64 v[26:27], v[31:32], v[28:29], v[26:27]
	v_cmpx_ne_u32_e32 3, v0
	s_cbranch_execz .LBB11_54
; %bb.49:
	v_add_nc_u32_e32 v31, 5, v0
	s_delay_alu instid0(VALU_DEP_1) | instskip(NEXT) | instid1(VALU_DEP_1)
	v_cmp_eq_u32_e64 s1, 1, v31
	v_cndmask_b32_e64 v28, v3, v5, s1
	v_cndmask_b32_e64 v29, v2, v4, s1
	v_cmp_eq_u32_e64 s1, 2, v31
	s_delay_alu instid0(VALU_DEP_1) | instskip(NEXT) | instid1(VALU_DEP_3)
	v_cndmask_b32_e64 v28, v28, v7, s1
	v_cndmask_b32_e64 v29, v29, v6, s1
	v_cmp_eq_u32_e64 s1, 3, v31
	s_delay_alu instid0(VALU_DEP_1) | instskip(NEXT) | instid1(VALU_DEP_3)
	;; [unrolled: 4-line block ×7, first 2 shown]
	v_cndmask_b32_e64 v32, v28, v19, s1
	v_cndmask_b32_e64 v33, v29, v18, s1
	v_cmp_eq_u32_e64 s1, 9, v31
	ds_load_b64 v[28:29], v30 offset:40
	v_cndmask_b32_e64 v32, v32, v21, s1
	v_cndmask_b32_e64 v33, v33, v20, s1
	v_cmp_eq_u32_e64 s1, 10, v31
	s_delay_alu instid0(VALU_DEP_1) | instskip(NEXT) | instid1(VALU_DEP_3)
	v_cndmask_b32_e64 v32, v32, v23, s1
	v_cndmask_b32_e64 v33, v33, v22, s1
	v_cmp_eq_u32_e64 s1, 11, v31
	s_delay_alu instid0(VALU_DEP_1) | instskip(NEXT) | instid1(VALU_DEP_3)
	v_cndmask_b32_e64 v32, v32, v25, s1
	v_cndmask_b32_e64 v31, v33, v24, s1
	s_waitcnt lgkmcnt(0)
	s_delay_alu instid0(VALU_DEP_1)
	v_fma_f64 v[26:27], v[31:32], v[28:29], v[26:27]
	s_and_saveexec_b32 s1, vcc_lo
	s_cbranch_execz .LBB11_53
; %bb.50:
	v_or_b32_e32 v28, 6, v0
	s_delay_alu instid0(VALU_DEP_1) | instskip(SKIP_3) | instid1(VALU_DEP_3)
	v_cmp_eq_u32_e32 vcc_lo, 1, v28
	v_cndmask_b32_e32 v29, v3, v5, vcc_lo
	v_cndmask_b32_e32 v31, v2, v4, vcc_lo
	v_cmp_eq_u32_e32 vcc_lo, 2, v28
	v_cndmask_b32_e32 v29, v29, v7, vcc_lo
	s_delay_alu instid0(VALU_DEP_3) | instskip(SKIP_1) | instid1(VALU_DEP_3)
	v_cndmask_b32_e32 v31, v31, v6, vcc_lo
	v_cmp_eq_u32_e32 vcc_lo, 3, v28
	v_cndmask_b32_e32 v29, v29, v9, vcc_lo
	s_delay_alu instid0(VALU_DEP_3) | instskip(SKIP_1) | instid1(VALU_DEP_3)
	;; [unrolled: 4-line block ×6, first 2 shown]
	v_cndmask_b32_e32 v31, v31, v16, vcc_lo
	v_cmp_eq_u32_e32 vcc_lo, 8, v28
	v_cndmask_b32_e32 v29, v29, v19, vcc_lo
	s_delay_alu instid0(VALU_DEP_3)
	v_cndmask_b32_e32 v31, v31, v18, vcc_lo
	v_cmp_eq_u32_e32 vcc_lo, 9, v28
	ds_load_b64 v[18:19], v30 offset:48
	v_cndmask_b32_e32 v29, v29, v21, vcc_lo
	v_cndmask_b32_e32 v31, v31, v20, vcc_lo
	v_cmp_eq_u32_e32 vcc_lo, 10, v28
	s_delay_alu instid0(VALU_DEP_3) | instskip(NEXT) | instid1(VALU_DEP_3)
	v_cndmask_b32_e32 v29, v29, v23, vcc_lo
	v_cndmask_b32_e32 v31, v31, v22, vcc_lo
	v_cmp_eq_u32_e32 vcc_lo, 11, v28
	s_delay_alu instid0(VALU_DEP_2) | instskip(SKIP_1) | instid1(VALU_DEP_1)
	v_dual_cndmask_b32 v28, v31, v24 :: v_dual_cndmask_b32 v29, v29, v25
	s_waitcnt lgkmcnt(0)
	v_fma_f64 v[26:27], v[28:29], v[18:19], v[26:27]
	s_and_saveexec_b32 s8, s0
	s_cbranch_execz .LBB11_52
; %bb.51:
	ds_load_b64 v[18:19], v30 offset:56
	s_waitcnt lgkmcnt(0)
	v_fma_f64 v[26:27], v[16:17], v[18:19], v[26:27]
.LBB11_52:
	s_or_b32 exec_lo, exec_lo, s8
.LBB11_53:
	s_delay_alu instid0(SALU_CYCLE_1)
	s_or_b32 exec_lo, exec_lo, s1
.LBB11_54:
	s_delay_alu instid0(SALU_CYCLE_1)
	s_or_b32 exec_lo, exec_lo, s7
.LBB11_55:
	s_delay_alu instid0(SALU_CYCLE_1)
	s_or_b32 exec_lo, exec_lo, s2
.LBB11_56:
	s_delay_alu instid0(SALU_CYCLE_1)
	s_or_b32 exec_lo, exec_lo, s6
.LBB11_57:
	s_delay_alu instid0(SALU_CYCLE_1)
	s_or_b32 exec_lo, exec_lo, s3
.LBB11_58:
	s_delay_alu instid0(SALU_CYCLE_1)
	s_or_b32 exec_lo, exec_lo, s5
	v_mov_b32_e32 v18, 0
	ds_load_b64 v[18:19], v18 offset:64
	s_waitcnt lgkmcnt(0)
	v_mul_f64 v[18:19], v[26:27], v[18:19]
.LBB11_59:
	s_or_b32 exec_lo, exec_lo, s4
	s_delay_alu instid0(SALU_CYCLE_1)
	s_mov_b32 s1, exec_lo
	s_barrier
	buffer_gl0_inv
	ds_store_b64 v30, v[20:21]
	s_waitcnt lgkmcnt(0)
	s_barrier
	buffer_gl0_inv
	v_cmpx_gt_u32_e32 9, v0
	s_cbranch_execz .LBB11_63
; %bb.60:
	v_dual_mov_b32 v26, 0 :: v_dual_mov_b32 v29, v1
	v_lshl_add_u32 v31, v0, 3, 0x60
	v_dual_mov_b32 v27, 0 :: v_dual_mov_b32 v28, v0
	s_mov_b32 s2, 0
.LBB11_61:                              ; =>This Inner Loop Header: Depth=1
	s_delay_alu instid0(VALU_DEP_1) | instskip(SKIP_3) | instid1(VALU_DEP_2)
	v_cmp_eq_u32_e32 vcc_lo, 1, v28
	v_cmp_eq_u32_e64 s0, 2, v28
	v_dual_cndmask_b32 v32, v3, v5 :: v_dual_cndmask_b32 v33, v2, v4
	v_cmp_eq_u32_e32 vcc_lo, 3, v28
	v_cndmask_b32_e64 v32, v32, v7, s0
	s_delay_alu instid0(VALU_DEP_3) | instskip(SKIP_1) | instid1(VALU_DEP_2)
	v_cndmask_b32_e64 v33, v33, v6, s0
	v_cmp_eq_u32_e64 s0, 4, v28
	v_dual_cndmask_b32 v32, v32, v9 :: v_dual_cndmask_b32 v33, v33, v8
	v_cmp_eq_u32_e32 vcc_lo, 5, v28
	s_delay_alu instid0(VALU_DEP_2) | instskip(NEXT) | instid1(VALU_DEP_3)
	v_cndmask_b32_e64 v32, v32, v11, s0
	v_cndmask_b32_e64 v33, v33, v10, s0
	v_cmp_eq_u32_e64 s0, 6, v28
	s_delay_alu instid0(VALU_DEP_2) | instskip(SKIP_1) | instid1(VALU_DEP_2)
	v_dual_cndmask_b32 v32, v32, v13 :: v_dual_cndmask_b32 v33, v33, v12
	v_cmp_eq_u32_e32 vcc_lo, 7, v28
	v_cndmask_b32_e64 v32, v32, v15, s0
	s_delay_alu instid0(VALU_DEP_3) | instskip(SKIP_1) | instid1(VALU_DEP_2)
	v_cndmask_b32_e64 v33, v33, v14, s0
	v_cmp_eq_u32_e64 s0, 8, v28
	v_dual_cndmask_b32 v34, v32, v17 :: v_dual_cndmask_b32 v35, v33, v16
	ds_load_b64 v[32:33], v31
	v_cmp_eq_u32_e32 vcc_lo, 9, v28
	v_add_nc_u32_e32 v31, 8, v31
	v_cndmask_b32_e64 v34, v34, v19, s0
	v_cndmask_b32_e64 v35, v35, v18, s0
	v_cmp_eq_u32_e64 s0, 10, v28
	s_delay_alu instid0(VALU_DEP_2) | instskip(SKIP_1) | instid1(VALU_DEP_2)
	v_dual_cndmask_b32 v34, v34, v21 :: v_dual_cndmask_b32 v35, v35, v20
	v_cmp_eq_u32_e32 vcc_lo, 11, v28
	v_cndmask_b32_e64 v34, v34, v23, s0
	s_delay_alu instid0(VALU_DEP_3) | instskip(NEXT) | instid1(VALU_DEP_1)
	v_cndmask_b32_e64 v36, v35, v22, s0
	v_dual_cndmask_b32 v35, v34, v25 :: v_dual_cndmask_b32 v34, v36, v24
	v_add_co_u32 v28, vcc_lo, v28, 1
	v_add_co_ci_u32_e32 v29, vcc_lo, 0, v29, vcc_lo
	s_waitcnt lgkmcnt(0)
	s_delay_alu instid0(VALU_DEP_3) | instskip(NEXT) | instid1(VALU_DEP_3)
	v_fma_f64 v[26:27], v[34:35], v[32:33], v[26:27]
	v_add_nc_u32_e32 v32, -1, v28
	s_delay_alu instid0(VALU_DEP_1) | instskip(SKIP_1) | instid1(SALU_CYCLE_1)
	v_cmp_lt_u32_e32 vcc_lo, 7, v32
	s_or_b32 s2, vcc_lo, s2
	s_and_not1_b32 exec_lo, exec_lo, s2
	s_cbranch_execnz .LBB11_61
; %bb.62:
	s_or_b32 exec_lo, exec_lo, s2
	v_mov_b32_e32 v20, 0
	ds_load_b64 v[20:21], v20 offset:72
	s_waitcnt lgkmcnt(0)
	v_mul_f64 v[20:21], v[26:27], v[20:21]
.LBB11_63:
	s_or_b32 exec_lo, exec_lo, s1
	s_delay_alu instid0(SALU_CYCLE_1)
	s_mov_b32 s1, exec_lo
	s_barrier
	buffer_gl0_inv
	ds_store_b64 v30, v[22:23]
	s_waitcnt lgkmcnt(0)
	s_barrier
	buffer_gl0_inv
	v_cmpx_gt_u32_e32 10, v0
	s_cbranch_execz .LBB11_67
; %bb.64:
	v_dual_mov_b32 v26, 0 :: v_dual_mov_b32 v29, v1
	v_lshl_add_u32 v31, v0, 3, 0x60
	v_dual_mov_b32 v27, 0 :: v_dual_mov_b32 v28, v0
	s_mov_b32 s2, 0
.LBB11_65:                              ; =>This Inner Loop Header: Depth=1
	s_delay_alu instid0(VALU_DEP_1) | instskip(SKIP_3) | instid1(VALU_DEP_2)
	v_cmp_eq_u32_e32 vcc_lo, 1, v28
	v_cmp_eq_u32_e64 s0, 2, v28
	v_dual_cndmask_b32 v32, v3, v5 :: v_dual_cndmask_b32 v33, v2, v4
	v_cmp_eq_u32_e32 vcc_lo, 3, v28
	v_cndmask_b32_e64 v32, v32, v7, s0
	s_delay_alu instid0(VALU_DEP_3) | instskip(SKIP_1) | instid1(VALU_DEP_2)
	v_cndmask_b32_e64 v33, v33, v6, s0
	v_cmp_eq_u32_e64 s0, 4, v28
	v_dual_cndmask_b32 v32, v32, v9 :: v_dual_cndmask_b32 v33, v33, v8
	v_cmp_eq_u32_e32 vcc_lo, 5, v28
	s_delay_alu instid0(VALU_DEP_2) | instskip(NEXT) | instid1(VALU_DEP_3)
	v_cndmask_b32_e64 v32, v32, v11, s0
	v_cndmask_b32_e64 v33, v33, v10, s0
	v_cmp_eq_u32_e64 s0, 6, v28
	s_delay_alu instid0(VALU_DEP_2) | instskip(SKIP_1) | instid1(VALU_DEP_2)
	v_dual_cndmask_b32 v32, v32, v13 :: v_dual_cndmask_b32 v33, v33, v12
	v_cmp_eq_u32_e32 vcc_lo, 7, v28
	v_cndmask_b32_e64 v32, v32, v15, s0
	s_delay_alu instid0(VALU_DEP_3) | instskip(SKIP_1) | instid1(VALU_DEP_2)
	v_cndmask_b32_e64 v33, v33, v14, s0
	v_cmp_eq_u32_e64 s0, 8, v28
	v_dual_cndmask_b32 v34, v32, v17 :: v_dual_cndmask_b32 v35, v33, v16
	ds_load_b64 v[32:33], v31
	v_cmp_eq_u32_e32 vcc_lo, 9, v28
	v_add_nc_u32_e32 v31, 8, v31
	v_cndmask_b32_e64 v34, v34, v19, s0
	v_cndmask_b32_e64 v35, v35, v18, s0
	v_cmp_eq_u32_e64 s0, 10, v28
	s_delay_alu instid0(VALU_DEP_2) | instskip(SKIP_1) | instid1(VALU_DEP_2)
	v_dual_cndmask_b32 v34, v34, v21 :: v_dual_cndmask_b32 v35, v35, v20
	v_cmp_eq_u32_e32 vcc_lo, 11, v28
	v_cndmask_b32_e64 v34, v34, v23, s0
	s_delay_alu instid0(VALU_DEP_3) | instskip(NEXT) | instid1(VALU_DEP_1)
	v_cndmask_b32_e64 v36, v35, v22, s0
	v_dual_cndmask_b32 v35, v34, v25 :: v_dual_cndmask_b32 v34, v36, v24
	v_add_co_u32 v28, vcc_lo, v28, 1
	v_add_co_ci_u32_e32 v29, vcc_lo, 0, v29, vcc_lo
	s_waitcnt lgkmcnt(0)
	s_delay_alu instid0(VALU_DEP_3) | instskip(NEXT) | instid1(VALU_DEP_3)
	v_fma_f64 v[26:27], v[34:35], v[32:33], v[26:27]
	v_add_nc_u32_e32 v32, -1, v28
	s_delay_alu instid0(VALU_DEP_1) | instskip(SKIP_1) | instid1(SALU_CYCLE_1)
	v_cmp_lt_u32_e32 vcc_lo, 8, v32
	s_or_b32 s2, vcc_lo, s2
	s_and_not1_b32 exec_lo, exec_lo, s2
	s_cbranch_execnz .LBB11_65
; %bb.66:
	s_or_b32 exec_lo, exec_lo, s2
	v_mov_b32_e32 v22, 0
	ds_load_b64 v[22:23], v22 offset:80
	s_waitcnt lgkmcnt(0)
	v_mul_f64 v[22:23], v[26:27], v[22:23]
.LBB11_67:
	s_or_b32 exec_lo, exec_lo, s1
	s_delay_alu instid0(SALU_CYCLE_1)
	s_mov_b32 s1, exec_lo
	s_barrier
	buffer_gl0_inv
	ds_store_b64 v30, v[24:25]
	s_waitcnt lgkmcnt(0)
	s_barrier
	buffer_gl0_inv
	v_cmpx_ne_u32_e32 11, v0
	s_cbranch_execz .LBB11_71
; %bb.68:
	v_dual_mov_b32 v26, 0 :: v_dual_mov_b32 v29, v1
	v_lshl_add_u32 v30, v0, 3, 0x60
	v_dual_mov_b32 v27, 0 :: v_dual_mov_b32 v28, v0
	s_mov_b32 s2, 0
.LBB11_69:                              ; =>This Inner Loop Header: Depth=1
	s_delay_alu instid0(VALU_DEP_1) | instskip(SKIP_4) | instid1(VALU_DEP_3)
	v_cmp_eq_u32_e32 vcc_lo, 1, v28
	v_cmp_eq_u32_e64 s0, 2, v28
	v_cndmask_b32_e32 v1, v3, v5, vcc_lo
	v_cndmask_b32_e32 v31, v2, v4, vcc_lo
	v_cmp_eq_u32_e32 vcc_lo, 3, v28
	v_cndmask_b32_e64 v1, v1, v7, s0
	s_delay_alu instid0(VALU_DEP_3) | instskip(SKIP_1) | instid1(VALU_DEP_3)
	v_cndmask_b32_e64 v31, v31, v6, s0
	v_cmp_eq_u32_e64 s0, 4, v28
	v_cndmask_b32_e32 v1, v1, v9, vcc_lo
	s_delay_alu instid0(VALU_DEP_3) | instskip(SKIP_1) | instid1(VALU_DEP_3)
	v_cndmask_b32_e32 v31, v31, v8, vcc_lo
	v_cmp_eq_u32_e32 vcc_lo, 5, v28
	v_cndmask_b32_e64 v1, v1, v11, s0
	s_delay_alu instid0(VALU_DEP_3) | instskip(SKIP_1) | instid1(VALU_DEP_3)
	v_cndmask_b32_e64 v31, v31, v10, s0
	v_cmp_eq_u32_e64 s0, 6, v28
	v_cndmask_b32_e32 v1, v1, v13, vcc_lo
	s_delay_alu instid0(VALU_DEP_3) | instskip(SKIP_1) | instid1(VALU_DEP_3)
	v_cndmask_b32_e32 v31, v31, v12, vcc_lo
	v_cmp_eq_u32_e32 vcc_lo, 7, v28
	v_cndmask_b32_e64 v1, v1, v15, s0
	s_delay_alu instid0(VALU_DEP_3) | instskip(SKIP_1) | instid1(VALU_DEP_3)
	v_cndmask_b32_e64 v31, v31, v14, s0
	v_cmp_eq_u32_e64 s0, 8, v28
	v_cndmask_b32_e32 v1, v1, v17, vcc_lo
	s_delay_alu instid0(VALU_DEP_3)
	v_cndmask_b32_e32 v33, v31, v16, vcc_lo
	ds_load_b64 v[31:32], v30
	v_cmp_eq_u32_e32 vcc_lo, 9, v28
	v_add_nc_u32_e32 v30, 8, v30
	v_cndmask_b32_e64 v1, v1, v19, s0
	v_cndmask_b32_e64 v33, v33, v18, s0
	v_cmp_eq_u32_e64 s0, 10, v28
	s_delay_alu instid0(VALU_DEP_3) | instskip(NEXT) | instid1(VALU_DEP_3)
	v_cndmask_b32_e32 v1, v1, v21, vcc_lo
	v_cndmask_b32_e32 v33, v33, v20, vcc_lo
	v_cmp_eq_u32_e32 vcc_lo, 11, v28
	s_delay_alu instid0(VALU_DEP_3) | instskip(NEXT) | instid1(VALU_DEP_3)
	v_cndmask_b32_e64 v1, v1, v23, s0
	v_cndmask_b32_e64 v33, v33, v22, s0
	s_delay_alu instid0(VALU_DEP_2) | instskip(NEXT) | instid1(VALU_DEP_2)
	v_cndmask_b32_e32 v34, v1, v25, vcc_lo
	v_cndmask_b32_e32 v33, v33, v24, vcc_lo
	v_add_co_u32 v28, vcc_lo, v28, 1
	v_add_co_ci_u32_e32 v29, vcc_lo, 0, v29, vcc_lo
	s_waitcnt lgkmcnt(0)
	s_delay_alu instid0(VALU_DEP_3) | instskip(NEXT) | instid1(VALU_DEP_3)
	v_fma_f64 v[26:27], v[33:34], v[31:32], v[26:27]
	v_add_nc_u32_e32 v1, -1, v28
	s_delay_alu instid0(VALU_DEP_1) | instskip(SKIP_1) | instid1(SALU_CYCLE_1)
	v_cmp_lt_u32_e32 vcc_lo, 9, v1
	s_or_b32 s2, vcc_lo, s2
	s_and_not1_b32 exec_lo, exec_lo, s2
	s_cbranch_execnz .LBB11_69
; %bb.70:
	s_or_b32 exec_lo, exec_lo, s2
	v_mov_b32_e32 v1, 0
	ds_load_b64 v[24:25], v1 offset:88
	s_waitcnt lgkmcnt(0)
	v_mul_f64 v[24:25], v[26:27], v[24:25]
.LBB11_71:
	s_or_b32 exec_lo, exec_lo, s1
	s_barrier
	buffer_gl0_inv
	s_cbranch_execnz .LBB11_15
	s_branch .LBB11_16
.LBB11_72:
	v_lshl_add_u32 v1, v0, 3, 0x60
	s_mov_b32 s0, exec_lo
	v_cmpx_eq_u32_e32 11, v0
	s_cbranch_execz .LBB11_74
; %bb.73:
	v_dual_mov_b32 v46, 0 :: v_dual_mov_b32 v27, v3
	v_dual_mov_b32 v26, v2 :: v_dual_mov_b32 v29, v5
	;; [unrolled: 1-line block ×12, first 2 shown]
	ds_store_b64 v1, v[22:23]
	v_mov_b32_e32 v2, v26
	v_dual_mov_b32 v3, v27 :: v_dual_mov_b32 v4, v28
	v_dual_mov_b32 v5, v29 :: v_dual_mov_b32 v6, v30
	v_dual_mov_b32 v7, v31 :: v_dual_mov_b32 v8, v32
	v_dual_mov_b32 v9, v33 :: v_dual_mov_b32 v10, v34
	v_dual_mov_b32 v11, v35 :: v_dual_mov_b32 v12, v36
	v_dual_mov_b32 v13, v37 :: v_dual_mov_b32 v14, v38
	v_dual_mov_b32 v15, v39 :: v_dual_mov_b32 v16, v40
	v_dual_mov_b32 v17, v41 :: v_dual_mov_b32 v18, v42
	v_dual_mov_b32 v19, v43 :: v_dual_mov_b32 v20, v44
	v_dual_mov_b32 v21, v45 :: v_dual_mov_b32 v22, v46
	v_dual_mov_b32 v23, v47 :: v_dual_mov_b32 v24, v48
	v_dual_mov_b32 v25, v49 :: v_dual_mov_b32 v26, v50
	v_mov_b32_e32 v27, v51
	v_mov_b32_e32 v28, v52
	;; [unrolled: 1-line block ×7, first 2 shown]
.LBB11_74:
	s_or_b32 exec_lo, exec_lo, s0
	v_mov_b32_e32 v44, 0
	s_waitcnt lgkmcnt(0)
	s_waitcnt_vscnt null, 0x0
	s_barrier
	buffer_gl0_inv
	s_mov_b32 s0, exec_lo
	ds_load_b64 v[26:27], v44 offset:184
	s_waitcnt lgkmcnt(0)
	v_fma_f64 v[26:27], v[24:25], v[26:27], 0
	s_delay_alu instid0(VALU_DEP_1)
	v_add_f64 v[22:23], v[22:23], -v[26:27]
	v_cmpx_lt_u32_e32 9, v0
	s_cbranch_execz .LBB11_76
; %bb.75:
	v_dual_mov_b32 v26, v2 :: v_dual_mov_b32 v27, v3
	v_dual_mov_b32 v34, v10 :: v_dual_mov_b32 v35, v11
	;; [unrolled: 1-line block ×11, first 2 shown]
	v_mov_b32_e32 v33, v9
	ds_store_b64 v1, v[20:21]
	v_mov_b32_e32 v2, v26
	v_dual_mov_b32 v3, v27 :: v_dual_mov_b32 v4, v28
	v_dual_mov_b32 v5, v29 :: v_dual_mov_b32 v6, v30
	;; [unrolled: 1-line block ×12, first 2 shown]
	v_mov_b32_e32 v27, v51
	v_mov_b32_e32 v28, v52
	;; [unrolled: 1-line block ×7, first 2 shown]
.LBB11_76:
	s_or_b32 exec_lo, exec_lo, s0
	s_waitcnt lgkmcnt(0)
	s_barrier
	buffer_gl0_inv
	ds_load_b128 v[26:29], v44 offset:176
	s_mov_b32 s0, exec_lo
	s_waitcnt lgkmcnt(0)
	v_fma_f64 v[26:27], v[22:23], v[26:27], 0
	s_delay_alu instid0(VALU_DEP_1) | instskip(NEXT) | instid1(VALU_DEP_1)
	v_fma_f64 v[26:27], v[24:25], v[28:29], v[26:27]
	v_add_f64 v[20:21], v[20:21], -v[26:27]
	v_cmpx_lt_u32_e32 8, v0
	s_cbranch_execz .LBB11_78
; %bb.77:
	v_dual_mov_b32 v42, 0 :: v_dual_mov_b32 v27, v3
	v_dual_mov_b32 v26, v2 :: v_dual_mov_b32 v29, v5
	v_dual_mov_b32 v32, v8 :: v_dual_mov_b32 v35, v11
	v_dual_mov_b32 v34, v10 :: v_dual_mov_b32 v37, v13
	v_dual_mov_b32 v36, v12 :: v_dual_mov_b32 v39, v15
	v_dual_mov_b32 v38, v14 :: v_dual_mov_b32 v41, v17
	v_dual_mov_b32 v40, v16 :: v_dual_mov_b32 v43, v42
	v_dual_mov_b32 v44, v20 :: v_dual_mov_b32 v45, v21
	v_dual_mov_b32 v46, v22 :: v_dual_mov_b32 v47, v23
	v_dual_mov_b32 v48, v24 :: v_dual_mov_b32 v49, v25
	v_dual_mov_b32 v28, v4 :: v_dual_mov_b32 v31, v7
	v_dual_mov_b32 v30, v6 :: v_dual_mov_b32 v33, v9
	ds_store_b64 v1, v[18:19]
	v_mov_b32_e32 v2, v26
	v_dual_mov_b32 v3, v27 :: v_dual_mov_b32 v4, v28
	v_dual_mov_b32 v5, v29 :: v_dual_mov_b32 v6, v30
	;; [unrolled: 1-line block ×12, first 2 shown]
	v_mov_b32_e32 v27, v51
	v_mov_b32_e32 v28, v52
	v_mov_b32_e32 v29, v53
	v_mov_b32_e32 v30, v54
	v_mov_b32_e32 v31, v55
	v_mov_b32_e32 v32, v56
	v_mov_b32_e32 v33, v57
.LBB11_78:
	s_or_b32 exec_lo, exec_lo, s0
	v_mov_b32_e32 v40, 0
	s_waitcnt lgkmcnt(0)
	s_barrier
	buffer_gl0_inv
	s_mov_b32 s0, exec_lo
	ds_load_2addr_b64 v[26:29], v40 offset0:21 offset1:22
	ds_load_b64 v[30:31], v40 offset:184
	s_waitcnt lgkmcnt(1)
	v_fma_f64 v[26:27], v[20:21], v[26:27], 0
	s_delay_alu instid0(VALU_DEP_1) | instskip(SKIP_1) | instid1(VALU_DEP_1)
	v_fma_f64 v[26:27], v[22:23], v[28:29], v[26:27]
	s_waitcnt lgkmcnt(0)
	v_fma_f64 v[26:27], v[24:25], v[30:31], v[26:27]
	s_delay_alu instid0(VALU_DEP_1)
	v_add_f64 v[18:19], v[18:19], -v[26:27]
	v_cmpx_lt_u32_e32 7, v0
	s_cbranch_execz .LBB11_80
; %bb.79:
	v_dual_mov_b32 v26, v2 :: v_dual_mov_b32 v27, v3
	v_dual_mov_b32 v34, v10 :: v_dual_mov_b32 v35, v11
	;; [unrolled: 1-line block ×11, first 2 shown]
	v_mov_b32_e32 v33, v9
	ds_store_b64 v1, v[16:17]
	v_mov_b32_e32 v2, v26
	v_dual_mov_b32 v3, v27 :: v_dual_mov_b32 v4, v28
	v_dual_mov_b32 v5, v29 :: v_dual_mov_b32 v6, v30
	;; [unrolled: 1-line block ×12, first 2 shown]
	v_mov_b32_e32 v27, v51
	v_mov_b32_e32 v28, v52
	v_mov_b32_e32 v29, v53
	v_mov_b32_e32 v30, v54
	v_mov_b32_e32 v31, v55
	v_mov_b32_e32 v32, v56
	v_mov_b32_e32 v33, v57
.LBB11_80:
	s_or_b32 exec_lo, exec_lo, s0
	s_waitcnt lgkmcnt(0)
	s_barrier
	buffer_gl0_inv
	ds_load_b128 v[26:29], v40 offset:160
	ds_load_b128 v[30:33], v40 offset:176
	s_mov_b32 s0, exec_lo
	s_waitcnt lgkmcnt(1)
	v_fma_f64 v[26:27], v[18:19], v[26:27], 0
	s_delay_alu instid0(VALU_DEP_1) | instskip(SKIP_1) | instid1(VALU_DEP_1)
	v_fma_f64 v[26:27], v[20:21], v[28:29], v[26:27]
	s_waitcnt lgkmcnt(0)
	v_fma_f64 v[26:27], v[22:23], v[30:31], v[26:27]
	s_delay_alu instid0(VALU_DEP_1) | instskip(NEXT) | instid1(VALU_DEP_1)
	v_fma_f64 v[26:27], v[24:25], v[32:33], v[26:27]
	v_add_f64 v[16:17], v[16:17], -v[26:27]
	v_cmpx_lt_u32_e32 6, v0
	s_cbranch_execz .LBB11_82
; %bb.81:
	v_dual_mov_b32 v38, 0 :: v_dual_mov_b32 v27, v3
	v_dual_mov_b32 v26, v2 :: v_dual_mov_b32 v29, v5
	;; [unrolled: 1-line block ×4, first 2 shown]
	s_delay_alu instid0(VALU_DEP_4)
	v_dual_mov_b32 v36, v12 :: v_dual_mov_b32 v39, v38
	v_dual_mov_b32 v40, v16 :: v_dual_mov_b32 v41, v17
	v_dual_mov_b32 v42, v18 :: v_dual_mov_b32 v43, v19
	v_dual_mov_b32 v44, v20 :: v_dual_mov_b32 v45, v21
	v_dual_mov_b32 v46, v22 :: v_dual_mov_b32 v47, v23
	v_dual_mov_b32 v48, v24 :: v_dual_mov_b32 v49, v25
	v_dual_mov_b32 v28, v4 :: v_dual_mov_b32 v31, v7
	v_dual_mov_b32 v30, v6 :: v_dual_mov_b32 v33, v9
	ds_store_b64 v1, v[14:15]
	v_mov_b32_e32 v2, v26
	v_dual_mov_b32 v3, v27 :: v_dual_mov_b32 v4, v28
	v_dual_mov_b32 v5, v29 :: v_dual_mov_b32 v6, v30
	;; [unrolled: 1-line block ×12, first 2 shown]
	v_mov_b32_e32 v27, v51
	v_mov_b32_e32 v28, v52
	;; [unrolled: 1-line block ×7, first 2 shown]
.LBB11_82:
	s_or_b32 exec_lo, exec_lo, s0
	v_mov_b32_e32 v36, 0
	s_waitcnt lgkmcnt(0)
	s_barrier
	buffer_gl0_inv
	s_mov_b32 s0, exec_lo
	ds_load_2addr_b64 v[26:29], v36 offset0:19 offset1:20
	ds_load_2addr_b64 v[30:33], v36 offset0:21 offset1:22
	s_waitcnt lgkmcnt(1)
	v_fma_f64 v[26:27], v[16:17], v[26:27], 0
	s_delay_alu instid0(VALU_DEP_1) | instskip(SKIP_3) | instid1(VALU_DEP_1)
	v_fma_f64 v[26:27], v[18:19], v[28:29], v[26:27]
	ds_load_b64 v[28:29], v36 offset:184
	s_waitcnt lgkmcnt(1)
	v_fma_f64 v[26:27], v[20:21], v[30:31], v[26:27]
	v_fma_f64 v[26:27], v[22:23], v[32:33], v[26:27]
	s_waitcnt lgkmcnt(0)
	s_delay_alu instid0(VALU_DEP_1) | instskip(NEXT) | instid1(VALU_DEP_1)
	v_fma_f64 v[26:27], v[24:25], v[28:29], v[26:27]
	v_add_f64 v[14:15], v[14:15], -v[26:27]
	v_cmpx_lt_u32_e32 5, v0
	s_cbranch_execz .LBB11_84
; %bb.83:
	v_dual_mov_b32 v26, v2 :: v_dual_mov_b32 v27, v3
	v_dual_mov_b32 v34, v10 :: v_dual_mov_b32 v35, v11
	s_delay_alu instid0(VALU_DEP_4)
	v_dual_mov_b32 v37, v36 :: v_dual_mov_b32 v38, v14
	v_dual_mov_b32 v39, v15 :: v_dual_mov_b32 v40, v16
	;; [unrolled: 1-line block ×9, first 2 shown]
	v_mov_b32_e32 v33, v9
	ds_store_b64 v1, v[12:13]
	v_mov_b32_e32 v2, v26
	v_dual_mov_b32 v3, v27 :: v_dual_mov_b32 v4, v28
	v_dual_mov_b32 v5, v29 :: v_dual_mov_b32 v6, v30
	;; [unrolled: 1-line block ×12, first 2 shown]
	v_mov_b32_e32 v27, v51
	v_mov_b32_e32 v28, v52
	;; [unrolled: 1-line block ×7, first 2 shown]
.LBB11_84:
	s_or_b32 exec_lo, exec_lo, s0
	s_waitcnt lgkmcnt(0)
	s_barrier
	buffer_gl0_inv
	ds_load_b128 v[26:29], v36 offset:144
	ds_load_b128 v[30:33], v36 offset:160
	s_mov_b32 s0, exec_lo
	s_waitcnt lgkmcnt(1)
	v_fma_f64 v[26:27], v[14:15], v[26:27], 0
	s_delay_alu instid0(VALU_DEP_1) | instskip(SKIP_1) | instid1(VALU_DEP_1)
	v_fma_f64 v[26:27], v[16:17], v[28:29], v[26:27]
	s_waitcnt lgkmcnt(0)
	v_fma_f64 v[26:27], v[18:19], v[30:31], v[26:27]
	s_delay_alu instid0(VALU_DEP_1) | instskip(SKIP_3) | instid1(VALU_DEP_1)
	v_fma_f64 v[30:31], v[20:21], v[32:33], v[26:27]
	ds_load_b128 v[26:29], v36 offset:176
	s_waitcnt lgkmcnt(0)
	v_fma_f64 v[26:27], v[22:23], v[26:27], v[30:31]
	v_fma_f64 v[26:27], v[24:25], v[28:29], v[26:27]
	s_delay_alu instid0(VALU_DEP_1)
	v_add_f64 v[12:13], v[12:13], -v[26:27]
	v_cmpx_lt_u32_e32 4, v0
	s_cbranch_execz .LBB11_86
; %bb.85:
	v_dual_mov_b32 v34, 0 :: v_dual_mov_b32 v27, v3
	v_dual_mov_b32 v26, v2 :: v_dual_mov_b32 v29, v5
	s_delay_alu instid0(VALU_DEP_2)
	v_dual_mov_b32 v32, v8 :: v_dual_mov_b32 v35, v34
	v_dual_mov_b32 v36, v12 :: v_dual_mov_b32 v37, v13
	;; [unrolled: 1-line block ×10, first 2 shown]
	ds_store_b64 v1, v[10:11]
	v_mov_b32_e32 v2, v26
	v_dual_mov_b32 v3, v27 :: v_dual_mov_b32 v4, v28
	v_dual_mov_b32 v5, v29 :: v_dual_mov_b32 v6, v30
	;; [unrolled: 1-line block ×12, first 2 shown]
	v_mov_b32_e32 v27, v51
	v_mov_b32_e32 v28, v52
	v_mov_b32_e32 v29, v53
	v_mov_b32_e32 v30, v54
	v_mov_b32_e32 v31, v55
	v_mov_b32_e32 v32, v56
	v_mov_b32_e32 v33, v57
.LBB11_86:
	s_or_b32 exec_lo, exec_lo, s0
	v_mov_b32_e32 v34, 0
	s_waitcnt lgkmcnt(0)
	s_barrier
	buffer_gl0_inv
	s_mov_b32 s0, exec_lo
	ds_load_2addr_b64 v[26:29], v34 offset0:17 offset1:18
	ds_load_2addr_b64 v[30:33], v34 offset0:19 offset1:20
	s_waitcnt lgkmcnt(1)
	v_fma_f64 v[26:27], v[12:13], v[26:27], 0
	s_delay_alu instid0(VALU_DEP_1) | instskip(SKIP_1) | instid1(VALU_DEP_1)
	v_fma_f64 v[26:27], v[14:15], v[28:29], v[26:27]
	s_waitcnt lgkmcnt(0)
	v_fma_f64 v[26:27], v[16:17], v[30:31], v[26:27]
	s_delay_alu instid0(VALU_DEP_1) | instskip(SKIP_4) | instid1(VALU_DEP_1)
	v_fma_f64 v[30:31], v[18:19], v[32:33], v[26:27]
	ds_load_2addr_b64 v[26:29], v34 offset0:21 offset1:22
	ds_load_b64 v[32:33], v34 offset:184
	s_waitcnt lgkmcnt(1)
	v_fma_f64 v[26:27], v[20:21], v[26:27], v[30:31]
	v_fma_f64 v[26:27], v[22:23], v[28:29], v[26:27]
	s_waitcnt lgkmcnt(0)
	s_delay_alu instid0(VALU_DEP_1) | instskip(NEXT) | instid1(VALU_DEP_1)
	v_fma_f64 v[26:27], v[24:25], v[32:33], v[26:27]
	v_add_f64 v[10:11], v[10:11], -v[26:27]
	v_cmpx_lt_u32_e32 3, v0
	s_cbranch_execz .LBB11_88
; %bb.87:
	v_dual_mov_b32 v28, v2 :: v_dual_mov_b32 v29, v3
	v_dual_mov_b32 v35, v34 :: v_dual_mov_b32 v38, v12
	s_delay_alu instid0(VALU_DEP_4)
	v_dual_mov_b32 v36, v10 :: v_dual_mov_b32 v37, v11
	v_dual_mov_b32 v39, v13 :: v_dual_mov_b32 v40, v14
	v_dual_mov_b32 v41, v15 :: v_dual_mov_b32 v42, v16
	v_dual_mov_b32 v43, v17 :: v_dual_mov_b32 v44, v18
	v_dual_mov_b32 v45, v19 :: v_dual_mov_b32 v46, v20
	v_dual_mov_b32 v47, v21 :: v_dual_mov_b32 v48, v22
	v_dual_mov_b32 v49, v23 :: v_dual_mov_b32 v50, v24
	v_dual_mov_b32 v51, v25 :: v_dual_mov_b32 v30, v4
	v_dual_mov_b32 v31, v5 :: v_dual_mov_b32 v32, v6
	v_mov_b32_e32 v33, v7
	ds_store_b64 v1, v[8:9]
	v_mov_b32_e32 v2, v28
	v_dual_mov_b32 v3, v29 :: v_dual_mov_b32 v4, v30
	v_dual_mov_b32 v5, v31 :: v_dual_mov_b32 v6, v32
	;; [unrolled: 1-line block ×13, first 2 shown]
	v_mov_b32_e32 v29, v55
	v_mov_b32_e32 v30, v56
	;; [unrolled: 1-line block ×5, first 2 shown]
.LBB11_88:
	s_or_b32 exec_lo, exec_lo, s0
	s_waitcnt lgkmcnt(0)
	s_barrier
	buffer_gl0_inv
	ds_load_b128 v[26:29], v34 offset:128
	ds_load_b128 v[30:33], v34 offset:144
	s_mov_b32 s0, exec_lo
	s_waitcnt lgkmcnt(1)
	v_fma_f64 v[26:27], v[10:11], v[26:27], 0
	s_delay_alu instid0(VALU_DEP_1) | instskip(SKIP_1) | instid1(VALU_DEP_1)
	v_fma_f64 v[26:27], v[12:13], v[28:29], v[26:27]
	s_waitcnt lgkmcnt(0)
	v_fma_f64 v[26:27], v[14:15], v[30:31], v[26:27]
	s_delay_alu instid0(VALU_DEP_1) | instskip(SKIP_4) | instid1(VALU_DEP_1)
	v_fma_f64 v[35:36], v[16:17], v[32:33], v[26:27]
	ds_load_b128 v[26:29], v34 offset:160
	ds_load_b128 v[30:33], v34 offset:176
	s_waitcnt lgkmcnt(1)
	v_fma_f64 v[26:27], v[18:19], v[26:27], v[35:36]
	v_fma_f64 v[26:27], v[20:21], v[28:29], v[26:27]
	s_waitcnt lgkmcnt(0)
	s_delay_alu instid0(VALU_DEP_1) | instskip(NEXT) | instid1(VALU_DEP_1)
	v_fma_f64 v[26:27], v[22:23], v[30:31], v[26:27]
	v_fma_f64 v[26:27], v[24:25], v[32:33], v[26:27]
	s_delay_alu instid0(VALU_DEP_1)
	v_add_f64 v[8:9], v[8:9], -v[26:27]
	v_cmpx_lt_u32_e32 2, v0
	s_cbranch_execz .LBB11_90
; %bb.89:
	v_dual_mov_b32 v30, 0 :: v_dual_mov_b32 v27, v3
	v_dual_mov_b32 v26, v2 :: v_dual_mov_b32 v29, v5
	;; [unrolled: 1-line block ×12, first 2 shown]
	ds_store_b64 v1, v[6:7]
	v_mov_b32_e32 v2, v26
	v_dual_mov_b32 v3, v27 :: v_dual_mov_b32 v4, v28
	v_dual_mov_b32 v5, v29 :: v_dual_mov_b32 v6, v30
	;; [unrolled: 1-line block ×12, first 2 shown]
	v_mov_b32_e32 v27, v51
	v_mov_b32_e32 v28, v52
	v_mov_b32_e32 v29, v53
	v_mov_b32_e32 v30, v54
	v_mov_b32_e32 v31, v55
	v_mov_b32_e32 v32, v56
	v_mov_b32_e32 v33, v57
.LBB11_90:
	s_or_b32 exec_lo, exec_lo, s0
	v_mov_b32_e32 v34, 0
	s_waitcnt lgkmcnt(0)
	s_barrier
	buffer_gl0_inv
	s_mov_b32 s0, exec_lo
	ds_load_2addr_b64 v[26:29], v34 offset0:15 offset1:16
	ds_load_2addr_b64 v[30:33], v34 offset0:17 offset1:18
	s_waitcnt lgkmcnt(1)
	v_fma_f64 v[26:27], v[8:9], v[26:27], 0
	s_delay_alu instid0(VALU_DEP_1) | instskip(SKIP_1) | instid1(VALU_DEP_1)
	v_fma_f64 v[26:27], v[10:11], v[28:29], v[26:27]
	s_waitcnt lgkmcnt(0)
	v_fma_f64 v[26:27], v[12:13], v[30:31], v[26:27]
	s_delay_alu instid0(VALU_DEP_1) | instskip(SKIP_4) | instid1(VALU_DEP_1)
	v_fma_f64 v[35:36], v[14:15], v[32:33], v[26:27]
	ds_load_2addr_b64 v[26:29], v34 offset0:19 offset1:20
	ds_load_2addr_b64 v[30:33], v34 offset0:21 offset1:22
	s_waitcnt lgkmcnt(1)
	v_fma_f64 v[26:27], v[16:17], v[26:27], v[35:36]
	v_fma_f64 v[26:27], v[18:19], v[28:29], v[26:27]
	ds_load_b64 v[28:29], v34 offset:184
	s_waitcnt lgkmcnt(1)
	v_fma_f64 v[26:27], v[20:21], v[30:31], v[26:27]
	s_delay_alu instid0(VALU_DEP_1) | instskip(SKIP_1) | instid1(VALU_DEP_1)
	v_fma_f64 v[26:27], v[22:23], v[32:33], v[26:27]
	s_waitcnt lgkmcnt(0)
	v_fma_f64 v[26:27], v[24:25], v[28:29], v[26:27]
	s_delay_alu instid0(VALU_DEP_1)
	v_add_f64 v[6:7], v[6:7], -v[26:27]
	v_cmpx_lt_u32_e32 1, v0
	s_cbranch_execz .LBB11_92
; %bb.91:
	v_dual_mov_b32 v32, v2 :: v_dual_mov_b32 v33, v3
	v_dual_mov_b32 v35, v34 :: v_dual_mov_b32 v38, v8
	s_delay_alu instid0(VALU_DEP_4)
	v_dual_mov_b32 v36, v6 :: v_dual_mov_b32 v37, v7
	v_dual_mov_b32 v39, v9 :: v_dual_mov_b32 v40, v10
	;; [unrolled: 1-line block ×26, first 2 shown]
	v_mov_b32_e32 v33, v63
	ds_store_b64 v1, v[80:81]
.LBB11_92:
	s_or_b32 exec_lo, exec_lo, s0
	s_waitcnt lgkmcnt(0)
	s_barrier
	buffer_gl0_inv
	ds_load_b128 v[26:29], v34 offset:112
	ds_load_b128 v[30:33], v34 offset:128
	s_mov_b32 s0, exec_lo
	s_waitcnt lgkmcnt(1)
	v_fma_f64 v[26:27], v[6:7], v[26:27], 0
	s_delay_alu instid0(VALU_DEP_1) | instskip(SKIP_1) | instid1(VALU_DEP_1)
	v_fma_f64 v[26:27], v[8:9], v[28:29], v[26:27]
	s_waitcnt lgkmcnt(0)
	v_fma_f64 v[26:27], v[10:11], v[30:31], v[26:27]
	s_delay_alu instid0(VALU_DEP_1) | instskip(SKIP_4) | instid1(VALU_DEP_1)
	v_fma_f64 v[35:36], v[12:13], v[32:33], v[26:27]
	ds_load_b128 v[26:29], v34 offset:144
	ds_load_b128 v[30:33], v34 offset:160
	s_waitcnt lgkmcnt(1)
	v_fma_f64 v[26:27], v[14:15], v[26:27], v[35:36]
	v_fma_f64 v[26:27], v[16:17], v[28:29], v[26:27]
	s_waitcnt lgkmcnt(0)
	s_delay_alu instid0(VALU_DEP_1) | instskip(NEXT) | instid1(VALU_DEP_1)
	v_fma_f64 v[26:27], v[18:19], v[30:31], v[26:27]
	v_fma_f64 v[30:31], v[20:21], v[32:33], v[26:27]
	ds_load_b128 v[26:29], v34 offset:176
	s_waitcnt lgkmcnt(0)
	v_fma_f64 v[26:27], v[22:23], v[26:27], v[30:31]
	s_delay_alu instid0(VALU_DEP_1) | instskip(NEXT) | instid1(VALU_DEP_1)
	v_fma_f64 v[26:27], v[24:25], v[28:29], v[26:27]
	v_add_f64 v[4:5], v[4:5], -v[26:27]
	v_cmpx_ne_u32_e32 0, v0
	s_cbranch_execz .LBB11_94
; %bb.93:
	s_delay_alu instid0(VALU_DEP_2)
	v_dual_mov_b32 v26, 0 :: v_dual_mov_b32 v29, v5
	v_dual_mov_b32 v34, v10 :: v_dual_mov_b32 v35, v11
	;; [unrolled: 1-line block ×13, first 2 shown]
	v_mov_b32_e32 v2, v26
	s_delay_alu instid0(VALU_DEP_3)
	v_dual_mov_b32 v3, v27 :: v_dual_mov_b32 v4, v28
	v_dual_mov_b32 v5, v29 :: v_dual_mov_b32 v6, v30
	;; [unrolled: 1-line block ×12, first 2 shown]
	v_mov_b32_e32 v27, v51
	v_mov_b32_e32 v28, v52
	;; [unrolled: 1-line block ×7, first 2 shown]
	ds_store_b64 v1, v[50:51]
.LBB11_94:
	s_or_b32 exec_lo, exec_lo, s0
	v_mov_b32_e32 v34, 0
	s_waitcnt lgkmcnt(0)
	s_barrier
	buffer_gl0_inv
	s_and_b32 vcc_lo, exec_lo, s11
	ds_load_2addr_b64 v[26:29], v34 offset0:13 offset1:14
	ds_load_2addr_b64 v[30:33], v34 offset0:15 offset1:16
	s_waitcnt lgkmcnt(1)
	v_fma_f64 v[0:1], v[4:5], v[26:27], 0
	s_delay_alu instid0(VALU_DEP_1) | instskip(SKIP_1) | instid1(VALU_DEP_1)
	v_fma_f64 v[0:1], v[6:7], v[28:29], v[0:1]
	s_waitcnt lgkmcnt(0)
	v_fma_f64 v[0:1], v[8:9], v[30:31], v[0:1]
	s_delay_alu instid0(VALU_DEP_1) | instskip(SKIP_4) | instid1(VALU_DEP_1)
	v_fma_f64 v[0:1], v[10:11], v[32:33], v[0:1]
	ds_load_2addr_b64 v[26:29], v34 offset0:17 offset1:18
	ds_load_2addr_b64 v[30:33], v34 offset0:19 offset1:20
	s_waitcnt lgkmcnt(1)
	v_fma_f64 v[0:1], v[12:13], v[26:27], v[0:1]
	v_fma_f64 v[0:1], v[14:15], v[28:29], v[0:1]
	s_waitcnt lgkmcnt(0)
	s_delay_alu instid0(VALU_DEP_1) | instskip(SKIP_4) | instid1(VALU_DEP_1)
	v_fma_f64 v[0:1], v[16:17], v[30:31], v[0:1]
	ds_load_2addr_b64 v[26:29], v34 offset0:21 offset1:22
	ds_load_b64 v[30:31], v34 offset:184
	v_fma_f64 v[0:1], v[18:19], v[32:33], v[0:1]
	s_waitcnt lgkmcnt(1)
	v_fma_f64 v[0:1], v[20:21], v[26:27], v[0:1]
	s_delay_alu instid0(VALU_DEP_1) | instskip(SKIP_1) | instid1(VALU_DEP_1)
	v_fma_f64 v[0:1], v[22:23], v[28:29], v[0:1]
	s_waitcnt lgkmcnt(0)
	v_fma_f64 v[0:1], v[24:25], v[30:31], v[0:1]
	s_delay_alu instid0(VALU_DEP_1)
	v_add_f64 v[2:3], v[2:3], -v[0:1]
	s_cbranch_vccz .LBB11_118
; %bb.95:
	v_dual_mov_b32 v0, s16 :: v_dual_mov_b32 v1, s17
	s_mov_b32 s6, exec_lo
	flat_load_b32 v0, v[0:1] offset:40
	s_waitcnt vmcnt(0) lgkmcnt(0)
	v_add_nc_u32_e32 v0, -1, v0
	s_delay_alu instid0(VALU_DEP_1)
	v_cmpx_ne_u32_e32 10, v0
	s_cbranch_execz .LBB11_97
; %bb.96:
	v_cmp_eq_u32_e32 vcc_lo, 1, v0
	v_cmp_eq_u32_e64 s0, 2, v0
	v_cmp_eq_u32_e64 s1, 3, v0
	;; [unrolled: 1-line block ×4, first 2 shown]
	v_dual_cndmask_b32 v1, v2, v4 :: v_dual_cndmask_b32 v26, v3, v5
	v_cmp_eq_u32_e64 s4, 6, v0
	v_cmp_eq_u32_e64 s5, 0, v0
	v_cndmask_b32_e64 v30, v7, v23, s0
	s_delay_alu instid0(VALU_DEP_4)
	v_cndmask_b32_e64 v1, v1, v6, s0
	v_cndmask_b32_e64 v26, v26, v7, s0
	;; [unrolled: 1-line block ×3, first 2 shown]
	v_cmp_eq_u32_e64 s0, 7, v0
	v_cndmask_b32_e32 v28, v5, v23, vcc_lo
	v_cndmask_b32_e64 v1, v1, v8, s1
	v_cndmask_b32_e64 v26, v26, v9, s1
	;; [unrolled: 1-line block ×4, first 2 shown]
	v_cmp_eq_u32_e64 s1, 9, v0
	v_cndmask_b32_e64 v1, v1, v10, s2
	v_cndmask_b32_e64 v26, v26, v11, s2
	;; [unrolled: 1-line block ×4, first 2 shown]
	v_cmp_eq_u32_e64 s2, 10, v0
	v_cndmask_b32_e64 v1, v1, v12, s3
	v_cndmask_b32_e64 v27, v26, v13, s3
	;; [unrolled: 1-line block ×7, first 2 shown]
	v_cndmask_b32_e32 v27, v4, v22, vcc_lo
	v_cmp_eq_u32_e32 vcc_lo, 8, v0
	v_cndmask_b32_e64 v36, v13, v23, s3
	v_cndmask_b32_e64 v1, v1, v16, s0
	;; [unrolled: 1-line block ×3, first 2 shown]
	v_cmp_eq_u32_e64 s0, 11, v0
	v_cndmask_b32_e64 v35, v12, v22, s3
	v_cndmask_b32_e64 v38, v15, v23, s4
	v_dual_cndmask_b32 v1, v1, v18 :: v_dual_cndmask_b32 v42, v19, v23
	v_cndmask_b32_e64 v37, v14, v22, s4
	v_cndmask_b32_e32 v41, v18, v22, vcc_lo
	v_cndmask_b32_e64 v44, v21, v23, s1
	s_delay_alu instid0(VALU_DEP_4) | instskip(SKIP_3) | instid1(VALU_DEP_4)
	v_cndmask_b32_e64 v1, v1, v20, s1
	v_cndmask_b32_e64 v43, v20, v22, s1
	;; [unrolled: 1-line block ×5, first 2 shown]
	s_delay_alu instid0(VALU_DEP_1) | instskip(NEXT) | instid1(VALU_DEP_1)
	v_cndmask_b32_e64 v0, v1, v24, s0
	v_cndmask_b32_e64 v45, v0, v22, s2
	v_cndmask_b32_e32 v3, v3, v19, vcc_lo
	s_delay_alu instid0(VALU_DEP_1) | instskip(NEXT) | instid1(VALU_DEP_1)
	v_cndmask_b32_e64 v3, v3, v21, s1
	v_cndmask_b32_e64 v3, v3, v23, s2
	s_delay_alu instid0(VALU_DEP_1) | instskip(SKIP_1) | instid1(VALU_DEP_2)
	v_cndmask_b32_e64 v1, v3, v25, s0
	v_cndmask_b32_e64 v25, v2, v22, s5
	;; [unrolled: 1-line block ×3, first 2 shown]
	s_delay_alu instid0(VALU_DEP_2)
	v_mov_b32_e32 v2, v25
	v_dual_mov_b32 v6, v29 :: v_dual_mov_b32 v3, v26
	v_dual_mov_b32 v4, v27 :: v_dual_mov_b32 v5, v28
	;; [unrolled: 1-line block ×11, first 2 shown]
	v_mov_b32_e32 v25, v48
	v_mov_b32_e32 v26, v49
	;; [unrolled: 1-line block ×9, first 2 shown]
.LBB11_97:
	s_or_b32 exec_lo, exec_lo, s6
	v_dual_mov_b32 v0, s16 :: v_dual_mov_b32 v1, s17
	s_mov_b32 s6, exec_lo
	flat_load_b32 v0, v[0:1] offset:36
	s_waitcnt vmcnt(0) lgkmcnt(0)
	v_add_nc_u32_e32 v0, -1, v0
	s_delay_alu instid0(VALU_DEP_1)
	v_cmpx_ne_u32_e32 9, v0
	s_cbranch_execz .LBB11_99
; %bb.98:
	v_cmp_eq_u32_e32 vcc_lo, 1, v0
	v_cmp_eq_u32_e64 s0, 2, v0
	v_cmp_eq_u32_e64 s1, 3, v0
	;; [unrolled: 1-line block ×4, first 2 shown]
	v_dual_cndmask_b32 v1, v2, v4 :: v_dual_cndmask_b32 v26, v3, v5
	v_cmp_eq_u32_e64 s4, 6, v0
	v_cmp_eq_u32_e64 s5, 0, v0
	v_cndmask_b32_e64 v30, v7, v21, s0
	s_delay_alu instid0(VALU_DEP_4)
	v_cndmask_b32_e64 v1, v1, v6, s0
	v_cndmask_b32_e64 v26, v26, v7, s0
	;; [unrolled: 1-line block ×3, first 2 shown]
	v_cmp_eq_u32_e64 s0, 7, v0
	v_cndmask_b32_e32 v28, v5, v21, vcc_lo
	v_cndmask_b32_e64 v1, v1, v8, s1
	v_cndmask_b32_e64 v26, v26, v9, s1
	;; [unrolled: 1-line block ×4, first 2 shown]
	v_cmp_eq_u32_e64 s1, 9, v0
	v_cndmask_b32_e64 v1, v1, v10, s2
	v_cndmask_b32_e64 v26, v26, v11, s2
	;; [unrolled: 1-line block ×4, first 2 shown]
	v_cmp_eq_u32_e64 s2, 10, v0
	v_cndmask_b32_e64 v1, v1, v12, s3
	v_cndmask_b32_e64 v27, v26, v13, s3
	;; [unrolled: 1-line block ×7, first 2 shown]
	v_cndmask_b32_e32 v27, v4, v20, vcc_lo
	v_cmp_eq_u32_e32 vcc_lo, 8, v0
	v_cndmask_b32_e64 v36, v13, v21, s3
	v_cndmask_b32_e64 v1, v1, v16, s0
	;; [unrolled: 1-line block ×3, first 2 shown]
	v_cmp_eq_u32_e64 s0, 11, v0
	v_cndmask_b32_e64 v35, v12, v20, s3
	v_cndmask_b32_e64 v38, v15, v21, s4
	v_dual_cndmask_b32 v1, v1, v18 :: v_dual_cndmask_b32 v42, v19, v21
	v_cndmask_b32_e64 v37, v14, v20, s4
	v_cndmask_b32_e32 v41, v18, v20, vcc_lo
	v_cndmask_b32_e64 v46, v23, v21, s2
	s_delay_alu instid0(VALU_DEP_4) | instskip(SKIP_3) | instid1(VALU_DEP_4)
	v_cndmask_b32_e64 v1, v1, v20, s1
	v_cndmask_b32_e64 v45, v22, v20, s2
	;; [unrolled: 1-line block ×5, first 2 shown]
	s_delay_alu instid0(VALU_DEP_1) | instskip(NEXT) | instid1(VALU_DEP_1)
	v_cndmask_b32_e64 v0, v1, v24, s0
	v_cndmask_b32_e64 v43, v0, v20, s1
	v_cndmask_b32_e32 v3, v3, v19, vcc_lo
	s_delay_alu instid0(VALU_DEP_1) | instskip(NEXT) | instid1(VALU_DEP_1)
	v_cndmask_b32_e64 v3, v3, v21, s1
	v_cndmask_b32_e64 v3, v3, v23, s2
	s_delay_alu instid0(VALU_DEP_1) | instskip(SKIP_1) | instid1(VALU_DEP_2)
	v_cndmask_b32_e64 v1, v3, v25, s0
	v_cndmask_b32_e64 v25, v2, v20, s5
	;; [unrolled: 1-line block ×3, first 2 shown]
	s_delay_alu instid0(VALU_DEP_2)
	v_mov_b32_e32 v2, v25
	v_dual_mov_b32 v6, v29 :: v_dual_mov_b32 v3, v26
	v_dual_mov_b32 v4, v27 :: v_dual_mov_b32 v5, v28
	;; [unrolled: 1-line block ×11, first 2 shown]
	v_mov_b32_e32 v25, v48
	v_mov_b32_e32 v26, v49
	;; [unrolled: 1-line block ×9, first 2 shown]
.LBB11_99:
	s_or_b32 exec_lo, exec_lo, s6
	v_dual_mov_b32 v0, s16 :: v_dual_mov_b32 v1, s17
	s_mov_b32 s6, exec_lo
	flat_load_b32 v0, v[0:1] offset:32
	s_waitcnt vmcnt(0) lgkmcnt(0)
	v_add_nc_u32_e32 v0, -1, v0
	s_delay_alu instid0(VALU_DEP_1)
	v_cmpx_ne_u32_e32 8, v0
	s_cbranch_execz .LBB11_101
; %bb.100:
	v_cmp_eq_u32_e32 vcc_lo, 1, v0
	v_cmp_eq_u32_e64 s0, 2, v0
	v_cmp_eq_u32_e64 s1, 3, v0
	v_cmp_eq_u32_e64 s2, 4, v0
	v_cmp_eq_u32_e64 s3, 5, v0
	v_dual_cndmask_b32 v1, v2, v4 :: v_dual_cndmask_b32 v26, v3, v5
	v_cmp_eq_u32_e64 s4, 6, v0
	v_cmp_eq_u32_e64 s5, 0, v0
	v_cndmask_b32_e64 v30, v7, v19, s0
	s_delay_alu instid0(VALU_DEP_4)
	v_cndmask_b32_e64 v1, v1, v6, s0
	v_cndmask_b32_e64 v26, v26, v7, s0
	;; [unrolled: 1-line block ×3, first 2 shown]
	v_cmp_eq_u32_e64 s0, 7, v0
	v_cndmask_b32_e32 v28, v5, v19, vcc_lo
	v_cndmask_b32_e64 v1, v1, v8, s1
	v_cndmask_b32_e64 v26, v26, v9, s1
	;; [unrolled: 1-line block ×8, first 2 shown]
	v_cmp_eq_u32_e64 s1, 9, v0
	v_cmp_eq_u32_e64 s2, 10, v0
	v_cndmask_b32_e64 v1, v1, v12, s3
	v_cndmask_b32_e64 v27, v26, v13, s3
	;; [unrolled: 1-line block ×7, first 2 shown]
	v_cndmask_b32_e32 v27, v4, v18, vcc_lo
	v_cmp_eq_u32_e32 vcc_lo, 8, v0
	v_cndmask_b32_e64 v36, v13, v19, s3
	v_cndmask_b32_e64 v1, v1, v16, s0
	;; [unrolled: 1-line block ×3, first 2 shown]
	v_cmp_eq_u32_e64 s0, 11, v0
	v_cndmask_b32_e64 v35, v12, v18, s3
	v_cndmask_b32_e64 v38, v15, v19, s4
	;; [unrolled: 1-line block ×9, first 2 shown]
	v_cndmask_b32_e32 v1, v1, v18, vcc_lo
	s_delay_alu instid0(VALU_DEP_1) | instskip(NEXT) | instid1(VALU_DEP_1)
	v_cndmask_b32_e64 v1, v1, v20, s1
	v_cndmask_b32_e64 v1, v1, v22, s2
	s_delay_alu instid0(VALU_DEP_1) | instskip(NEXT) | instid1(VALU_DEP_1)
	v_cndmask_b32_e64 v0, v1, v24, s0
	v_cndmask_b32_e32 v41, v0, v18, vcc_lo
	v_cndmask_b32_e32 v3, v3, v19, vcc_lo
	s_delay_alu instid0(VALU_DEP_1) | instskip(NEXT) | instid1(VALU_DEP_1)
	v_cndmask_b32_e64 v3, v3, v21, s1
	v_cndmask_b32_e64 v3, v3, v23, s2
	s_delay_alu instid0(VALU_DEP_1) | instskip(SKIP_1) | instid1(VALU_DEP_2)
	v_cndmask_b32_e64 v1, v3, v25, s0
	v_cndmask_b32_e64 v25, v2, v18, s5
	v_cndmask_b32_e32 v42, v1, v19, vcc_lo
	s_delay_alu instid0(VALU_DEP_2)
	v_mov_b32_e32 v2, v25
	v_dual_mov_b32 v6, v29 :: v_dual_mov_b32 v3, v26
	v_mov_b32_e32 v8, v31
	v_dual_mov_b32 v4, v27 :: v_dual_mov_b32 v5, v28
	v_dual_mov_b32 v10, v33 :: v_dual_mov_b32 v7, v30
	;; [unrolled: 1-line block ×9, first 2 shown]
	v_mov_b32_e32 v23, v46
	v_mov_b32_e32 v25, v48
	;; [unrolled: 1-line block ×10, first 2 shown]
.LBB11_101:
	s_or_b32 exec_lo, exec_lo, s6
	v_dual_mov_b32 v0, s16 :: v_dual_mov_b32 v1, s17
	s_mov_b32 s6, exec_lo
	flat_load_b32 v0, v[0:1] offset:28
	s_waitcnt vmcnt(0) lgkmcnt(0)
	v_add_nc_u32_e32 v0, -1, v0
	s_delay_alu instid0(VALU_DEP_1)
	v_cmpx_ne_u32_e32 7, v0
	s_cbranch_execz .LBB11_103
; %bb.102:
	v_cmp_eq_u32_e32 vcc_lo, 1, v0
	v_cmp_eq_u32_e64 s0, 2, v0
	v_cmp_eq_u32_e64 s1, 3, v0
	v_cmp_eq_u32_e64 s2, 4, v0
	v_cmp_eq_u32_e64 s3, 5, v0
	v_dual_cndmask_b32 v1, v2, v4 :: v_dual_cndmask_b32 v26, v3, v5
	v_cmp_eq_u32_e64 s4, 6, v0
	v_cmp_eq_u32_e64 s5, 0, v0
	v_cndmask_b32_e64 v30, v7, v17, s0
	s_delay_alu instid0(VALU_DEP_4)
	v_cndmask_b32_e64 v1, v1, v6, s0
	v_cndmask_b32_e64 v26, v26, v7, s0
	;; [unrolled: 1-line block ×3, first 2 shown]
	v_cmp_eq_u32_e64 s0, 7, v0
	v_cndmask_b32_e32 v28, v5, v17, vcc_lo
	v_cndmask_b32_e64 v1, v1, v8, s1
	v_cndmask_b32_e64 v26, v26, v9, s1
	v_cndmask_b32_e64 v32, v9, v17, s1
	v_cndmask_b32_e64 v31, v8, v16, s1
	v_cmp_eq_u32_e64 s1, 9, v0
	v_cndmask_b32_e64 v1, v1, v10, s2
	v_cndmask_b32_e64 v26, v26, v11, s2
	;; [unrolled: 1-line block ×4, first 2 shown]
	v_cmp_eq_u32_e64 s2, 10, v0
	v_cndmask_b32_e64 v1, v1, v12, s3
	v_cndmask_b32_e64 v27, v26, v13, s3
	;; [unrolled: 1-line block ×7, first 2 shown]
	v_cndmask_b32_e32 v27, v4, v16, vcc_lo
	v_cmp_eq_u32_e32 vcc_lo, 8, v0
	v_cndmask_b32_e64 v38, v15, v17, s4
	v_cndmask_b32_e64 v1, v1, v16, s0
	;; [unrolled: 1-line block ×4, first 2 shown]
	v_cndmask_b32_e32 v41, v18, v16, vcc_lo
	v_cndmask_b32_e64 v44, v21, v17, s1
	v_dual_cndmask_b32 v1, v1, v18 :: v_dual_cndmask_b32 v42, v19, v17
	v_cndmask_b32_e64 v43, v20, v16, s1
	v_cndmask_b32_e64 v46, v23, v17, s2
	;; [unrolled: 1-line block ×3, first 2 shown]
	s_delay_alu instid0(VALU_DEP_4) | instskip(NEXT) | instid1(VALU_DEP_1)
	v_cndmask_b32_e64 v1, v1, v20, s1
	v_cndmask_b32_e64 v1, v1, v22, s2
	v_cndmask_b32_e32 v3, v3, v19, vcc_lo
	v_cmp_eq_u32_e32 vcc_lo, 11, v0
	s_delay_alu instid0(VALU_DEP_3) | instskip(NEXT) | instid1(VALU_DEP_3)
	v_cndmask_b32_e32 v0, v1, v24, vcc_lo
	v_cndmask_b32_e64 v3, v3, v21, s1
	v_dual_cndmask_b32 v48, v25, v17 :: v_dual_cndmask_b32 v47, v24, v16
	s_delay_alu instid0(VALU_DEP_3) | instskip(NEXT) | instid1(VALU_DEP_3)
	v_cndmask_b32_e64 v39, v0, v16, s0
	v_cndmask_b32_e64 v3, v3, v23, s2
	s_delay_alu instid0(VALU_DEP_1) | instskip(SKIP_1) | instid1(VALU_DEP_2)
	v_cndmask_b32_e32 v1, v3, v25, vcc_lo
	v_cndmask_b32_e64 v25, v2, v16, s5
	v_cndmask_b32_e64 v40, v1, v17, s0
	s_delay_alu instid0(VALU_DEP_2)
	v_mov_b32_e32 v2, v25
	v_dual_mov_b32 v3, v26 :: v_dual_mov_b32 v4, v27
	v_dual_mov_b32 v5, v28 :: v_dual_mov_b32 v6, v29
	;; [unrolled: 1-line block ×11, first 2 shown]
	v_mov_b32_e32 v25, v48
	v_mov_b32_e32 v26, v49
	;; [unrolled: 1-line block ×9, first 2 shown]
.LBB11_103:
	s_or_b32 exec_lo, exec_lo, s6
	v_dual_mov_b32 v0, s16 :: v_dual_mov_b32 v1, s17
	s_mov_b32 s6, exec_lo
	flat_load_b32 v0, v[0:1] offset:24
	s_waitcnt vmcnt(0) lgkmcnt(0)
	v_add_nc_u32_e32 v0, -1, v0
	s_delay_alu instid0(VALU_DEP_1)
	v_cmpx_ne_u32_e32 6, v0
	s_cbranch_execz .LBB11_105
; %bb.104:
	v_cmp_eq_u32_e32 vcc_lo, 1, v0
	v_cmp_eq_u32_e64 s0, 2, v0
	v_cmp_eq_u32_e64 s1, 3, v0
	;; [unrolled: 1-line block ×4, first 2 shown]
	v_dual_cndmask_b32 v1, v2, v4 :: v_dual_cndmask_b32 v26, v3, v5
	v_cmp_eq_u32_e64 s4, 6, v0
	v_cmp_eq_u32_e64 s5, 0, v0
	v_cndmask_b32_e64 v30, v7, v15, s0
	s_delay_alu instid0(VALU_DEP_4)
	v_cndmask_b32_e64 v1, v1, v6, s0
	v_cndmask_b32_e64 v26, v26, v7, s0
	;; [unrolled: 1-line block ×3, first 2 shown]
	v_cmp_eq_u32_e64 s0, 7, v0
	v_cndmask_b32_e32 v28, v5, v15, vcc_lo
	v_cndmask_b32_e64 v1, v1, v8, s1
	v_cndmask_b32_e64 v26, v26, v9, s1
	;; [unrolled: 1-line block ×4, first 2 shown]
	v_cmp_eq_u32_e64 s1, 9, v0
	v_cndmask_b32_e64 v1, v1, v10, s2
	v_cndmask_b32_e64 v26, v26, v11, s2
	;; [unrolled: 1-line block ×4, first 2 shown]
	v_cmp_eq_u32_e64 s2, 10, v0
	v_cndmask_b32_e64 v1, v1, v12, s3
	v_cndmask_b32_e64 v27, v26, v13, s3
	;; [unrolled: 1-line block ×7, first 2 shown]
	v_cndmask_b32_e32 v27, v4, v14, vcc_lo
	v_cmp_eq_u32_e32 vcc_lo, 8, v0
	v_cndmask_b32_e64 v40, v17, v15, s0
	v_cndmask_b32_e64 v1, v1, v16, s0
	v_cndmask_b32_e64 v3, v3, v17, s0
	v_cndmask_b32_e64 v39, v16, v14, s0
	v_cndmask_b32_e32 v41, v18, v14, vcc_lo
	v_cndmask_b32_e64 v44, v21, v15, s1
	v_dual_cndmask_b32 v1, v1, v18 :: v_dual_cndmask_b32 v42, v19, v15
	v_cndmask_b32_e64 v43, v20, v14, s1
	v_cndmask_b32_e64 v46, v23, v15, s2
	;; [unrolled: 1-line block ×3, first 2 shown]
	s_delay_alu instid0(VALU_DEP_4) | instskip(NEXT) | instid1(VALU_DEP_1)
	v_cndmask_b32_e64 v1, v1, v20, s1
	v_cndmask_b32_e64 v1, v1, v22, s2
	v_cndmask_b32_e32 v3, v3, v19, vcc_lo
	v_cmp_eq_u32_e32 vcc_lo, 11, v0
	s_delay_alu instid0(VALU_DEP_3) | instskip(NEXT) | instid1(VALU_DEP_3)
	v_cndmask_b32_e32 v0, v1, v24, vcc_lo
	v_cndmask_b32_e64 v3, v3, v21, s1
	v_dual_cndmask_b32 v48, v25, v15 :: v_dual_cndmask_b32 v47, v24, v14
	s_delay_alu instid0(VALU_DEP_3) | instskip(NEXT) | instid1(VALU_DEP_3)
	v_cndmask_b32_e64 v37, v0, v14, s4
	v_cndmask_b32_e64 v3, v3, v23, s2
	s_delay_alu instid0(VALU_DEP_1) | instskip(SKIP_1) | instid1(VALU_DEP_2)
	v_cndmask_b32_e32 v1, v3, v25, vcc_lo
	v_cndmask_b32_e64 v25, v2, v14, s5
	v_cndmask_b32_e64 v38, v1, v15, s4
	s_delay_alu instid0(VALU_DEP_2)
	v_mov_b32_e32 v2, v25
	v_dual_mov_b32 v3, v26 :: v_dual_mov_b32 v4, v27
	v_dual_mov_b32 v5, v28 :: v_dual_mov_b32 v6, v29
	;; [unrolled: 1-line block ×11, first 2 shown]
	v_mov_b32_e32 v25, v48
	v_mov_b32_e32 v26, v49
	;; [unrolled: 1-line block ×9, first 2 shown]
.LBB11_105:
	s_or_b32 exec_lo, exec_lo, s6
	v_dual_mov_b32 v0, s16 :: v_dual_mov_b32 v1, s17
	s_mov_b32 s6, exec_lo
	flat_load_b32 v0, v[0:1] offset:20
	s_waitcnt vmcnt(0) lgkmcnt(0)
	v_add_nc_u32_e32 v0, -1, v0
	s_delay_alu instid0(VALU_DEP_1)
	v_cmpx_ne_u32_e32 5, v0
	s_cbranch_execz .LBB11_107
; %bb.106:
	v_cmp_eq_u32_e32 vcc_lo, 1, v0
	v_cmp_eq_u32_e64 s0, 2, v0
	v_cmp_eq_u32_e64 s1, 3, v0
	;; [unrolled: 1-line block ×4, first 2 shown]
	v_dual_cndmask_b32 v1, v2, v4 :: v_dual_cndmask_b32 v26, v3, v5
	v_cmp_eq_u32_e64 s4, 6, v0
	v_cmp_eq_u32_e64 s5, 0, v0
	v_cndmask_b32_e64 v30, v7, v13, s0
	s_delay_alu instid0(VALU_DEP_4)
	v_cndmask_b32_e64 v1, v1, v6, s0
	v_cndmask_b32_e64 v26, v26, v7, s0
	;; [unrolled: 1-line block ×3, first 2 shown]
	v_cmp_eq_u32_e64 s0, 7, v0
	v_cndmask_b32_e32 v28, v5, v13, vcc_lo
	v_cndmask_b32_e64 v1, v1, v8, s1
	v_cndmask_b32_e64 v26, v26, v9, s1
	;; [unrolled: 1-line block ×4, first 2 shown]
	v_cmp_eq_u32_e64 s1, 9, v0
	v_cndmask_b32_e64 v1, v1, v10, s2
	v_cndmask_b32_e64 v26, v26, v11, s2
	;; [unrolled: 1-line block ×4, first 2 shown]
	v_cmp_eq_u32_e64 s2, 10, v0
	v_cndmask_b32_e64 v1, v1, v12, s3
	v_cndmask_b32_e64 v27, v26, v13, s3
	;; [unrolled: 1-line block ×7, first 2 shown]
	v_cndmask_b32_e32 v27, v4, v12, vcc_lo
	v_cmp_eq_u32_e32 vcc_lo, 8, v0
	v_cndmask_b32_e64 v40, v17, v13, s0
	v_cndmask_b32_e64 v1, v1, v16, s0
	;; [unrolled: 1-line block ×4, first 2 shown]
	v_cndmask_b32_e32 v41, v18, v12, vcc_lo
	v_cndmask_b32_e64 v44, v21, v13, s1
	v_dual_cndmask_b32 v1, v1, v18 :: v_dual_cndmask_b32 v42, v19, v13
	v_cndmask_b32_e64 v43, v20, v12, s1
	v_cndmask_b32_e64 v46, v23, v13, s2
	;; [unrolled: 1-line block ×3, first 2 shown]
	s_delay_alu instid0(VALU_DEP_4) | instskip(NEXT) | instid1(VALU_DEP_1)
	v_cndmask_b32_e64 v1, v1, v20, s1
	v_cndmask_b32_e64 v1, v1, v22, s2
	v_cndmask_b32_e32 v3, v3, v19, vcc_lo
	v_cmp_eq_u32_e32 vcc_lo, 11, v0
	s_delay_alu instid0(VALU_DEP_3) | instskip(NEXT) | instid1(VALU_DEP_3)
	v_cndmask_b32_e32 v0, v1, v24, vcc_lo
	v_cndmask_b32_e64 v3, v3, v21, s1
	v_dual_cndmask_b32 v48, v25, v13 :: v_dual_cndmask_b32 v47, v24, v12
	s_delay_alu instid0(VALU_DEP_3) | instskip(NEXT) | instid1(VALU_DEP_3)
	v_cndmask_b32_e64 v35, v0, v12, s3
	v_cndmask_b32_e64 v3, v3, v23, s2
	s_delay_alu instid0(VALU_DEP_1) | instskip(SKIP_1) | instid1(VALU_DEP_2)
	v_cndmask_b32_e32 v1, v3, v25, vcc_lo
	v_cndmask_b32_e64 v25, v2, v12, s5
	v_cndmask_b32_e64 v36, v1, v13, s3
	s_delay_alu instid0(VALU_DEP_2)
	v_mov_b32_e32 v2, v25
	v_dual_mov_b32 v3, v26 :: v_dual_mov_b32 v4, v27
	v_dual_mov_b32 v5, v28 :: v_dual_mov_b32 v6, v29
	;; [unrolled: 1-line block ×11, first 2 shown]
	v_mov_b32_e32 v25, v48
	v_mov_b32_e32 v26, v49
	;; [unrolled: 1-line block ×9, first 2 shown]
.LBB11_107:
	s_or_b32 exec_lo, exec_lo, s6
	v_dual_mov_b32 v0, s16 :: v_dual_mov_b32 v1, s17
	s_mov_b32 s6, exec_lo
	flat_load_b32 v0, v[0:1] offset:16
	s_waitcnt vmcnt(0) lgkmcnt(0)
	v_add_nc_u32_e32 v0, -1, v0
	s_delay_alu instid0(VALU_DEP_1)
	v_cmpx_ne_u32_e32 4, v0
	s_cbranch_execz .LBB11_109
; %bb.108:
	v_cmp_eq_u32_e32 vcc_lo, 1, v0
	v_cmp_eq_u32_e64 s0, 2, v0
	v_cmp_eq_u32_e64 s1, 3, v0
	;; [unrolled: 1-line block ×4, first 2 shown]
	v_dual_cndmask_b32 v1, v2, v4 :: v_dual_cndmask_b32 v26, v3, v5
	v_cmp_eq_u32_e64 s4, 6, v0
	v_cmp_eq_u32_e64 s5, 0, v0
	v_cndmask_b32_e64 v30, v7, v11, s0
	s_delay_alu instid0(VALU_DEP_4)
	v_cndmask_b32_e64 v1, v1, v6, s0
	v_cndmask_b32_e64 v26, v26, v7, s0
	;; [unrolled: 1-line block ×3, first 2 shown]
	v_cmp_eq_u32_e64 s0, 7, v0
	v_cndmask_b32_e32 v28, v5, v11, vcc_lo
	v_cndmask_b32_e64 v1, v1, v8, s1
	v_cndmask_b32_e64 v26, v26, v9, s1
	;; [unrolled: 1-line block ×4, first 2 shown]
	v_cmp_eq_u32_e64 s1, 9, v0
	v_cndmask_b32_e64 v1, v1, v10, s2
	v_cndmask_b32_e64 v26, v26, v11, s2
	v_cndmask_b32_e64 v36, v13, v11, s3
	v_cndmask_b32_e64 v35, v12, v10, s3
	v_cndmask_b32_e64 v38, v15, v11, s4
	v_cndmask_b32_e64 v1, v1, v12, s3
	v_cndmask_b32_e64 v27, v26, v13, s3
	v_cndmask_b32_e64 v26, v3, v11, s5
	v_cmp_eq_u32_e64 s3, 10, v0
	v_cndmask_b32_e64 v37, v14, v10, s4
	v_cndmask_b32_e64 v1, v1, v14, s4
	;; [unrolled: 1-line block ×3, first 2 shown]
	v_cndmask_b32_e32 v27, v4, v10, vcc_lo
	v_cmp_eq_u32_e32 vcc_lo, 8, v0
	v_cndmask_b32_e64 v40, v17, v11, s0
	v_cndmask_b32_e64 v1, v1, v16, s0
	;; [unrolled: 1-line block ×4, first 2 shown]
	v_cndmask_b32_e32 v41, v18, v10, vcc_lo
	v_cndmask_b32_e64 v44, v21, v11, s1
	v_dual_cndmask_b32 v1, v1, v18 :: v_dual_cndmask_b32 v42, v19, v11
	v_cndmask_b32_e64 v43, v20, v10, s1
	v_cndmask_b32_e64 v46, v23, v11, s3
	;; [unrolled: 1-line block ×3, first 2 shown]
	s_delay_alu instid0(VALU_DEP_4) | instskip(NEXT) | instid1(VALU_DEP_1)
	v_cndmask_b32_e64 v1, v1, v20, s1
	v_cndmask_b32_e64 v1, v1, v22, s3
	v_cndmask_b32_e32 v3, v3, v19, vcc_lo
	v_cmp_eq_u32_e32 vcc_lo, 11, v0
	s_delay_alu instid0(VALU_DEP_3) | instskip(NEXT) | instid1(VALU_DEP_3)
	v_cndmask_b32_e32 v0, v1, v24, vcc_lo
	v_cndmask_b32_e64 v3, v3, v21, s1
	v_dual_cndmask_b32 v48, v25, v11 :: v_dual_cndmask_b32 v47, v24, v10
	s_delay_alu instid0(VALU_DEP_3) | instskip(NEXT) | instid1(VALU_DEP_3)
	v_cndmask_b32_e64 v33, v0, v10, s2
	v_cndmask_b32_e64 v3, v3, v23, s3
	s_delay_alu instid0(VALU_DEP_1) | instskip(SKIP_1) | instid1(VALU_DEP_2)
	v_cndmask_b32_e32 v1, v3, v25, vcc_lo
	v_cndmask_b32_e64 v25, v2, v10, s5
	v_cndmask_b32_e64 v34, v1, v11, s2
	s_delay_alu instid0(VALU_DEP_2)
	v_mov_b32_e32 v2, v25
	v_dual_mov_b32 v3, v26 :: v_dual_mov_b32 v4, v27
	v_dual_mov_b32 v5, v28 :: v_dual_mov_b32 v6, v29
	;; [unrolled: 1-line block ×11, first 2 shown]
	v_mov_b32_e32 v25, v48
	v_mov_b32_e32 v26, v49
	;; [unrolled: 1-line block ×9, first 2 shown]
.LBB11_109:
	s_or_b32 exec_lo, exec_lo, s6
	v_dual_mov_b32 v0, s16 :: v_dual_mov_b32 v1, s17
	s_mov_b32 s6, exec_lo
	flat_load_b32 v0, v[0:1] offset:12
	s_waitcnt vmcnt(0) lgkmcnt(0)
	v_add_nc_u32_e32 v0, -1, v0
	s_delay_alu instid0(VALU_DEP_1)
	v_cmpx_ne_u32_e32 3, v0
	s_cbranch_execz .LBB11_111
; %bb.110:
	v_cmp_eq_u32_e32 vcc_lo, 1, v0
	v_cmp_eq_u32_e64 s0, 2, v0
	v_cmp_eq_u32_e64 s1, 3, v0
	;; [unrolled: 1-line block ×4, first 2 shown]
	v_dual_cndmask_b32 v1, v2, v4 :: v_dual_cndmask_b32 v26, v3, v5
	v_cmp_eq_u32_e64 s4, 6, v0
	v_cmp_eq_u32_e64 s5, 0, v0
	v_cndmask_b32_e64 v30, v7, v9, s0
	s_delay_alu instid0(VALU_DEP_4)
	v_cndmask_b32_e64 v1, v1, v6, s0
	v_cndmask_b32_e64 v26, v26, v7, s0
	;; [unrolled: 1-line block ×3, first 2 shown]
	v_cmp_eq_u32_e64 s0, 7, v0
	v_cndmask_b32_e32 v28, v5, v9, vcc_lo
	v_cndmask_b32_e64 v1, v1, v8, s1
	v_cndmask_b32_e64 v26, v26, v9, s1
	;; [unrolled: 1-line block ×7, first 2 shown]
	v_cmp_eq_u32_e64 s2, 9, v0
	v_cndmask_b32_e64 v35, v12, v8, s3
	v_cndmask_b32_e64 v38, v15, v9, s4
	;; [unrolled: 1-line block ×5, first 2 shown]
	v_cmp_eq_u32_e64 s3, 10, v0
	v_cndmask_b32_e64 v37, v14, v8, s4
	v_cndmask_b32_e64 v1, v1, v14, s4
	;; [unrolled: 1-line block ×3, first 2 shown]
	v_cndmask_b32_e32 v27, v4, v8, vcc_lo
	v_cmp_eq_u32_e32 vcc_lo, 8, v0
	v_cndmask_b32_e64 v40, v17, v9, s0
	v_cndmask_b32_e64 v1, v1, v16, s0
	;; [unrolled: 1-line block ×4, first 2 shown]
	v_cndmask_b32_e32 v41, v18, v8, vcc_lo
	v_cndmask_b32_e64 v44, v21, v9, s2
	v_dual_cndmask_b32 v1, v1, v18 :: v_dual_cndmask_b32 v42, v19, v9
	v_cndmask_b32_e64 v43, v20, v8, s2
	v_cndmask_b32_e64 v46, v23, v9, s3
	;; [unrolled: 1-line block ×3, first 2 shown]
	s_delay_alu instid0(VALU_DEP_4) | instskip(NEXT) | instid1(VALU_DEP_1)
	v_cndmask_b32_e64 v1, v1, v20, s2
	v_cndmask_b32_e64 v1, v1, v22, s3
	v_cndmask_b32_e32 v3, v3, v19, vcc_lo
	v_cmp_eq_u32_e32 vcc_lo, 11, v0
	s_delay_alu instid0(VALU_DEP_3) | instskip(NEXT) | instid1(VALU_DEP_3)
	v_cndmask_b32_e32 v0, v1, v24, vcc_lo
	v_cndmask_b32_e64 v3, v3, v21, s2
	v_dual_cndmask_b32 v48, v25, v9 :: v_dual_cndmask_b32 v47, v24, v8
	s_delay_alu instid0(VALU_DEP_3) | instskip(NEXT) | instid1(VALU_DEP_3)
	v_cndmask_b32_e64 v31, v0, v8, s1
	v_cndmask_b32_e64 v3, v3, v23, s3
	s_delay_alu instid0(VALU_DEP_1) | instskip(SKIP_1) | instid1(VALU_DEP_2)
	v_cndmask_b32_e32 v1, v3, v25, vcc_lo
	v_cndmask_b32_e64 v25, v2, v8, s5
	v_cndmask_b32_e64 v32, v1, v9, s1
	s_delay_alu instid0(VALU_DEP_2)
	v_mov_b32_e32 v2, v25
	v_dual_mov_b32 v3, v26 :: v_dual_mov_b32 v4, v27
	v_dual_mov_b32 v5, v28 :: v_dual_mov_b32 v6, v29
	;; [unrolled: 1-line block ×11, first 2 shown]
	v_mov_b32_e32 v25, v48
	v_mov_b32_e32 v26, v49
	;; [unrolled: 1-line block ×9, first 2 shown]
.LBB11_111:
	s_or_b32 exec_lo, exec_lo, s6
	v_dual_mov_b32 v0, s16 :: v_dual_mov_b32 v1, s17
	s_mov_b32 s6, exec_lo
	flat_load_b32 v0, v[0:1] offset:8
	s_waitcnt vmcnt(0) lgkmcnt(0)
	v_add_nc_u32_e32 v0, -1, v0
	s_delay_alu instid0(VALU_DEP_1)
	v_cmpx_ne_u32_e32 2, v0
	s_cbranch_execz .LBB11_113
; %bb.112:
	v_cmp_eq_u32_e32 vcc_lo, 1, v0
	v_cmp_eq_u32_e64 s0, 2, v0
	v_cmp_eq_u32_e64 s1, 3, v0
	;; [unrolled: 1-line block ×4, first 2 shown]
	v_dual_cndmask_b32 v1, v2, v4 :: v_dual_cndmask_b32 v26, v3, v5
	v_cmp_eq_u32_e64 s4, 6, v0
	v_cmp_eq_u32_e64 s5, 0, v0
	v_dual_cndmask_b32 v28, v5, v7 :: v_dual_cndmask_b32 v27, v4, v6
	s_delay_alu instid0(VALU_DEP_4)
	v_cndmask_b32_e64 v1, v1, v6, s0
	v_cndmask_b32_e64 v26, v26, v7, s0
	v_cmp_eq_u32_e32 vcc_lo, 7, v0
	v_cndmask_b32_e64 v32, v9, v7, s1
	v_cndmask_b32_e64 v31, v8, v6, s1
	;; [unrolled: 1-line block ×5, first 2 shown]
	v_cmp_eq_u32_e64 s1, 8, v0
	v_cndmask_b32_e64 v33, v10, v6, s2
	v_cndmask_b32_e64 v1, v1, v10, s2
	;; [unrolled: 1-line block ×5, first 2 shown]
	v_cmp_eq_u32_e64 s2, 9, v0
	v_cndmask_b32_e64 v1, v1, v12, s3
	v_cndmask_b32_e64 v29, v26, v13, s3
	;; [unrolled: 1-line block ×3, first 2 shown]
	v_cmp_eq_u32_e64 s3, 10, v0
	v_cndmask_b32_e64 v38, v15, v7, s4
	v_cndmask_b32_e64 v1, v1, v14, s4
	;; [unrolled: 1-line block ×4, first 2 shown]
	v_dual_cndmask_b32 v39, v16, v6 :: v_dual_cndmask_b32 v40, v17, v7
	v_cndmask_b32_e64 v42, v19, v7, s1
	s_delay_alu instid0(VALU_DEP_4)
	v_cndmask_b32_e32 v3, v3, v17, vcc_lo
	v_cndmask_b32_e64 v41, v18, v6, s1
	v_cndmask_b32_e64 v44, v21, v7, s2
	;; [unrolled: 1-line block ×5, first 2 shown]
	v_cndmask_b32_e32 v1, v1, v16, vcc_lo
	v_cndmask_b32_e64 v3, v3, v19, s1
	v_cmp_eq_u32_e32 vcc_lo, 11, v0
	s_delay_alu instid0(VALU_DEP_3) | instskip(NEXT) | instid1(VALU_DEP_3)
	v_cndmask_b32_e64 v1, v1, v18, s1
	v_cndmask_b32_e64 v3, v3, v21, s2
	v_dual_cndmask_b32 v47, v24, v6 :: v_dual_cndmask_b32 v48, v25, v7
	s_delay_alu instid0(VALU_DEP_3) | instskip(NEXT) | instid1(VALU_DEP_3)
	v_cndmask_b32_e64 v1, v1, v20, s2
	v_cndmask_b32_e64 v3, v3, v23, s3
	s_delay_alu instid0(VALU_DEP_2) | instskip(NEXT) | instid1(VALU_DEP_1)
	v_cndmask_b32_e64 v1, v1, v22, s3
	v_dual_cndmask_b32 v0, v1, v24 :: v_dual_cndmask_b32 v1, v3, v25
	v_cndmask_b32_e64 v25, v2, v6, s5
	s_delay_alu instid0(VALU_DEP_2) | instskip(NEXT) | instid1(VALU_DEP_3)
	v_cndmask_b32_e64 v29, v0, v6, s0
	v_cndmask_b32_e64 v30, v1, v7, s0
	s_delay_alu instid0(VALU_DEP_3) | instskip(NEXT) | instid1(VALU_DEP_3)
	v_mov_b32_e32 v2, v25
	v_dual_mov_b32 v3, v26 :: v_dual_mov_b32 v6, v29
	v_dual_mov_b32 v4, v27 :: v_dual_mov_b32 v5, v28
	s_delay_alu instid0(VALU_DEP_4)
	v_dual_mov_b32 v8, v31 :: v_dual_mov_b32 v7, v30
	v_dual_mov_b32 v10, v33 :: v_dual_mov_b32 v9, v32
	;; [unrolled: 1-line block ×9, first 2 shown]
	v_mov_b32_e32 v25, v48
	v_mov_b32_e32 v26, v49
	;; [unrolled: 1-line block ×9, first 2 shown]
.LBB11_113:
	s_or_b32 exec_lo, exec_lo, s6
	v_dual_mov_b32 v0, s16 :: v_dual_mov_b32 v1, s17
	s_mov_b32 s6, exec_lo
	flat_load_b32 v0, v[0:1] offset:4
	s_waitcnt vmcnt(0) lgkmcnt(0)
	v_add_nc_u32_e32 v0, -1, v0
	s_delay_alu instid0(VALU_DEP_1)
	v_cmpx_ne_u32_e32 1, v0
	s_cbranch_execz .LBB11_115
; %bb.114:
	v_cmp_eq_u32_e32 vcc_lo, 1, v0
	v_cmp_eq_u32_e64 s0, 2, v0
	v_cmp_eq_u32_e64 s1, 3, v0
	;; [unrolled: 1-line block ×4, first 2 shown]
	v_dual_cndmask_b32 v1, v2, v4 :: v_dual_cndmask_b32 v26, v3, v5
	v_cmp_eq_u32_e64 s4, 6, v0
	v_cmp_eq_u32_e64 s5, 0, v0
	v_cndmask_b32_e64 v30, v7, v5, s0
	s_delay_alu instid0(VALU_DEP_4)
	v_cndmask_b32_e64 v1, v1, v6, s0
	v_cndmask_b32_e64 v26, v26, v7, s0
	v_cndmask_b32_e64 v29, v6, v4, s0
	v_cmp_eq_u32_e64 s0, 7, v0
	v_cndmask_b32_e64 v32, v9, v5, s1
	v_cndmask_b32_e64 v1, v1, v8, s1
	v_cndmask_b32_e64 v26, v26, v9, s1
	v_cndmask_b32_e64 v31, v8, v4, s1
	v_cmp_eq_u32_e64 s1, 8, v0
	v_cndmask_b32_e64 v34, v11, v5, s2
	;; [unrolled: 5-line block ×3, first 2 shown]
	v_cndmask_b32_e64 v1, v1, v12, s3
	v_cndmask_b32_e64 v27, v26, v13, s3
	;; [unrolled: 1-line block ×4, first 2 shown]
	v_cmp_eq_u32_e64 s3, 10, v0
	v_cndmask_b32_e64 v1, v1, v14, s4
	v_cndmask_b32_e64 v3, v27, v15, s4
	;; [unrolled: 1-line block ×7, first 2 shown]
	v_cmp_eq_u32_e64 s0, 11, v0
	v_cndmask_b32_e64 v37, v14, v4, s4
	v_cndmask_b32_e64 v42, v19, v5, s1
	;; [unrolled: 1-line block ×15, first 2 shown]
	s_delay_alu instid0(VALU_DEP_3) | instskip(NEXT) | instid1(VALU_DEP_3)
	v_cndmask_b32_e64 v0, v1, v24, s0
	v_cndmask_b32_e64 v1, v3, v25, s0
	v_cndmask_b32_e64 v25, v2, v4, s5
	s_delay_alu instid0(VALU_DEP_2) | instskip(NEXT) | instid1(VALU_DEP_2)
	v_dual_cndmask_b32 v27, v0, v4 :: v_dual_cndmask_b32 v28, v1, v5
	v_mov_b32_e32 v2, v25
	s_delay_alu instid0(VALU_DEP_2) | instskip(NEXT) | instid1(VALU_DEP_3)
	v_dual_mov_b32 v3, v26 :: v_dual_mov_b32 v4, v27
	v_dual_mov_b32 v5, v28 :: v_dual_mov_b32 v6, v29
	v_dual_mov_b32 v7, v30 :: v_dual_mov_b32 v8, v31
	v_dual_mov_b32 v9, v32 :: v_dual_mov_b32 v10, v33
	v_dual_mov_b32 v11, v34 :: v_dual_mov_b32 v12, v35
	v_dual_mov_b32 v13, v36 :: v_dual_mov_b32 v14, v37
	v_dual_mov_b32 v15, v38 :: v_dual_mov_b32 v16, v39
	v_dual_mov_b32 v17, v40 :: v_dual_mov_b32 v18, v41
	v_dual_mov_b32 v19, v42 :: v_dual_mov_b32 v20, v43
	v_dual_mov_b32 v21, v44 :: v_dual_mov_b32 v22, v45
	v_dual_mov_b32 v23, v46 :: v_dual_mov_b32 v24, v47
	v_mov_b32_e32 v25, v48
	v_mov_b32_e32 v26, v49
	;; [unrolled: 1-line block ×9, first 2 shown]
.LBB11_115:
	s_or_b32 exec_lo, exec_lo, s6
	v_dual_mov_b32 v0, s16 :: v_dual_mov_b32 v1, s17
	s_mov_b32 s5, exec_lo
	flat_load_b32 v0, v[0:1]
	s_waitcnt vmcnt(0) lgkmcnt(0)
	v_add_nc_u32_e32 v0, -1, v0
	s_delay_alu instid0(VALU_DEP_1)
	v_cmpx_ne_u32_e32 0, v0
	s_cbranch_execz .LBB11_117
; %bb.116:
	v_cmp_eq_u32_e32 vcc_lo, 1, v0
	v_cmp_eq_u32_e64 s0, 2, v0
	v_cmp_eq_u32_e64 s1, 3, v0
	;; [unrolled: 1-line block ×4, first 2 shown]
	v_dual_cndmask_b32 v1, v2, v4 :: v_dual_cndmask_b32 v26, v3, v5
	v_cmp_eq_u32_e64 s4, 6, v0
	v_cndmask_b32_e64 v28, v7, v3, s0
	v_cndmask_b32_e64 v27, v6, v2, s0
	s_delay_alu instid0(VALU_DEP_4)
	v_cndmask_b32_e64 v1, v1, v6, s0
	v_cndmask_b32_e64 v26, v26, v7, s0
	v_cmp_eq_u32_e64 s0, 7, v0
	v_cndmask_b32_e64 v30, v9, v3, s1
	v_cndmask_b32_e64 v32, v11, v3, s2
	;; [unrolled: 1-line block ×9, first 2 shown]
	v_cmp_eq_u32_e64 s2, 9, v0
	v_cndmask_b32_e64 v38, v17, v3, s0
	v_cndmask_b32_e64 v37, v16, v2, s0
	;; [unrolled: 1-line block ×4, first 2 shown]
	v_cndmask_b32_e32 v26, v5, v3, vcc_lo
	v_cmp_eq_u32_e64 s3, 10, v0
	v_cndmask_b32_e64 v36, v15, v3, s4
	v_cndmask_b32_e64 v1, v1, v14, s4
	;; [unrolled: 1-line block ×4, first 2 shown]
	v_cmp_eq_u32_e64 s1, 8, v0
	v_cndmask_b32_e64 v44, v23, v3, s3
	v_cndmask_b32_e64 v1, v1, v16, s0
	;; [unrolled: 1-line block ×3, first 2 shown]
	v_cmp_eq_u32_e64 s0, 11, v0
	v_cndmask_b32_e64 v40, v19, v3, s1
	v_cndmask_b32_e64 v39, v18, v2, s1
	;; [unrolled: 1-line block ×4, first 2 shown]
	v_cmp_eq_u32_e64 s1, 0, v0
	v_cndmask_b32_e64 v35, v14, v2, s4
	v_cndmask_b32_e64 v42, v21, v3, s2
	v_cndmask_b32_e64 v1, v1, v20, s2
	v_cndmask_b32_e64 v5, v5, v21, s2
	v_cndmask_b32_e64 v41, v20, v2, s2
	v_cndmask_b32_e64 v43, v22, v2, s3
	v_cndmask_b32_e64 v46, v25, v3, s0
	v_cndmask_b32_e64 v1, v1, v22, s3
	v_cndmask_b32_e64 v5, v5, v23, s3
	v_cndmask_b32_e64 v45, v24, v2, s0
	s_delay_alu instid0(VALU_DEP_3) | instskip(NEXT) | instid1(VALU_DEP_3)
	v_cndmask_b32_e64 v1, v1, v24, s0
	v_cndmask_b32_e64 v5, v5, v25, s0
	v_cndmask_b32_e32 v25, v4, v2, vcc_lo
	s_delay_alu instid0(VALU_DEP_3) | instskip(NEXT) | instid1(VALU_DEP_3)
	v_cndmask_b32_e64 v23, v1, v2, s1
	v_cndmask_b32_e64 v24, v5, v3, s1
	s_delay_alu instid0(VALU_DEP_2) | instskip(NEXT) | instid1(VALU_DEP_2)
	v_mov_b32_e32 v2, v23
	v_dual_mov_b32 v3, v24 :: v_dual_mov_b32 v4, v25
	v_dual_mov_b32 v5, v26 :: v_dual_mov_b32 v6, v27
	;; [unrolled: 1-line block ×10, first 2 shown]
	v_mov_b32_e32 v23, v44
	v_mov_b32_e32 v24, v45
	;; [unrolled: 1-line block ×11, first 2 shown]
.LBB11_117:
	s_or_b32 exec_lo, exec_lo, s5
.LBB11_118:
	s_delay_alu instid0(VALU_DEP_1)
	v_dual_mov_b32 v1, v3 :: v_dual_mov_b32 v0, v2
	v_dual_mov_b32 v3, v5 :: v_dual_mov_b32 v2, v4
	;; [unrolled: 1-line block ×3, first 2 shown]
	s_clause 0x1
	global_store_b64 v[56:57], v[0:1], off
	global_store_b64 v[62:63], v[2:3], off
	v_dual_mov_b32 v1, v7 :: v_dual_mov_b32 v0, v6
	v_dual_mov_b32 v3, v9 :: v_dual_mov_b32 v2, v8
	;; [unrolled: 1-line block ×4, first 2 shown]
	s_clause 0x4
	global_store_b64 v[58:59], v[0:1], off
	global_store_b64 v[60:61], v[2:3], off
	;; [unrolled: 1-line block ×5, first 2 shown]
	v_dual_mov_b32 v1, v17 :: v_dual_mov_b32 v0, v16
	v_dual_mov_b32 v3, v19 :: v_dual_mov_b32 v2, v18
	;; [unrolled: 1-line block ×5, first 2 shown]
	s_clause 0x4
	global_store_b64 v[68:69], v[0:1], off
	global_store_b64 v[72:73], v[2:3], off
	;; [unrolled: 1-line block ×5, first 2 shown]
	s_nop 0
	s_sendmsg sendmsg(MSG_DEALLOC_VGPRS)
	s_endpgm
	.section	.rodata,"a",@progbits
	.p2align	6, 0x0
	.amdhsa_kernel _ZN9rocsolver6v33100L18getri_kernel_smallILi12EdPdEEvT1_iilPiilS4_bb
		.amdhsa_group_segment_fixed_size 200
		.amdhsa_private_segment_fixed_size 0
		.amdhsa_kernarg_size 60
		.amdhsa_user_sgpr_count 15
		.amdhsa_user_sgpr_dispatch_ptr 0
		.amdhsa_user_sgpr_queue_ptr 0
		.amdhsa_user_sgpr_kernarg_segment_ptr 1
		.amdhsa_user_sgpr_dispatch_id 0
		.amdhsa_user_sgpr_private_segment_size 0
		.amdhsa_wavefront_size32 1
		.amdhsa_uses_dynamic_stack 0
		.amdhsa_enable_private_segment 0
		.amdhsa_system_sgpr_workgroup_id_x 1
		.amdhsa_system_sgpr_workgroup_id_y 0
		.amdhsa_system_sgpr_workgroup_id_z 0
		.amdhsa_system_sgpr_workgroup_info 0
		.amdhsa_system_vgpr_workitem_id 0
		.amdhsa_next_free_vgpr 82
		.amdhsa_next_free_sgpr 20
		.amdhsa_reserve_vcc 1
		.amdhsa_float_round_mode_32 0
		.amdhsa_float_round_mode_16_64 0
		.amdhsa_float_denorm_mode_32 3
		.amdhsa_float_denorm_mode_16_64 3
		.amdhsa_dx10_clamp 1
		.amdhsa_ieee_mode 1
		.amdhsa_fp16_overflow 0
		.amdhsa_workgroup_processor_mode 1
		.amdhsa_memory_ordered 1
		.amdhsa_forward_progress 0
		.amdhsa_shared_vgpr_count 0
		.amdhsa_exception_fp_ieee_invalid_op 0
		.amdhsa_exception_fp_denorm_src 0
		.amdhsa_exception_fp_ieee_div_zero 0
		.amdhsa_exception_fp_ieee_overflow 0
		.amdhsa_exception_fp_ieee_underflow 0
		.amdhsa_exception_fp_ieee_inexact 0
		.amdhsa_exception_int_div_zero 0
	.end_amdhsa_kernel
	.section	.text._ZN9rocsolver6v33100L18getri_kernel_smallILi12EdPdEEvT1_iilPiilS4_bb,"axG",@progbits,_ZN9rocsolver6v33100L18getri_kernel_smallILi12EdPdEEvT1_iilPiilS4_bb,comdat
.Lfunc_end11:
	.size	_ZN9rocsolver6v33100L18getri_kernel_smallILi12EdPdEEvT1_iilPiilS4_bb, .Lfunc_end11-_ZN9rocsolver6v33100L18getri_kernel_smallILi12EdPdEEvT1_iilPiilS4_bb
                                        ; -- End function
	.section	.AMDGPU.csdata,"",@progbits
; Kernel info:
; codeLenInByte = 19304
; NumSgprs: 22
; NumVgprs: 82
; ScratchSize: 0
; MemoryBound: 0
; FloatMode: 240
; IeeeMode: 1
; LDSByteSize: 200 bytes/workgroup (compile time only)
; SGPRBlocks: 2
; VGPRBlocks: 10
; NumSGPRsForWavesPerEU: 22
; NumVGPRsForWavesPerEU: 82
; Occupancy: 16
; WaveLimiterHint : 0
; COMPUTE_PGM_RSRC2:SCRATCH_EN: 0
; COMPUTE_PGM_RSRC2:USER_SGPR: 15
; COMPUTE_PGM_RSRC2:TRAP_HANDLER: 0
; COMPUTE_PGM_RSRC2:TGID_X_EN: 1
; COMPUTE_PGM_RSRC2:TGID_Y_EN: 0
; COMPUTE_PGM_RSRC2:TGID_Z_EN: 0
; COMPUTE_PGM_RSRC2:TIDIG_COMP_CNT: 0
	.section	.text._ZN9rocsolver6v33100L18getri_kernel_smallILi13EdPdEEvT1_iilPiilS4_bb,"axG",@progbits,_ZN9rocsolver6v33100L18getri_kernel_smallILi13EdPdEEvT1_iilPiilS4_bb,comdat
	.globl	_ZN9rocsolver6v33100L18getri_kernel_smallILi13EdPdEEvT1_iilPiilS4_bb ; -- Begin function _ZN9rocsolver6v33100L18getri_kernel_smallILi13EdPdEEvT1_iilPiilS4_bb
	.p2align	8
	.type	_ZN9rocsolver6v33100L18getri_kernel_smallILi13EdPdEEvT1_iilPiilS4_bb,@function
_ZN9rocsolver6v33100L18getri_kernel_smallILi13EdPdEEvT1_iilPiilS4_bb: ; @_ZN9rocsolver6v33100L18getri_kernel_smallILi13EdPdEEvT1_iilPiilS4_bb
; %bb.0:
	s_mov_b32 s2, exec_lo
	v_cmpx_gt_u32_e32 13, v0
	s_cbranch_execz .LBB12_16
; %bb.1:
	s_mov_b32 s18, s15
	s_clause 0x2
	s_load_b32 s8, s[0:1], 0x38
	s_load_b128 s[4:7], s[0:1], 0x10
	s_load_b128 s[12:15], s[0:1], 0x28
                                        ; implicit-def: $sgpr16_sgpr17
	s_waitcnt lgkmcnt(0)
	s_bitcmp1_b32 s8, 8
	s_cselect_b32 s20, -1, 0
	s_bfe_u32 s2, s8, 0x10008
	s_ashr_i32 s19, s18, 31
	s_cmp_eq_u32 s2, 0
	s_cbranch_scc1 .LBB12_3
; %bb.2:
	s_load_b32 s2, s[0:1], 0x20
	s_mul_i32 s3, s18, s13
	s_mul_hi_u32 s9, s18, s12
	s_mul_i32 s11, s19, s12
	s_add_i32 s3, s9, s3
	s_mul_i32 s10, s18, s12
	s_add_i32 s11, s3, s11
	s_delay_alu instid0(SALU_CYCLE_1)
	s_lshl_b64 s[10:11], s[10:11], 2
	s_waitcnt lgkmcnt(0)
	s_ashr_i32 s3, s2, 31
	s_add_u32 s6, s6, s10
	s_addc_u32 s7, s7, s11
	s_lshl_b64 s[2:3], s[2:3], 2
	s_delay_alu instid0(SALU_CYCLE_1)
	s_add_u32 s16, s6, s2
	s_addc_u32 s17, s7, s3
.LBB12_3:
	s_load_b128 s[0:3], s[0:1], 0x0
	s_mul_i32 s5, s18, s5
	s_mul_hi_u32 s6, s18, s4
	s_mul_i32 s7, s19, s4
	s_add_i32 s5, s6, s5
	s_mul_i32 s4, s18, s4
	s_add_i32 s5, s5, s7
	v_dual_mov_b32 v1, 0 :: v_dual_lshlrev_b32 v30, 3, v0
	s_lshl_b64 s[4:5], s[4:5], 3
	s_waitcnt lgkmcnt(0)
	v_add3_u32 v4, s3, s3, v0
	s_ashr_i32 s7, s2, 31
	s_mov_b32 s6, s2
	s_add_u32 s2, s0, s4
	s_addc_u32 s5, s1, s5
	v_add_nc_u32_e32 v6, s3, v4
	s_lshl_b64 s[0:1], s[6:7], 3
	v_ashrrev_i32_e32 v5, 31, v4
	s_add_u32 s0, s2, s0
	s_addc_u32 s1, s5, s1
	v_add_co_u32 v60, s2, s0, v30
	v_add_nc_u32_e32 v8, s3, v6
	s_mov_b32 s4, s3
	s_ashr_i32 s5, s3, 31
	v_add_co_ci_u32_e64 v61, null, s1, 0, s2
	v_lshlrev_b64 v[4:5], 3, v[4:5]
	s_lshl_b64 s[4:5], s[4:5], 3
	v_ashrrev_i32_e32 v9, 31, v8
	v_add_co_u32 v64, vcc_lo, v60, s4
	v_add_co_ci_u32_e32 v65, vcc_lo, s5, v61, vcc_lo
	s_delay_alu instid0(VALU_DEP_4)
	v_add_co_u32 v66, vcc_lo, s0, v4
	v_add_co_ci_u32_e32 v67, vcc_lo, s1, v5, vcc_lo
	v_lshlrev_b64 v[4:5], 3, v[8:9]
	v_add_nc_u32_e32 v8, s3, v8
	v_ashrrev_i32_e32 v7, 31, v6
	global_load_b64 v[2:3], v30, s[0:1]
	s_bitcmp0_b32 s8, 0
	v_add_nc_u32_e32 v12, s3, v8
	v_lshlrev_b64 v[6:7], 3, v[6:7]
	v_ashrrev_i32_e32 v9, 31, v8
	s_delay_alu instid0(VALU_DEP_3) | instskip(SKIP_1) | instid1(VALU_DEP_4)
	v_add_nc_u32_e32 v16, s3, v12
	v_ashrrev_i32_e32 v13, 31, v12
	v_add_co_u32 v62, vcc_lo, s0, v6
	s_delay_alu instid0(VALU_DEP_4)
	v_lshlrev_b64 v[14:15], 3, v[8:9]
	v_add_co_ci_u32_e32 v63, vcc_lo, s1, v7, vcc_lo
	v_add_co_u32 v68, vcc_lo, s0, v4
	v_ashrrev_i32_e32 v17, 31, v16
	v_add_nc_u32_e32 v18, s3, v16
	v_add_co_ci_u32_e32 v69, vcc_lo, s1, v5, vcc_lo
	v_lshlrev_b64 v[12:13], 3, v[12:13]
	v_add_co_u32 v70, vcc_lo, s0, v14
	v_add_co_ci_u32_e32 v71, vcc_lo, s1, v15, vcc_lo
	v_lshlrev_b64 v[14:15], 3, v[16:17]
	v_ashrrev_i32_e32 v19, 31, v18
	v_add_nc_u32_e32 v16, s3, v18
	v_add_co_u32 v72, vcc_lo, s0, v12
	v_add_co_ci_u32_e32 v73, vcc_lo, s1, v13, vcc_lo
	s_delay_alu instid0(VALU_DEP_4) | instskip(NEXT) | instid1(VALU_DEP_4)
	v_lshlrev_b64 v[12:13], 3, v[18:19]
	v_ashrrev_i32_e32 v17, 31, v16
	v_add_nc_u32_e32 v18, s3, v16
	v_add_co_u32 v76, vcc_lo, s0, v14
	v_add_co_ci_u32_e32 v77, vcc_lo, s1, v15, vcc_lo
	s_delay_alu instid0(VALU_DEP_4) | instskip(NEXT) | instid1(VALU_DEP_4)
	;; [unrolled: 6-line block ×3, first 2 shown]
	v_lshlrev_b64 v[12:13], 3, v[18:19]
	v_add_nc_u32_e32 v18, s3, v16
	v_ashrrev_i32_e32 v17, 31, v16
	v_add_co_u32 v78, vcc_lo, s0, v14
	v_add_co_ci_u32_e32 v79, vcc_lo, s1, v15, vcc_lo
	s_delay_alu instid0(VALU_DEP_4) | instskip(NEXT) | instid1(VALU_DEP_4)
	v_ashrrev_i32_e32 v19, 31, v18
	v_lshlrev_b64 v[14:15], 3, v[16:17]
	v_add_co_u32 v80, vcc_lo, s0, v12
	v_add_co_ci_u32_e32 v81, vcc_lo, s1, v13, vcc_lo
	s_delay_alu instid0(VALU_DEP_4) | instskip(NEXT) | instid1(VALU_DEP_4)
	v_lshlrev_b64 v[12:13], 3, v[18:19]
	v_add_co_u32 v84, vcc_lo, s0, v14
	v_add_co_ci_u32_e32 v85, vcc_lo, s1, v15, vcc_lo
	s_clause 0x3
	global_load_b64 v[4:5], v[64:65], off
	global_load_b64 v[6:7], v[66:67], off
	;; [unrolled: 1-line block ×4, first 2 shown]
	v_add_co_u32 v82, vcc_lo, s0, v12
	v_add_co_ci_u32_e32 v83, vcc_lo, s1, v13, vcc_lo
	s_clause 0x7
	global_load_b64 v[12:13], v[70:71], off
	global_load_b64 v[14:15], v[72:73], off
	;; [unrolled: 1-line block ×8, first 2 shown]
	s_mov_b32 s0, -1
	s_cbranch_scc1 .LBB12_14
; %bb.4:
	v_cmp_eq_u32_e64 s0, 0, v0
	s_delay_alu instid0(VALU_DEP_1)
	s_and_saveexec_b32 s1, s0
	s_cbranch_execz .LBB12_6
; %bb.5:
	v_mov_b32_e32 v28, 0
	ds_store_b32 v28, v28 offset:104
.LBB12_6:
	s_or_b32 exec_lo, exec_lo, s1
	v_cmp_eq_u32_e32 vcc_lo, 1, v0
	s_mov_b32 s2, exec_lo
	s_waitcnt vmcnt(0) lgkmcnt(0)
	s_barrier
	buffer_gl0_inv
	v_dual_cndmask_b32 v28, v3, v5 :: v_dual_cndmask_b32 v29, v2, v4
	v_cmp_eq_u32_e32 vcc_lo, 2, v0
	s_delay_alu instid0(VALU_DEP_2) | instskip(SKIP_1) | instid1(VALU_DEP_2)
	v_dual_cndmask_b32 v28, v28, v7 :: v_dual_cndmask_b32 v29, v29, v6
	v_cmp_eq_u32_e32 vcc_lo, 3, v0
	v_dual_cndmask_b32 v28, v28, v9 :: v_dual_cndmask_b32 v29, v29, v8
	v_cmp_eq_u32_e32 vcc_lo, 4, v0
	s_delay_alu instid0(VALU_DEP_2) | instskip(SKIP_1) | instid1(VALU_DEP_2)
	v_dual_cndmask_b32 v28, v28, v11 :: v_dual_cndmask_b32 v29, v29, v10
	v_cmp_eq_u32_e32 vcc_lo, 5, v0
	;; [unrolled: 5-line block ×5, first 2 shown]
	v_dual_cndmask_b32 v28, v28, v25 :: v_dual_cndmask_b32 v31, v29, v24
	v_cmp_eq_u32_e32 vcc_lo, 12, v0
	s_delay_alu instid0(VALU_DEP_2) | instskip(NEXT) | instid1(VALU_DEP_1)
	v_dual_cndmask_b32 v29, v28, v27 :: v_dual_cndmask_b32 v28, v31, v26
	v_cmpx_eq_f64_e32 0, v[28:29]
	s_cbranch_execz .LBB12_10
; %bb.7:
	v_mov_b32_e32 v31, 0
	s_mov_b32 s3, 0
	ds_load_b32 v32, v31 offset:104
	s_waitcnt lgkmcnt(0)
	v_readfirstlane_b32 s1, v32
	v_add_nc_u32_e32 v32, 1, v0
	s_delay_alu instid0(VALU_DEP_2) | instskip(NEXT) | instid1(VALU_DEP_1)
	s_cmp_eq_u32 s1, 0
	v_cmp_gt_i32_e32 vcc_lo, s1, v32
	s_cselect_b32 s4, -1, 0
	s_delay_alu instid0(SALU_CYCLE_1) | instskip(NEXT) | instid1(SALU_CYCLE_1)
	s_or_b32 s4, s4, vcc_lo
	s_and_b32 exec_lo, exec_lo, s4
	s_cbranch_execz .LBB12_10
; %bb.8:
	v_mov_b32_e32 v33, s1
.LBB12_9:                               ; =>This Inner Loop Header: Depth=1
	ds_cmpstore_rtn_b32 v33, v31, v32, v33 offset:104
	s_waitcnt lgkmcnt(0)
	v_cmp_ne_u32_e32 vcc_lo, 0, v33
	v_cmp_le_i32_e64 s1, v33, v32
	s_delay_alu instid0(VALU_DEP_1) | instskip(NEXT) | instid1(SALU_CYCLE_1)
	s_and_b32 s1, vcc_lo, s1
	s_and_b32 s1, exec_lo, s1
	s_delay_alu instid0(SALU_CYCLE_1) | instskip(NEXT) | instid1(SALU_CYCLE_1)
	s_or_b32 s3, s1, s3
	s_and_not1_b32 exec_lo, exec_lo, s3
	s_cbranch_execnz .LBB12_9
.LBB12_10:
	s_or_b32 exec_lo, exec_lo, s2
	v_mov_b32_e32 v31, 0
	s_barrier
	buffer_gl0_inv
	ds_load_b32 v32, v31 offset:104
	s_and_saveexec_b32 s1, s0
	s_cbranch_execz .LBB12_12
; %bb.11:
	s_lshl_b64 s[2:3], s[18:19], 2
	s_delay_alu instid0(SALU_CYCLE_1)
	s_add_u32 s2, s14, s2
	s_addc_u32 s3, s15, s3
	s_waitcnt lgkmcnt(0)
	global_store_b32 v31, v32, s[2:3]
.LBB12_12:
	s_or_b32 exec_lo, exec_lo, s1
	s_waitcnt lgkmcnt(0)
	v_cmp_ne_u32_e32 vcc_lo, 0, v32
	s_cbranch_vccz .LBB12_17
; %bb.13:
	s_mov_b32 s0, 0
                                        ; implicit-def: $vgpr2_vgpr3_vgpr4_vgpr5_vgpr6_vgpr7_vgpr8_vgpr9_vgpr10_vgpr11_vgpr12_vgpr13_vgpr14_vgpr15_vgpr16_vgpr17_vgpr18_vgpr19_vgpr20_vgpr21_vgpr22_vgpr23_vgpr24_vgpr25_vgpr26_vgpr27_vgpr28_vgpr29_vgpr30_vgpr31_vgpr32_vgpr33
.LBB12_14:
	s_delay_alu instid0(SALU_CYCLE_1)
	s_and_b32 vcc_lo, exec_lo, s0
	s_cbranch_vccz .LBB12_16
.LBB12_15:
	s_lshl_b64 s[0:1], s[18:19], 2
	v_mov_b32_e32 v1, 0
	s_add_u32 s0, s14, s0
	s_addc_u32 s1, s15, s1
	global_load_b32 v1, v1, s[0:1]
	s_waitcnt vmcnt(0)
	v_cmp_ne_u32_e32 vcc_lo, 0, v1
	s_cbranch_vccz .LBB12_76
.LBB12_16:
	s_nop 0
	s_sendmsg sendmsg(MSG_DEALLOC_VGPRS)
	s_endpgm
.LBB12_17:
	v_div_scale_f64 v[31:32], null, v[28:29], v[28:29], 1.0
	v_div_scale_f64 v[37:38], vcc_lo, 1.0, v[28:29], 1.0
	v_cmp_eq_u32_e64 s1, 10, v0
	v_cmp_eq_u32_e64 s2, 9, v0
	;; [unrolled: 1-line block ×11, first 2 shown]
	v_rcp_f64_e32 v[33:34], v[31:32]
	s_waitcnt_depctr 0xfff
	v_fma_f64 v[35:36], -v[31:32], v[33:34], 1.0
	s_delay_alu instid0(VALU_DEP_1) | instskip(NEXT) | instid1(VALU_DEP_1)
	v_fma_f64 v[33:34], v[33:34], v[35:36], v[33:34]
	v_fma_f64 v[35:36], -v[31:32], v[33:34], 1.0
	s_delay_alu instid0(VALU_DEP_1) | instskip(NEXT) | instid1(VALU_DEP_1)
	v_fma_f64 v[33:34], v[33:34], v[35:36], v[33:34]
	v_mul_f64 v[35:36], v[37:38], v[33:34]
	s_delay_alu instid0(VALU_DEP_1) | instskip(NEXT) | instid1(VALU_DEP_1)
	v_fma_f64 v[31:32], -v[31:32], v[35:36], v[37:38]
	v_div_fmas_f64 v[31:32], v[31:32], v[33:34], v[35:36]
	v_cmp_eq_u32_e32 vcc_lo, 11, v0
	s_delay_alu instid0(VALU_DEP_2) | instskip(NEXT) | instid1(VALU_DEP_1)
	v_div_fixup_f64 v[28:29], v[31:32], v[28:29], 1.0
	v_dual_cndmask_b32 v25, v25, v29 :: v_dual_add_nc_u32 v32, 0x70, v30
	s_delay_alu instid0(VALU_DEP_2)
	v_cndmask_b32_e32 v24, v24, v28, vcc_lo
	v_cmp_eq_u32_e32 vcc_lo, 2, v0
	v_cndmask_b32_e64 v27, v27, v29, s8
	v_cndmask_b32_e64 v26, v26, v28, s8
	;; [unrolled: 1-line block ×4, first 2 shown]
	v_cndmask_b32_e32 v7, v7, v29, vcc_lo
	v_cndmask_b32_e64 v21, v21, v29, s2
	v_cndmask_b32_e64 v20, v20, v28, s2
	;; [unrolled: 1-line block ×16, first 2 shown]
	v_xor_b32_e32 v34, 0x80000000, v29
	v_dual_mov_b32 v33, v28 :: v_dual_cndmask_b32 v6, v6, v28
	v_cndmask_b32_e64 v3, v3, v29, s11
	v_cndmask_b32_e64 v2, v2, v28, s11
	ds_store_2addr_b64 v30, v[33:34], v[4:5] offset1:14
	s_waitcnt lgkmcnt(0)
	s_waitcnt_vscnt null, 0x0
	s_barrier
	buffer_gl0_inv
	s_and_saveexec_b32 s1, s0
	s_cbranch_execz .LBB12_19
; %bb.18:
	ds_load_b64 v[4:5], v32
	v_mov_b32_e32 v30, 0
	ds_load_b64 v[30:31], v30 offset:8
	s_waitcnt lgkmcnt(1)
	v_fma_f64 v[4:5], v[28:29], v[4:5], 0
	s_waitcnt lgkmcnt(0)
	s_delay_alu instid0(VALU_DEP_1)
	v_mul_f64 v[4:5], v[4:5], v[30:31]
.LBB12_19:
	s_or_b32 exec_lo, exec_lo, s1
	v_cmp_gt_u32_e32 vcc_lo, 2, v0
	s_barrier
	buffer_gl0_inv
	ds_store_b64 v32, v[6:7]
	s_waitcnt lgkmcnt(0)
	s_barrier
	buffer_gl0_inv
	s_and_saveexec_b32 s2, vcc_lo
	s_cbranch_execz .LBB12_23
; %bb.20:
	v_cmp_eq_u32_e64 s1, 1, v0
	s_delay_alu instid0(VALU_DEP_1) | instskip(SKIP_2) | instid1(VALU_DEP_1)
	v_cndmask_b32_e64 v28, v3, v5, s1
	v_cndmask_b32_e64 v29, v2, v4, s1
	v_cmp_eq_u32_e64 s1, 2, v0
	v_cndmask_b32_e64 v7, v28, v7, s1
	s_delay_alu instid0(VALU_DEP_3) | instskip(SKIP_1) | instid1(VALU_DEP_1)
	v_cndmask_b32_e64 v6, v29, v6, s1
	v_cmp_eq_u32_e64 s1, 3, v0
	v_cndmask_b32_e64 v7, v7, v9, s1
	s_delay_alu instid0(VALU_DEP_3) | instskip(SKIP_1) | instid1(VALU_DEP_1)
	;; [unrolled: 4-line block ×7, first 2 shown]
	v_cndmask_b32_e64 v6, v6, v18, s1
	v_cmp_eq_u32_e64 s1, 9, v0
	v_cndmask_b32_e64 v28, v7, v21, s1
	s_delay_alu instid0(VALU_DEP_3)
	v_cndmask_b32_e64 v29, v6, v20, s1
	v_cmp_eq_u32_e64 s1, 10, v0
	ds_load_b64 v[6:7], v32
	v_cndmask_b32_e64 v28, v28, v23, s1
	v_cndmask_b32_e64 v29, v29, v22, s1
	v_cmp_eq_u32_e64 s1, 11, v0
	s_delay_alu instid0(VALU_DEP_1) | instskip(NEXT) | instid1(VALU_DEP_3)
	v_cndmask_b32_e64 v28, v28, v25, s1
	v_cndmask_b32_e64 v30, v29, v24, s1
	v_cmp_eq_u32_e64 s1, 12, v0
	s_delay_alu instid0(VALU_DEP_1) | instskip(NEXT) | instid1(VALU_DEP_3)
	v_cndmask_b32_e64 v29, v28, v27, s1
	v_cndmask_b32_e64 v28, v30, v26, s1
	s_waitcnt lgkmcnt(0)
	s_delay_alu instid0(VALU_DEP_1)
	v_fma_f64 v[6:7], v[28:29], v[6:7], 0
	s_and_saveexec_b32 s1, s0
	s_cbranch_execz .LBB12_22
; %bb.21:
	v_mov_b32_e32 v28, 0
	ds_load_b64 v[28:29], v28 offset:120
	s_waitcnt lgkmcnt(0)
	v_fma_f64 v[6:7], v[4:5], v[28:29], v[6:7]
.LBB12_22:
	s_or_b32 exec_lo, exec_lo, s1
	v_mov_b32_e32 v28, 0
	ds_load_b64 v[28:29], v28 offset:16
	s_waitcnt lgkmcnt(0)
	v_mul_f64 v[6:7], v[6:7], v[28:29]
.LBB12_23:
	s_or_b32 exec_lo, exec_lo, s2
	s_delay_alu instid0(SALU_CYCLE_1)
	s_mov_b32 s3, exec_lo
	s_barrier
	buffer_gl0_inv
	ds_store_b64 v32, v[8:9]
	s_waitcnt lgkmcnt(0)
	s_barrier
	buffer_gl0_inv
	v_cmpx_gt_u32_e32 3, v0
	s_cbranch_execz .LBB12_27
; %bb.24:
	v_dual_mov_b32 v28, 0 :: v_dual_mov_b32 v31, v1
	v_lshl_add_u32 v33, v0, 3, 0x70
	v_dual_mov_b32 v29, 0 :: v_dual_mov_b32 v30, v0
	s_mov_b32 s4, 0
.LBB12_25:                              ; =>This Inner Loop Header: Depth=1
	s_delay_alu instid0(VALU_DEP_1) | instskip(SKIP_1) | instid1(VALU_DEP_2)
	v_cmp_eq_u32_e64 s1, 1, v30
	v_cmp_eq_u32_e64 s2, 2, v30
	v_cndmask_b32_e64 v34, v3, v5, s1
	v_cndmask_b32_e64 v35, v2, v4, s1
	v_cmp_eq_u32_e64 s1, 3, v30
	s_delay_alu instid0(VALU_DEP_3) | instskip(NEXT) | instid1(VALU_DEP_3)
	v_cndmask_b32_e64 v34, v34, v7, s2
	v_cndmask_b32_e64 v35, v35, v6, s2
	v_cmp_eq_u32_e64 s2, 4, v30
	s_delay_alu instid0(VALU_DEP_3) | instskip(NEXT) | instid1(VALU_DEP_3)
	;; [unrolled: 4-line block ×7, first 2 shown]
	v_cndmask_b32_e64 v36, v34, v19, s2
	v_cndmask_b32_e64 v37, v35, v18, s2
	ds_load_b64 v[34:35], v33
	v_cmp_eq_u32_e64 s2, 10, v30
	v_add_nc_u32_e32 v33, 8, v33
	v_cndmask_b32_e64 v36, v36, v21, s1
	v_cndmask_b32_e64 v37, v37, v20, s1
	v_cmp_eq_u32_e64 s1, 11, v30
	s_delay_alu instid0(VALU_DEP_3) | instskip(NEXT) | instid1(VALU_DEP_3)
	v_cndmask_b32_e64 v36, v36, v23, s2
	v_cndmask_b32_e64 v37, v37, v22, s2
	v_cmp_eq_u32_e64 s2, 12, v30
	s_delay_alu instid0(VALU_DEP_3) | instskip(NEXT) | instid1(VALU_DEP_3)
	v_cndmask_b32_e64 v36, v36, v25, s1
	v_cndmask_b32_e64 v38, v37, v24, s1
	v_add_co_u32 v30, s1, v30, 1
	s_delay_alu instid0(VALU_DEP_1) | instskip(NEXT) | instid1(VALU_DEP_4)
	v_add_co_ci_u32_e64 v31, s1, 0, v31, s1
	v_cndmask_b32_e64 v37, v36, v27, s2
	s_delay_alu instid0(VALU_DEP_4) | instskip(SKIP_1) | instid1(VALU_DEP_1)
	v_cndmask_b32_e64 v36, v38, v26, s2
	s_waitcnt lgkmcnt(0)
	v_fma_f64 v[28:29], v[36:37], v[34:35], v[28:29]
	v_add_nc_u32_e32 v34, -1, v30
	s_delay_alu instid0(VALU_DEP_1) | instskip(NEXT) | instid1(VALU_DEP_1)
	v_cmp_lt_u32_e64 s1, 1, v34
	s_or_b32 s4, s1, s4
	s_delay_alu instid0(SALU_CYCLE_1)
	s_and_not1_b32 exec_lo, exec_lo, s4
	s_cbranch_execnz .LBB12_25
; %bb.26:
	s_or_b32 exec_lo, exec_lo, s4
	v_mov_b32_e32 v8, 0
	ds_load_b64 v[8:9], v8 offset:24
	s_waitcnt lgkmcnt(0)
	v_mul_f64 v[8:9], v[28:29], v[8:9]
.LBB12_27:
	s_or_b32 exec_lo, exec_lo, s3
	v_cmp_gt_u32_e64 s1, 4, v0
	s_barrier
	buffer_gl0_inv
	ds_store_b64 v32, v[10:11]
	s_waitcnt lgkmcnt(0)
	s_barrier
	buffer_gl0_inv
	s_and_saveexec_b32 s4, s1
	s_cbranch_execz .LBB12_31
; %bb.28:
	v_dual_mov_b32 v28, 0 :: v_dual_mov_b32 v31, v1
	v_lshl_add_u32 v33, v0, 3, 0x70
	v_dual_mov_b32 v29, 0 :: v_dual_mov_b32 v30, v0
	s_mov_b32 s5, 0
.LBB12_29:                              ; =>This Inner Loop Header: Depth=1
	s_delay_alu instid0(VALU_DEP_1) | instskip(SKIP_1) | instid1(VALU_DEP_2)
	v_cmp_eq_u32_e64 s2, 1, v30
	v_cmp_eq_u32_e64 s3, 2, v30
	v_cndmask_b32_e64 v34, v3, v5, s2
	v_cndmask_b32_e64 v35, v2, v4, s2
	v_cmp_eq_u32_e64 s2, 3, v30
	s_delay_alu instid0(VALU_DEP_3) | instskip(NEXT) | instid1(VALU_DEP_3)
	v_cndmask_b32_e64 v34, v34, v7, s3
	v_cndmask_b32_e64 v35, v35, v6, s3
	v_cmp_eq_u32_e64 s3, 4, v30
	s_delay_alu instid0(VALU_DEP_3) | instskip(NEXT) | instid1(VALU_DEP_3)
	;; [unrolled: 4-line block ×7, first 2 shown]
	v_cndmask_b32_e64 v36, v34, v19, s3
	v_cndmask_b32_e64 v37, v35, v18, s3
	ds_load_b64 v[34:35], v33
	v_cmp_eq_u32_e64 s3, 10, v30
	v_add_nc_u32_e32 v33, 8, v33
	v_cndmask_b32_e64 v36, v36, v21, s2
	v_cndmask_b32_e64 v37, v37, v20, s2
	v_cmp_eq_u32_e64 s2, 11, v30
	s_delay_alu instid0(VALU_DEP_3) | instskip(NEXT) | instid1(VALU_DEP_3)
	v_cndmask_b32_e64 v36, v36, v23, s3
	v_cndmask_b32_e64 v37, v37, v22, s3
	v_cmp_eq_u32_e64 s3, 12, v30
	s_delay_alu instid0(VALU_DEP_3) | instskip(NEXT) | instid1(VALU_DEP_3)
	v_cndmask_b32_e64 v36, v36, v25, s2
	v_cndmask_b32_e64 v38, v37, v24, s2
	v_add_co_u32 v30, s2, v30, 1
	s_delay_alu instid0(VALU_DEP_1) | instskip(NEXT) | instid1(VALU_DEP_4)
	v_add_co_ci_u32_e64 v31, s2, 0, v31, s2
	v_cndmask_b32_e64 v37, v36, v27, s3
	s_delay_alu instid0(VALU_DEP_4) | instskip(SKIP_1) | instid1(VALU_DEP_1)
	v_cndmask_b32_e64 v36, v38, v26, s3
	s_waitcnt lgkmcnt(0)
	v_fma_f64 v[28:29], v[36:37], v[34:35], v[28:29]
	v_add_nc_u32_e32 v34, -1, v30
	s_delay_alu instid0(VALU_DEP_1) | instskip(NEXT) | instid1(VALU_DEP_1)
	v_cmp_lt_u32_e64 s2, 2, v34
	s_or_b32 s5, s2, s5
	s_delay_alu instid0(SALU_CYCLE_1)
	s_and_not1_b32 exec_lo, exec_lo, s5
	s_cbranch_execnz .LBB12_29
; %bb.30:
	s_or_b32 exec_lo, exec_lo, s5
	v_mov_b32_e32 v10, 0
	ds_load_b64 v[10:11], v10 offset:32
	s_waitcnt lgkmcnt(0)
	v_mul_f64 v[10:11], v[28:29], v[10:11]
.LBB12_31:
	s_or_b32 exec_lo, exec_lo, s4
	s_delay_alu instid0(SALU_CYCLE_1)
	s_mov_b32 s4, exec_lo
	s_barrier
	buffer_gl0_inv
	ds_store_b64 v32, v[12:13]
	s_waitcnt lgkmcnt(0)
	s_barrier
	buffer_gl0_inv
	v_cmpx_gt_u32_e32 5, v0
	s_cbranch_execz .LBB12_35
; %bb.32:
	v_dual_mov_b32 v28, 0 :: v_dual_mov_b32 v31, v1
	v_lshl_add_u32 v33, v0, 3, 0x70
	v_dual_mov_b32 v29, 0 :: v_dual_mov_b32 v30, v0
	s_mov_b32 s5, 0
.LBB12_33:                              ; =>This Inner Loop Header: Depth=1
	s_delay_alu instid0(VALU_DEP_1) | instskip(SKIP_1) | instid1(VALU_DEP_2)
	v_cmp_eq_u32_e64 s2, 1, v30
	v_cmp_eq_u32_e64 s3, 2, v30
	v_cndmask_b32_e64 v34, v3, v5, s2
	v_cndmask_b32_e64 v35, v2, v4, s2
	v_cmp_eq_u32_e64 s2, 3, v30
	s_delay_alu instid0(VALU_DEP_3) | instskip(NEXT) | instid1(VALU_DEP_3)
	v_cndmask_b32_e64 v34, v34, v7, s3
	v_cndmask_b32_e64 v35, v35, v6, s3
	v_cmp_eq_u32_e64 s3, 4, v30
	s_delay_alu instid0(VALU_DEP_3) | instskip(NEXT) | instid1(VALU_DEP_3)
	v_cndmask_b32_e64 v34, v34, v9, s2
	v_cndmask_b32_e64 v35, v35, v8, s2
	v_cmp_eq_u32_e64 s2, 5, v30
	s_delay_alu instid0(VALU_DEP_3) | instskip(NEXT) | instid1(VALU_DEP_3)
	v_cndmask_b32_e64 v34, v34, v11, s3
	v_cndmask_b32_e64 v35, v35, v10, s3
	v_cmp_eq_u32_e64 s3, 6, v30
	s_delay_alu instid0(VALU_DEP_3) | instskip(NEXT) | instid1(VALU_DEP_3)
	v_cndmask_b32_e64 v34, v34, v13, s2
	v_cndmask_b32_e64 v35, v35, v12, s2
	v_cmp_eq_u32_e64 s2, 7, v30
	s_delay_alu instid0(VALU_DEP_3) | instskip(NEXT) | instid1(VALU_DEP_3)
	v_cndmask_b32_e64 v34, v34, v15, s3
	v_cndmask_b32_e64 v35, v35, v14, s3
	v_cmp_eq_u32_e64 s3, 8, v30
	s_delay_alu instid0(VALU_DEP_3) | instskip(NEXT) | instid1(VALU_DEP_3)
	v_cndmask_b32_e64 v34, v34, v17, s2
	v_cndmask_b32_e64 v35, v35, v16, s2
	v_cmp_eq_u32_e64 s2, 9, v30
	s_delay_alu instid0(VALU_DEP_3) | instskip(NEXT) | instid1(VALU_DEP_3)
	v_cndmask_b32_e64 v36, v34, v19, s3
	v_cndmask_b32_e64 v37, v35, v18, s3
	ds_load_b64 v[34:35], v33
	v_cmp_eq_u32_e64 s3, 10, v30
	v_add_nc_u32_e32 v33, 8, v33
	v_cndmask_b32_e64 v36, v36, v21, s2
	v_cndmask_b32_e64 v37, v37, v20, s2
	v_cmp_eq_u32_e64 s2, 11, v30
	s_delay_alu instid0(VALU_DEP_3) | instskip(NEXT) | instid1(VALU_DEP_3)
	v_cndmask_b32_e64 v36, v36, v23, s3
	v_cndmask_b32_e64 v37, v37, v22, s3
	v_cmp_eq_u32_e64 s3, 12, v30
	s_delay_alu instid0(VALU_DEP_3) | instskip(NEXT) | instid1(VALU_DEP_3)
	v_cndmask_b32_e64 v36, v36, v25, s2
	v_cndmask_b32_e64 v38, v37, v24, s2
	v_add_co_u32 v30, s2, v30, 1
	s_delay_alu instid0(VALU_DEP_1) | instskip(NEXT) | instid1(VALU_DEP_4)
	v_add_co_ci_u32_e64 v31, s2, 0, v31, s2
	v_cndmask_b32_e64 v37, v36, v27, s3
	s_delay_alu instid0(VALU_DEP_4) | instskip(SKIP_1) | instid1(VALU_DEP_1)
	v_cndmask_b32_e64 v36, v38, v26, s3
	s_waitcnt lgkmcnt(0)
	v_fma_f64 v[28:29], v[36:37], v[34:35], v[28:29]
	v_add_nc_u32_e32 v34, -1, v30
	s_delay_alu instid0(VALU_DEP_1) | instskip(NEXT) | instid1(VALU_DEP_1)
	v_cmp_lt_u32_e64 s2, 3, v34
	s_or_b32 s5, s2, s5
	s_delay_alu instid0(SALU_CYCLE_1)
	s_and_not1_b32 exec_lo, exec_lo, s5
	s_cbranch_execnz .LBB12_33
; %bb.34:
	s_or_b32 exec_lo, exec_lo, s5
	v_mov_b32_e32 v12, 0
	ds_load_b64 v[12:13], v12 offset:40
	s_waitcnt lgkmcnt(0)
	v_mul_f64 v[12:13], v[28:29], v[12:13]
.LBB12_35:
	s_or_b32 exec_lo, exec_lo, s4
	v_cmp_gt_u32_e64 s2, 6, v0
	s_barrier
	buffer_gl0_inv
	ds_store_b64 v32, v[14:15]
	s_waitcnt lgkmcnt(0)
	s_barrier
	buffer_gl0_inv
	s_and_saveexec_b32 s5, s2
	s_cbranch_execz .LBB12_39
; %bb.36:
	v_dual_mov_b32 v28, 0 :: v_dual_mov_b32 v31, v1
	v_lshl_add_u32 v33, v0, 3, 0x70
	v_dual_mov_b32 v29, 0 :: v_dual_mov_b32 v30, v0
	s_mov_b32 s6, 0
.LBB12_37:                              ; =>This Inner Loop Header: Depth=1
	s_delay_alu instid0(VALU_DEP_1) | instskip(SKIP_1) | instid1(VALU_DEP_2)
	v_cmp_eq_u32_e64 s3, 1, v30
	v_cmp_eq_u32_e64 s4, 2, v30
	v_cndmask_b32_e64 v34, v3, v5, s3
	v_cndmask_b32_e64 v35, v2, v4, s3
	v_cmp_eq_u32_e64 s3, 3, v30
	s_delay_alu instid0(VALU_DEP_3) | instskip(NEXT) | instid1(VALU_DEP_3)
	v_cndmask_b32_e64 v34, v34, v7, s4
	v_cndmask_b32_e64 v35, v35, v6, s4
	v_cmp_eq_u32_e64 s4, 4, v30
	s_delay_alu instid0(VALU_DEP_3) | instskip(NEXT) | instid1(VALU_DEP_3)
	;; [unrolled: 4-line block ×7, first 2 shown]
	v_cndmask_b32_e64 v36, v34, v19, s4
	v_cndmask_b32_e64 v37, v35, v18, s4
	ds_load_b64 v[34:35], v33
	v_cmp_eq_u32_e64 s4, 10, v30
	v_add_nc_u32_e32 v33, 8, v33
	v_cndmask_b32_e64 v36, v36, v21, s3
	v_cndmask_b32_e64 v37, v37, v20, s3
	v_cmp_eq_u32_e64 s3, 11, v30
	s_delay_alu instid0(VALU_DEP_3) | instskip(NEXT) | instid1(VALU_DEP_3)
	v_cndmask_b32_e64 v36, v36, v23, s4
	v_cndmask_b32_e64 v37, v37, v22, s4
	v_cmp_eq_u32_e64 s4, 12, v30
	s_delay_alu instid0(VALU_DEP_3) | instskip(NEXT) | instid1(VALU_DEP_3)
	v_cndmask_b32_e64 v36, v36, v25, s3
	v_cndmask_b32_e64 v38, v37, v24, s3
	v_add_co_u32 v30, s3, v30, 1
	s_delay_alu instid0(VALU_DEP_1) | instskip(NEXT) | instid1(VALU_DEP_4)
	v_add_co_ci_u32_e64 v31, s3, 0, v31, s3
	v_cndmask_b32_e64 v37, v36, v27, s4
	s_delay_alu instid0(VALU_DEP_4) | instskip(SKIP_1) | instid1(VALU_DEP_1)
	v_cndmask_b32_e64 v36, v38, v26, s4
	s_waitcnt lgkmcnt(0)
	v_fma_f64 v[28:29], v[36:37], v[34:35], v[28:29]
	v_add_nc_u32_e32 v34, -1, v30
	s_delay_alu instid0(VALU_DEP_1) | instskip(NEXT) | instid1(VALU_DEP_1)
	v_cmp_lt_u32_e64 s3, 4, v34
	s_or_b32 s6, s3, s6
	s_delay_alu instid0(SALU_CYCLE_1)
	s_and_not1_b32 exec_lo, exec_lo, s6
	s_cbranch_execnz .LBB12_37
; %bb.38:
	s_or_b32 exec_lo, exec_lo, s6
	v_mov_b32_e32 v14, 0
	ds_load_b64 v[14:15], v14 offset:48
	s_waitcnt lgkmcnt(0)
	v_mul_f64 v[14:15], v[28:29], v[14:15]
.LBB12_39:
	s_or_b32 exec_lo, exec_lo, s5
	s_delay_alu instid0(SALU_CYCLE_1)
	s_mov_b32 s5, exec_lo
	s_barrier
	buffer_gl0_inv
	ds_store_b64 v32, v[16:17]
	s_waitcnt lgkmcnt(0)
	s_barrier
	buffer_gl0_inv
	v_cmpx_gt_u32_e32 7, v0
	s_cbranch_execz .LBB12_43
; %bb.40:
	v_dual_mov_b32 v28, 0 :: v_dual_mov_b32 v31, v1
	v_lshl_add_u32 v33, v0, 3, 0x70
	v_dual_mov_b32 v29, 0 :: v_dual_mov_b32 v30, v0
	s_mov_b32 s6, 0
.LBB12_41:                              ; =>This Inner Loop Header: Depth=1
	s_delay_alu instid0(VALU_DEP_1) | instskip(SKIP_1) | instid1(VALU_DEP_2)
	v_cmp_eq_u32_e64 s3, 1, v30
	v_cmp_eq_u32_e64 s4, 2, v30
	v_cndmask_b32_e64 v34, v3, v5, s3
	v_cndmask_b32_e64 v35, v2, v4, s3
	v_cmp_eq_u32_e64 s3, 3, v30
	s_delay_alu instid0(VALU_DEP_3) | instskip(NEXT) | instid1(VALU_DEP_3)
	v_cndmask_b32_e64 v34, v34, v7, s4
	v_cndmask_b32_e64 v35, v35, v6, s4
	v_cmp_eq_u32_e64 s4, 4, v30
	s_delay_alu instid0(VALU_DEP_3) | instskip(NEXT) | instid1(VALU_DEP_3)
	v_cndmask_b32_e64 v34, v34, v9, s3
	v_cndmask_b32_e64 v35, v35, v8, s3
	v_cmp_eq_u32_e64 s3, 5, v30
	s_delay_alu instid0(VALU_DEP_3) | instskip(NEXT) | instid1(VALU_DEP_3)
	v_cndmask_b32_e64 v34, v34, v11, s4
	v_cndmask_b32_e64 v35, v35, v10, s4
	v_cmp_eq_u32_e64 s4, 6, v30
	s_delay_alu instid0(VALU_DEP_3) | instskip(NEXT) | instid1(VALU_DEP_3)
	v_cndmask_b32_e64 v34, v34, v13, s3
	v_cndmask_b32_e64 v35, v35, v12, s3
	v_cmp_eq_u32_e64 s3, 7, v30
	s_delay_alu instid0(VALU_DEP_3) | instskip(NEXT) | instid1(VALU_DEP_3)
	v_cndmask_b32_e64 v34, v34, v15, s4
	v_cndmask_b32_e64 v35, v35, v14, s4
	v_cmp_eq_u32_e64 s4, 8, v30
	s_delay_alu instid0(VALU_DEP_3) | instskip(NEXT) | instid1(VALU_DEP_3)
	v_cndmask_b32_e64 v34, v34, v17, s3
	v_cndmask_b32_e64 v35, v35, v16, s3
	v_cmp_eq_u32_e64 s3, 9, v30
	s_delay_alu instid0(VALU_DEP_3) | instskip(NEXT) | instid1(VALU_DEP_3)
	v_cndmask_b32_e64 v36, v34, v19, s4
	v_cndmask_b32_e64 v37, v35, v18, s4
	ds_load_b64 v[34:35], v33
	v_cmp_eq_u32_e64 s4, 10, v30
	v_add_nc_u32_e32 v33, 8, v33
	v_cndmask_b32_e64 v36, v36, v21, s3
	v_cndmask_b32_e64 v37, v37, v20, s3
	v_cmp_eq_u32_e64 s3, 11, v30
	s_delay_alu instid0(VALU_DEP_3) | instskip(NEXT) | instid1(VALU_DEP_3)
	v_cndmask_b32_e64 v36, v36, v23, s4
	v_cndmask_b32_e64 v37, v37, v22, s4
	v_cmp_eq_u32_e64 s4, 12, v30
	s_delay_alu instid0(VALU_DEP_3) | instskip(NEXT) | instid1(VALU_DEP_3)
	v_cndmask_b32_e64 v36, v36, v25, s3
	v_cndmask_b32_e64 v38, v37, v24, s3
	v_add_co_u32 v30, s3, v30, 1
	s_delay_alu instid0(VALU_DEP_1) | instskip(NEXT) | instid1(VALU_DEP_4)
	v_add_co_ci_u32_e64 v31, s3, 0, v31, s3
	v_cndmask_b32_e64 v37, v36, v27, s4
	s_delay_alu instid0(VALU_DEP_4) | instskip(SKIP_1) | instid1(VALU_DEP_1)
	v_cndmask_b32_e64 v36, v38, v26, s4
	s_waitcnt lgkmcnt(0)
	v_fma_f64 v[28:29], v[36:37], v[34:35], v[28:29]
	v_add_nc_u32_e32 v34, -1, v30
	s_delay_alu instid0(VALU_DEP_1) | instskip(NEXT) | instid1(VALU_DEP_1)
	v_cmp_lt_u32_e64 s3, 5, v34
	s_or_b32 s6, s3, s6
	s_delay_alu instid0(SALU_CYCLE_1)
	s_and_not1_b32 exec_lo, exec_lo, s6
	s_cbranch_execnz .LBB12_41
; %bb.42:
	s_or_b32 exec_lo, exec_lo, s6
	v_mov_b32_e32 v16, 0
	ds_load_b64 v[16:17], v16 offset:56
	s_waitcnt lgkmcnt(0)
	v_mul_f64 v[16:17], v[28:29], v[16:17]
.LBB12_43:
	s_or_b32 exec_lo, exec_lo, s5
	s_delay_alu instid0(SALU_CYCLE_1)
	s_mov_b32 s4, exec_lo
	s_barrier
	buffer_gl0_inv
	ds_store_b64 v32, v[18:19]
	s_waitcnt lgkmcnt(0)
	s_barrier
	buffer_gl0_inv
	v_cmpx_gt_u32_e32 8, v0
	s_cbranch_execz .LBB12_59
; %bb.44:
	v_cmp_eq_u32_e64 s3, 1, v0
	s_mov_b32 s5, exec_lo
	s_delay_alu instid0(VALU_DEP_1) | instskip(SKIP_2) | instid1(VALU_DEP_1)
	v_cndmask_b32_e64 v28, v3, v5, s3
	v_cndmask_b32_e64 v29, v2, v4, s3
	v_cmp_eq_u32_e64 s3, 2, v0
	v_cndmask_b32_e64 v28, v28, v7, s3
	s_delay_alu instid0(VALU_DEP_3) | instskip(SKIP_1) | instid1(VALU_DEP_1)
	v_cndmask_b32_e64 v29, v29, v6, s3
	v_cmp_eq_u32_e64 s3, 3, v0
	v_cndmask_b32_e64 v28, v28, v9, s3
	s_delay_alu instid0(VALU_DEP_3) | instskip(SKIP_1) | instid1(VALU_DEP_1)
	;; [unrolled: 4-line block ×7, first 2 shown]
	v_cndmask_b32_e64 v29, v29, v18, s3
	v_cmp_eq_u32_e64 s3, 9, v0
	v_cndmask_b32_e64 v30, v28, v21, s3
	s_delay_alu instid0(VALU_DEP_3)
	v_cndmask_b32_e64 v31, v29, v20, s3
	v_cmp_eq_u32_e64 s3, 10, v0
	ds_load_b64 v[28:29], v32
	v_cndmask_b32_e64 v30, v30, v23, s3
	v_cndmask_b32_e64 v31, v31, v22, s3
	v_cmp_eq_u32_e64 s3, 11, v0
	s_delay_alu instid0(VALU_DEP_1) | instskip(NEXT) | instid1(VALU_DEP_3)
	v_cndmask_b32_e64 v30, v30, v25, s3
	v_cndmask_b32_e64 v33, v31, v24, s3
	v_cmp_eq_u32_e64 s3, 12, v0
	s_delay_alu instid0(VALU_DEP_1) | instskip(NEXT) | instid1(VALU_DEP_3)
	v_cndmask_b32_e64 v31, v30, v27, s3
	v_cndmask_b32_e64 v30, v33, v26, s3
	s_waitcnt lgkmcnt(0)
	s_delay_alu instid0(VALU_DEP_1)
	v_fma_f64 v[28:29], v[30:31], v[28:29], 0
	v_cmpx_ne_u32_e32 7, v0
	s_cbranch_execz .LBB12_58
; %bb.45:
	v_add_nc_u32_e32 v33, 1, v0
	s_delay_alu instid0(VALU_DEP_1) | instskip(NEXT) | instid1(VALU_DEP_1)
	v_cmp_eq_u32_e64 s3, 1, v33
	v_cndmask_b32_e64 v30, v3, v5, s3
	v_cndmask_b32_e64 v31, v2, v4, s3
	v_cmp_eq_u32_e64 s3, 2, v33
	s_delay_alu instid0(VALU_DEP_1) | instskip(NEXT) | instid1(VALU_DEP_3)
	v_cndmask_b32_e64 v30, v30, v7, s3
	v_cndmask_b32_e64 v31, v31, v6, s3
	v_cmp_eq_u32_e64 s3, 3, v33
	s_delay_alu instid0(VALU_DEP_1) | instskip(NEXT) | instid1(VALU_DEP_3)
	;; [unrolled: 4-line block ×8, first 2 shown]
	v_cndmask_b32_e64 v34, v30, v21, s3
	v_cndmask_b32_e64 v35, v31, v20, s3
	v_cmp_eq_u32_e64 s3, 10, v33
	ds_load_b64 v[30:31], v32 offset:8
	v_cndmask_b32_e64 v34, v34, v23, s3
	v_cndmask_b32_e64 v35, v35, v22, s3
	v_cmp_eq_u32_e64 s3, 11, v33
	s_delay_alu instid0(VALU_DEP_1) | instskip(NEXT) | instid1(VALU_DEP_3)
	v_cndmask_b32_e64 v34, v34, v25, s3
	v_cndmask_b32_e64 v35, v35, v24, s3
	v_cmp_eq_u32_e64 s3, 12, v33
	s_delay_alu instid0(VALU_DEP_1) | instskip(NEXT) | instid1(VALU_DEP_3)
	v_cndmask_b32_e64 v34, v34, v27, s3
	v_cndmask_b32_e64 v33, v35, v26, s3
	s_waitcnt lgkmcnt(0)
	s_delay_alu instid0(VALU_DEP_1)
	v_fma_f64 v[28:29], v[33:34], v[30:31], v[28:29]
	s_and_saveexec_b32 s3, s2
	s_cbranch_execz .LBB12_57
; %bb.46:
	v_add_nc_u32_e32 v33, 2, v0
	s_mov_b32 s6, exec_lo
	s_delay_alu instid0(VALU_DEP_1) | instskip(NEXT) | instid1(VALU_DEP_1)
	v_cmp_eq_u32_e64 s2, 1, v33
	v_cndmask_b32_e64 v30, v3, v5, s2
	v_cndmask_b32_e64 v31, v2, v4, s2
	v_cmp_eq_u32_e64 s2, 2, v33
	s_delay_alu instid0(VALU_DEP_1) | instskip(NEXT) | instid1(VALU_DEP_3)
	v_cndmask_b32_e64 v30, v30, v7, s2
	v_cndmask_b32_e64 v31, v31, v6, s2
	v_cmp_eq_u32_e64 s2, 3, v33
	s_delay_alu instid0(VALU_DEP_1) | instskip(NEXT) | instid1(VALU_DEP_3)
	;; [unrolled: 4-line block ×8, first 2 shown]
	v_cndmask_b32_e64 v34, v30, v21, s2
	v_cndmask_b32_e64 v35, v31, v20, s2
	v_cmp_eq_u32_e64 s2, 10, v33
	ds_load_b64 v[30:31], v32 offset:16
	v_cndmask_b32_e64 v34, v34, v23, s2
	v_cndmask_b32_e64 v35, v35, v22, s2
	v_cmp_eq_u32_e64 s2, 11, v33
	s_delay_alu instid0(VALU_DEP_1) | instskip(NEXT) | instid1(VALU_DEP_3)
	v_cndmask_b32_e64 v34, v34, v25, s2
	v_cndmask_b32_e64 v35, v35, v24, s2
	v_cmp_eq_u32_e64 s2, 12, v33
	s_delay_alu instid0(VALU_DEP_1) | instskip(NEXT) | instid1(VALU_DEP_3)
	v_cndmask_b32_e64 v34, v34, v27, s2
	v_cndmask_b32_e64 v33, v35, v26, s2
	s_waitcnt lgkmcnt(0)
	s_delay_alu instid0(VALU_DEP_1)
	v_fma_f64 v[28:29], v[33:34], v[30:31], v[28:29]
	v_cmpx_ne_u32_e32 5, v0
	s_cbranch_execz .LBB12_56
; %bb.47:
	v_add_nc_u32_e32 v33, 3, v0
	s_delay_alu instid0(VALU_DEP_1) | instskip(NEXT) | instid1(VALU_DEP_1)
	v_cmp_eq_u32_e64 s2, 1, v33
	v_cndmask_b32_e64 v30, v3, v5, s2
	v_cndmask_b32_e64 v31, v2, v4, s2
	v_cmp_eq_u32_e64 s2, 2, v33
	s_delay_alu instid0(VALU_DEP_1) | instskip(NEXT) | instid1(VALU_DEP_3)
	v_cndmask_b32_e64 v30, v30, v7, s2
	v_cndmask_b32_e64 v31, v31, v6, s2
	v_cmp_eq_u32_e64 s2, 3, v33
	s_delay_alu instid0(VALU_DEP_1) | instskip(NEXT) | instid1(VALU_DEP_3)
	v_cndmask_b32_e64 v30, v30, v9, s2
	v_cndmask_b32_e64 v31, v31, v8, s2
	v_cmp_eq_u32_e64 s2, 4, v33
	s_delay_alu instid0(VALU_DEP_1) | instskip(NEXT) | instid1(VALU_DEP_3)
	v_cndmask_b32_e64 v30, v30, v11, s2
	v_cndmask_b32_e64 v31, v31, v10, s2
	v_cmp_eq_u32_e64 s2, 5, v33
	s_delay_alu instid0(VALU_DEP_1) | instskip(NEXT) | instid1(VALU_DEP_3)
	v_cndmask_b32_e64 v30, v30, v13, s2
	v_cndmask_b32_e64 v31, v31, v12, s2
	v_cmp_eq_u32_e64 s2, 6, v33
	s_delay_alu instid0(VALU_DEP_1) | instskip(NEXT) | instid1(VALU_DEP_3)
	v_cndmask_b32_e64 v30, v30, v15, s2
	v_cndmask_b32_e64 v31, v31, v14, s2
	v_cmp_eq_u32_e64 s2, 7, v33
	s_delay_alu instid0(VALU_DEP_1) | instskip(NEXT) | instid1(VALU_DEP_3)
	v_cndmask_b32_e64 v30, v30, v17, s2
	v_cndmask_b32_e64 v31, v31, v16, s2
	v_cmp_eq_u32_e64 s2, 8, v33
	s_delay_alu instid0(VALU_DEP_1) | instskip(NEXT) | instid1(VALU_DEP_3)
	v_cndmask_b32_e64 v30, v30, v19, s2
	v_cndmask_b32_e64 v31, v31, v18, s2
	v_cmp_eq_u32_e64 s2, 9, v33
	s_delay_alu instid0(VALU_DEP_1) | instskip(NEXT) | instid1(VALU_DEP_3)
	v_cndmask_b32_e64 v34, v30, v21, s2
	v_cndmask_b32_e64 v35, v31, v20, s2
	v_cmp_eq_u32_e64 s2, 10, v33
	ds_load_b64 v[30:31], v32 offset:24
	v_cndmask_b32_e64 v34, v34, v23, s2
	v_cndmask_b32_e64 v35, v35, v22, s2
	v_cmp_eq_u32_e64 s2, 11, v33
	s_delay_alu instid0(VALU_DEP_1) | instskip(NEXT) | instid1(VALU_DEP_3)
	v_cndmask_b32_e64 v34, v34, v25, s2
	v_cndmask_b32_e64 v35, v35, v24, s2
	v_cmp_eq_u32_e64 s2, 12, v33
	s_delay_alu instid0(VALU_DEP_1) | instskip(NEXT) | instid1(VALU_DEP_3)
	v_cndmask_b32_e64 v34, v34, v27, s2
	v_cndmask_b32_e64 v33, v35, v26, s2
	s_waitcnt lgkmcnt(0)
	s_delay_alu instid0(VALU_DEP_1)
	v_fma_f64 v[28:29], v[33:34], v[30:31], v[28:29]
	s_and_saveexec_b32 s2, s1
	s_cbranch_execz .LBB12_55
; %bb.48:
	v_or_b32_e32 v33, 4, v0
	s_mov_b32 s7, exec_lo
	s_delay_alu instid0(VALU_DEP_1) | instskip(NEXT) | instid1(VALU_DEP_1)
	v_cmp_eq_u32_e64 s1, 1, v33
	v_cndmask_b32_e64 v30, v3, v5, s1
	v_cndmask_b32_e64 v31, v2, v4, s1
	v_cmp_eq_u32_e64 s1, 2, v33
	s_delay_alu instid0(VALU_DEP_1) | instskip(NEXT) | instid1(VALU_DEP_3)
	v_cndmask_b32_e64 v30, v30, v7, s1
	v_cndmask_b32_e64 v31, v31, v6, s1
	v_cmp_eq_u32_e64 s1, 3, v33
	s_delay_alu instid0(VALU_DEP_1) | instskip(NEXT) | instid1(VALU_DEP_3)
	;; [unrolled: 4-line block ×8, first 2 shown]
	v_cndmask_b32_e64 v34, v30, v21, s1
	v_cndmask_b32_e64 v35, v31, v20, s1
	v_cmp_eq_u32_e64 s1, 10, v33
	ds_load_b64 v[30:31], v32 offset:32
	v_cndmask_b32_e64 v34, v34, v23, s1
	v_cndmask_b32_e64 v35, v35, v22, s1
	v_cmp_eq_u32_e64 s1, 11, v33
	s_delay_alu instid0(VALU_DEP_1) | instskip(NEXT) | instid1(VALU_DEP_3)
	v_cndmask_b32_e64 v34, v34, v25, s1
	v_cndmask_b32_e64 v35, v35, v24, s1
	v_cmp_eq_u32_e64 s1, 12, v33
	s_delay_alu instid0(VALU_DEP_1) | instskip(NEXT) | instid1(VALU_DEP_3)
	v_cndmask_b32_e64 v34, v34, v27, s1
	v_cndmask_b32_e64 v33, v35, v26, s1
	s_waitcnt lgkmcnt(0)
	s_delay_alu instid0(VALU_DEP_1)
	v_fma_f64 v[28:29], v[33:34], v[30:31], v[28:29]
	v_cmpx_ne_u32_e32 3, v0
	s_cbranch_execz .LBB12_54
; %bb.49:
	v_add_nc_u32_e32 v33, 5, v0
	s_delay_alu instid0(VALU_DEP_1) | instskip(NEXT) | instid1(VALU_DEP_1)
	v_cmp_eq_u32_e64 s1, 1, v33
	v_cndmask_b32_e64 v30, v3, v5, s1
	v_cndmask_b32_e64 v31, v2, v4, s1
	v_cmp_eq_u32_e64 s1, 2, v33
	s_delay_alu instid0(VALU_DEP_1) | instskip(NEXT) | instid1(VALU_DEP_3)
	v_cndmask_b32_e64 v30, v30, v7, s1
	v_cndmask_b32_e64 v31, v31, v6, s1
	v_cmp_eq_u32_e64 s1, 3, v33
	s_delay_alu instid0(VALU_DEP_1) | instskip(NEXT) | instid1(VALU_DEP_3)
	;; [unrolled: 4-line block ×8, first 2 shown]
	v_cndmask_b32_e64 v34, v30, v21, s1
	v_cndmask_b32_e64 v35, v31, v20, s1
	v_cmp_eq_u32_e64 s1, 10, v33
	ds_load_b64 v[30:31], v32 offset:40
	v_cndmask_b32_e64 v34, v34, v23, s1
	v_cndmask_b32_e64 v35, v35, v22, s1
	v_cmp_eq_u32_e64 s1, 11, v33
	s_delay_alu instid0(VALU_DEP_1) | instskip(NEXT) | instid1(VALU_DEP_3)
	v_cndmask_b32_e64 v34, v34, v25, s1
	v_cndmask_b32_e64 v35, v35, v24, s1
	v_cmp_eq_u32_e64 s1, 12, v33
	s_delay_alu instid0(VALU_DEP_1) | instskip(NEXT) | instid1(VALU_DEP_3)
	v_cndmask_b32_e64 v34, v34, v27, s1
	v_cndmask_b32_e64 v33, v35, v26, s1
	s_waitcnt lgkmcnt(0)
	s_delay_alu instid0(VALU_DEP_1)
	v_fma_f64 v[28:29], v[33:34], v[30:31], v[28:29]
	s_and_saveexec_b32 s1, vcc_lo
	s_cbranch_execz .LBB12_53
; %bb.50:
	v_or_b32_e32 v30, 6, v0
	s_delay_alu instid0(VALU_DEP_1) | instskip(SKIP_3) | instid1(VALU_DEP_3)
	v_cmp_eq_u32_e32 vcc_lo, 1, v30
	v_cndmask_b32_e32 v31, v3, v5, vcc_lo
	v_cndmask_b32_e32 v33, v2, v4, vcc_lo
	v_cmp_eq_u32_e32 vcc_lo, 2, v30
	v_cndmask_b32_e32 v31, v31, v7, vcc_lo
	s_delay_alu instid0(VALU_DEP_3) | instskip(SKIP_1) | instid1(VALU_DEP_3)
	v_cndmask_b32_e32 v33, v33, v6, vcc_lo
	v_cmp_eq_u32_e32 vcc_lo, 3, v30
	v_cndmask_b32_e32 v31, v31, v9, vcc_lo
	s_delay_alu instid0(VALU_DEP_3) | instskip(SKIP_1) | instid1(VALU_DEP_3)
	;; [unrolled: 4-line block ×5, first 2 shown]
	v_cndmask_b32_e32 v33, v33, v14, vcc_lo
	v_cmp_eq_u32_e32 vcc_lo, 7, v30
	v_cndmask_b32_e32 v31, v31, v17, vcc_lo
	s_delay_alu instid0(VALU_DEP_3) | instskip(SKIP_1) | instid1(VALU_DEP_2)
	v_cndmask_b32_e32 v33, v33, v16, vcc_lo
	v_cmp_eq_u32_e32 vcc_lo, 8, v30
	v_dual_cndmask_b32 v19, v31, v19 :: v_dual_cndmask_b32 v18, v33, v18
	v_cmp_eq_u32_e32 vcc_lo, 9, v30
	s_delay_alu instid0(VALU_DEP_2) | instskip(NEXT) | instid1(VALU_DEP_3)
	v_cndmask_b32_e32 v31, v19, v21, vcc_lo
	v_cndmask_b32_e32 v33, v18, v20, vcc_lo
	v_cmp_eq_u32_e32 vcc_lo, 10, v30
	ds_load_b64 v[18:19], v32 offset:48
	v_cndmask_b32_e32 v31, v31, v23, vcc_lo
	v_cndmask_b32_e32 v33, v33, v22, vcc_lo
	v_cmp_eq_u32_e32 vcc_lo, 11, v30
	s_delay_alu instid0(VALU_DEP_3) | instskip(NEXT) | instid1(VALU_DEP_3)
	v_cndmask_b32_e32 v31, v31, v25, vcc_lo
	v_cndmask_b32_e32 v33, v33, v24, vcc_lo
	v_cmp_eq_u32_e32 vcc_lo, 12, v30
	s_delay_alu instid0(VALU_DEP_2) | instskip(SKIP_1) | instid1(VALU_DEP_1)
	v_dual_cndmask_b32 v30, v33, v26 :: v_dual_cndmask_b32 v31, v31, v27
	s_waitcnt lgkmcnt(0)
	v_fma_f64 v[28:29], v[30:31], v[18:19], v[28:29]
	s_and_saveexec_b32 s8, s0
	s_cbranch_execz .LBB12_52
; %bb.51:
	ds_load_b64 v[18:19], v32 offset:56
	s_waitcnt lgkmcnt(0)
	v_fma_f64 v[28:29], v[16:17], v[18:19], v[28:29]
.LBB12_52:
	s_or_b32 exec_lo, exec_lo, s8
.LBB12_53:
	s_delay_alu instid0(SALU_CYCLE_1)
	s_or_b32 exec_lo, exec_lo, s1
.LBB12_54:
	s_delay_alu instid0(SALU_CYCLE_1)
	s_or_b32 exec_lo, exec_lo, s7
.LBB12_55:
	s_delay_alu instid0(SALU_CYCLE_1)
	s_or_b32 exec_lo, exec_lo, s2
.LBB12_56:
	s_delay_alu instid0(SALU_CYCLE_1)
	s_or_b32 exec_lo, exec_lo, s6
.LBB12_57:
	s_delay_alu instid0(SALU_CYCLE_1)
	s_or_b32 exec_lo, exec_lo, s3
.LBB12_58:
	s_delay_alu instid0(SALU_CYCLE_1)
	s_or_b32 exec_lo, exec_lo, s5
	v_mov_b32_e32 v18, 0
	ds_load_b64 v[18:19], v18 offset:64
	s_waitcnt lgkmcnt(0)
	v_mul_f64 v[18:19], v[28:29], v[18:19]
.LBB12_59:
	s_or_b32 exec_lo, exec_lo, s4
	s_delay_alu instid0(SALU_CYCLE_1)
	s_mov_b32 s1, exec_lo
	s_barrier
	buffer_gl0_inv
	ds_store_b64 v32, v[20:21]
	s_waitcnt lgkmcnt(0)
	s_barrier
	buffer_gl0_inv
	v_cmpx_gt_u32_e32 9, v0
	s_cbranch_execz .LBB12_63
; %bb.60:
	v_dual_mov_b32 v28, 0 :: v_dual_mov_b32 v31, v1
	v_lshl_add_u32 v33, v0, 3, 0x70
	v_dual_mov_b32 v29, 0 :: v_dual_mov_b32 v30, v0
	s_mov_b32 s2, 0
.LBB12_61:                              ; =>This Inner Loop Header: Depth=1
	s_delay_alu instid0(VALU_DEP_1) | instskip(SKIP_3) | instid1(VALU_DEP_2)
	v_cmp_eq_u32_e32 vcc_lo, 1, v30
	v_cmp_eq_u32_e64 s0, 2, v30
	v_dual_cndmask_b32 v34, v3, v5 :: v_dual_cndmask_b32 v35, v2, v4
	v_cmp_eq_u32_e32 vcc_lo, 3, v30
	v_cndmask_b32_e64 v34, v34, v7, s0
	s_delay_alu instid0(VALU_DEP_3) | instskip(SKIP_1) | instid1(VALU_DEP_2)
	v_cndmask_b32_e64 v35, v35, v6, s0
	v_cmp_eq_u32_e64 s0, 4, v30
	v_dual_cndmask_b32 v34, v34, v9 :: v_dual_cndmask_b32 v35, v35, v8
	v_cmp_eq_u32_e32 vcc_lo, 5, v30
	s_delay_alu instid0(VALU_DEP_2) | instskip(NEXT) | instid1(VALU_DEP_3)
	v_cndmask_b32_e64 v34, v34, v11, s0
	v_cndmask_b32_e64 v35, v35, v10, s0
	v_cmp_eq_u32_e64 s0, 6, v30
	s_delay_alu instid0(VALU_DEP_2) | instskip(SKIP_1) | instid1(VALU_DEP_2)
	v_dual_cndmask_b32 v34, v34, v13 :: v_dual_cndmask_b32 v35, v35, v12
	v_cmp_eq_u32_e32 vcc_lo, 7, v30
	v_cndmask_b32_e64 v34, v34, v15, s0
	s_delay_alu instid0(VALU_DEP_3) | instskip(SKIP_1) | instid1(VALU_DEP_2)
	v_cndmask_b32_e64 v35, v35, v14, s0
	v_cmp_eq_u32_e64 s0, 8, v30
	v_dual_cndmask_b32 v34, v34, v17 :: v_dual_cndmask_b32 v35, v35, v16
	v_cmp_eq_u32_e32 vcc_lo, 9, v30
	s_delay_alu instid0(VALU_DEP_2) | instskip(NEXT) | instid1(VALU_DEP_3)
	v_cndmask_b32_e64 v36, v34, v19, s0
	v_cndmask_b32_e64 v37, v35, v18, s0
	ds_load_b64 v[34:35], v33
	v_cmp_eq_u32_e64 s0, 10, v30
	v_add_nc_u32_e32 v33, 8, v33
	v_dual_cndmask_b32 v36, v36, v21 :: v_dual_cndmask_b32 v37, v37, v20
	v_cmp_eq_u32_e32 vcc_lo, 11, v30
	s_delay_alu instid0(VALU_DEP_2) | instskip(NEXT) | instid1(VALU_DEP_3)
	v_cndmask_b32_e64 v36, v36, v23, s0
	v_cndmask_b32_e64 v37, v37, v22, s0
	v_cmp_eq_u32_e64 s0, 12, v30
	s_delay_alu instid0(VALU_DEP_3) | instskip(NEXT) | instid1(VALU_DEP_3)
	v_cndmask_b32_e32 v36, v36, v25, vcc_lo
	v_cndmask_b32_e32 v38, v37, v24, vcc_lo
	v_add_co_u32 v30, vcc_lo, v30, 1
	v_add_co_ci_u32_e32 v31, vcc_lo, 0, v31, vcc_lo
	s_delay_alu instid0(VALU_DEP_4) | instskip(NEXT) | instid1(VALU_DEP_4)
	v_cndmask_b32_e64 v37, v36, v27, s0
	v_cndmask_b32_e64 v36, v38, v26, s0
	s_waitcnt lgkmcnt(0)
	s_delay_alu instid0(VALU_DEP_1) | instskip(SKIP_1) | instid1(VALU_DEP_1)
	v_fma_f64 v[28:29], v[36:37], v[34:35], v[28:29]
	v_add_nc_u32_e32 v34, -1, v30
	v_cmp_lt_u32_e32 vcc_lo, 7, v34
	s_or_b32 s2, vcc_lo, s2
	s_delay_alu instid0(SALU_CYCLE_1)
	s_and_not1_b32 exec_lo, exec_lo, s2
	s_cbranch_execnz .LBB12_61
; %bb.62:
	s_or_b32 exec_lo, exec_lo, s2
	v_mov_b32_e32 v20, 0
	ds_load_b64 v[20:21], v20 offset:72
	s_waitcnt lgkmcnt(0)
	v_mul_f64 v[20:21], v[28:29], v[20:21]
.LBB12_63:
	s_or_b32 exec_lo, exec_lo, s1
	s_delay_alu instid0(SALU_CYCLE_1)
	s_mov_b32 s1, exec_lo
	s_barrier
	buffer_gl0_inv
	ds_store_b64 v32, v[22:23]
	s_waitcnt lgkmcnt(0)
	s_barrier
	buffer_gl0_inv
	v_cmpx_gt_u32_e32 10, v0
	s_cbranch_execz .LBB12_67
; %bb.64:
	v_dual_mov_b32 v28, 0 :: v_dual_mov_b32 v31, v1
	v_lshl_add_u32 v33, v0, 3, 0x70
	v_dual_mov_b32 v29, 0 :: v_dual_mov_b32 v30, v0
	s_mov_b32 s2, 0
.LBB12_65:                              ; =>This Inner Loop Header: Depth=1
	s_delay_alu instid0(VALU_DEP_1) | instskip(SKIP_3) | instid1(VALU_DEP_2)
	v_cmp_eq_u32_e32 vcc_lo, 1, v30
	v_cmp_eq_u32_e64 s0, 2, v30
	v_dual_cndmask_b32 v34, v3, v5 :: v_dual_cndmask_b32 v35, v2, v4
	v_cmp_eq_u32_e32 vcc_lo, 3, v30
	v_cndmask_b32_e64 v34, v34, v7, s0
	s_delay_alu instid0(VALU_DEP_3) | instskip(SKIP_1) | instid1(VALU_DEP_2)
	v_cndmask_b32_e64 v35, v35, v6, s0
	v_cmp_eq_u32_e64 s0, 4, v30
	v_dual_cndmask_b32 v34, v34, v9 :: v_dual_cndmask_b32 v35, v35, v8
	v_cmp_eq_u32_e32 vcc_lo, 5, v30
	s_delay_alu instid0(VALU_DEP_2) | instskip(NEXT) | instid1(VALU_DEP_3)
	v_cndmask_b32_e64 v34, v34, v11, s0
	v_cndmask_b32_e64 v35, v35, v10, s0
	v_cmp_eq_u32_e64 s0, 6, v30
	s_delay_alu instid0(VALU_DEP_2) | instskip(SKIP_1) | instid1(VALU_DEP_2)
	v_dual_cndmask_b32 v34, v34, v13 :: v_dual_cndmask_b32 v35, v35, v12
	v_cmp_eq_u32_e32 vcc_lo, 7, v30
	v_cndmask_b32_e64 v34, v34, v15, s0
	s_delay_alu instid0(VALU_DEP_3) | instskip(SKIP_1) | instid1(VALU_DEP_2)
	v_cndmask_b32_e64 v35, v35, v14, s0
	v_cmp_eq_u32_e64 s0, 8, v30
	v_dual_cndmask_b32 v34, v34, v17 :: v_dual_cndmask_b32 v35, v35, v16
	v_cmp_eq_u32_e32 vcc_lo, 9, v30
	s_delay_alu instid0(VALU_DEP_2) | instskip(NEXT) | instid1(VALU_DEP_3)
	v_cndmask_b32_e64 v36, v34, v19, s0
	v_cndmask_b32_e64 v37, v35, v18, s0
	ds_load_b64 v[34:35], v33
	v_cmp_eq_u32_e64 s0, 10, v30
	v_add_nc_u32_e32 v33, 8, v33
	v_dual_cndmask_b32 v36, v36, v21 :: v_dual_cndmask_b32 v37, v37, v20
	v_cmp_eq_u32_e32 vcc_lo, 11, v30
	s_delay_alu instid0(VALU_DEP_2) | instskip(NEXT) | instid1(VALU_DEP_3)
	v_cndmask_b32_e64 v36, v36, v23, s0
	v_cndmask_b32_e64 v37, v37, v22, s0
	v_cmp_eq_u32_e64 s0, 12, v30
	s_delay_alu instid0(VALU_DEP_3) | instskip(NEXT) | instid1(VALU_DEP_3)
	v_cndmask_b32_e32 v36, v36, v25, vcc_lo
	v_cndmask_b32_e32 v38, v37, v24, vcc_lo
	v_add_co_u32 v30, vcc_lo, v30, 1
	v_add_co_ci_u32_e32 v31, vcc_lo, 0, v31, vcc_lo
	s_delay_alu instid0(VALU_DEP_4) | instskip(NEXT) | instid1(VALU_DEP_4)
	v_cndmask_b32_e64 v37, v36, v27, s0
	v_cndmask_b32_e64 v36, v38, v26, s0
	s_waitcnt lgkmcnt(0)
	s_delay_alu instid0(VALU_DEP_1) | instskip(SKIP_1) | instid1(VALU_DEP_1)
	v_fma_f64 v[28:29], v[36:37], v[34:35], v[28:29]
	v_add_nc_u32_e32 v34, -1, v30
	v_cmp_lt_u32_e32 vcc_lo, 8, v34
	s_or_b32 s2, vcc_lo, s2
	s_delay_alu instid0(SALU_CYCLE_1)
	s_and_not1_b32 exec_lo, exec_lo, s2
	s_cbranch_execnz .LBB12_65
; %bb.66:
	s_or_b32 exec_lo, exec_lo, s2
	v_mov_b32_e32 v22, 0
	ds_load_b64 v[22:23], v22 offset:80
	s_waitcnt lgkmcnt(0)
	v_mul_f64 v[22:23], v[28:29], v[22:23]
.LBB12_67:
	s_or_b32 exec_lo, exec_lo, s1
	s_delay_alu instid0(SALU_CYCLE_1)
	s_mov_b32 s1, exec_lo
	s_barrier
	buffer_gl0_inv
	ds_store_b64 v32, v[24:25]
	s_waitcnt lgkmcnt(0)
	s_barrier
	buffer_gl0_inv
	v_cmpx_gt_u32_e32 11, v0
	s_cbranch_execz .LBB12_71
; %bb.68:
	v_dual_mov_b32 v28, 0 :: v_dual_mov_b32 v31, v1
	v_lshl_add_u32 v33, v0, 3, 0x70
	v_dual_mov_b32 v29, 0 :: v_dual_mov_b32 v30, v0
	s_mov_b32 s2, 0
.LBB12_69:                              ; =>This Inner Loop Header: Depth=1
	s_delay_alu instid0(VALU_DEP_1) | instskip(SKIP_3) | instid1(VALU_DEP_2)
	v_cmp_eq_u32_e32 vcc_lo, 1, v30
	v_cmp_eq_u32_e64 s0, 2, v30
	v_dual_cndmask_b32 v34, v3, v5 :: v_dual_cndmask_b32 v35, v2, v4
	v_cmp_eq_u32_e32 vcc_lo, 3, v30
	v_cndmask_b32_e64 v34, v34, v7, s0
	s_delay_alu instid0(VALU_DEP_3) | instskip(SKIP_1) | instid1(VALU_DEP_2)
	v_cndmask_b32_e64 v35, v35, v6, s0
	v_cmp_eq_u32_e64 s0, 4, v30
	v_dual_cndmask_b32 v34, v34, v9 :: v_dual_cndmask_b32 v35, v35, v8
	v_cmp_eq_u32_e32 vcc_lo, 5, v30
	s_delay_alu instid0(VALU_DEP_2) | instskip(NEXT) | instid1(VALU_DEP_3)
	v_cndmask_b32_e64 v34, v34, v11, s0
	v_cndmask_b32_e64 v35, v35, v10, s0
	v_cmp_eq_u32_e64 s0, 6, v30
	s_delay_alu instid0(VALU_DEP_2) | instskip(SKIP_1) | instid1(VALU_DEP_2)
	v_dual_cndmask_b32 v34, v34, v13 :: v_dual_cndmask_b32 v35, v35, v12
	v_cmp_eq_u32_e32 vcc_lo, 7, v30
	v_cndmask_b32_e64 v34, v34, v15, s0
	s_delay_alu instid0(VALU_DEP_3) | instskip(SKIP_1) | instid1(VALU_DEP_2)
	v_cndmask_b32_e64 v35, v35, v14, s0
	v_cmp_eq_u32_e64 s0, 8, v30
	v_dual_cndmask_b32 v34, v34, v17 :: v_dual_cndmask_b32 v35, v35, v16
	v_cmp_eq_u32_e32 vcc_lo, 9, v30
	s_delay_alu instid0(VALU_DEP_2) | instskip(NEXT) | instid1(VALU_DEP_3)
	v_cndmask_b32_e64 v36, v34, v19, s0
	v_cndmask_b32_e64 v37, v35, v18, s0
	ds_load_b64 v[34:35], v33
	v_cmp_eq_u32_e64 s0, 10, v30
	v_add_nc_u32_e32 v33, 8, v33
	v_dual_cndmask_b32 v36, v36, v21 :: v_dual_cndmask_b32 v37, v37, v20
	v_cmp_eq_u32_e32 vcc_lo, 11, v30
	s_delay_alu instid0(VALU_DEP_2) | instskip(NEXT) | instid1(VALU_DEP_3)
	v_cndmask_b32_e64 v36, v36, v23, s0
	v_cndmask_b32_e64 v37, v37, v22, s0
	v_cmp_eq_u32_e64 s0, 12, v30
	s_delay_alu instid0(VALU_DEP_3) | instskip(NEXT) | instid1(VALU_DEP_3)
	v_cndmask_b32_e32 v36, v36, v25, vcc_lo
	v_cndmask_b32_e32 v38, v37, v24, vcc_lo
	v_add_co_u32 v30, vcc_lo, v30, 1
	v_add_co_ci_u32_e32 v31, vcc_lo, 0, v31, vcc_lo
	s_delay_alu instid0(VALU_DEP_4) | instskip(NEXT) | instid1(VALU_DEP_4)
	v_cndmask_b32_e64 v37, v36, v27, s0
	v_cndmask_b32_e64 v36, v38, v26, s0
	s_waitcnt lgkmcnt(0)
	s_delay_alu instid0(VALU_DEP_1) | instskip(SKIP_1) | instid1(VALU_DEP_1)
	v_fma_f64 v[28:29], v[36:37], v[34:35], v[28:29]
	v_add_nc_u32_e32 v34, -1, v30
	v_cmp_lt_u32_e32 vcc_lo, 9, v34
	s_or_b32 s2, vcc_lo, s2
	s_delay_alu instid0(SALU_CYCLE_1)
	s_and_not1_b32 exec_lo, exec_lo, s2
	s_cbranch_execnz .LBB12_69
; %bb.70:
	s_or_b32 exec_lo, exec_lo, s2
	v_mov_b32_e32 v24, 0
	ds_load_b64 v[24:25], v24 offset:88
	s_waitcnt lgkmcnt(0)
	v_mul_f64 v[24:25], v[28:29], v[24:25]
.LBB12_71:
	s_or_b32 exec_lo, exec_lo, s1
	s_delay_alu instid0(SALU_CYCLE_1)
	s_mov_b32 s1, exec_lo
	s_barrier
	buffer_gl0_inv
	ds_store_b64 v32, v[26:27]
	s_waitcnt lgkmcnt(0)
	s_barrier
	buffer_gl0_inv
	v_cmpx_ne_u32_e32 12, v0
	s_cbranch_execz .LBB12_75
; %bb.72:
	v_dual_mov_b32 v28, 0 :: v_dual_mov_b32 v31, v1
	v_lshl_add_u32 v32, v0, 3, 0x70
	v_dual_mov_b32 v29, 0 :: v_dual_mov_b32 v30, v0
	s_mov_b32 s2, 0
.LBB12_73:                              ; =>This Inner Loop Header: Depth=1
	s_delay_alu instid0(VALU_DEP_1) | instskip(SKIP_4) | instid1(VALU_DEP_3)
	v_cmp_eq_u32_e32 vcc_lo, 1, v30
	v_cmp_eq_u32_e64 s0, 2, v30
	v_cndmask_b32_e32 v1, v3, v5, vcc_lo
	v_cndmask_b32_e32 v33, v2, v4, vcc_lo
	v_cmp_eq_u32_e32 vcc_lo, 3, v30
	v_cndmask_b32_e64 v1, v1, v7, s0
	s_delay_alu instid0(VALU_DEP_3) | instskip(SKIP_1) | instid1(VALU_DEP_3)
	v_cndmask_b32_e64 v33, v33, v6, s0
	v_cmp_eq_u32_e64 s0, 4, v30
	v_cndmask_b32_e32 v1, v1, v9, vcc_lo
	s_delay_alu instid0(VALU_DEP_3) | instskip(SKIP_1) | instid1(VALU_DEP_3)
	v_cndmask_b32_e32 v33, v33, v8, vcc_lo
	v_cmp_eq_u32_e32 vcc_lo, 5, v30
	v_cndmask_b32_e64 v1, v1, v11, s0
	s_delay_alu instid0(VALU_DEP_3) | instskip(SKIP_1) | instid1(VALU_DEP_3)
	v_cndmask_b32_e64 v33, v33, v10, s0
	v_cmp_eq_u32_e64 s0, 6, v30
	v_cndmask_b32_e32 v1, v1, v13, vcc_lo
	s_delay_alu instid0(VALU_DEP_3) | instskip(SKIP_1) | instid1(VALU_DEP_3)
	;; [unrolled: 8-line block ×3, first 2 shown]
	v_cndmask_b32_e32 v33, v33, v16, vcc_lo
	v_cmp_eq_u32_e32 vcc_lo, 9, v30
	v_cndmask_b32_e64 v1, v1, v19, s0
	s_delay_alu instid0(VALU_DEP_3)
	v_cndmask_b32_e64 v35, v33, v18, s0
	ds_load_b64 v[33:34], v32
	v_add_nc_u32_e32 v32, 8, v32
	v_cmp_eq_u32_e64 s0, 10, v30
	v_cndmask_b32_e32 v1, v1, v21, vcc_lo
	v_cndmask_b32_e32 v35, v35, v20, vcc_lo
	v_cmp_eq_u32_e32 vcc_lo, 11, v30
	s_delay_alu instid0(VALU_DEP_3) | instskip(NEXT) | instid1(VALU_DEP_3)
	v_cndmask_b32_e64 v1, v1, v23, s0
	v_cndmask_b32_e64 v35, v35, v22, s0
	v_cmp_eq_u32_e64 s0, 12, v30
	s_delay_alu instid0(VALU_DEP_3) | instskip(NEXT) | instid1(VALU_DEP_3)
	v_cndmask_b32_e32 v1, v1, v25, vcc_lo
	v_cndmask_b32_e32 v35, v35, v24, vcc_lo
	v_add_co_u32 v30, vcc_lo, v30, 1
	v_add_co_ci_u32_e32 v31, vcc_lo, 0, v31, vcc_lo
	s_delay_alu instid0(VALU_DEP_4) | instskip(NEXT) | instid1(VALU_DEP_4)
	v_cndmask_b32_e64 v36, v1, v27, s0
	v_cndmask_b32_e64 v35, v35, v26, s0
	s_delay_alu instid0(VALU_DEP_4) | instskip(SKIP_1) | instid1(VALU_DEP_2)
	v_add_nc_u32_e32 v1, -1, v30
	s_waitcnt lgkmcnt(0)
	v_fma_f64 v[28:29], v[35:36], v[33:34], v[28:29]
	s_delay_alu instid0(VALU_DEP_2) | instskip(SKIP_1) | instid1(SALU_CYCLE_1)
	v_cmp_lt_u32_e32 vcc_lo, 10, v1
	s_or_b32 s2, vcc_lo, s2
	s_and_not1_b32 exec_lo, exec_lo, s2
	s_cbranch_execnz .LBB12_73
; %bb.74:
	s_or_b32 exec_lo, exec_lo, s2
	v_mov_b32_e32 v1, 0
	ds_load_b64 v[26:27], v1 offset:96
	s_waitcnt lgkmcnt(0)
	v_mul_f64 v[26:27], v[28:29], v[26:27]
.LBB12_75:
	s_or_b32 exec_lo, exec_lo, s1
	s_barrier
	buffer_gl0_inv
	s_cbranch_execnz .LBB12_15
	s_branch .LBB12_16
.LBB12_76:
	v_lshl_add_u32 v1, v0, 3, 0x70
	s_mov_b32 s0, exec_lo
	v_cmpx_eq_u32_e32 12, v0
	s_cbranch_execz .LBB12_78
; %bb.77:
	v_dual_mov_b32 v50, 0 :: v_dual_mov_b32 v29, v3
	v_dual_mov_b32 v28, v2 :: v_dual_mov_b32 v31, v5
	;; [unrolled: 1-line block ×11, first 2 shown]
	v_mov_b32_e32 v51, v50
	v_mov_b32_e32 v52, v26
	v_dual_mov_b32 v30, v4 :: v_dual_mov_b32 v33, v7
	ds_store_b64 v1, v[24:25]
	v_mov_b32_e32 v2, v28
	v_dual_mov_b32 v3, v29 :: v_dual_mov_b32 v4, v30
	v_dual_mov_b32 v5, v31 :: v_dual_mov_b32 v6, v32
	;; [unrolled: 1-line block ×13, first 2 shown]
	v_mov_b32_e32 v29, v55
	v_mov_b32_e32 v30, v56
	;; [unrolled: 1-line block ×5, first 2 shown]
.LBB12_78:
	s_or_b32 exec_lo, exec_lo, s0
	v_mov_b32_e32 v48, 0
	s_waitcnt lgkmcnt(0)
	s_waitcnt_vscnt null, 0x0
	s_barrier
	buffer_gl0_inv
	s_mov_b32 s0, exec_lo
	ds_load_b64 v[28:29], v48 offset:208
	s_waitcnt lgkmcnt(0)
	v_fma_f64 v[28:29], v[26:27], v[28:29], 0
	s_delay_alu instid0(VALU_DEP_1)
	v_add_f64 v[24:25], v[24:25], -v[28:29]
	v_cmpx_lt_u32_e32 10, v0
	s_cbranch_execz .LBB12_80
; %bb.79:
	v_dual_mov_b32 v28, v2 :: v_dual_mov_b32 v29, v3
	v_dual_mov_b32 v34, v8 :: v_dual_mov_b32 v35, v9
	;; [unrolled: 1-line block ×12, first 2 shown]
	v_mov_b32_e32 v33, v7
	ds_store_b64 v1, v[22:23]
	v_mov_b32_e32 v2, v28
	v_dual_mov_b32 v3, v29 :: v_dual_mov_b32 v4, v30
	v_dual_mov_b32 v5, v31 :: v_dual_mov_b32 v6, v32
	;; [unrolled: 1-line block ×13, first 2 shown]
	v_mov_b32_e32 v29, v55
	v_mov_b32_e32 v30, v56
	;; [unrolled: 1-line block ×5, first 2 shown]
.LBB12_80:
	s_or_b32 exec_lo, exec_lo, s0
	s_waitcnt lgkmcnt(0)
	s_barrier
	buffer_gl0_inv
	ds_load_2addr_b64 v[28:31], v48 offset0:25 offset1:26
	s_mov_b32 s0, exec_lo
	s_waitcnt lgkmcnt(0)
	v_fma_f64 v[28:29], v[24:25], v[28:29], 0
	s_delay_alu instid0(VALU_DEP_1) | instskip(NEXT) | instid1(VALU_DEP_1)
	v_fma_f64 v[28:29], v[26:27], v[30:31], v[28:29]
	v_add_f64 v[22:23], v[22:23], -v[28:29]
	v_cmpx_lt_u32_e32 9, v0
	s_cbranch_execz .LBB12_82
; %bb.81:
	v_dual_mov_b32 v46, 0 :: v_dual_mov_b32 v29, v3
	v_dual_mov_b32 v28, v2 :: v_dual_mov_b32 v31, v5
	;; [unrolled: 1-line block ×13, first 2 shown]
	ds_store_b64 v1, v[20:21]
	v_mov_b32_e32 v2, v28
	v_dual_mov_b32 v3, v29 :: v_dual_mov_b32 v4, v30
	v_dual_mov_b32 v5, v31 :: v_dual_mov_b32 v6, v32
	;; [unrolled: 1-line block ×13, first 2 shown]
	v_mov_b32_e32 v29, v55
	v_mov_b32_e32 v30, v56
	;; [unrolled: 1-line block ×5, first 2 shown]
.LBB12_82:
	s_or_b32 exec_lo, exec_lo, s0
	v_mov_b32_e32 v44, 0
	s_waitcnt lgkmcnt(0)
	s_barrier
	buffer_gl0_inv
	s_mov_b32 s0, exec_lo
	ds_load_b128 v[28:31], v44 offset:192
	ds_load_b64 v[32:33], v44 offset:208
	s_waitcnt lgkmcnt(1)
	v_fma_f64 v[28:29], v[22:23], v[28:29], 0
	s_delay_alu instid0(VALU_DEP_1) | instskip(SKIP_1) | instid1(VALU_DEP_1)
	v_fma_f64 v[28:29], v[24:25], v[30:31], v[28:29]
	s_waitcnt lgkmcnt(0)
	v_fma_f64 v[28:29], v[26:27], v[32:33], v[28:29]
	s_delay_alu instid0(VALU_DEP_1)
	v_add_f64 v[20:21], v[20:21], -v[28:29]
	v_cmpx_lt_u32_e32 8, v0
	s_cbranch_execz .LBB12_84
; %bb.83:
	v_dual_mov_b32 v28, v2 :: v_dual_mov_b32 v29, v3
	v_dual_mov_b32 v34, v8 :: v_dual_mov_b32 v35, v9
	;; [unrolled: 1-line block ×12, first 2 shown]
	v_mov_b32_e32 v33, v7
	ds_store_b64 v1, v[18:19]
	v_mov_b32_e32 v2, v28
	v_dual_mov_b32 v3, v29 :: v_dual_mov_b32 v4, v30
	v_dual_mov_b32 v5, v31 :: v_dual_mov_b32 v6, v32
	;; [unrolled: 1-line block ×13, first 2 shown]
	v_mov_b32_e32 v29, v55
	v_mov_b32_e32 v30, v56
	;; [unrolled: 1-line block ×5, first 2 shown]
.LBB12_84:
	s_or_b32 exec_lo, exec_lo, s0
	s_waitcnt lgkmcnt(0)
	s_barrier
	buffer_gl0_inv
	ds_load_2addr_b64 v[28:31], v44 offset0:23 offset1:24
	ds_load_2addr_b64 v[32:35], v44 offset0:25 offset1:26
	s_mov_b32 s0, exec_lo
	s_waitcnt lgkmcnt(1)
	v_fma_f64 v[28:29], v[20:21], v[28:29], 0
	s_delay_alu instid0(VALU_DEP_1) | instskip(SKIP_1) | instid1(VALU_DEP_1)
	v_fma_f64 v[28:29], v[22:23], v[30:31], v[28:29]
	s_waitcnt lgkmcnt(0)
	v_fma_f64 v[28:29], v[24:25], v[32:33], v[28:29]
	s_delay_alu instid0(VALU_DEP_1) | instskip(NEXT) | instid1(VALU_DEP_1)
	v_fma_f64 v[28:29], v[26:27], v[34:35], v[28:29]
	v_add_f64 v[18:19], v[18:19], -v[28:29]
	v_cmpx_lt_u32_e32 7, v0
	s_cbranch_execz .LBB12_86
; %bb.85:
	v_dual_mov_b32 v42, 0 :: v_dual_mov_b32 v29, v3
	v_dual_mov_b32 v28, v2 :: v_dual_mov_b32 v31, v5
	v_dual_mov_b32 v32, v6 :: v_dual_mov_b32 v35, v9
	v_dual_mov_b32 v34, v8 :: v_dual_mov_b32 v37, v11
	v_dual_mov_b32 v36, v10 :: v_dual_mov_b32 v39, v13
	v_dual_mov_b32 v38, v12 :: v_dual_mov_b32 v41, v15
	v_dual_mov_b32 v40, v14 :: v_dual_mov_b32 v45, v19
	v_dual_mov_b32 v43, v42 :: v_dual_mov_b32 v46, v20
	v_dual_mov_b32 v44, v18 :: v_dual_mov_b32 v47, v21
	v_dual_mov_b32 v48, v22 :: v_dual_mov_b32 v49, v23
	v_dual_mov_b32 v50, v24 :: v_dual_mov_b32 v51, v25
	v_dual_mov_b32 v52, v26 :: v_dual_mov_b32 v53, v27
	v_dual_mov_b32 v30, v4 :: v_dual_mov_b32 v33, v7
	ds_store_b64 v1, v[16:17]
	v_mov_b32_e32 v2, v28
	v_dual_mov_b32 v3, v29 :: v_dual_mov_b32 v4, v30
	v_dual_mov_b32 v5, v31 :: v_dual_mov_b32 v6, v32
	;; [unrolled: 1-line block ×13, first 2 shown]
	v_mov_b32_e32 v29, v55
	v_mov_b32_e32 v30, v56
	;; [unrolled: 1-line block ×5, first 2 shown]
.LBB12_86:
	s_or_b32 exec_lo, exec_lo, s0
	v_mov_b32_e32 v40, 0
	s_waitcnt lgkmcnt(0)
	s_barrier
	buffer_gl0_inv
	s_mov_b32 s0, exec_lo
	ds_load_b128 v[28:31], v40 offset:176
	ds_load_b128 v[32:35], v40 offset:192
	s_waitcnt lgkmcnt(1)
	v_fma_f64 v[28:29], v[18:19], v[28:29], 0
	s_delay_alu instid0(VALU_DEP_1) | instskip(SKIP_3) | instid1(VALU_DEP_1)
	v_fma_f64 v[28:29], v[20:21], v[30:31], v[28:29]
	ds_load_b64 v[30:31], v40 offset:208
	s_waitcnt lgkmcnt(1)
	v_fma_f64 v[28:29], v[22:23], v[32:33], v[28:29]
	v_fma_f64 v[28:29], v[24:25], v[34:35], v[28:29]
	s_waitcnt lgkmcnt(0)
	s_delay_alu instid0(VALU_DEP_1) | instskip(NEXT) | instid1(VALU_DEP_1)
	v_fma_f64 v[28:29], v[26:27], v[30:31], v[28:29]
	v_add_f64 v[16:17], v[16:17], -v[28:29]
	v_cmpx_lt_u32_e32 6, v0
	s_cbranch_execz .LBB12_88
; %bb.87:
	v_dual_mov_b32 v28, v2 :: v_dual_mov_b32 v29, v3
	v_dual_mov_b32 v34, v8 :: v_dual_mov_b32 v35, v9
	;; [unrolled: 1-line block ×12, first 2 shown]
	v_mov_b32_e32 v33, v7
	ds_store_b64 v1, v[14:15]
	v_mov_b32_e32 v2, v28
	v_dual_mov_b32 v3, v29 :: v_dual_mov_b32 v4, v30
	v_dual_mov_b32 v5, v31 :: v_dual_mov_b32 v6, v32
	v_dual_mov_b32 v7, v33 :: v_dual_mov_b32 v8, v34
	v_dual_mov_b32 v9, v35 :: v_dual_mov_b32 v10, v36
	v_dual_mov_b32 v11, v37 :: v_dual_mov_b32 v12, v38
	v_dual_mov_b32 v13, v39 :: v_dual_mov_b32 v14, v40
	v_dual_mov_b32 v15, v41 :: v_dual_mov_b32 v16, v42
	v_dual_mov_b32 v17, v43 :: v_dual_mov_b32 v18, v44
	v_dual_mov_b32 v19, v45 :: v_dual_mov_b32 v20, v46
	v_dual_mov_b32 v21, v47 :: v_dual_mov_b32 v22, v48
	v_dual_mov_b32 v23, v49 :: v_dual_mov_b32 v24, v50
	v_dual_mov_b32 v25, v51 :: v_dual_mov_b32 v26, v52
	v_dual_mov_b32 v27, v53 :: v_dual_mov_b32 v28, v54
	v_mov_b32_e32 v29, v55
	v_mov_b32_e32 v30, v56
	;; [unrolled: 1-line block ×5, first 2 shown]
.LBB12_88:
	s_or_b32 exec_lo, exec_lo, s0
	s_waitcnt lgkmcnt(0)
	s_barrier
	buffer_gl0_inv
	ds_load_2addr_b64 v[28:31], v40 offset0:21 offset1:22
	ds_load_2addr_b64 v[32:35], v40 offset0:23 offset1:24
	s_mov_b32 s0, exec_lo
	s_waitcnt lgkmcnt(1)
	v_fma_f64 v[28:29], v[16:17], v[28:29], 0
	s_delay_alu instid0(VALU_DEP_1) | instskip(SKIP_1) | instid1(VALU_DEP_1)
	v_fma_f64 v[28:29], v[18:19], v[30:31], v[28:29]
	s_waitcnt lgkmcnt(0)
	v_fma_f64 v[28:29], v[20:21], v[32:33], v[28:29]
	s_delay_alu instid0(VALU_DEP_1) | instskip(SKIP_3) | instid1(VALU_DEP_1)
	v_fma_f64 v[32:33], v[22:23], v[34:35], v[28:29]
	ds_load_2addr_b64 v[28:31], v40 offset0:25 offset1:26
	s_waitcnt lgkmcnt(0)
	v_fma_f64 v[28:29], v[24:25], v[28:29], v[32:33]
	v_fma_f64 v[28:29], v[26:27], v[30:31], v[28:29]
	s_delay_alu instid0(VALU_DEP_1)
	v_add_f64 v[14:15], v[14:15], -v[28:29]
	v_cmpx_lt_u32_e32 5, v0
	s_cbranch_execz .LBB12_90
; %bb.89:
	v_dual_mov_b32 v38, 0 :: v_dual_mov_b32 v29, v3
	v_dual_mov_b32 v28, v2 :: v_dual_mov_b32 v31, v5
	;; [unrolled: 1-line block ×13, first 2 shown]
	ds_store_b64 v1, v[12:13]
	v_mov_b32_e32 v2, v28
	v_dual_mov_b32 v3, v29 :: v_dual_mov_b32 v4, v30
	v_dual_mov_b32 v5, v31 :: v_dual_mov_b32 v6, v32
	;; [unrolled: 1-line block ×13, first 2 shown]
	v_mov_b32_e32 v29, v55
	v_mov_b32_e32 v30, v56
	;; [unrolled: 1-line block ×5, first 2 shown]
.LBB12_90:
	s_or_b32 exec_lo, exec_lo, s0
	v_mov_b32_e32 v36, 0
	s_waitcnt lgkmcnt(0)
	s_barrier
	buffer_gl0_inv
	s_mov_b32 s0, exec_lo
	ds_load_b128 v[28:31], v36 offset:160
	ds_load_b128 v[32:35], v36 offset:176
	s_waitcnt lgkmcnt(1)
	v_fma_f64 v[28:29], v[14:15], v[28:29], 0
	s_delay_alu instid0(VALU_DEP_1) | instskip(SKIP_1) | instid1(VALU_DEP_1)
	v_fma_f64 v[28:29], v[16:17], v[30:31], v[28:29]
	s_waitcnt lgkmcnt(0)
	v_fma_f64 v[28:29], v[18:19], v[32:33], v[28:29]
	s_delay_alu instid0(VALU_DEP_1) | instskip(SKIP_4) | instid1(VALU_DEP_1)
	v_fma_f64 v[32:33], v[20:21], v[34:35], v[28:29]
	ds_load_b128 v[28:31], v36 offset:192
	ds_load_b64 v[34:35], v36 offset:208
	s_waitcnt lgkmcnt(1)
	v_fma_f64 v[28:29], v[22:23], v[28:29], v[32:33]
	v_fma_f64 v[28:29], v[24:25], v[30:31], v[28:29]
	s_waitcnt lgkmcnt(0)
	s_delay_alu instid0(VALU_DEP_1) | instskip(NEXT) | instid1(VALU_DEP_1)
	v_fma_f64 v[28:29], v[26:27], v[34:35], v[28:29]
	v_add_f64 v[12:13], v[12:13], -v[28:29]
	v_cmpx_lt_u32_e32 4, v0
	s_cbranch_execz .LBB12_92
; %bb.91:
	v_dual_mov_b32 v28, v2 :: v_dual_mov_b32 v29, v3
	v_dual_mov_b32 v34, v8 :: v_dual_mov_b32 v35, v9
	;; [unrolled: 1-line block ×12, first 2 shown]
	v_mov_b32_e32 v33, v7
	ds_store_b64 v1, v[10:11]
	v_mov_b32_e32 v2, v28
	v_dual_mov_b32 v3, v29 :: v_dual_mov_b32 v4, v30
	v_dual_mov_b32 v5, v31 :: v_dual_mov_b32 v6, v32
	;; [unrolled: 1-line block ×13, first 2 shown]
	v_mov_b32_e32 v29, v55
	v_mov_b32_e32 v30, v56
	;; [unrolled: 1-line block ×5, first 2 shown]
.LBB12_92:
	s_or_b32 exec_lo, exec_lo, s0
	s_waitcnt lgkmcnt(0)
	s_barrier
	buffer_gl0_inv
	ds_load_2addr_b64 v[28:31], v36 offset0:19 offset1:20
	ds_load_2addr_b64 v[32:35], v36 offset0:21 offset1:22
	s_mov_b32 s0, exec_lo
	s_waitcnt lgkmcnt(1)
	v_fma_f64 v[28:29], v[12:13], v[28:29], 0
	s_delay_alu instid0(VALU_DEP_1) | instskip(SKIP_1) | instid1(VALU_DEP_1)
	v_fma_f64 v[28:29], v[14:15], v[30:31], v[28:29]
	s_waitcnt lgkmcnt(0)
	v_fma_f64 v[28:29], v[16:17], v[32:33], v[28:29]
	s_delay_alu instid0(VALU_DEP_1) | instskip(SKIP_4) | instid1(VALU_DEP_1)
	v_fma_f64 v[37:38], v[18:19], v[34:35], v[28:29]
	ds_load_2addr_b64 v[28:31], v36 offset0:23 offset1:24
	ds_load_2addr_b64 v[32:35], v36 offset0:25 offset1:26
	s_waitcnt lgkmcnt(1)
	v_fma_f64 v[28:29], v[20:21], v[28:29], v[37:38]
	v_fma_f64 v[28:29], v[22:23], v[30:31], v[28:29]
	s_waitcnt lgkmcnt(0)
	s_delay_alu instid0(VALU_DEP_1) | instskip(NEXT) | instid1(VALU_DEP_1)
	v_fma_f64 v[28:29], v[24:25], v[32:33], v[28:29]
	v_fma_f64 v[28:29], v[26:27], v[34:35], v[28:29]
	s_delay_alu instid0(VALU_DEP_1)
	v_add_f64 v[10:11], v[10:11], -v[28:29]
	v_cmpx_lt_u32_e32 3, v0
	s_cbranch_execz .LBB12_94
; %bb.93:
	v_dual_mov_b32 v34, 0 :: v_dual_mov_b32 v29, v3
	v_dual_mov_b32 v28, v2 :: v_dual_mov_b32 v31, v5
	s_delay_alu instid0(VALU_DEP_4) | instskip(NEXT) | instid1(VALU_DEP_3)
	v_dual_mov_b32 v32, v6 :: v_dual_mov_b32 v37, v11
	v_dual_mov_b32 v35, v34 :: v_dual_mov_b32 v38, v12
	;; [unrolled: 1-line block ×12, first 2 shown]
	v_mov_b32_e32 v2, v28
	s_delay_alu instid0(VALU_DEP_3)
	v_dual_mov_b32 v3, v29 :: v_dual_mov_b32 v4, v30
	v_dual_mov_b32 v5, v31 :: v_dual_mov_b32 v6, v32
	;; [unrolled: 1-line block ×13, first 2 shown]
	v_mov_b32_e32 v29, v55
	v_mov_b32_e32 v30, v56
	;; [unrolled: 1-line block ×5, first 2 shown]
	ds_store_b64 v1, v[54:55]
.LBB12_94:
	s_or_b32 exec_lo, exec_lo, s0
	v_mov_b32_e32 v34, 0
	s_waitcnt lgkmcnt(0)
	s_barrier
	buffer_gl0_inv
	s_mov_b32 s0, exec_lo
	ds_load_b128 v[28:31], v34 offset:144
	ds_load_b128 v[35:38], v34 offset:160
	s_waitcnt lgkmcnt(1)
	v_fma_f64 v[28:29], v[10:11], v[28:29], 0
	s_delay_alu instid0(VALU_DEP_1) | instskip(SKIP_1) | instid1(VALU_DEP_1)
	v_fma_f64 v[28:29], v[12:13], v[30:31], v[28:29]
	s_waitcnt lgkmcnt(0)
	v_fma_f64 v[28:29], v[14:15], v[35:36], v[28:29]
	s_delay_alu instid0(VALU_DEP_1) | instskip(SKIP_4) | instid1(VALU_DEP_1)
	v_fma_f64 v[32:33], v[16:17], v[37:38], v[28:29]
	ds_load_b128 v[28:31], v34 offset:176
	ds_load_b128 v[35:38], v34 offset:192
	s_waitcnt lgkmcnt(1)
	v_fma_f64 v[28:29], v[18:19], v[28:29], v[32:33]
	v_fma_f64 v[28:29], v[20:21], v[30:31], v[28:29]
	ds_load_b64 v[30:31], v34 offset:208
	s_waitcnt lgkmcnt(1)
	v_fma_f64 v[28:29], v[22:23], v[35:36], v[28:29]
	s_delay_alu instid0(VALU_DEP_1) | instskip(SKIP_1) | instid1(VALU_DEP_1)
	v_fma_f64 v[28:29], v[24:25], v[37:38], v[28:29]
	s_waitcnt lgkmcnt(0)
	v_fma_f64 v[28:29], v[26:27], v[30:31], v[28:29]
	s_delay_alu instid0(VALU_DEP_1)
	v_add_f64 v[8:9], v[8:9], -v[28:29]
	v_cmpx_lt_u32_e32 2, v0
	s_cbranch_execz .LBB12_96
; %bb.95:
	v_dual_mov_b32 v30, v2 :: v_dual_mov_b32 v31, v3
	s_delay_alu instid0(VALU_DEP_3)
	v_dual_mov_b32 v37, v9 :: v_dual_mov_b32 v36, v8
	v_dual_mov_b32 v35, v34 :: v_dual_mov_b32 v40, v12
	;; [unrolled: 1-line block ×12, first 2 shown]
	v_mov_b32_e32 v57, v7
	v_mov_b32_e32 v2, v30
	s_delay_alu instid0(VALU_DEP_3) | instskip(NEXT) | instid1(VALU_DEP_4)
	v_dual_mov_b32 v3, v31 :: v_dual_mov_b32 v4, v32
	v_dual_mov_b32 v5, v33 :: v_dual_mov_b32 v6, v34
	;; [unrolled: 1-line block ×14, first 2 shown]
	v_mov_b32_e32 v31, v59
	v_mov_b32_e32 v32, v60
	;; [unrolled: 1-line block ×3, first 2 shown]
	ds_store_b64 v1, v[56:57]
.LBB12_96:
	s_or_b32 exec_lo, exec_lo, s0
	s_waitcnt lgkmcnt(0)
	s_barrier
	buffer_gl0_inv
	ds_load_2addr_b64 v[28:31], v34 offset0:17 offset1:18
	ds_load_2addr_b64 v[35:38], v34 offset0:19 offset1:20
	s_mov_b32 s0, exec_lo
	s_waitcnt lgkmcnt(1)
	v_fma_f64 v[28:29], v[8:9], v[28:29], 0
	s_delay_alu instid0(VALU_DEP_1) | instskip(SKIP_1) | instid1(VALU_DEP_1)
	v_fma_f64 v[28:29], v[10:11], v[30:31], v[28:29]
	s_waitcnt lgkmcnt(0)
	v_fma_f64 v[28:29], v[12:13], v[35:36], v[28:29]
	s_delay_alu instid0(VALU_DEP_1) | instskip(SKIP_4) | instid1(VALU_DEP_1)
	v_fma_f64 v[32:33], v[14:15], v[37:38], v[28:29]
	ds_load_2addr_b64 v[28:31], v34 offset0:21 offset1:22
	ds_load_2addr_b64 v[35:38], v34 offset0:23 offset1:24
	s_waitcnt lgkmcnt(1)
	v_fma_f64 v[28:29], v[16:17], v[28:29], v[32:33]
	v_fma_f64 v[28:29], v[18:19], v[30:31], v[28:29]
	s_waitcnt lgkmcnt(0)
	s_delay_alu instid0(VALU_DEP_1) | instskip(NEXT) | instid1(VALU_DEP_1)
	v_fma_f64 v[28:29], v[20:21], v[35:36], v[28:29]
	v_fma_f64 v[32:33], v[22:23], v[37:38], v[28:29]
	ds_load_2addr_b64 v[28:31], v34 offset0:25 offset1:26
	s_waitcnt lgkmcnt(0)
	v_fma_f64 v[28:29], v[24:25], v[28:29], v[32:33]
	s_delay_alu instid0(VALU_DEP_1) | instskip(NEXT) | instid1(VALU_DEP_1)
	v_fma_f64 v[28:29], v[26:27], v[30:31], v[28:29]
	v_add_f64 v[6:7], v[6:7], -v[28:29]
	v_cmpx_lt_u32_e32 1, v0
	s_cbranch_execz .LBB12_98
; %bb.97:
	s_delay_alu instid0(VALU_DEP_2) | instskip(SKIP_2) | instid1(VALU_DEP_3)
	v_dual_mov_b32 v30, 0 :: v_dual_mov_b32 v33, v7
	v_dual_mov_b32 v28, v2 :: v_dual_mov_b32 v35, v9
	;; [unrolled: 1-line block ×14, first 2 shown]
	v_mov_b32_e32 v2, v28
	s_delay_alu instid0(VALU_DEP_3) | instskip(NEXT) | instid1(VALU_DEP_4)
	v_dual_mov_b32 v3, v29 :: v_dual_mov_b32 v4, v30
	v_dual_mov_b32 v5, v31 :: v_dual_mov_b32 v6, v32
	;; [unrolled: 1-line block ×13, first 2 shown]
	v_mov_b32_e32 v29, v55
	v_mov_b32_e32 v30, v56
	;; [unrolled: 1-line block ×5, first 2 shown]
	ds_store_b64 v1, v[54:55]
.LBB12_98:
	s_or_b32 exec_lo, exec_lo, s0
	v_mov_b32_e32 v34, 0
	s_waitcnt lgkmcnt(0)
	s_barrier
	buffer_gl0_inv
	s_mov_b32 s0, exec_lo
	ds_load_b128 v[28:31], v34 offset:128
	ds_load_b128 v[35:38], v34 offset:144
	s_waitcnt lgkmcnt(1)
	v_fma_f64 v[28:29], v[6:7], v[28:29], 0
	s_delay_alu instid0(VALU_DEP_1) | instskip(SKIP_1) | instid1(VALU_DEP_1)
	v_fma_f64 v[28:29], v[8:9], v[30:31], v[28:29]
	s_waitcnt lgkmcnt(0)
	v_fma_f64 v[28:29], v[10:11], v[35:36], v[28:29]
	s_delay_alu instid0(VALU_DEP_1) | instskip(SKIP_4) | instid1(VALU_DEP_1)
	v_fma_f64 v[32:33], v[12:13], v[37:38], v[28:29]
	ds_load_b128 v[28:31], v34 offset:160
	ds_load_b128 v[35:38], v34 offset:176
	s_waitcnt lgkmcnt(1)
	v_fma_f64 v[28:29], v[14:15], v[28:29], v[32:33]
	v_fma_f64 v[28:29], v[16:17], v[30:31], v[28:29]
	s_waitcnt lgkmcnt(0)
	s_delay_alu instid0(VALU_DEP_1) | instskip(NEXT) | instid1(VALU_DEP_1)
	v_fma_f64 v[28:29], v[18:19], v[35:36], v[28:29]
	v_fma_f64 v[32:33], v[20:21], v[37:38], v[28:29]
	ds_load_b128 v[28:31], v34 offset:192
	ds_load_b64 v[35:36], v34 offset:208
	s_waitcnt lgkmcnt(1)
	v_fma_f64 v[28:29], v[22:23], v[28:29], v[32:33]
	s_delay_alu instid0(VALU_DEP_1) | instskip(SKIP_1) | instid1(VALU_DEP_1)
	v_fma_f64 v[28:29], v[24:25], v[30:31], v[28:29]
	s_waitcnt lgkmcnt(0)
	v_fma_f64 v[28:29], v[26:27], v[35:36], v[28:29]
	s_delay_alu instid0(VALU_DEP_1)
	v_add_f64 v[4:5], v[4:5], -v[28:29]
	v_cmpx_ne_u32_e32 0, v0
	s_cbranch_execz .LBB12_100
; %bb.99:
	s_delay_alu instid0(VALU_DEP_2)
	v_dual_mov_b32 v37, v5 :: v_dual_mov_b32 v36, v4
	v_dual_mov_b32 v35, v34 :: v_dual_mov_b32 v40, v8
	;; [unrolled: 1-line block ×29, first 2 shown]
	v_mov_b32_e32 v33, v65
	ds_store_b64 v1, v[86:87]
.LBB12_100:
	s_or_b32 exec_lo, exec_lo, s0
	s_waitcnt lgkmcnt(0)
	s_barrier
	buffer_gl0_inv
	ds_load_2addr_b64 v[28:31], v34 offset0:15 offset1:16
	ds_load_2addr_b64 v[35:38], v34 offset0:17 offset1:18
	s_and_b32 vcc_lo, exec_lo, s20
	s_waitcnt lgkmcnt(1)
	v_fma_f64 v[0:1], v[4:5], v[28:29], 0
	s_delay_alu instid0(VALU_DEP_1) | instskip(SKIP_1) | instid1(VALU_DEP_1)
	v_fma_f64 v[0:1], v[6:7], v[30:31], v[0:1]
	s_waitcnt lgkmcnt(0)
	v_fma_f64 v[0:1], v[8:9], v[35:36], v[0:1]
	s_delay_alu instid0(VALU_DEP_1) | instskip(SKIP_4) | instid1(VALU_DEP_1)
	v_fma_f64 v[0:1], v[10:11], v[37:38], v[0:1]
	ds_load_2addr_b64 v[28:31], v34 offset0:19 offset1:20
	ds_load_2addr_b64 v[35:38], v34 offset0:21 offset1:22
	s_waitcnt lgkmcnt(1)
	v_fma_f64 v[0:1], v[12:13], v[28:29], v[0:1]
	v_fma_f64 v[0:1], v[14:15], v[30:31], v[0:1]
	s_waitcnt lgkmcnt(0)
	s_delay_alu instid0(VALU_DEP_1) | instskip(SKIP_4) | instid1(VALU_DEP_1)
	v_fma_f64 v[0:1], v[16:17], v[35:36], v[0:1]
	ds_load_2addr_b64 v[28:31], v34 offset0:23 offset1:24
	ds_load_2addr_b64 v[32:35], v34 offset0:25 offset1:26
	v_fma_f64 v[0:1], v[18:19], v[37:38], v[0:1]
	s_waitcnt lgkmcnt(1)
	v_fma_f64 v[0:1], v[20:21], v[28:29], v[0:1]
	s_delay_alu instid0(VALU_DEP_1) | instskip(SKIP_1) | instid1(VALU_DEP_1)
	v_fma_f64 v[0:1], v[22:23], v[30:31], v[0:1]
	s_waitcnt lgkmcnt(0)
	v_fma_f64 v[0:1], v[24:25], v[32:33], v[0:1]
	s_delay_alu instid0(VALU_DEP_1) | instskip(NEXT) | instid1(VALU_DEP_1)
	v_fma_f64 v[0:1], v[26:27], v[34:35], v[0:1]
	v_add_f64 v[2:3], v[2:3], -v[0:1]
	s_cbranch_vccz .LBB12_126
; %bb.101:
	v_dual_mov_b32 v0, s16 :: v_dual_mov_b32 v1, s17
	s_mov_b32 s7, exec_lo
	flat_load_b32 v0, v[0:1] offset:44
	s_waitcnt vmcnt(0) lgkmcnt(0)
	v_add_nc_u32_e32 v0, -1, v0
	s_delay_alu instid0(VALU_DEP_1)
	v_cmpx_ne_u32_e32 11, v0
	s_cbranch_execz .LBB12_103
; %bb.102:
	v_cmp_eq_u32_e32 vcc_lo, 1, v0
	v_cmp_eq_u32_e64 s0, 2, v0
	v_cmp_eq_u32_e64 s1, 3, v0
	;; [unrolled: 1-line block ×4, first 2 shown]
	v_dual_cndmask_b32 v1, v2, v4 :: v_dual_cndmask_b32 v28, v3, v5
	v_cmp_eq_u32_e64 s4, 6, v0
	v_cmp_eq_u32_e64 s5, 0, v0
	;; [unrolled: 1-line block ×3, first 2 shown]
	s_delay_alu instid0(VALU_DEP_4)
	v_cndmask_b32_e64 v1, v1, v6, s0
	v_cndmask_b32_e64 v28, v28, v7, s0
	v_cndmask_b32_e32 v30, v5, v25, vcc_lo
	v_cndmask_b32_e64 v32, v7, v25, s0
	v_cndmask_b32_e64 v31, v6, v24, s0
	v_cndmask_b32_e64 v1, v1, v8, s1
	v_cndmask_b32_e64 v28, v28, v9, s1
	v_cmp_eq_u32_e64 s0, 9, v0
	v_cndmask_b32_e64 v34, v9, v25, s1
	v_cndmask_b32_e64 v33, v8, v24, s1
	;; [unrolled: 1-line block ×4, first 2 shown]
	v_cmp_eq_u32_e64 s1, 10, v0
	v_cndmask_b32_e64 v36, v11, v25, s2
	v_cndmask_b32_e64 v35, v10, v24, s2
	;; [unrolled: 1-line block ×5, first 2 shown]
	v_cmp_eq_u32_e64 s2, 11, v0
	v_cndmask_b32_e64 v38, v13, v25, s3
	v_cndmask_b32_e64 v1, v1, v14, s4
	;; [unrolled: 1-line block ×3, first 2 shown]
	v_cndmask_b32_e32 v29, v4, v24, vcc_lo
	v_cmp_eq_u32_e32 vcc_lo, 8, v0
	v_cndmask_b32_e64 v37, v12, v24, s3
	v_cndmask_b32_e64 v1, v1, v16, s6
	;; [unrolled: 1-line block ×4, first 2 shown]
	v_cndmask_b32_e32 v43, v18, v24, vcc_lo
	v_cndmask_b32_e64 v39, v14, v24, s4
	v_dual_cndmask_b32 v1, v1, v18 :: v_dual_cndmask_b32 v44, v19, v25
	v_cndmask_b32_e64 v42, v17, v25, s6
	v_cndmask_b32_e64 v41, v16, v24, s6
	v_cndmask_b32_e64 v46, v21, v25, s0
	s_delay_alu instid0(VALU_DEP_4) | instskip(SKIP_3) | instid1(VALU_DEP_4)
	v_cndmask_b32_e64 v1, v1, v20, s0
	v_cndmask_b32_e64 v45, v20, v24, s0
	;; [unrolled: 1-line block ×5, first 2 shown]
	s_delay_alu instid0(VALU_DEP_1) | instskip(SKIP_2) | instid1(VALU_DEP_3)
	v_cndmask_b32_e64 v1, v1, v24, s2
	v_cndmask_b32_e32 v3, v3, v19, vcc_lo
	v_cmp_eq_u32_e32 vcc_lo, 12, v0
	v_cndmask_b32_e32 v0, v1, v26, vcc_lo
	s_delay_alu instid0(VALU_DEP_3) | instskip(SKIP_1) | instid1(VALU_DEP_3)
	v_cndmask_b32_e64 v3, v3, v21, s0
	v_dual_cndmask_b32 v52, v27, v25 :: v_dual_cndmask_b32 v51, v26, v24
	v_cndmask_b32_e64 v49, v0, v24, s2
	s_delay_alu instid0(VALU_DEP_3) | instskip(NEXT) | instid1(VALU_DEP_1)
	v_cndmask_b32_e64 v3, v3, v23, s1
	v_cndmask_b32_e64 v3, v3, v25, s2
	s_delay_alu instid0(VALU_DEP_1) | instskip(SKIP_1) | instid1(VALU_DEP_2)
	v_cndmask_b32_e32 v1, v3, v27, vcc_lo
	v_cndmask_b32_e64 v27, v2, v24, s5
	v_cndmask_b32_e64 v50, v1, v25, s2
	s_delay_alu instid0(VALU_DEP_2)
	v_mov_b32_e32 v2, v27
	v_dual_mov_b32 v4, v29 :: v_dual_mov_b32 v3, v28
	v_dual_mov_b32 v6, v31 :: v_dual_mov_b32 v5, v30
	;; [unrolled: 1-line block ×12, first 2 shown]
	v_mov_b32_e32 v27, v52
	v_mov_b32_e32 v28, v53
	;; [unrolled: 1-line block ×7, first 2 shown]
.LBB12_103:
	s_or_b32 exec_lo, exec_lo, s7
	v_dual_mov_b32 v0, s16 :: v_dual_mov_b32 v1, s17
	s_mov_b32 s7, exec_lo
	flat_load_b32 v0, v[0:1] offset:40
	s_waitcnt vmcnt(0) lgkmcnt(0)
	v_add_nc_u32_e32 v0, -1, v0
	s_delay_alu instid0(VALU_DEP_1)
	v_cmpx_ne_u32_e32 10, v0
	s_cbranch_execz .LBB12_105
; %bb.104:
	v_cmp_eq_u32_e32 vcc_lo, 1, v0
	v_cmp_eq_u32_e64 s0, 2, v0
	v_cmp_eq_u32_e64 s1, 3, v0
	;; [unrolled: 1-line block ×4, first 2 shown]
	v_dual_cndmask_b32 v1, v2, v4 :: v_dual_cndmask_b32 v28, v3, v5
	v_cmp_eq_u32_e64 s4, 6, v0
	v_cmp_eq_u32_e64 s5, 0, v0
	;; [unrolled: 1-line block ×3, first 2 shown]
	s_delay_alu instid0(VALU_DEP_4)
	v_cndmask_b32_e64 v1, v1, v6, s0
	v_cndmask_b32_e64 v28, v28, v7, s0
	v_cndmask_b32_e32 v30, v5, v23, vcc_lo
	v_cndmask_b32_e64 v32, v7, v23, s0
	v_cndmask_b32_e64 v31, v6, v22, s0
	;; [unrolled: 1-line block ×4, first 2 shown]
	v_cmp_eq_u32_e64 s0, 9, v0
	v_cndmask_b32_e64 v34, v9, v23, s1
	v_cndmask_b32_e64 v33, v8, v22, s1
	;; [unrolled: 1-line block ×4, first 2 shown]
	v_cmp_eq_u32_e64 s1, 10, v0
	v_cndmask_b32_e64 v36, v11, v23, s2
	v_cndmask_b32_e64 v35, v10, v22, s2
	;; [unrolled: 1-line block ×5, first 2 shown]
	v_cmp_eq_u32_e64 s2, 11, v0
	v_cndmask_b32_e64 v38, v13, v23, s3
	v_cndmask_b32_e64 v1, v1, v14, s4
	;; [unrolled: 1-line block ×3, first 2 shown]
	v_cndmask_b32_e32 v29, v4, v22, vcc_lo
	v_cmp_eq_u32_e32 vcc_lo, 8, v0
	v_cndmask_b32_e64 v37, v12, v22, s3
	v_cndmask_b32_e64 v1, v1, v16, s6
	;; [unrolled: 1-line block ×4, first 2 shown]
	v_cndmask_b32_e32 v43, v18, v22, vcc_lo
	v_cndmask_b32_e64 v39, v14, v22, s4
	v_dual_cndmask_b32 v1, v1, v18 :: v_dual_cndmask_b32 v44, v19, v23
	v_cndmask_b32_e64 v42, v17, v23, s6
	v_cndmask_b32_e64 v41, v16, v22, s6
	;; [unrolled: 1-line block ×3, first 2 shown]
	s_delay_alu instid0(VALU_DEP_4) | instskip(SKIP_3) | instid1(VALU_DEP_4)
	v_cndmask_b32_e64 v1, v1, v20, s0
	v_cndmask_b32_e64 v45, v20, v22, s0
	;; [unrolled: 1-line block ×5, first 2 shown]
	s_delay_alu instid0(VALU_DEP_1) | instskip(SKIP_2) | instid1(VALU_DEP_3)
	v_cndmask_b32_e64 v1, v1, v24, s2
	v_cndmask_b32_e32 v3, v3, v19, vcc_lo
	v_cmp_eq_u32_e32 vcc_lo, 12, v0
	v_cndmask_b32_e32 v0, v1, v26, vcc_lo
	s_delay_alu instid0(VALU_DEP_3) | instskip(SKIP_1) | instid1(VALU_DEP_3)
	v_cndmask_b32_e64 v3, v3, v21, s0
	v_dual_cndmask_b32 v52, v27, v23 :: v_dual_cndmask_b32 v51, v26, v22
	v_cndmask_b32_e64 v47, v0, v22, s1
	s_delay_alu instid0(VALU_DEP_3) | instskip(NEXT) | instid1(VALU_DEP_1)
	v_cndmask_b32_e64 v3, v3, v23, s1
	v_cndmask_b32_e64 v3, v3, v25, s2
	s_delay_alu instid0(VALU_DEP_1) | instskip(SKIP_1) | instid1(VALU_DEP_2)
	v_cndmask_b32_e32 v1, v3, v27, vcc_lo
	v_cndmask_b32_e64 v27, v2, v22, s5
	v_cndmask_b32_e64 v48, v1, v23, s1
	s_delay_alu instid0(VALU_DEP_2)
	v_mov_b32_e32 v2, v27
	v_dual_mov_b32 v4, v29 :: v_dual_mov_b32 v3, v28
	v_dual_mov_b32 v6, v31 :: v_dual_mov_b32 v5, v30
	;; [unrolled: 1-line block ×12, first 2 shown]
	v_mov_b32_e32 v27, v52
	v_mov_b32_e32 v28, v53
	;; [unrolled: 1-line block ×7, first 2 shown]
.LBB12_105:
	s_or_b32 exec_lo, exec_lo, s7
	v_dual_mov_b32 v0, s16 :: v_dual_mov_b32 v1, s17
	s_mov_b32 s7, exec_lo
	flat_load_b32 v0, v[0:1] offset:36
	s_waitcnt vmcnt(0) lgkmcnt(0)
	v_add_nc_u32_e32 v0, -1, v0
	s_delay_alu instid0(VALU_DEP_1)
	v_cmpx_ne_u32_e32 9, v0
	s_cbranch_execz .LBB12_107
; %bb.106:
	v_cmp_eq_u32_e32 vcc_lo, 1, v0
	v_cmp_eq_u32_e64 s0, 2, v0
	v_cmp_eq_u32_e64 s1, 3, v0
	;; [unrolled: 1-line block ×4, first 2 shown]
	v_dual_cndmask_b32 v1, v2, v4 :: v_dual_cndmask_b32 v28, v3, v5
	v_cmp_eq_u32_e64 s4, 6, v0
	v_cmp_eq_u32_e64 s5, 0, v0
	;; [unrolled: 1-line block ×3, first 2 shown]
	s_delay_alu instid0(VALU_DEP_4)
	v_cndmask_b32_e64 v1, v1, v6, s0
	v_cndmask_b32_e64 v28, v28, v7, s0
	v_cndmask_b32_e32 v30, v5, v21, vcc_lo
	v_cndmask_b32_e64 v32, v7, v21, s0
	v_cndmask_b32_e64 v31, v6, v20, s0
	;; [unrolled: 1-line block ×4, first 2 shown]
	v_cmp_eq_u32_e64 s0, 9, v0
	v_cndmask_b32_e64 v34, v9, v21, s1
	v_cndmask_b32_e64 v33, v8, v20, s1
	;; [unrolled: 1-line block ×4, first 2 shown]
	v_cmp_eq_u32_e64 s1, 10, v0
	v_cndmask_b32_e64 v36, v11, v21, s2
	v_cndmask_b32_e64 v35, v10, v20, s2
	;; [unrolled: 1-line block ×5, first 2 shown]
	v_cmp_eq_u32_e64 s2, 11, v0
	v_cndmask_b32_e64 v38, v13, v21, s3
	v_cndmask_b32_e64 v1, v1, v14, s4
	;; [unrolled: 1-line block ×3, first 2 shown]
	v_cndmask_b32_e32 v29, v4, v20, vcc_lo
	v_cmp_eq_u32_e32 vcc_lo, 8, v0
	v_cndmask_b32_e64 v37, v12, v20, s3
	v_cndmask_b32_e64 v1, v1, v16, s6
	;; [unrolled: 1-line block ×4, first 2 shown]
	v_cndmask_b32_e32 v43, v18, v20, vcc_lo
	v_cndmask_b32_e64 v39, v14, v20, s4
	v_dual_cndmask_b32 v1, v1, v18 :: v_dual_cndmask_b32 v44, v19, v21
	v_cndmask_b32_e64 v42, v17, v21, s6
	v_cndmask_b32_e64 v41, v16, v20, s6
	;; [unrolled: 1-line block ×3, first 2 shown]
	s_delay_alu instid0(VALU_DEP_4) | instskip(SKIP_3) | instid1(VALU_DEP_4)
	v_cndmask_b32_e64 v1, v1, v20, s0
	v_cndmask_b32_e64 v47, v22, v20, s1
	;; [unrolled: 1-line block ×5, first 2 shown]
	s_delay_alu instid0(VALU_DEP_1) | instskip(SKIP_2) | instid1(VALU_DEP_3)
	v_cndmask_b32_e64 v1, v1, v24, s2
	v_cndmask_b32_e32 v3, v3, v19, vcc_lo
	v_cmp_eq_u32_e32 vcc_lo, 12, v0
	v_cndmask_b32_e32 v0, v1, v26, vcc_lo
	s_delay_alu instid0(VALU_DEP_3) | instskip(SKIP_1) | instid1(VALU_DEP_3)
	v_cndmask_b32_e64 v3, v3, v21, s0
	v_dual_cndmask_b32 v52, v27, v21 :: v_dual_cndmask_b32 v51, v26, v20
	v_cndmask_b32_e64 v45, v0, v20, s0
	s_delay_alu instid0(VALU_DEP_3) | instskip(NEXT) | instid1(VALU_DEP_1)
	v_cndmask_b32_e64 v3, v3, v23, s1
	v_cndmask_b32_e64 v3, v3, v25, s2
	s_delay_alu instid0(VALU_DEP_1) | instskip(SKIP_1) | instid1(VALU_DEP_2)
	v_cndmask_b32_e32 v1, v3, v27, vcc_lo
	v_cndmask_b32_e64 v27, v2, v20, s5
	v_cndmask_b32_e64 v46, v1, v21, s0
	s_delay_alu instid0(VALU_DEP_2)
	v_mov_b32_e32 v2, v27
	v_dual_mov_b32 v4, v29 :: v_dual_mov_b32 v3, v28
	v_dual_mov_b32 v6, v31 :: v_dual_mov_b32 v5, v30
	;; [unrolled: 1-line block ×12, first 2 shown]
	v_mov_b32_e32 v27, v52
	v_mov_b32_e32 v28, v53
	;; [unrolled: 1-line block ×7, first 2 shown]
.LBB12_107:
	s_or_b32 exec_lo, exec_lo, s7
	v_dual_mov_b32 v0, s16 :: v_dual_mov_b32 v1, s17
	s_mov_b32 s7, exec_lo
	flat_load_b32 v0, v[0:1] offset:32
	s_waitcnt vmcnt(0) lgkmcnt(0)
	v_add_nc_u32_e32 v0, -1, v0
	s_delay_alu instid0(VALU_DEP_1)
	v_cmpx_ne_u32_e32 8, v0
	s_cbranch_execz .LBB12_109
; %bb.108:
	v_cmp_eq_u32_e32 vcc_lo, 1, v0
	v_cmp_eq_u32_e64 s0, 2, v0
	v_cmp_eq_u32_e64 s1, 3, v0
	;; [unrolled: 1-line block ×4, first 2 shown]
	v_dual_cndmask_b32 v1, v2, v4 :: v_dual_cndmask_b32 v28, v3, v5
	v_cmp_eq_u32_e64 s4, 6, v0
	v_cmp_eq_u32_e64 s5, 0, v0
	v_cmp_eq_u32_e64 s6, 7, v0
	s_delay_alu instid0(VALU_DEP_4)
	v_cndmask_b32_e64 v1, v1, v6, s0
	v_cndmask_b32_e64 v28, v28, v7, s0
	;; [unrolled: 1-line block ×4, first 2 shown]
	v_cndmask_b32_e32 v30, v5, v19, vcc_lo
	v_cndmask_b32_e64 v1, v1, v8, s1
	v_cndmask_b32_e64 v28, v28, v9, s1
	;; [unrolled: 1-line block ×7, first 2 shown]
	v_cmp_eq_u32_e64 s0, 9, v0
	v_cndmask_b32_e64 v35, v10, v18, s2
	v_cmp_eq_u32_e64 s1, 10, v0
	v_cndmask_b32_e64 v1, v1, v12, s3
	v_cndmask_b32_e64 v29, v28, v13, s3
	;; [unrolled: 1-line block ×3, first 2 shown]
	v_cmp_eq_u32_e64 s2, 11, v0
	v_cndmask_b32_e64 v38, v13, v19, s3
	v_cndmask_b32_e64 v1, v1, v14, s4
	;; [unrolled: 1-line block ×3, first 2 shown]
	v_cndmask_b32_e32 v29, v4, v18, vcc_lo
	v_cmp_eq_u32_e32 vcc_lo, 8, v0
	v_cndmask_b32_e64 v37, v12, v18, s3
	v_cndmask_b32_e64 v1, v1, v16, s6
	;; [unrolled: 1-line block ×13, first 2 shown]
	v_cndmask_b32_e32 v1, v1, v18, vcc_lo
	v_cndmask_b32_e32 v3, v3, v19, vcc_lo
	s_delay_alu instid0(VALU_DEP_2) | instskip(NEXT) | instid1(VALU_DEP_2)
	v_cndmask_b32_e64 v1, v1, v20, s0
	v_cndmask_b32_e64 v3, v3, v21, s0
	v_cmp_eq_u32_e64 s0, 12, v0
	s_delay_alu instid0(VALU_DEP_3) | instskip(NEXT) | instid1(VALU_DEP_3)
	v_cndmask_b32_e64 v1, v1, v22, s1
	v_cndmask_b32_e64 v3, v3, v23, s1
	s_delay_alu instid0(VALU_DEP_3) | instskip(SKIP_1) | instid1(VALU_DEP_4)
	v_cndmask_b32_e64 v52, v27, v19, s0
	v_cndmask_b32_e64 v51, v26, v18, s0
	;; [unrolled: 1-line block ×3, first 2 shown]
	s_delay_alu instid0(VALU_DEP_4) | instskip(NEXT) | instid1(VALU_DEP_2)
	v_cndmask_b32_e64 v3, v3, v25, s2
	v_cndmask_b32_e64 v0, v1, v26, s0
	s_delay_alu instid0(VALU_DEP_2) | instskip(SKIP_1) | instid1(VALU_DEP_2)
	v_cndmask_b32_e64 v1, v3, v27, s0
	v_cndmask_b32_e64 v27, v2, v18, s5
	v_dual_cndmask_b32 v43, v0, v18 :: v_dual_cndmask_b32 v44, v1, v19
	s_delay_alu instid0(VALU_DEP_2)
	v_mov_b32_e32 v2, v27
	v_dual_mov_b32 v3, v28 :: v_dual_mov_b32 v6, v31
	v_dual_mov_b32 v4, v29 :: v_dual_mov_b32 v5, v30
	;; [unrolled: 1-line block ×12, first 2 shown]
	v_mov_b32_e32 v27, v52
	v_mov_b32_e32 v28, v53
	;; [unrolled: 1-line block ×7, first 2 shown]
.LBB12_109:
	s_or_b32 exec_lo, exec_lo, s7
	v_dual_mov_b32 v0, s16 :: v_dual_mov_b32 v1, s17
	s_mov_b32 s7, exec_lo
	flat_load_b32 v0, v[0:1] offset:28
	s_waitcnt vmcnt(0) lgkmcnt(0)
	v_add_nc_u32_e32 v0, -1, v0
	s_delay_alu instid0(VALU_DEP_1)
	v_cmpx_ne_u32_e32 7, v0
	s_cbranch_execz .LBB12_111
; %bb.110:
	v_cmp_eq_u32_e32 vcc_lo, 1, v0
	v_cmp_eq_u32_e64 s0, 2, v0
	v_cmp_eq_u32_e64 s1, 3, v0
	v_cmp_eq_u32_e64 s2, 4, v0
	v_cmp_eq_u32_e64 s3, 5, v0
	v_dual_cndmask_b32 v1, v2, v4 :: v_dual_cndmask_b32 v28, v3, v5
	v_cmp_eq_u32_e64 s4, 6, v0
	v_cmp_eq_u32_e64 s5, 0, v0
	;; [unrolled: 1-line block ×3, first 2 shown]
	s_delay_alu instid0(VALU_DEP_4)
	v_cndmask_b32_e64 v1, v1, v6, s0
	v_cndmask_b32_e64 v28, v28, v7, s0
	v_cndmask_b32_e32 v30, v5, v17, vcc_lo
	v_cndmask_b32_e64 v32, v7, v17, s0
	v_cndmask_b32_e64 v31, v6, v16, s0
	;; [unrolled: 1-line block ×4, first 2 shown]
	v_cmp_eq_u32_e64 s0, 9, v0
	v_cndmask_b32_e64 v34, v9, v17, s1
	v_cndmask_b32_e64 v33, v8, v16, s1
	;; [unrolled: 1-line block ×4, first 2 shown]
	v_cmp_eq_u32_e64 s1, 10, v0
	v_cndmask_b32_e64 v36, v11, v17, s2
	v_cndmask_b32_e64 v35, v10, v16, s2
	;; [unrolled: 1-line block ×5, first 2 shown]
	v_cmp_eq_u32_e64 s2, 11, v0
	v_cndmask_b32_e64 v38, v13, v17, s3
	v_cndmask_b32_e64 v1, v1, v14, s4
	;; [unrolled: 1-line block ×3, first 2 shown]
	v_cndmask_b32_e32 v29, v4, v16, vcc_lo
	v_cmp_eq_u32_e32 vcc_lo, 8, v0
	v_cndmask_b32_e64 v37, v12, v16, s3
	v_cndmask_b32_e64 v1, v1, v16, s6
	;; [unrolled: 1-line block ×4, first 2 shown]
	v_cndmask_b32_e32 v43, v18, v16, vcc_lo
	v_cndmask_b32_e64 v39, v14, v16, s4
	v_dual_cndmask_b32 v1, v1, v18 :: v_dual_cndmask_b32 v44, v19, v17
	v_cndmask_b32_e64 v46, v21, v17, s0
	v_cndmask_b32_e64 v45, v20, v16, s0
	;; [unrolled: 1-line block ×3, first 2 shown]
	s_delay_alu instid0(VALU_DEP_4) | instskip(SKIP_3) | instid1(VALU_DEP_4)
	v_cndmask_b32_e64 v1, v1, v20, s0
	v_cndmask_b32_e64 v47, v22, v16, s1
	;; [unrolled: 1-line block ×5, first 2 shown]
	s_delay_alu instid0(VALU_DEP_1) | instskip(SKIP_2) | instid1(VALU_DEP_3)
	v_cndmask_b32_e64 v1, v1, v24, s2
	v_cndmask_b32_e32 v3, v3, v19, vcc_lo
	v_cmp_eq_u32_e32 vcc_lo, 12, v0
	v_cndmask_b32_e32 v0, v1, v26, vcc_lo
	s_delay_alu instid0(VALU_DEP_3) | instskip(SKIP_1) | instid1(VALU_DEP_3)
	v_cndmask_b32_e64 v3, v3, v21, s0
	v_dual_cndmask_b32 v52, v27, v17 :: v_dual_cndmask_b32 v51, v26, v16
	v_cndmask_b32_e64 v41, v0, v16, s6
	s_delay_alu instid0(VALU_DEP_3) | instskip(NEXT) | instid1(VALU_DEP_1)
	v_cndmask_b32_e64 v3, v3, v23, s1
	v_cndmask_b32_e64 v3, v3, v25, s2
	s_delay_alu instid0(VALU_DEP_1) | instskip(SKIP_1) | instid1(VALU_DEP_2)
	v_cndmask_b32_e32 v1, v3, v27, vcc_lo
	v_cndmask_b32_e64 v27, v2, v16, s5
	v_cndmask_b32_e64 v42, v1, v17, s6
	s_delay_alu instid0(VALU_DEP_2)
	v_mov_b32_e32 v2, v27
	v_dual_mov_b32 v4, v29 :: v_dual_mov_b32 v3, v28
	v_dual_mov_b32 v6, v31 :: v_dual_mov_b32 v5, v30
	;; [unrolled: 1-line block ×12, first 2 shown]
	v_mov_b32_e32 v27, v52
	v_mov_b32_e32 v28, v53
	;; [unrolled: 1-line block ×7, first 2 shown]
.LBB12_111:
	s_or_b32 exec_lo, exec_lo, s7
	v_dual_mov_b32 v0, s16 :: v_dual_mov_b32 v1, s17
	s_mov_b32 s7, exec_lo
	flat_load_b32 v0, v[0:1] offset:24
	s_waitcnt vmcnt(0) lgkmcnt(0)
	v_add_nc_u32_e32 v0, -1, v0
	s_delay_alu instid0(VALU_DEP_1)
	v_cmpx_ne_u32_e32 6, v0
	s_cbranch_execz .LBB12_113
; %bb.112:
	v_cmp_eq_u32_e32 vcc_lo, 1, v0
	v_cmp_eq_u32_e64 s0, 2, v0
	v_cmp_eq_u32_e64 s1, 3, v0
	;; [unrolled: 1-line block ×4, first 2 shown]
	v_dual_cndmask_b32 v1, v2, v4 :: v_dual_cndmask_b32 v28, v3, v5
	v_cmp_eq_u32_e64 s4, 6, v0
	v_cmp_eq_u32_e64 s5, 0, v0
	;; [unrolled: 1-line block ×3, first 2 shown]
	s_delay_alu instid0(VALU_DEP_4)
	v_cndmask_b32_e64 v1, v1, v6, s0
	v_cndmask_b32_e64 v28, v28, v7, s0
	v_cndmask_b32_e32 v30, v5, v15, vcc_lo
	v_cndmask_b32_e64 v32, v7, v15, s0
	v_cndmask_b32_e64 v31, v6, v14, s0
	;; [unrolled: 1-line block ×4, first 2 shown]
	v_cmp_eq_u32_e64 s0, 9, v0
	v_cndmask_b32_e64 v34, v9, v15, s1
	v_cndmask_b32_e64 v33, v8, v14, s1
	;; [unrolled: 1-line block ×4, first 2 shown]
	v_cmp_eq_u32_e64 s1, 10, v0
	v_cndmask_b32_e64 v36, v11, v15, s2
	v_cndmask_b32_e64 v35, v10, v14, s2
	;; [unrolled: 1-line block ×5, first 2 shown]
	v_cmp_eq_u32_e64 s2, 11, v0
	v_cndmask_b32_e64 v38, v13, v15, s3
	v_cndmask_b32_e64 v1, v1, v14, s4
	v_cndmask_b32_e64 v3, v29, v15, s4
	v_cndmask_b32_e32 v29, v4, v14, vcc_lo
	v_cmp_eq_u32_e32 vcc_lo, 8, v0
	v_cndmask_b32_e64 v37, v12, v14, s3
	v_cndmask_b32_e64 v1, v1, v16, s6
	;; [unrolled: 1-line block ×4, first 2 shown]
	v_cndmask_b32_e32 v43, v18, v14, vcc_lo
	v_cndmask_b32_e64 v41, v16, v14, s6
	v_dual_cndmask_b32 v1, v1, v18 :: v_dual_cndmask_b32 v44, v19, v15
	v_cndmask_b32_e64 v46, v21, v15, s0
	v_cndmask_b32_e64 v45, v20, v14, s0
	;; [unrolled: 1-line block ×3, first 2 shown]
	s_delay_alu instid0(VALU_DEP_4) | instskip(SKIP_3) | instid1(VALU_DEP_4)
	v_cndmask_b32_e64 v1, v1, v20, s0
	v_cndmask_b32_e64 v47, v22, v14, s1
	;; [unrolled: 1-line block ×5, first 2 shown]
	s_delay_alu instid0(VALU_DEP_1) | instskip(SKIP_2) | instid1(VALU_DEP_3)
	v_cndmask_b32_e64 v1, v1, v24, s2
	v_cndmask_b32_e32 v3, v3, v19, vcc_lo
	v_cmp_eq_u32_e32 vcc_lo, 12, v0
	v_cndmask_b32_e32 v0, v1, v26, vcc_lo
	s_delay_alu instid0(VALU_DEP_3) | instskip(SKIP_1) | instid1(VALU_DEP_3)
	v_cndmask_b32_e64 v3, v3, v21, s0
	v_dual_cndmask_b32 v52, v27, v15 :: v_dual_cndmask_b32 v51, v26, v14
	v_cndmask_b32_e64 v39, v0, v14, s4
	s_delay_alu instid0(VALU_DEP_3) | instskip(NEXT) | instid1(VALU_DEP_1)
	v_cndmask_b32_e64 v3, v3, v23, s1
	v_cndmask_b32_e64 v3, v3, v25, s2
	s_delay_alu instid0(VALU_DEP_1) | instskip(SKIP_1) | instid1(VALU_DEP_2)
	v_cndmask_b32_e32 v1, v3, v27, vcc_lo
	v_cndmask_b32_e64 v27, v2, v14, s5
	v_cndmask_b32_e64 v40, v1, v15, s4
	s_delay_alu instid0(VALU_DEP_2)
	v_mov_b32_e32 v2, v27
	v_dual_mov_b32 v4, v29 :: v_dual_mov_b32 v3, v28
	v_dual_mov_b32 v6, v31 :: v_dual_mov_b32 v5, v30
	;; [unrolled: 1-line block ×12, first 2 shown]
	v_mov_b32_e32 v27, v52
	v_mov_b32_e32 v28, v53
	v_mov_b32_e32 v29, v54
	v_mov_b32_e32 v30, v55
	v_mov_b32_e32 v31, v56
	v_mov_b32_e32 v32, v57
	v_mov_b32_e32 v33, v58
.LBB12_113:
	s_or_b32 exec_lo, exec_lo, s7
	v_dual_mov_b32 v0, s16 :: v_dual_mov_b32 v1, s17
	s_mov_b32 s7, exec_lo
	flat_load_b32 v0, v[0:1] offset:20
	s_waitcnt vmcnt(0) lgkmcnt(0)
	v_add_nc_u32_e32 v0, -1, v0
	s_delay_alu instid0(VALU_DEP_1)
	v_cmpx_ne_u32_e32 5, v0
	s_cbranch_execz .LBB12_115
; %bb.114:
	v_cmp_eq_u32_e32 vcc_lo, 1, v0
	v_cmp_eq_u32_e64 s0, 2, v0
	v_cmp_eq_u32_e64 s1, 3, v0
	;; [unrolled: 1-line block ×4, first 2 shown]
	v_dual_cndmask_b32 v1, v2, v4 :: v_dual_cndmask_b32 v28, v3, v5
	v_cmp_eq_u32_e64 s4, 6, v0
	v_cmp_eq_u32_e64 s5, 0, v0
	v_cmp_eq_u32_e64 s6, 7, v0
	s_delay_alu instid0(VALU_DEP_4)
	v_cndmask_b32_e64 v1, v1, v6, s0
	v_cndmask_b32_e64 v28, v28, v7, s0
	v_cndmask_b32_e32 v30, v5, v13, vcc_lo
	v_cndmask_b32_e64 v32, v7, v13, s0
	v_cndmask_b32_e64 v31, v6, v12, s0
	;; [unrolled: 1-line block ×4, first 2 shown]
	v_cmp_eq_u32_e64 s0, 9, v0
	v_cndmask_b32_e64 v34, v9, v13, s1
	v_cndmask_b32_e64 v33, v8, v12, s1
	;; [unrolled: 1-line block ×4, first 2 shown]
	v_cmp_eq_u32_e64 s1, 10, v0
	v_cndmask_b32_e64 v36, v11, v13, s2
	v_cndmask_b32_e64 v35, v10, v12, s2
	;; [unrolled: 1-line block ×5, first 2 shown]
	v_cmp_eq_u32_e64 s2, 11, v0
	v_cndmask_b32_e64 v40, v15, v13, s4
	v_cndmask_b32_e64 v1, v1, v14, s4
	;; [unrolled: 1-line block ×3, first 2 shown]
	v_cndmask_b32_e32 v29, v4, v12, vcc_lo
	v_cmp_eq_u32_e32 vcc_lo, 8, v0
	v_cndmask_b32_e64 v39, v14, v12, s4
	v_cndmask_b32_e64 v1, v1, v16, s6
	;; [unrolled: 1-line block ×4, first 2 shown]
	v_cndmask_b32_e32 v43, v18, v12, vcc_lo
	v_cndmask_b32_e64 v41, v16, v12, s6
	v_dual_cndmask_b32 v1, v1, v18 :: v_dual_cndmask_b32 v44, v19, v13
	v_cndmask_b32_e64 v46, v21, v13, s0
	v_cndmask_b32_e64 v45, v20, v12, s0
	;; [unrolled: 1-line block ×3, first 2 shown]
	s_delay_alu instid0(VALU_DEP_4) | instskip(SKIP_3) | instid1(VALU_DEP_4)
	v_cndmask_b32_e64 v1, v1, v20, s0
	v_cndmask_b32_e64 v47, v22, v12, s1
	;; [unrolled: 1-line block ×5, first 2 shown]
	s_delay_alu instid0(VALU_DEP_1) | instskip(SKIP_2) | instid1(VALU_DEP_3)
	v_cndmask_b32_e64 v1, v1, v24, s2
	v_cndmask_b32_e32 v3, v3, v19, vcc_lo
	v_cmp_eq_u32_e32 vcc_lo, 12, v0
	v_cndmask_b32_e32 v0, v1, v26, vcc_lo
	s_delay_alu instid0(VALU_DEP_3) | instskip(SKIP_1) | instid1(VALU_DEP_3)
	v_cndmask_b32_e64 v3, v3, v21, s0
	v_dual_cndmask_b32 v52, v27, v13 :: v_dual_cndmask_b32 v51, v26, v12
	v_cndmask_b32_e64 v37, v0, v12, s3
	s_delay_alu instid0(VALU_DEP_3) | instskip(NEXT) | instid1(VALU_DEP_1)
	v_cndmask_b32_e64 v3, v3, v23, s1
	v_cndmask_b32_e64 v3, v3, v25, s2
	s_delay_alu instid0(VALU_DEP_1) | instskip(SKIP_1) | instid1(VALU_DEP_2)
	v_cndmask_b32_e32 v1, v3, v27, vcc_lo
	v_cndmask_b32_e64 v27, v2, v12, s5
	v_cndmask_b32_e64 v38, v1, v13, s3
	s_delay_alu instid0(VALU_DEP_2)
	v_mov_b32_e32 v2, v27
	v_dual_mov_b32 v4, v29 :: v_dual_mov_b32 v3, v28
	v_dual_mov_b32 v6, v31 :: v_dual_mov_b32 v5, v30
	;; [unrolled: 1-line block ×12, first 2 shown]
	v_mov_b32_e32 v27, v52
	v_mov_b32_e32 v28, v53
	;; [unrolled: 1-line block ×7, first 2 shown]
.LBB12_115:
	s_or_b32 exec_lo, exec_lo, s7
	v_dual_mov_b32 v0, s16 :: v_dual_mov_b32 v1, s17
	s_mov_b32 s7, exec_lo
	flat_load_b32 v0, v[0:1] offset:16
	s_waitcnt vmcnt(0) lgkmcnt(0)
	v_add_nc_u32_e32 v0, -1, v0
	s_delay_alu instid0(VALU_DEP_1)
	v_cmpx_ne_u32_e32 4, v0
	s_cbranch_execz .LBB12_117
; %bb.116:
	v_cmp_eq_u32_e32 vcc_lo, 1, v0
	v_cmp_eq_u32_e64 s0, 2, v0
	v_cmp_eq_u32_e64 s1, 3, v0
	;; [unrolled: 1-line block ×4, first 2 shown]
	v_dual_cndmask_b32 v1, v2, v4 :: v_dual_cndmask_b32 v28, v3, v5
	v_cmp_eq_u32_e64 s4, 6, v0
	v_cmp_eq_u32_e64 s5, 0, v0
	;; [unrolled: 1-line block ×3, first 2 shown]
	s_delay_alu instid0(VALU_DEP_4)
	v_cndmask_b32_e64 v1, v1, v6, s0
	v_cndmask_b32_e64 v28, v28, v7, s0
	v_cndmask_b32_e32 v30, v5, v11, vcc_lo
	v_cndmask_b32_e64 v32, v7, v11, s0
	v_cndmask_b32_e64 v31, v6, v10, s0
	;; [unrolled: 1-line block ×4, first 2 shown]
	v_cmp_eq_u32_e64 s0, 9, v0
	v_cndmask_b32_e64 v34, v9, v11, s1
	v_cndmask_b32_e64 v33, v8, v10, s1
	;; [unrolled: 1-line block ×4, first 2 shown]
	v_cmp_eq_u32_e64 s1, 10, v0
	v_cndmask_b32_e64 v38, v13, v11, s3
	v_cndmask_b32_e64 v37, v12, v10, s3
	;; [unrolled: 1-line block ×5, first 2 shown]
	v_cmp_eq_u32_e64 s3, 11, v0
	v_cndmask_b32_e64 v40, v15, v11, s4
	v_cndmask_b32_e64 v1, v1, v14, s4
	;; [unrolled: 1-line block ×3, first 2 shown]
	v_cndmask_b32_e32 v29, v4, v10, vcc_lo
	v_cmp_eq_u32_e32 vcc_lo, 8, v0
	v_cndmask_b32_e64 v39, v14, v10, s4
	v_cndmask_b32_e64 v1, v1, v16, s6
	;; [unrolled: 1-line block ×4, first 2 shown]
	v_cndmask_b32_e32 v43, v18, v10, vcc_lo
	v_cndmask_b32_e64 v41, v16, v10, s6
	v_dual_cndmask_b32 v1, v1, v18 :: v_dual_cndmask_b32 v44, v19, v11
	v_cndmask_b32_e64 v46, v21, v11, s0
	v_cndmask_b32_e64 v45, v20, v10, s0
	;; [unrolled: 1-line block ×3, first 2 shown]
	s_delay_alu instid0(VALU_DEP_4) | instskip(SKIP_3) | instid1(VALU_DEP_4)
	v_cndmask_b32_e64 v1, v1, v20, s0
	v_cndmask_b32_e64 v47, v22, v10, s1
	;; [unrolled: 1-line block ×5, first 2 shown]
	s_delay_alu instid0(VALU_DEP_1) | instskip(SKIP_2) | instid1(VALU_DEP_3)
	v_cndmask_b32_e64 v1, v1, v24, s3
	v_cndmask_b32_e32 v3, v3, v19, vcc_lo
	v_cmp_eq_u32_e32 vcc_lo, 12, v0
	v_cndmask_b32_e32 v0, v1, v26, vcc_lo
	s_delay_alu instid0(VALU_DEP_3) | instskip(SKIP_1) | instid1(VALU_DEP_3)
	v_cndmask_b32_e64 v3, v3, v21, s0
	v_dual_cndmask_b32 v52, v27, v11 :: v_dual_cndmask_b32 v51, v26, v10
	v_cndmask_b32_e64 v35, v0, v10, s2
	s_delay_alu instid0(VALU_DEP_3) | instskip(NEXT) | instid1(VALU_DEP_1)
	v_cndmask_b32_e64 v3, v3, v23, s1
	v_cndmask_b32_e64 v3, v3, v25, s3
	s_delay_alu instid0(VALU_DEP_1) | instskip(SKIP_1) | instid1(VALU_DEP_2)
	v_cndmask_b32_e32 v1, v3, v27, vcc_lo
	v_cndmask_b32_e64 v27, v2, v10, s5
	v_cndmask_b32_e64 v36, v1, v11, s2
	s_delay_alu instid0(VALU_DEP_2)
	v_mov_b32_e32 v2, v27
	v_dual_mov_b32 v4, v29 :: v_dual_mov_b32 v3, v28
	v_dual_mov_b32 v6, v31 :: v_dual_mov_b32 v5, v30
	;; [unrolled: 1-line block ×12, first 2 shown]
	v_mov_b32_e32 v27, v52
	v_mov_b32_e32 v28, v53
	;; [unrolled: 1-line block ×7, first 2 shown]
.LBB12_117:
	s_or_b32 exec_lo, exec_lo, s7
	v_dual_mov_b32 v0, s16 :: v_dual_mov_b32 v1, s17
	s_mov_b32 s7, exec_lo
	flat_load_b32 v0, v[0:1] offset:12
	s_waitcnt vmcnt(0) lgkmcnt(0)
	v_add_nc_u32_e32 v0, -1, v0
	s_delay_alu instid0(VALU_DEP_1)
	v_cmpx_ne_u32_e32 3, v0
	s_cbranch_execz .LBB12_119
; %bb.118:
	v_cmp_eq_u32_e32 vcc_lo, 1, v0
	v_cmp_eq_u32_e64 s0, 2, v0
	v_cmp_eq_u32_e64 s1, 3, v0
	;; [unrolled: 1-line block ×4, first 2 shown]
	v_dual_cndmask_b32 v1, v2, v4 :: v_dual_cndmask_b32 v28, v3, v5
	v_cmp_eq_u32_e64 s4, 6, v0
	v_cmp_eq_u32_e64 s5, 0, v0
	;; [unrolled: 1-line block ×3, first 2 shown]
	s_delay_alu instid0(VALU_DEP_4)
	v_cndmask_b32_e64 v1, v1, v6, s0
	v_cndmask_b32_e64 v28, v28, v7, s0
	v_cndmask_b32_e32 v30, v5, v9, vcc_lo
	v_cndmask_b32_e64 v32, v7, v9, s0
	v_cndmask_b32_e64 v31, v6, v8, s0
	;; [unrolled: 1-line block ×4, first 2 shown]
	v_cmp_eq_u32_e64 s0, 9, v0
	v_cndmask_b32_e64 v36, v11, v9, s2
	v_cndmask_b32_e64 v35, v10, v8, s2
	;; [unrolled: 1-line block ×4, first 2 shown]
	v_cmp_eq_u32_e64 s2, 10, v0
	v_cndmask_b32_e64 v38, v13, v9, s3
	v_cndmask_b32_e64 v37, v12, v8, s3
	;; [unrolled: 1-line block ×5, first 2 shown]
	v_cmp_eq_u32_e64 s3, 11, v0
	v_cndmask_b32_e64 v40, v15, v9, s4
	v_cndmask_b32_e64 v1, v1, v14, s4
	v_cndmask_b32_e64 v3, v29, v15, s4
	v_cndmask_b32_e32 v29, v4, v8, vcc_lo
	v_cmp_eq_u32_e32 vcc_lo, 8, v0
	v_cndmask_b32_e64 v39, v14, v8, s4
	v_cndmask_b32_e64 v1, v1, v16, s6
	;; [unrolled: 1-line block ×4, first 2 shown]
	v_cndmask_b32_e32 v43, v18, v8, vcc_lo
	v_cndmask_b32_e64 v41, v16, v8, s6
	v_dual_cndmask_b32 v1, v1, v18 :: v_dual_cndmask_b32 v44, v19, v9
	v_cndmask_b32_e64 v46, v21, v9, s0
	v_cndmask_b32_e64 v45, v20, v8, s0
	v_cndmask_b32_e64 v48, v23, v9, s2
	s_delay_alu instid0(VALU_DEP_4) | instskip(SKIP_3) | instid1(VALU_DEP_4)
	v_cndmask_b32_e64 v1, v1, v20, s0
	v_cndmask_b32_e64 v47, v22, v8, s2
	;; [unrolled: 1-line block ×5, first 2 shown]
	s_delay_alu instid0(VALU_DEP_1) | instskip(SKIP_2) | instid1(VALU_DEP_3)
	v_cndmask_b32_e64 v1, v1, v24, s3
	v_cndmask_b32_e32 v3, v3, v19, vcc_lo
	v_cmp_eq_u32_e32 vcc_lo, 12, v0
	v_cndmask_b32_e32 v0, v1, v26, vcc_lo
	s_delay_alu instid0(VALU_DEP_3) | instskip(SKIP_1) | instid1(VALU_DEP_3)
	v_cndmask_b32_e64 v3, v3, v21, s0
	v_dual_cndmask_b32 v52, v27, v9 :: v_dual_cndmask_b32 v51, v26, v8
	v_cndmask_b32_e64 v33, v0, v8, s1
	s_delay_alu instid0(VALU_DEP_3) | instskip(NEXT) | instid1(VALU_DEP_1)
	v_cndmask_b32_e64 v3, v3, v23, s2
	v_cndmask_b32_e64 v3, v3, v25, s3
	s_delay_alu instid0(VALU_DEP_1) | instskip(SKIP_1) | instid1(VALU_DEP_2)
	v_cndmask_b32_e32 v1, v3, v27, vcc_lo
	v_cndmask_b32_e64 v27, v2, v8, s5
	v_cndmask_b32_e64 v34, v1, v9, s1
	s_delay_alu instid0(VALU_DEP_2)
	v_mov_b32_e32 v2, v27
	v_dual_mov_b32 v4, v29 :: v_dual_mov_b32 v3, v28
	v_dual_mov_b32 v6, v31 :: v_dual_mov_b32 v5, v30
	;; [unrolled: 1-line block ×12, first 2 shown]
	v_mov_b32_e32 v27, v52
	v_mov_b32_e32 v28, v53
	;; [unrolled: 1-line block ×7, first 2 shown]
.LBB12_119:
	s_or_b32 exec_lo, exec_lo, s7
	v_dual_mov_b32 v0, s16 :: v_dual_mov_b32 v1, s17
	s_mov_b32 s7, exec_lo
	flat_load_b32 v0, v[0:1] offset:8
	s_waitcnt vmcnt(0) lgkmcnt(0)
	v_add_nc_u32_e32 v0, -1, v0
	s_delay_alu instid0(VALU_DEP_1)
	v_cmpx_ne_u32_e32 2, v0
	s_cbranch_execz .LBB12_121
; %bb.120:
	v_cmp_eq_u32_e32 vcc_lo, 1, v0
	v_cmp_eq_u32_e64 s0, 2, v0
	v_cmp_eq_u32_e64 s1, 3, v0
	;; [unrolled: 1-line block ×4, first 2 shown]
	v_dual_cndmask_b32 v1, v2, v4 :: v_dual_cndmask_b32 v28, v3, v5
	v_cmp_eq_u32_e64 s4, 6, v0
	v_cmp_eq_u32_e64 s5, 0, v0
	;; [unrolled: 1-line block ×3, first 2 shown]
	s_delay_alu instid0(VALU_DEP_4)
	v_cndmask_b32_e64 v1, v1, v6, s0
	v_cndmask_b32_e64 v28, v28, v7, s0
	v_cndmask_b32_e32 v30, v5, v7, vcc_lo
	v_cndmask_b32_e64 v34, v9, v7, s1
	v_cndmask_b32_e64 v33, v8, v6, s1
	;; [unrolled: 1-line block ×4, first 2 shown]
	v_cmp_eq_u32_e64 s1, 9, v0
	v_cndmask_b32_e64 v36, v11, v7, s2
	v_cndmask_b32_e64 v35, v10, v6, s2
	;; [unrolled: 1-line block ×4, first 2 shown]
	v_cmp_eq_u32_e64 s2, 10, v0
	v_cndmask_b32_e64 v38, v13, v7, s3
	v_cndmask_b32_e64 v37, v12, v6, s3
	;; [unrolled: 1-line block ×5, first 2 shown]
	v_cmp_eq_u32_e64 s3, 11, v0
	v_cndmask_b32_e64 v40, v15, v7, s4
	v_cndmask_b32_e64 v1, v1, v14, s4
	;; [unrolled: 1-line block ×3, first 2 shown]
	v_cndmask_b32_e32 v29, v4, v6, vcc_lo
	v_cmp_eq_u32_e32 vcc_lo, 8, v0
	v_cndmask_b32_e64 v39, v14, v6, s4
	v_cndmask_b32_e64 v1, v1, v16, s6
	;; [unrolled: 1-line block ×4, first 2 shown]
	v_cndmask_b32_e32 v43, v18, v6, vcc_lo
	v_cndmask_b32_e64 v41, v16, v6, s6
	v_dual_cndmask_b32 v1, v1, v18 :: v_dual_cndmask_b32 v44, v19, v7
	v_cndmask_b32_e64 v46, v21, v7, s1
	v_cndmask_b32_e64 v45, v20, v6, s1
	;; [unrolled: 1-line block ×3, first 2 shown]
	s_delay_alu instid0(VALU_DEP_4) | instskip(SKIP_3) | instid1(VALU_DEP_4)
	v_cndmask_b32_e64 v1, v1, v20, s1
	v_cndmask_b32_e64 v47, v22, v6, s2
	v_cndmask_b32_e64 v50, v25, v7, s3
	v_cndmask_b32_e64 v49, v24, v6, s3
	v_cndmask_b32_e64 v1, v1, v22, s2
	s_delay_alu instid0(VALU_DEP_1) | instskip(SKIP_2) | instid1(VALU_DEP_3)
	v_cndmask_b32_e64 v1, v1, v24, s3
	v_cndmask_b32_e32 v3, v3, v19, vcc_lo
	v_cmp_eq_u32_e32 vcc_lo, 12, v0
	v_cndmask_b32_e32 v0, v1, v26, vcc_lo
	s_delay_alu instid0(VALU_DEP_3) | instskip(SKIP_1) | instid1(VALU_DEP_3)
	v_cndmask_b32_e64 v3, v3, v21, s1
	v_dual_cndmask_b32 v52, v27, v7 :: v_dual_cndmask_b32 v51, v26, v6
	v_cndmask_b32_e64 v31, v0, v6, s0
	s_delay_alu instid0(VALU_DEP_3) | instskip(NEXT) | instid1(VALU_DEP_1)
	v_cndmask_b32_e64 v3, v3, v23, s2
	v_cndmask_b32_e64 v3, v3, v25, s3
	s_delay_alu instid0(VALU_DEP_1) | instskip(SKIP_1) | instid1(VALU_DEP_2)
	v_cndmask_b32_e32 v1, v3, v27, vcc_lo
	v_cndmask_b32_e64 v27, v2, v6, s5
	v_cndmask_b32_e64 v32, v1, v7, s0
	s_delay_alu instid0(VALU_DEP_2) | instskip(SKIP_2) | instid1(VALU_DEP_4)
	v_mov_b32_e32 v2, v27
	v_dual_mov_b32 v4, v29 :: v_dual_mov_b32 v3, v28
	v_dual_mov_b32 v6, v31 :: v_dual_mov_b32 v5, v30
	;; [unrolled: 1-line block ×12, first 2 shown]
	v_mov_b32_e32 v27, v52
	v_mov_b32_e32 v28, v53
	;; [unrolled: 1-line block ×7, first 2 shown]
.LBB12_121:
	s_or_b32 exec_lo, exec_lo, s7
	v_dual_mov_b32 v0, s16 :: v_dual_mov_b32 v1, s17
	s_mov_b32 s7, exec_lo
	flat_load_b32 v0, v[0:1] offset:4
	s_waitcnt vmcnt(0) lgkmcnt(0)
	v_add_nc_u32_e32 v0, -1, v0
	s_delay_alu instid0(VALU_DEP_1)
	v_cmpx_ne_u32_e32 1, v0
	s_cbranch_execz .LBB12_123
; %bb.122:
	v_cmp_eq_u32_e32 vcc_lo, 1, v0
	v_cmp_eq_u32_e64 s0, 2, v0
	v_cmp_eq_u32_e64 s1, 3, v0
	;; [unrolled: 1-line block ×4, first 2 shown]
	v_dual_cndmask_b32 v1, v2, v4 :: v_dual_cndmask_b32 v28, v3, v5
	v_cmp_eq_u32_e64 s4, 6, v0
	v_cmp_eq_u32_e64 s5, 0, v0
	v_cmp_eq_u32_e64 s6, 7, v0
	s_delay_alu instid0(VALU_DEP_4)
	v_cndmask_b32_e64 v1, v1, v6, s0
	v_cndmask_b32_e64 v28, v28, v7, s0
	v_cndmask_b32_e64 v32, v7, v5, s0
	v_cndmask_b32_e64 v31, v6, v4, s0
	v_cmp_eq_u32_e64 s0, 8, v0
	v_cndmask_b32_e64 v1, v1, v8, s1
	v_cndmask_b32_e64 v28, v28, v9, s1
	v_cndmask_b32_e64 v34, v9, v5, s1
	v_cndmask_b32_e64 v33, v8, v4, s1
	v_cmp_eq_u32_e64 s1, 9, v0
	;; [unrolled: 5-line block ×3, first 2 shown]
	v_cndmask_b32_e64 v1, v1, v12, s3
	v_cndmask_b32_e64 v29, v28, v13, s3
	;; [unrolled: 1-line block ×7, first 2 shown]
	v_cmp_eq_u32_e64 s3, 11, v0
	v_cndmask_b32_e64 v44, v19, v5, s0
	v_cndmask_b32_e64 v43, v18, v4, s0
	;; [unrolled: 1-line block ×9, first 2 shown]
	v_cmp_eq_u32_e64 s0, 12, v0
	v_cndmask_b32_e64 v41, v16, v4, s6
	v_cndmask_b32_e64 v46, v21, v5, s1
	;; [unrolled: 1-line block ×15, first 2 shown]
	s_delay_alu instid0(VALU_DEP_3) | instskip(NEXT) | instid1(VALU_DEP_3)
	v_cndmask_b32_e64 v0, v1, v26, s0
	v_cndmask_b32_e64 v1, v3, v27, s0
	;; [unrolled: 1-line block ×3, first 2 shown]
	s_delay_alu instid0(VALU_DEP_2) | instskip(NEXT) | instid1(VALU_DEP_2)
	v_dual_cndmask_b32 v29, v0, v4 :: v_dual_cndmask_b32 v30, v1, v5
	v_mov_b32_e32 v2, v27
	s_delay_alu instid0(VALU_DEP_2) | instskip(NEXT) | instid1(VALU_DEP_3)
	v_dual_mov_b32 v3, v28 :: v_dual_mov_b32 v4, v29
	v_dual_mov_b32 v5, v30 :: v_dual_mov_b32 v6, v31
	;; [unrolled: 1-line block ×12, first 2 shown]
	v_mov_b32_e32 v27, v52
	v_mov_b32_e32 v28, v53
	;; [unrolled: 1-line block ×7, first 2 shown]
.LBB12_123:
	s_or_b32 exec_lo, exec_lo, s7
	v_dual_mov_b32 v0, s16 :: v_dual_mov_b32 v1, s17
	s_mov_b32 s5, exec_lo
	flat_load_b32 v0, v[0:1]
	s_waitcnt vmcnt(0) lgkmcnt(0)
	v_add_nc_u32_e32 v0, -1, v0
	s_delay_alu instid0(VALU_DEP_1)
	v_cmpx_ne_u32_e32 0, v0
	s_cbranch_execz .LBB12_125
; %bb.124:
	v_cmp_eq_u32_e32 vcc_lo, 1, v0
	v_cmp_eq_u32_e64 s0, 2, v0
	v_cmp_eq_u32_e64 s1, 3, v0
	;; [unrolled: 1-line block ×4, first 2 shown]
	v_dual_cndmask_b32 v1, v2, v4 :: v_dual_cndmask_b32 v28, v3, v5
	v_cmp_eq_u32_e64 s4, 6, v0
	v_cndmask_b32_e64 v30, v7, v3, s0
	v_cndmask_b32_e64 v29, v6, v2, s0
	s_delay_alu instid0(VALU_DEP_4)
	v_cndmask_b32_e64 v1, v1, v6, s0
	v_cndmask_b32_e64 v28, v28, v7, s0
	v_cmp_eq_u32_e64 s0, 7, v0
	v_cndmask_b32_e64 v32, v9, v3, s1
	v_cndmask_b32_e64 v31, v8, v2, s1
	v_cndmask_b32_e64 v1, v1, v8, s1
	v_cndmask_b32_e64 v28, v28, v9, s1
	v_cmp_eq_u32_e64 s1, 8, v0
	v_cndmask_b32_e64 v34, v11, v3, s2
	v_cndmask_b32_e64 v33, v10, v2, s2
	;; [unrolled: 5-line block ×4, first 2 shown]
	v_cndmask_b32_e64 v1, v1, v14, s4
	v_cndmask_b32_e64 v6, v28, v15, s4
	v_cndmask_b32_e32 v28, v5, v3, vcc_lo
	v_cndmask_b32_e64 v42, v19, v3, s1
	v_cndmask_b32_e64 v41, v18, v2, s1
	v_cndmask_b32_e64 v1, v1, v16, s0
	v_cndmask_b32_e64 v5, v6, v17, s0
	v_cmp_eq_u32_e64 s0, 11, v0
	v_cndmask_b32_e64 v44, v21, v3, s2
	v_cndmask_b32_e64 v43, v20, v2, s2
	v_cndmask_b32_e64 v1, v1, v18, s1
	v_cndmask_b32_e64 v5, v5, v19, s1
	v_cmp_eq_u32_e64 s1, 12, v0
	;; [unrolled: 5-line block ×3, first 2 shown]
	v_cndmask_b32_e64 v37, v14, v2, s4
	v_cndmask_b32_e64 v46, v23, v3, s3
	;; [unrolled: 1-line block ×10, first 2 shown]
	s_delay_alu instid0(VALU_DEP_3) | instskip(NEXT) | instid1(VALU_DEP_3)
	v_cndmask_b32_e64 v1, v1, v26, s1
	v_cndmask_b32_e64 v5, v5, v27, s1
	v_cndmask_b32_e32 v27, v4, v2, vcc_lo
	s_delay_alu instid0(VALU_DEP_3) | instskip(NEXT) | instid1(VALU_DEP_3)
	v_cndmask_b32_e64 v25, v1, v2, s2
	v_cndmask_b32_e64 v26, v5, v3, s2
	s_delay_alu instid0(VALU_DEP_2) | instskip(NEXT) | instid1(VALU_DEP_2)
	v_mov_b32_e32 v2, v25
	v_dual_mov_b32 v3, v26 :: v_dual_mov_b32 v4, v27
	v_dual_mov_b32 v5, v28 :: v_dual_mov_b32 v6, v29
	;; [unrolled: 1-line block ×11, first 2 shown]
	v_mov_b32_e32 v25, v48
	v_mov_b32_e32 v26, v49
	;; [unrolled: 1-line block ×9, first 2 shown]
.LBB12_125:
	s_or_b32 exec_lo, exec_lo, s5
.LBB12_126:
	s_delay_alu instid0(VALU_DEP_1)
	v_dual_mov_b32 v1, v3 :: v_dual_mov_b32 v0, v2
	v_dual_mov_b32 v3, v5 :: v_dual_mov_b32 v2, v4
	;; [unrolled: 1-line block ×3, first 2 shown]
	s_clause 0x2
	global_store_b64 v[60:61], v[0:1], off
	global_store_b64 v[64:65], v[2:3], off
	;; [unrolled: 1-line block ×3, first 2 shown]
	v_dual_mov_b32 v1, v9 :: v_dual_mov_b32 v0, v8
	v_dual_mov_b32 v3, v11 :: v_dual_mov_b32 v2, v10
	v_dual_mov_b32 v5, v13 :: v_dual_mov_b32 v4, v12
	v_dual_mov_b32 v7, v15 :: v_dual_mov_b32 v6, v14
	v_dual_mov_b32 v9, v17 :: v_dual_mov_b32 v8, v16
	s_clause 0x4
	global_store_b64 v[62:63], v[0:1], off
	global_store_b64 v[68:69], v[2:3], off
	;; [unrolled: 1-line block ×5, first 2 shown]
	v_dual_mov_b32 v1, v19 :: v_dual_mov_b32 v0, v18
	v_dual_mov_b32 v3, v21 :: v_dual_mov_b32 v2, v20
	;; [unrolled: 1-line block ×5, first 2 shown]
	s_clause 0x4
	global_store_b64 v[74:75], v[0:1], off
	global_store_b64 v[78:79], v[2:3], off
	;; [unrolled: 1-line block ×5, first 2 shown]
	s_nop 0
	s_sendmsg sendmsg(MSG_DEALLOC_VGPRS)
	s_endpgm
	.section	.rodata,"a",@progbits
	.p2align	6, 0x0
	.amdhsa_kernel _ZN9rocsolver6v33100L18getri_kernel_smallILi13EdPdEEvT1_iilPiilS4_bb
		.amdhsa_group_segment_fixed_size 216
		.amdhsa_private_segment_fixed_size 0
		.amdhsa_kernarg_size 60
		.amdhsa_user_sgpr_count 15
		.amdhsa_user_sgpr_dispatch_ptr 0
		.amdhsa_user_sgpr_queue_ptr 0
		.amdhsa_user_sgpr_kernarg_segment_ptr 1
		.amdhsa_user_sgpr_dispatch_id 0
		.amdhsa_user_sgpr_private_segment_size 0
		.amdhsa_wavefront_size32 1
		.amdhsa_uses_dynamic_stack 0
		.amdhsa_enable_private_segment 0
		.amdhsa_system_sgpr_workgroup_id_x 1
		.amdhsa_system_sgpr_workgroup_id_y 0
		.amdhsa_system_sgpr_workgroup_id_z 0
		.amdhsa_system_sgpr_workgroup_info 0
		.amdhsa_system_vgpr_workitem_id 0
		.amdhsa_next_free_vgpr 88
		.amdhsa_next_free_sgpr 21
		.amdhsa_reserve_vcc 1
		.amdhsa_float_round_mode_32 0
		.amdhsa_float_round_mode_16_64 0
		.amdhsa_float_denorm_mode_32 3
		.amdhsa_float_denorm_mode_16_64 3
		.amdhsa_dx10_clamp 1
		.amdhsa_ieee_mode 1
		.amdhsa_fp16_overflow 0
		.amdhsa_workgroup_processor_mode 1
		.amdhsa_memory_ordered 1
		.amdhsa_forward_progress 0
		.amdhsa_shared_vgpr_count 0
		.amdhsa_exception_fp_ieee_invalid_op 0
		.amdhsa_exception_fp_denorm_src 0
		.amdhsa_exception_fp_ieee_div_zero 0
		.amdhsa_exception_fp_ieee_overflow 0
		.amdhsa_exception_fp_ieee_underflow 0
		.amdhsa_exception_fp_ieee_inexact 0
		.amdhsa_exception_int_div_zero 0
	.end_amdhsa_kernel
	.section	.text._ZN9rocsolver6v33100L18getri_kernel_smallILi13EdPdEEvT1_iilPiilS4_bb,"axG",@progbits,_ZN9rocsolver6v33100L18getri_kernel_smallILi13EdPdEEvT1_iilPiilS4_bb,comdat
.Lfunc_end12:
	.size	_ZN9rocsolver6v33100L18getri_kernel_smallILi13EdPdEEvT1_iilPiilS4_bb, .Lfunc_end12-_ZN9rocsolver6v33100L18getri_kernel_smallILi13EdPdEEvT1_iilPiilS4_bb
                                        ; -- End function
	.section	.AMDGPU.csdata,"",@progbits
; Kernel info:
; codeLenInByte = 21912
; NumSgprs: 23
; NumVgprs: 88
; ScratchSize: 0
; MemoryBound: 0
; FloatMode: 240
; IeeeMode: 1
; LDSByteSize: 216 bytes/workgroup (compile time only)
; SGPRBlocks: 2
; VGPRBlocks: 10
; NumSGPRsForWavesPerEU: 23
; NumVGPRsForWavesPerEU: 88
; Occupancy: 16
; WaveLimiterHint : 0
; COMPUTE_PGM_RSRC2:SCRATCH_EN: 0
; COMPUTE_PGM_RSRC2:USER_SGPR: 15
; COMPUTE_PGM_RSRC2:TRAP_HANDLER: 0
; COMPUTE_PGM_RSRC2:TGID_X_EN: 1
; COMPUTE_PGM_RSRC2:TGID_Y_EN: 0
; COMPUTE_PGM_RSRC2:TGID_Z_EN: 0
; COMPUTE_PGM_RSRC2:TIDIG_COMP_CNT: 0
	.section	.text._ZN9rocsolver6v33100L18getri_kernel_smallILi14EdPdEEvT1_iilPiilS4_bb,"axG",@progbits,_ZN9rocsolver6v33100L18getri_kernel_smallILi14EdPdEEvT1_iilPiilS4_bb,comdat
	.globl	_ZN9rocsolver6v33100L18getri_kernel_smallILi14EdPdEEvT1_iilPiilS4_bb ; -- Begin function _ZN9rocsolver6v33100L18getri_kernel_smallILi14EdPdEEvT1_iilPiilS4_bb
	.p2align	8
	.type	_ZN9rocsolver6v33100L18getri_kernel_smallILi14EdPdEEvT1_iilPiilS4_bb,@function
_ZN9rocsolver6v33100L18getri_kernel_smallILi14EdPdEEvT1_iilPiilS4_bb: ; @_ZN9rocsolver6v33100L18getri_kernel_smallILi14EdPdEEvT1_iilPiilS4_bb
; %bb.0:
	s_mov_b32 s2, exec_lo
	v_cmpx_gt_u32_e32 14, v0
	s_cbranch_execz .LBB13_16
; %bb.1:
	s_mov_b32 s18, s15
	s_clause 0x2
	s_load_b32 s8, s[0:1], 0x38
	s_load_b128 s[4:7], s[0:1], 0x10
	s_load_b128 s[12:15], s[0:1], 0x28
                                        ; implicit-def: $sgpr16_sgpr17
	s_waitcnt lgkmcnt(0)
	s_bitcmp1_b32 s8, 8
	s_cselect_b32 s20, -1, 0
	s_bfe_u32 s2, s8, 0x10008
	s_ashr_i32 s19, s18, 31
	s_cmp_eq_u32 s2, 0
	s_cbranch_scc1 .LBB13_3
; %bb.2:
	s_load_b32 s2, s[0:1], 0x20
	s_mul_i32 s3, s18, s13
	s_mul_hi_u32 s9, s18, s12
	s_mul_i32 s11, s19, s12
	s_add_i32 s3, s9, s3
	s_mul_i32 s10, s18, s12
	s_add_i32 s11, s3, s11
	s_delay_alu instid0(SALU_CYCLE_1)
	s_lshl_b64 s[10:11], s[10:11], 2
	s_waitcnt lgkmcnt(0)
	s_ashr_i32 s3, s2, 31
	s_add_u32 s6, s6, s10
	s_addc_u32 s7, s7, s11
	s_lshl_b64 s[2:3], s[2:3], 2
	s_delay_alu instid0(SALU_CYCLE_1)
	s_add_u32 s16, s6, s2
	s_addc_u32 s17, s7, s3
.LBB13_3:
	s_load_b128 s[0:3], s[0:1], 0x0
	s_mul_i32 s5, s18, s5
	s_mul_hi_u32 s6, s18, s4
	s_mul_i32 s7, s19, s4
	s_add_i32 s5, s6, s5
	s_mul_i32 s4, s18, s4
	s_add_i32 s5, s5, s7
	v_lshlrev_b32_e32 v32, 3, v0
	s_lshl_b64 s[4:5], s[4:5], 3
	s_waitcnt lgkmcnt(0)
	v_add3_u32 v1, s3, s3, v0
	s_ashr_i32 s7, s2, 31
	s_mov_b32 s6, s2
	s_add_u32 s2, s0, s4
	s_addc_u32 s5, s1, s5
	v_add_nc_u32_e32 v3, s3, v1
	s_lshl_b64 s[0:1], s[6:7], 3
	v_ashrrev_i32_e32 v2, 31, v1
	s_add_u32 s0, s2, s0
	s_addc_u32 s1, s5, s1
	v_add_co_u32 v60, s2, s0, v32
	v_add_nc_u32_e32 v5, s3, v3
	s_mov_b32 s4, s3
	s_ashr_i32 s5, s3, 31
	v_add_co_ci_u32_e64 v61, null, s1, 0, s2
	v_lshlrev_b64 v[1:2], 3, v[1:2]
	v_ashrrev_i32_e32 v4, 31, v3
	s_lshl_b64 s[4:5], s[4:5], 3
	v_ashrrev_i32_e32 v6, 31, v5
	v_add_co_u32 v62, vcc_lo, v60, s4
	v_add_nc_u32_e32 v7, s3, v5
	v_add_co_ci_u32_e32 v63, vcc_lo, s5, v61, vcc_lo
	v_lshlrev_b64 v[3:4], 3, v[3:4]
	v_add_co_u32 v66, vcc_lo, s0, v1
	v_add_co_ci_u32_e32 v67, vcc_lo, s1, v2, vcc_lo
	v_lshlrev_b64 v[1:2], 3, v[5:6]
	v_add_nc_u32_e32 v12, s3, v7
	v_add_co_u32 v68, vcc_lo, s0, v3
	v_ashrrev_i32_e32 v8, 31, v7
	v_add_co_ci_u32_e32 v69, vcc_lo, s1, v4, vcc_lo
	v_add_co_u32 v64, vcc_lo, s0, v1
	v_add_nc_u32_e32 v14, s3, v12
	v_add_co_ci_u32_e32 v65, vcc_lo, s1, v2, vcc_lo
	v_lshlrev_b64 v[1:2], 3, v[7:8]
	v_ashrrev_i32_e32 v13, 31, v12
	s_delay_alu instid0(VALU_DEP_4)
	v_ashrrev_i32_e32 v15, 31, v14
	v_add_nc_u32_e32 v16, s3, v14
	s_clause 0x3
	global_load_b64 v[4:5], v[62:63], off
	global_load_b64 v[6:7], v[66:67], off
	;; [unrolled: 1-line block ×4, first 2 shown]
	s_bitcmp0_b32 s8, 0
	v_lshlrev_b64 v[12:13], 3, v[12:13]
	v_add_co_u32 v70, vcc_lo, s0, v1
	v_add_co_ci_u32_e32 v71, vcc_lo, s1, v2, vcc_lo
	v_lshlrev_b64 v[1:2], 3, v[14:15]
	v_add_nc_u32_e32 v14, s3, v16
	v_add_co_u32 v72, vcc_lo, s0, v12
	v_ashrrev_i32_e32 v17, 31, v16
	v_add_co_ci_u32_e32 v73, vcc_lo, s1, v13, vcc_lo
	v_add_co_u32 v74, vcc_lo, s0, v1
	v_add_nc_u32_e32 v1, s3, v14
	v_ashrrev_i32_e32 v15, 31, v14
	v_lshlrev_b64 v[12:13], 3, v[16:17]
	v_add_co_ci_u32_e32 v75, vcc_lo, s1, v2, vcc_lo
	s_delay_alu instid0(VALU_DEP_4) | instskip(NEXT) | instid1(VALU_DEP_4)
	v_add_nc_u32_e32 v22, s3, v1
	v_lshlrev_b64 v[20:21], 3, v[14:15]
	v_ashrrev_i32_e32 v2, 31, v1
	v_add_co_u32 v76, vcc_lo, s0, v12
	s_delay_alu instid0(VALU_DEP_4)
	v_ashrrev_i32_e32 v23, 31, v22
	v_add_nc_u32_e32 v24, s3, v22
	v_add_co_ci_u32_e32 v77, vcc_lo, s1, v13, vcc_lo
	v_add_co_u32 v78, vcc_lo, s0, v20
	v_lshlrev_b64 v[1:2], 3, v[1:2]
	v_add_co_ci_u32_e32 v79, vcc_lo, s1, v21, vcc_lo
	v_lshlrev_b64 v[20:21], 3, v[22:23]
	v_add_nc_u32_e32 v22, s3, v24
	v_ashrrev_i32_e32 v25, 31, v24
	v_add_co_u32 v80, vcc_lo, s0, v1
	v_add_co_ci_u32_e32 v81, vcc_lo, s1, v2, vcc_lo
	s_delay_alu instid0(VALU_DEP_4) | instskip(NEXT) | instid1(VALU_DEP_4)
	v_ashrrev_i32_e32 v23, 31, v22
	v_lshlrev_b64 v[1:2], 3, v[24:25]
	v_add_co_u32 v82, vcc_lo, s0, v20
	v_add_co_ci_u32_e32 v83, vcc_lo, s1, v21, vcc_lo
	s_delay_alu instid0(VALU_DEP_4) | instskip(NEXT) | instid1(VALU_DEP_4)
	v_lshlrev_b64 v[20:21], 3, v[22:23]
	v_add_co_u32 v86, vcc_lo, s0, v1
	v_mov_b32_e32 v1, 0
	v_add_co_ci_u32_e32 v87, vcc_lo, s1, v2, vcc_lo
	s_delay_alu instid0(VALU_DEP_4)
	v_add_co_u32 v84, vcc_lo, s0, v20
	s_clause 0x3
	global_load_b64 v[12:13], v[70:71], off
	global_load_b64 v[14:15], v[72:73], off
	;; [unrolled: 1-line block ×4, first 2 shown]
	v_add_co_ci_u32_e32 v85, vcc_lo, s1, v21, vcc_lo
	s_clause 0x5
	global_load_b64 v[20:21], v[78:79], off
	global_load_b64 v[22:23], v[80:81], off
	;; [unrolled: 1-line block ×4, first 2 shown]
	global_load_b64 v[2:3], v32, s[0:1]
	global_load_b64 v[28:29], v[84:85], off
	s_mov_b32 s0, -1
	s_cbranch_scc1 .LBB13_14
; %bb.4:
	v_cmp_eq_u32_e64 s0, 0, v0
	s_delay_alu instid0(VALU_DEP_1)
	s_and_saveexec_b32 s1, s0
	s_cbranch_execz .LBB13_6
; %bb.5:
	v_mov_b32_e32 v30, 0
	ds_store_b32 v30, v30 offset:224
.LBB13_6:
	s_or_b32 exec_lo, exec_lo, s1
	v_cmp_eq_u32_e32 vcc_lo, 1, v0
	s_mov_b32 s2, exec_lo
	s_waitcnt vmcnt(0) lgkmcnt(0)
	s_barrier
	buffer_gl0_inv
	v_dual_cndmask_b32 v30, v3, v5 :: v_dual_cndmask_b32 v31, v2, v4
	v_cmp_eq_u32_e32 vcc_lo, 2, v0
	s_delay_alu instid0(VALU_DEP_2) | instskip(SKIP_1) | instid1(VALU_DEP_2)
	v_dual_cndmask_b32 v30, v30, v7 :: v_dual_cndmask_b32 v31, v31, v6
	v_cmp_eq_u32_e32 vcc_lo, 3, v0
	v_dual_cndmask_b32 v30, v30, v9 :: v_dual_cndmask_b32 v31, v31, v8
	v_cmp_eq_u32_e32 vcc_lo, 4, v0
	s_delay_alu instid0(VALU_DEP_2) | instskip(SKIP_1) | instid1(VALU_DEP_2)
	v_dual_cndmask_b32 v30, v30, v11 :: v_dual_cndmask_b32 v31, v31, v10
	v_cmp_eq_u32_e32 vcc_lo, 5, v0
	;; [unrolled: 5-line block ×6, first 2 shown]
	v_dual_cndmask_b32 v31, v30, v29 :: v_dual_cndmask_b32 v30, v33, v28
	s_delay_alu instid0(VALU_DEP_1)
	v_cmpx_eq_f64_e32 0, v[30:31]
	s_cbranch_execz .LBB13_10
; %bb.7:
	v_mov_b32_e32 v33, 0
	s_mov_b32 s3, 0
	ds_load_b32 v34, v33 offset:224
	s_waitcnt lgkmcnt(0)
	v_readfirstlane_b32 s1, v34
	v_add_nc_u32_e32 v34, 1, v0
	s_delay_alu instid0(VALU_DEP_2) | instskip(NEXT) | instid1(VALU_DEP_1)
	s_cmp_eq_u32 s1, 0
	v_cmp_gt_i32_e32 vcc_lo, s1, v34
	s_cselect_b32 s4, -1, 0
	s_delay_alu instid0(SALU_CYCLE_1) | instskip(NEXT) | instid1(SALU_CYCLE_1)
	s_or_b32 s4, s4, vcc_lo
	s_and_b32 exec_lo, exec_lo, s4
	s_cbranch_execz .LBB13_10
; %bb.8:
	v_mov_b32_e32 v35, s1
.LBB13_9:                               ; =>This Inner Loop Header: Depth=1
	ds_cmpstore_rtn_b32 v35, v33, v34, v35 offset:224
	s_waitcnt lgkmcnt(0)
	v_cmp_ne_u32_e32 vcc_lo, 0, v35
	v_cmp_le_i32_e64 s1, v35, v34
	s_delay_alu instid0(VALU_DEP_1) | instskip(NEXT) | instid1(SALU_CYCLE_1)
	s_and_b32 s1, vcc_lo, s1
	s_and_b32 s1, exec_lo, s1
	s_delay_alu instid0(SALU_CYCLE_1) | instskip(NEXT) | instid1(SALU_CYCLE_1)
	s_or_b32 s3, s1, s3
	s_and_not1_b32 exec_lo, exec_lo, s3
	s_cbranch_execnz .LBB13_9
.LBB13_10:
	s_or_b32 exec_lo, exec_lo, s2
	v_mov_b32_e32 v33, 0
	s_barrier
	buffer_gl0_inv
	ds_load_b32 v34, v33 offset:224
	s_and_saveexec_b32 s1, s0
	s_cbranch_execz .LBB13_12
; %bb.11:
	s_lshl_b64 s[2:3], s[18:19], 2
	s_delay_alu instid0(SALU_CYCLE_1)
	s_add_u32 s2, s14, s2
	s_addc_u32 s3, s15, s3
	s_waitcnt lgkmcnt(0)
	global_store_b32 v33, v34, s[2:3]
.LBB13_12:
	s_or_b32 exec_lo, exec_lo, s1
	s_waitcnt lgkmcnt(0)
	v_cmp_ne_u32_e32 vcc_lo, 0, v34
	s_cbranch_vccz .LBB13_17
; %bb.13:
	s_mov_b32 s0, 0
                                        ; implicit-def: $vgpr2_vgpr3_vgpr4_vgpr5_vgpr6_vgpr7_vgpr8_vgpr9_vgpr10_vgpr11_vgpr12_vgpr13_vgpr14_vgpr15_vgpr16_vgpr17_vgpr18_vgpr19_vgpr20_vgpr21_vgpr22_vgpr23_vgpr24_vgpr25_vgpr26_vgpr27_vgpr28_vgpr29_vgpr30_vgpr31_vgpr32_vgpr33
.LBB13_14:
	s_delay_alu instid0(SALU_CYCLE_1)
	s_and_b32 vcc_lo, exec_lo, s0
	s_cbranch_vccz .LBB13_16
.LBB13_15:
	s_lshl_b64 s[0:1], s[18:19], 2
	v_mov_b32_e32 v1, 0
	s_add_u32 s0, s14, s0
	s_addc_u32 s1, s15, s1
	global_load_b32 v1, v1, s[0:1]
	s_waitcnt vmcnt(0)
	v_cmp_ne_u32_e32 vcc_lo, 0, v1
	s_cbranch_vccz .LBB13_80
.LBB13_16:
	s_nop 0
	s_sendmsg sendmsg(MSG_DEALLOC_VGPRS)
	s_endpgm
.LBB13_17:
	v_div_scale_f64 v[33:34], null, v[30:31], v[30:31], 1.0
	v_div_scale_f64 v[39:40], vcc_lo, 1.0, v[30:31], 1.0
	v_cmp_eq_u32_e64 s1, 11, v0
	v_cmp_eq_u32_e64 s2, 10, v0
	;; [unrolled: 1-line block ×12, first 2 shown]
	v_rcp_f64_e32 v[35:36], v[33:34]
	s_waitcnt_depctr 0xfff
	v_fma_f64 v[37:38], -v[33:34], v[35:36], 1.0
	s_delay_alu instid0(VALU_DEP_1) | instskip(NEXT) | instid1(VALU_DEP_1)
	v_fma_f64 v[35:36], v[35:36], v[37:38], v[35:36]
	v_fma_f64 v[37:38], -v[33:34], v[35:36], 1.0
	s_delay_alu instid0(VALU_DEP_1) | instskip(NEXT) | instid1(VALU_DEP_1)
	v_fma_f64 v[35:36], v[35:36], v[37:38], v[35:36]
	v_mul_f64 v[37:38], v[39:40], v[35:36]
	s_delay_alu instid0(VALU_DEP_1) | instskip(NEXT) | instid1(VALU_DEP_1)
	v_fma_f64 v[33:34], -v[33:34], v[37:38], v[39:40]
	v_div_fmas_f64 v[33:34], v[33:34], v[35:36], v[37:38]
	v_cmp_eq_u32_e32 vcc_lo, 12, v0
	s_delay_alu instid0(VALU_DEP_2) | instskip(NEXT) | instid1(VALU_DEP_1)
	v_div_fixup_f64 v[30:31], v[33:34], v[30:31], 1.0
	v_dual_cndmask_b32 v27, v27, v31 :: v_dual_add_nc_u32 v34, 0x70, v32
	s_delay_alu instid0(VALU_DEP_2)
	v_cndmask_b32_e32 v26, v26, v30, vcc_lo
	v_cmp_eq_u32_e32 vcc_lo, 2, v0
	v_cndmask_b32_e64 v29, v29, v31, s9
	v_cndmask_b32_e64 v28, v28, v30, s9
	;; [unrolled: 1-line block ×4, first 2 shown]
	v_cndmask_b32_e32 v7, v7, v31, vcc_lo
	v_cndmask_b32_e64 v23, v23, v31, s2
	v_cndmask_b32_e64 v22, v22, v30, s2
	;; [unrolled: 1-line block ×18, first 2 shown]
	v_xor_b32_e32 v36, 0x80000000, v31
	v_mov_b32_e32 v35, v30
	v_cndmask_b32_e32 v6, v6, v30, vcc_lo
	v_cndmask_b32_e64 v3, v3, v31, s12
	v_cndmask_b32_e64 v2, v2, v30, s12
	ds_store_2addr_b64 v32, v[35:36], v[4:5] offset1:14
	s_waitcnt lgkmcnt(0)
	s_waitcnt_vscnt null, 0x0
	s_barrier
	buffer_gl0_inv
	s_and_saveexec_b32 s1, s0
	s_cbranch_execz .LBB13_19
; %bb.18:
	ds_load_b64 v[4:5], v34
	v_mov_b32_e32 v32, 0
	ds_load_b64 v[32:33], v32 offset:8
	s_waitcnt lgkmcnt(1)
	v_fma_f64 v[4:5], v[30:31], v[4:5], 0
	s_waitcnt lgkmcnt(0)
	s_delay_alu instid0(VALU_DEP_1)
	v_mul_f64 v[4:5], v[4:5], v[32:33]
.LBB13_19:
	s_or_b32 exec_lo, exec_lo, s1
	v_cmp_gt_u32_e32 vcc_lo, 2, v0
	s_barrier
	buffer_gl0_inv
	ds_store_b64 v34, v[6:7]
	s_waitcnt lgkmcnt(0)
	s_barrier
	buffer_gl0_inv
	s_and_saveexec_b32 s2, vcc_lo
	s_cbranch_execz .LBB13_23
; %bb.20:
	v_cmp_eq_u32_e64 s1, 1, v0
	s_delay_alu instid0(VALU_DEP_1) | instskip(SKIP_2) | instid1(VALU_DEP_1)
	v_cndmask_b32_e64 v30, v3, v5, s1
	v_cndmask_b32_e64 v31, v2, v4, s1
	v_cmp_eq_u32_e64 s1, 2, v0
	v_cndmask_b32_e64 v7, v30, v7, s1
	s_delay_alu instid0(VALU_DEP_3) | instskip(SKIP_1) | instid1(VALU_DEP_1)
	v_cndmask_b32_e64 v6, v31, v6, s1
	v_cmp_eq_u32_e64 s1, 3, v0
	v_cndmask_b32_e64 v7, v7, v9, s1
	s_delay_alu instid0(VALU_DEP_3) | instskip(SKIP_1) | instid1(VALU_DEP_1)
	;; [unrolled: 4-line block ×8, first 2 shown]
	v_cndmask_b32_e64 v6, v6, v20, s1
	v_cmp_eq_u32_e64 s1, 10, v0
	v_cndmask_b32_e64 v30, v7, v23, s1
	s_delay_alu instid0(VALU_DEP_3)
	v_cndmask_b32_e64 v31, v6, v22, s1
	v_cmp_eq_u32_e64 s1, 11, v0
	ds_load_b64 v[6:7], v34
	v_cndmask_b32_e64 v30, v30, v25, s1
	v_cndmask_b32_e64 v31, v31, v24, s1
	v_cmp_eq_u32_e64 s1, 12, v0
	s_delay_alu instid0(VALU_DEP_1) | instskip(NEXT) | instid1(VALU_DEP_3)
	v_cndmask_b32_e64 v30, v30, v27, s1
	v_cndmask_b32_e64 v32, v31, v26, s1
	v_cmp_eq_u32_e64 s1, 13, v0
	s_delay_alu instid0(VALU_DEP_1) | instskip(NEXT) | instid1(VALU_DEP_3)
	v_cndmask_b32_e64 v31, v30, v29, s1
	v_cndmask_b32_e64 v30, v32, v28, s1
	s_waitcnt lgkmcnt(0)
	s_delay_alu instid0(VALU_DEP_1)
	v_fma_f64 v[6:7], v[30:31], v[6:7], 0
	s_and_saveexec_b32 s1, s0
	s_cbranch_execz .LBB13_22
; %bb.21:
	v_mov_b32_e32 v30, 0
	ds_load_b64 v[30:31], v30 offset:120
	s_waitcnt lgkmcnt(0)
	v_fma_f64 v[6:7], v[4:5], v[30:31], v[6:7]
.LBB13_22:
	s_or_b32 exec_lo, exec_lo, s1
	v_mov_b32_e32 v30, 0
	ds_load_b64 v[30:31], v30 offset:16
	s_waitcnt lgkmcnt(0)
	v_mul_f64 v[6:7], v[6:7], v[30:31]
.LBB13_23:
	s_or_b32 exec_lo, exec_lo, s2
	s_delay_alu instid0(SALU_CYCLE_1)
	s_mov_b32 s3, exec_lo
	s_barrier
	buffer_gl0_inv
	ds_store_b64 v34, v[8:9]
	s_waitcnt lgkmcnt(0)
	s_barrier
	buffer_gl0_inv
	v_cmpx_gt_u32_e32 3, v0
	s_cbranch_execz .LBB13_27
; %bb.24:
	v_dual_mov_b32 v30, 0 :: v_dual_mov_b32 v33, v1
	v_lshl_add_u32 v35, v0, 3, 0x70
	v_dual_mov_b32 v31, 0 :: v_dual_mov_b32 v32, v0
	s_mov_b32 s4, 0
.LBB13_25:                              ; =>This Inner Loop Header: Depth=1
	s_delay_alu instid0(VALU_DEP_1) | instskip(SKIP_1) | instid1(VALU_DEP_2)
	v_cmp_eq_u32_e64 s1, 1, v32
	v_cmp_eq_u32_e64 s2, 2, v32
	v_cndmask_b32_e64 v36, v3, v5, s1
	v_cndmask_b32_e64 v37, v2, v4, s1
	v_cmp_eq_u32_e64 s1, 3, v32
	s_delay_alu instid0(VALU_DEP_3) | instskip(NEXT) | instid1(VALU_DEP_3)
	v_cndmask_b32_e64 v36, v36, v7, s2
	v_cndmask_b32_e64 v37, v37, v6, s2
	v_cmp_eq_u32_e64 s2, 4, v32
	s_delay_alu instid0(VALU_DEP_3) | instskip(NEXT) | instid1(VALU_DEP_3)
	;; [unrolled: 4-line block ×8, first 2 shown]
	v_cndmask_b32_e64 v38, v36, v21, s1
	v_cndmask_b32_e64 v39, v37, v20, s1
	ds_load_b64 v[36:37], v35
	v_cmp_eq_u32_e64 s1, 11, v32
	v_add_nc_u32_e32 v35, 8, v35
	v_cndmask_b32_e64 v38, v38, v23, s2
	v_cndmask_b32_e64 v39, v39, v22, s2
	v_cmp_eq_u32_e64 s2, 12, v32
	s_delay_alu instid0(VALU_DEP_3) | instskip(NEXT) | instid1(VALU_DEP_3)
	v_cndmask_b32_e64 v38, v38, v25, s1
	v_cndmask_b32_e64 v39, v39, v24, s1
	v_cmp_eq_u32_e64 s1, 13, v32
	s_delay_alu instid0(VALU_DEP_3) | instskip(NEXT) | instid1(VALU_DEP_3)
	v_cndmask_b32_e64 v38, v38, v27, s2
	v_cndmask_b32_e64 v40, v39, v26, s2
	s_delay_alu instid0(VALU_DEP_2) | instskip(NEXT) | instid1(VALU_DEP_2)
	v_cndmask_b32_e64 v39, v38, v29, s1
	v_cndmask_b32_e64 v38, v40, v28, s1
	v_add_co_u32 v32, s1, v32, 1
	s_delay_alu instid0(VALU_DEP_1) | instskip(SKIP_1) | instid1(VALU_DEP_3)
	v_add_co_ci_u32_e64 v33, s1, 0, v33, s1
	s_waitcnt lgkmcnt(0)
	v_fma_f64 v[30:31], v[38:39], v[36:37], v[30:31]
	s_delay_alu instid0(VALU_DEP_3) | instskip(NEXT) | instid1(VALU_DEP_1)
	v_add_nc_u32_e32 v36, -1, v32
	v_cmp_lt_u32_e64 s1, 1, v36
	s_delay_alu instid0(VALU_DEP_1) | instskip(NEXT) | instid1(SALU_CYCLE_1)
	s_or_b32 s4, s1, s4
	s_and_not1_b32 exec_lo, exec_lo, s4
	s_cbranch_execnz .LBB13_25
; %bb.26:
	s_or_b32 exec_lo, exec_lo, s4
	v_mov_b32_e32 v8, 0
	ds_load_b64 v[8:9], v8 offset:24
	s_waitcnt lgkmcnt(0)
	v_mul_f64 v[8:9], v[30:31], v[8:9]
.LBB13_27:
	s_or_b32 exec_lo, exec_lo, s3
	v_cmp_gt_u32_e64 s1, 4, v0
	s_barrier
	buffer_gl0_inv
	ds_store_b64 v34, v[10:11]
	s_waitcnt lgkmcnt(0)
	s_barrier
	buffer_gl0_inv
	s_and_saveexec_b32 s4, s1
	s_cbranch_execz .LBB13_31
; %bb.28:
	v_dual_mov_b32 v30, 0 :: v_dual_mov_b32 v33, v1
	v_lshl_add_u32 v35, v0, 3, 0x70
	v_dual_mov_b32 v31, 0 :: v_dual_mov_b32 v32, v0
	s_mov_b32 s5, 0
.LBB13_29:                              ; =>This Inner Loop Header: Depth=1
	s_delay_alu instid0(VALU_DEP_1) | instskip(SKIP_1) | instid1(VALU_DEP_2)
	v_cmp_eq_u32_e64 s2, 1, v32
	v_cmp_eq_u32_e64 s3, 2, v32
	v_cndmask_b32_e64 v36, v3, v5, s2
	v_cndmask_b32_e64 v37, v2, v4, s2
	v_cmp_eq_u32_e64 s2, 3, v32
	s_delay_alu instid0(VALU_DEP_3) | instskip(NEXT) | instid1(VALU_DEP_3)
	v_cndmask_b32_e64 v36, v36, v7, s3
	v_cndmask_b32_e64 v37, v37, v6, s3
	v_cmp_eq_u32_e64 s3, 4, v32
	s_delay_alu instid0(VALU_DEP_3) | instskip(NEXT) | instid1(VALU_DEP_3)
	;; [unrolled: 4-line block ×8, first 2 shown]
	v_cndmask_b32_e64 v38, v36, v21, s2
	v_cndmask_b32_e64 v39, v37, v20, s2
	ds_load_b64 v[36:37], v35
	v_cmp_eq_u32_e64 s2, 11, v32
	v_add_nc_u32_e32 v35, 8, v35
	v_cndmask_b32_e64 v38, v38, v23, s3
	v_cndmask_b32_e64 v39, v39, v22, s3
	v_cmp_eq_u32_e64 s3, 12, v32
	s_delay_alu instid0(VALU_DEP_3) | instskip(NEXT) | instid1(VALU_DEP_3)
	v_cndmask_b32_e64 v38, v38, v25, s2
	v_cndmask_b32_e64 v39, v39, v24, s2
	v_cmp_eq_u32_e64 s2, 13, v32
	s_delay_alu instid0(VALU_DEP_3) | instskip(NEXT) | instid1(VALU_DEP_3)
	v_cndmask_b32_e64 v38, v38, v27, s3
	v_cndmask_b32_e64 v40, v39, v26, s3
	s_delay_alu instid0(VALU_DEP_2) | instskip(NEXT) | instid1(VALU_DEP_2)
	v_cndmask_b32_e64 v39, v38, v29, s2
	v_cndmask_b32_e64 v38, v40, v28, s2
	v_add_co_u32 v32, s2, v32, 1
	s_delay_alu instid0(VALU_DEP_1) | instskip(SKIP_1) | instid1(VALU_DEP_3)
	v_add_co_ci_u32_e64 v33, s2, 0, v33, s2
	s_waitcnt lgkmcnt(0)
	v_fma_f64 v[30:31], v[38:39], v[36:37], v[30:31]
	s_delay_alu instid0(VALU_DEP_3) | instskip(NEXT) | instid1(VALU_DEP_1)
	v_add_nc_u32_e32 v36, -1, v32
	v_cmp_lt_u32_e64 s2, 2, v36
	s_delay_alu instid0(VALU_DEP_1) | instskip(NEXT) | instid1(SALU_CYCLE_1)
	s_or_b32 s5, s2, s5
	s_and_not1_b32 exec_lo, exec_lo, s5
	s_cbranch_execnz .LBB13_29
; %bb.30:
	s_or_b32 exec_lo, exec_lo, s5
	v_mov_b32_e32 v10, 0
	ds_load_b64 v[10:11], v10 offset:32
	s_waitcnt lgkmcnt(0)
	v_mul_f64 v[10:11], v[30:31], v[10:11]
.LBB13_31:
	s_or_b32 exec_lo, exec_lo, s4
	s_delay_alu instid0(SALU_CYCLE_1)
	s_mov_b32 s4, exec_lo
	s_barrier
	buffer_gl0_inv
	ds_store_b64 v34, v[12:13]
	s_waitcnt lgkmcnt(0)
	s_barrier
	buffer_gl0_inv
	v_cmpx_gt_u32_e32 5, v0
	s_cbranch_execz .LBB13_35
; %bb.32:
	v_dual_mov_b32 v30, 0 :: v_dual_mov_b32 v33, v1
	v_lshl_add_u32 v35, v0, 3, 0x70
	v_dual_mov_b32 v31, 0 :: v_dual_mov_b32 v32, v0
	s_mov_b32 s5, 0
.LBB13_33:                              ; =>This Inner Loop Header: Depth=1
	s_delay_alu instid0(VALU_DEP_1) | instskip(SKIP_1) | instid1(VALU_DEP_2)
	v_cmp_eq_u32_e64 s2, 1, v32
	v_cmp_eq_u32_e64 s3, 2, v32
	v_cndmask_b32_e64 v36, v3, v5, s2
	v_cndmask_b32_e64 v37, v2, v4, s2
	v_cmp_eq_u32_e64 s2, 3, v32
	s_delay_alu instid0(VALU_DEP_3) | instskip(NEXT) | instid1(VALU_DEP_3)
	v_cndmask_b32_e64 v36, v36, v7, s3
	v_cndmask_b32_e64 v37, v37, v6, s3
	v_cmp_eq_u32_e64 s3, 4, v32
	s_delay_alu instid0(VALU_DEP_3) | instskip(NEXT) | instid1(VALU_DEP_3)
	;; [unrolled: 4-line block ×8, first 2 shown]
	v_cndmask_b32_e64 v38, v36, v21, s2
	v_cndmask_b32_e64 v39, v37, v20, s2
	ds_load_b64 v[36:37], v35
	v_cmp_eq_u32_e64 s2, 11, v32
	v_add_nc_u32_e32 v35, 8, v35
	v_cndmask_b32_e64 v38, v38, v23, s3
	v_cndmask_b32_e64 v39, v39, v22, s3
	v_cmp_eq_u32_e64 s3, 12, v32
	s_delay_alu instid0(VALU_DEP_3) | instskip(NEXT) | instid1(VALU_DEP_3)
	v_cndmask_b32_e64 v38, v38, v25, s2
	v_cndmask_b32_e64 v39, v39, v24, s2
	v_cmp_eq_u32_e64 s2, 13, v32
	s_delay_alu instid0(VALU_DEP_3) | instskip(NEXT) | instid1(VALU_DEP_3)
	v_cndmask_b32_e64 v38, v38, v27, s3
	v_cndmask_b32_e64 v40, v39, v26, s3
	s_delay_alu instid0(VALU_DEP_2) | instskip(NEXT) | instid1(VALU_DEP_2)
	v_cndmask_b32_e64 v39, v38, v29, s2
	v_cndmask_b32_e64 v38, v40, v28, s2
	v_add_co_u32 v32, s2, v32, 1
	s_delay_alu instid0(VALU_DEP_1) | instskip(SKIP_1) | instid1(VALU_DEP_3)
	v_add_co_ci_u32_e64 v33, s2, 0, v33, s2
	s_waitcnt lgkmcnt(0)
	v_fma_f64 v[30:31], v[38:39], v[36:37], v[30:31]
	s_delay_alu instid0(VALU_DEP_3) | instskip(NEXT) | instid1(VALU_DEP_1)
	v_add_nc_u32_e32 v36, -1, v32
	v_cmp_lt_u32_e64 s2, 3, v36
	s_delay_alu instid0(VALU_DEP_1) | instskip(NEXT) | instid1(SALU_CYCLE_1)
	s_or_b32 s5, s2, s5
	s_and_not1_b32 exec_lo, exec_lo, s5
	s_cbranch_execnz .LBB13_33
; %bb.34:
	s_or_b32 exec_lo, exec_lo, s5
	v_mov_b32_e32 v12, 0
	ds_load_b64 v[12:13], v12 offset:40
	s_waitcnt lgkmcnt(0)
	v_mul_f64 v[12:13], v[30:31], v[12:13]
.LBB13_35:
	s_or_b32 exec_lo, exec_lo, s4
	v_cmp_gt_u32_e64 s2, 6, v0
	s_barrier
	buffer_gl0_inv
	ds_store_b64 v34, v[14:15]
	s_waitcnt lgkmcnt(0)
	s_barrier
	buffer_gl0_inv
	s_and_saveexec_b32 s5, s2
	s_cbranch_execz .LBB13_39
; %bb.36:
	v_dual_mov_b32 v30, 0 :: v_dual_mov_b32 v33, v1
	v_lshl_add_u32 v35, v0, 3, 0x70
	v_dual_mov_b32 v31, 0 :: v_dual_mov_b32 v32, v0
	s_mov_b32 s6, 0
.LBB13_37:                              ; =>This Inner Loop Header: Depth=1
	s_delay_alu instid0(VALU_DEP_1) | instskip(SKIP_1) | instid1(VALU_DEP_2)
	v_cmp_eq_u32_e64 s3, 1, v32
	v_cmp_eq_u32_e64 s4, 2, v32
	v_cndmask_b32_e64 v36, v3, v5, s3
	v_cndmask_b32_e64 v37, v2, v4, s3
	v_cmp_eq_u32_e64 s3, 3, v32
	s_delay_alu instid0(VALU_DEP_3) | instskip(NEXT) | instid1(VALU_DEP_3)
	v_cndmask_b32_e64 v36, v36, v7, s4
	v_cndmask_b32_e64 v37, v37, v6, s4
	v_cmp_eq_u32_e64 s4, 4, v32
	s_delay_alu instid0(VALU_DEP_3) | instskip(NEXT) | instid1(VALU_DEP_3)
	;; [unrolled: 4-line block ×8, first 2 shown]
	v_cndmask_b32_e64 v38, v36, v21, s3
	v_cndmask_b32_e64 v39, v37, v20, s3
	ds_load_b64 v[36:37], v35
	v_cmp_eq_u32_e64 s3, 11, v32
	v_add_nc_u32_e32 v35, 8, v35
	v_cndmask_b32_e64 v38, v38, v23, s4
	v_cndmask_b32_e64 v39, v39, v22, s4
	v_cmp_eq_u32_e64 s4, 12, v32
	s_delay_alu instid0(VALU_DEP_3) | instskip(NEXT) | instid1(VALU_DEP_3)
	v_cndmask_b32_e64 v38, v38, v25, s3
	v_cndmask_b32_e64 v39, v39, v24, s3
	v_cmp_eq_u32_e64 s3, 13, v32
	s_delay_alu instid0(VALU_DEP_3) | instskip(NEXT) | instid1(VALU_DEP_3)
	v_cndmask_b32_e64 v38, v38, v27, s4
	v_cndmask_b32_e64 v40, v39, v26, s4
	s_delay_alu instid0(VALU_DEP_2) | instskip(NEXT) | instid1(VALU_DEP_2)
	v_cndmask_b32_e64 v39, v38, v29, s3
	v_cndmask_b32_e64 v38, v40, v28, s3
	v_add_co_u32 v32, s3, v32, 1
	s_delay_alu instid0(VALU_DEP_1) | instskip(SKIP_1) | instid1(VALU_DEP_3)
	v_add_co_ci_u32_e64 v33, s3, 0, v33, s3
	s_waitcnt lgkmcnt(0)
	v_fma_f64 v[30:31], v[38:39], v[36:37], v[30:31]
	s_delay_alu instid0(VALU_DEP_3) | instskip(NEXT) | instid1(VALU_DEP_1)
	v_add_nc_u32_e32 v36, -1, v32
	v_cmp_lt_u32_e64 s3, 4, v36
	s_delay_alu instid0(VALU_DEP_1) | instskip(NEXT) | instid1(SALU_CYCLE_1)
	s_or_b32 s6, s3, s6
	s_and_not1_b32 exec_lo, exec_lo, s6
	s_cbranch_execnz .LBB13_37
; %bb.38:
	s_or_b32 exec_lo, exec_lo, s6
	v_mov_b32_e32 v14, 0
	ds_load_b64 v[14:15], v14 offset:48
	s_waitcnt lgkmcnt(0)
	v_mul_f64 v[14:15], v[30:31], v[14:15]
.LBB13_39:
	s_or_b32 exec_lo, exec_lo, s5
	s_delay_alu instid0(SALU_CYCLE_1)
	s_mov_b32 s5, exec_lo
	s_barrier
	buffer_gl0_inv
	ds_store_b64 v34, v[16:17]
	s_waitcnt lgkmcnt(0)
	s_barrier
	buffer_gl0_inv
	v_cmpx_gt_u32_e32 7, v0
	s_cbranch_execz .LBB13_43
; %bb.40:
	v_dual_mov_b32 v30, 0 :: v_dual_mov_b32 v33, v1
	v_lshl_add_u32 v35, v0, 3, 0x70
	v_dual_mov_b32 v31, 0 :: v_dual_mov_b32 v32, v0
	s_mov_b32 s6, 0
.LBB13_41:                              ; =>This Inner Loop Header: Depth=1
	s_delay_alu instid0(VALU_DEP_1) | instskip(SKIP_1) | instid1(VALU_DEP_2)
	v_cmp_eq_u32_e64 s3, 1, v32
	v_cmp_eq_u32_e64 s4, 2, v32
	v_cndmask_b32_e64 v36, v3, v5, s3
	v_cndmask_b32_e64 v37, v2, v4, s3
	v_cmp_eq_u32_e64 s3, 3, v32
	s_delay_alu instid0(VALU_DEP_3) | instskip(NEXT) | instid1(VALU_DEP_3)
	v_cndmask_b32_e64 v36, v36, v7, s4
	v_cndmask_b32_e64 v37, v37, v6, s4
	v_cmp_eq_u32_e64 s4, 4, v32
	s_delay_alu instid0(VALU_DEP_3) | instskip(NEXT) | instid1(VALU_DEP_3)
	;; [unrolled: 4-line block ×8, first 2 shown]
	v_cndmask_b32_e64 v38, v36, v21, s3
	v_cndmask_b32_e64 v39, v37, v20, s3
	ds_load_b64 v[36:37], v35
	v_cmp_eq_u32_e64 s3, 11, v32
	v_add_nc_u32_e32 v35, 8, v35
	v_cndmask_b32_e64 v38, v38, v23, s4
	v_cndmask_b32_e64 v39, v39, v22, s4
	v_cmp_eq_u32_e64 s4, 12, v32
	s_delay_alu instid0(VALU_DEP_3) | instskip(NEXT) | instid1(VALU_DEP_3)
	v_cndmask_b32_e64 v38, v38, v25, s3
	v_cndmask_b32_e64 v39, v39, v24, s3
	v_cmp_eq_u32_e64 s3, 13, v32
	s_delay_alu instid0(VALU_DEP_3) | instskip(NEXT) | instid1(VALU_DEP_3)
	v_cndmask_b32_e64 v38, v38, v27, s4
	v_cndmask_b32_e64 v40, v39, v26, s4
	s_delay_alu instid0(VALU_DEP_2) | instskip(NEXT) | instid1(VALU_DEP_2)
	v_cndmask_b32_e64 v39, v38, v29, s3
	v_cndmask_b32_e64 v38, v40, v28, s3
	v_add_co_u32 v32, s3, v32, 1
	s_delay_alu instid0(VALU_DEP_1) | instskip(SKIP_1) | instid1(VALU_DEP_3)
	v_add_co_ci_u32_e64 v33, s3, 0, v33, s3
	s_waitcnt lgkmcnt(0)
	v_fma_f64 v[30:31], v[38:39], v[36:37], v[30:31]
	s_delay_alu instid0(VALU_DEP_3) | instskip(NEXT) | instid1(VALU_DEP_1)
	v_add_nc_u32_e32 v36, -1, v32
	v_cmp_lt_u32_e64 s3, 5, v36
	s_delay_alu instid0(VALU_DEP_1) | instskip(NEXT) | instid1(SALU_CYCLE_1)
	s_or_b32 s6, s3, s6
	s_and_not1_b32 exec_lo, exec_lo, s6
	s_cbranch_execnz .LBB13_41
; %bb.42:
	s_or_b32 exec_lo, exec_lo, s6
	v_mov_b32_e32 v16, 0
	ds_load_b64 v[16:17], v16 offset:56
	s_waitcnt lgkmcnt(0)
	v_mul_f64 v[16:17], v[30:31], v[16:17]
.LBB13_43:
	s_or_b32 exec_lo, exec_lo, s5
	s_delay_alu instid0(SALU_CYCLE_1)
	s_mov_b32 s4, exec_lo
	s_barrier
	buffer_gl0_inv
	ds_store_b64 v34, v[18:19]
	s_waitcnt lgkmcnt(0)
	s_barrier
	buffer_gl0_inv
	v_cmpx_gt_u32_e32 8, v0
	s_cbranch_execz .LBB13_59
; %bb.44:
	v_cmp_eq_u32_e64 s3, 1, v0
	s_mov_b32 s5, exec_lo
	s_delay_alu instid0(VALU_DEP_1) | instskip(SKIP_2) | instid1(VALU_DEP_1)
	v_cndmask_b32_e64 v30, v3, v5, s3
	v_cndmask_b32_e64 v31, v2, v4, s3
	v_cmp_eq_u32_e64 s3, 2, v0
	v_cndmask_b32_e64 v30, v30, v7, s3
	s_delay_alu instid0(VALU_DEP_3) | instskip(SKIP_1) | instid1(VALU_DEP_1)
	v_cndmask_b32_e64 v31, v31, v6, s3
	v_cmp_eq_u32_e64 s3, 3, v0
	v_cndmask_b32_e64 v30, v30, v9, s3
	s_delay_alu instid0(VALU_DEP_3) | instskip(SKIP_1) | instid1(VALU_DEP_1)
	;; [unrolled: 4-line block ×8, first 2 shown]
	v_cndmask_b32_e64 v31, v31, v20, s3
	v_cmp_eq_u32_e64 s3, 10, v0
	v_cndmask_b32_e64 v32, v30, v23, s3
	s_delay_alu instid0(VALU_DEP_3)
	v_cndmask_b32_e64 v33, v31, v22, s3
	v_cmp_eq_u32_e64 s3, 11, v0
	ds_load_b64 v[30:31], v34
	v_cndmask_b32_e64 v32, v32, v25, s3
	v_cndmask_b32_e64 v33, v33, v24, s3
	v_cmp_eq_u32_e64 s3, 12, v0
	s_delay_alu instid0(VALU_DEP_1) | instskip(NEXT) | instid1(VALU_DEP_3)
	v_cndmask_b32_e64 v32, v32, v27, s3
	v_cndmask_b32_e64 v35, v33, v26, s3
	v_cmp_eq_u32_e64 s3, 13, v0
	s_delay_alu instid0(VALU_DEP_1) | instskip(NEXT) | instid1(VALU_DEP_3)
	v_cndmask_b32_e64 v33, v32, v29, s3
	v_cndmask_b32_e64 v32, v35, v28, s3
	s_waitcnt lgkmcnt(0)
	s_delay_alu instid0(VALU_DEP_1)
	v_fma_f64 v[30:31], v[32:33], v[30:31], 0
	v_cmpx_ne_u32_e32 7, v0
	s_cbranch_execz .LBB13_58
; %bb.45:
	v_add_nc_u32_e32 v35, 1, v0
	s_delay_alu instid0(VALU_DEP_1) | instskip(NEXT) | instid1(VALU_DEP_1)
	v_cmp_eq_u32_e64 s3, 1, v35
	v_cndmask_b32_e64 v32, v3, v5, s3
	v_cndmask_b32_e64 v33, v2, v4, s3
	v_cmp_eq_u32_e64 s3, 2, v35
	s_delay_alu instid0(VALU_DEP_1) | instskip(NEXT) | instid1(VALU_DEP_3)
	v_cndmask_b32_e64 v32, v32, v7, s3
	v_cndmask_b32_e64 v33, v33, v6, s3
	v_cmp_eq_u32_e64 s3, 3, v35
	s_delay_alu instid0(VALU_DEP_1) | instskip(NEXT) | instid1(VALU_DEP_3)
	;; [unrolled: 4-line block ×9, first 2 shown]
	v_cndmask_b32_e64 v36, v32, v23, s3
	v_cndmask_b32_e64 v37, v33, v22, s3
	v_cmp_eq_u32_e64 s3, 11, v35
	ds_load_b64 v[32:33], v34 offset:8
	v_cndmask_b32_e64 v36, v36, v25, s3
	v_cndmask_b32_e64 v37, v37, v24, s3
	v_cmp_eq_u32_e64 s3, 12, v35
	s_delay_alu instid0(VALU_DEP_1) | instskip(NEXT) | instid1(VALU_DEP_3)
	v_cndmask_b32_e64 v36, v36, v27, s3
	v_cndmask_b32_e64 v37, v37, v26, s3
	v_cmp_eq_u32_e64 s3, 13, v35
	s_delay_alu instid0(VALU_DEP_1) | instskip(NEXT) | instid1(VALU_DEP_3)
	v_cndmask_b32_e64 v36, v36, v29, s3
	v_cndmask_b32_e64 v35, v37, v28, s3
	s_waitcnt lgkmcnt(0)
	s_delay_alu instid0(VALU_DEP_1)
	v_fma_f64 v[30:31], v[35:36], v[32:33], v[30:31]
	s_and_saveexec_b32 s3, s2
	s_cbranch_execz .LBB13_57
; %bb.46:
	v_add_nc_u32_e32 v35, 2, v0
	s_mov_b32 s6, exec_lo
	s_delay_alu instid0(VALU_DEP_1) | instskip(NEXT) | instid1(VALU_DEP_1)
	v_cmp_eq_u32_e64 s2, 1, v35
	v_cndmask_b32_e64 v32, v3, v5, s2
	v_cndmask_b32_e64 v33, v2, v4, s2
	v_cmp_eq_u32_e64 s2, 2, v35
	s_delay_alu instid0(VALU_DEP_1) | instskip(NEXT) | instid1(VALU_DEP_3)
	v_cndmask_b32_e64 v32, v32, v7, s2
	v_cndmask_b32_e64 v33, v33, v6, s2
	v_cmp_eq_u32_e64 s2, 3, v35
	s_delay_alu instid0(VALU_DEP_1) | instskip(NEXT) | instid1(VALU_DEP_3)
	;; [unrolled: 4-line block ×9, first 2 shown]
	v_cndmask_b32_e64 v36, v32, v23, s2
	v_cndmask_b32_e64 v37, v33, v22, s2
	v_cmp_eq_u32_e64 s2, 11, v35
	ds_load_b64 v[32:33], v34 offset:16
	v_cndmask_b32_e64 v36, v36, v25, s2
	v_cndmask_b32_e64 v37, v37, v24, s2
	v_cmp_eq_u32_e64 s2, 12, v35
	s_delay_alu instid0(VALU_DEP_1) | instskip(NEXT) | instid1(VALU_DEP_3)
	v_cndmask_b32_e64 v36, v36, v27, s2
	v_cndmask_b32_e64 v37, v37, v26, s2
	v_cmp_eq_u32_e64 s2, 13, v35
	s_delay_alu instid0(VALU_DEP_1) | instskip(NEXT) | instid1(VALU_DEP_3)
	v_cndmask_b32_e64 v36, v36, v29, s2
	v_cndmask_b32_e64 v35, v37, v28, s2
	s_waitcnt lgkmcnt(0)
	s_delay_alu instid0(VALU_DEP_1)
	v_fma_f64 v[30:31], v[35:36], v[32:33], v[30:31]
	v_cmpx_ne_u32_e32 5, v0
	s_cbranch_execz .LBB13_56
; %bb.47:
	v_add_nc_u32_e32 v35, 3, v0
	s_delay_alu instid0(VALU_DEP_1) | instskip(NEXT) | instid1(VALU_DEP_1)
	v_cmp_eq_u32_e64 s2, 1, v35
	v_cndmask_b32_e64 v32, v3, v5, s2
	v_cndmask_b32_e64 v33, v2, v4, s2
	v_cmp_eq_u32_e64 s2, 2, v35
	s_delay_alu instid0(VALU_DEP_1) | instskip(NEXT) | instid1(VALU_DEP_3)
	v_cndmask_b32_e64 v32, v32, v7, s2
	v_cndmask_b32_e64 v33, v33, v6, s2
	v_cmp_eq_u32_e64 s2, 3, v35
	s_delay_alu instid0(VALU_DEP_1) | instskip(NEXT) | instid1(VALU_DEP_3)
	;; [unrolled: 4-line block ×9, first 2 shown]
	v_cndmask_b32_e64 v36, v32, v23, s2
	v_cndmask_b32_e64 v37, v33, v22, s2
	v_cmp_eq_u32_e64 s2, 11, v35
	ds_load_b64 v[32:33], v34 offset:24
	v_cndmask_b32_e64 v36, v36, v25, s2
	v_cndmask_b32_e64 v37, v37, v24, s2
	v_cmp_eq_u32_e64 s2, 12, v35
	s_delay_alu instid0(VALU_DEP_1) | instskip(NEXT) | instid1(VALU_DEP_3)
	v_cndmask_b32_e64 v36, v36, v27, s2
	v_cndmask_b32_e64 v37, v37, v26, s2
	v_cmp_eq_u32_e64 s2, 13, v35
	s_delay_alu instid0(VALU_DEP_1) | instskip(NEXT) | instid1(VALU_DEP_3)
	v_cndmask_b32_e64 v36, v36, v29, s2
	v_cndmask_b32_e64 v35, v37, v28, s2
	s_waitcnt lgkmcnt(0)
	s_delay_alu instid0(VALU_DEP_1)
	v_fma_f64 v[30:31], v[35:36], v[32:33], v[30:31]
	s_and_saveexec_b32 s2, s1
	s_cbranch_execz .LBB13_55
; %bb.48:
	v_or_b32_e32 v35, 4, v0
	s_mov_b32 s7, exec_lo
	s_delay_alu instid0(VALU_DEP_1) | instskip(NEXT) | instid1(VALU_DEP_1)
	v_cmp_eq_u32_e64 s1, 1, v35
	v_cndmask_b32_e64 v32, v3, v5, s1
	v_cndmask_b32_e64 v33, v2, v4, s1
	v_cmp_eq_u32_e64 s1, 2, v35
	s_delay_alu instid0(VALU_DEP_1) | instskip(NEXT) | instid1(VALU_DEP_3)
	v_cndmask_b32_e64 v32, v32, v7, s1
	v_cndmask_b32_e64 v33, v33, v6, s1
	v_cmp_eq_u32_e64 s1, 3, v35
	s_delay_alu instid0(VALU_DEP_1) | instskip(NEXT) | instid1(VALU_DEP_3)
	;; [unrolled: 4-line block ×9, first 2 shown]
	v_cndmask_b32_e64 v36, v32, v23, s1
	v_cndmask_b32_e64 v37, v33, v22, s1
	v_cmp_eq_u32_e64 s1, 11, v35
	ds_load_b64 v[32:33], v34 offset:32
	v_cndmask_b32_e64 v36, v36, v25, s1
	v_cndmask_b32_e64 v37, v37, v24, s1
	v_cmp_eq_u32_e64 s1, 12, v35
	s_delay_alu instid0(VALU_DEP_1) | instskip(NEXT) | instid1(VALU_DEP_3)
	v_cndmask_b32_e64 v36, v36, v27, s1
	v_cndmask_b32_e64 v37, v37, v26, s1
	v_cmp_eq_u32_e64 s1, 13, v35
	s_delay_alu instid0(VALU_DEP_1) | instskip(NEXT) | instid1(VALU_DEP_3)
	v_cndmask_b32_e64 v36, v36, v29, s1
	v_cndmask_b32_e64 v35, v37, v28, s1
	s_waitcnt lgkmcnt(0)
	s_delay_alu instid0(VALU_DEP_1)
	v_fma_f64 v[30:31], v[35:36], v[32:33], v[30:31]
	v_cmpx_ne_u32_e32 3, v0
	s_cbranch_execz .LBB13_54
; %bb.49:
	v_add_nc_u32_e32 v35, 5, v0
	s_delay_alu instid0(VALU_DEP_1) | instskip(NEXT) | instid1(VALU_DEP_1)
	v_cmp_eq_u32_e64 s1, 1, v35
	v_cndmask_b32_e64 v32, v3, v5, s1
	v_cndmask_b32_e64 v33, v2, v4, s1
	v_cmp_eq_u32_e64 s1, 2, v35
	s_delay_alu instid0(VALU_DEP_1) | instskip(NEXT) | instid1(VALU_DEP_3)
	v_cndmask_b32_e64 v32, v32, v7, s1
	v_cndmask_b32_e64 v33, v33, v6, s1
	v_cmp_eq_u32_e64 s1, 3, v35
	s_delay_alu instid0(VALU_DEP_1) | instskip(NEXT) | instid1(VALU_DEP_3)
	;; [unrolled: 4-line block ×9, first 2 shown]
	v_cndmask_b32_e64 v36, v32, v23, s1
	v_cndmask_b32_e64 v37, v33, v22, s1
	v_cmp_eq_u32_e64 s1, 11, v35
	ds_load_b64 v[32:33], v34 offset:40
	v_cndmask_b32_e64 v36, v36, v25, s1
	v_cndmask_b32_e64 v37, v37, v24, s1
	v_cmp_eq_u32_e64 s1, 12, v35
	s_delay_alu instid0(VALU_DEP_1) | instskip(NEXT) | instid1(VALU_DEP_3)
	v_cndmask_b32_e64 v36, v36, v27, s1
	v_cndmask_b32_e64 v37, v37, v26, s1
	v_cmp_eq_u32_e64 s1, 13, v35
	s_delay_alu instid0(VALU_DEP_1) | instskip(NEXT) | instid1(VALU_DEP_3)
	v_cndmask_b32_e64 v36, v36, v29, s1
	v_cndmask_b32_e64 v35, v37, v28, s1
	s_waitcnt lgkmcnt(0)
	s_delay_alu instid0(VALU_DEP_1)
	v_fma_f64 v[30:31], v[35:36], v[32:33], v[30:31]
	s_and_saveexec_b32 s1, vcc_lo
	s_cbranch_execz .LBB13_53
; %bb.50:
	v_or_b32_e32 v32, 6, v0
	s_delay_alu instid0(VALU_DEP_1) | instskip(SKIP_3) | instid1(VALU_DEP_3)
	v_cmp_eq_u32_e32 vcc_lo, 1, v32
	v_cndmask_b32_e32 v33, v3, v5, vcc_lo
	v_cndmask_b32_e32 v35, v2, v4, vcc_lo
	v_cmp_eq_u32_e32 vcc_lo, 2, v32
	v_cndmask_b32_e32 v33, v33, v7, vcc_lo
	s_delay_alu instid0(VALU_DEP_3) | instskip(SKIP_1) | instid1(VALU_DEP_3)
	v_cndmask_b32_e32 v35, v35, v6, vcc_lo
	v_cmp_eq_u32_e32 vcc_lo, 3, v32
	v_cndmask_b32_e32 v33, v33, v9, vcc_lo
	s_delay_alu instid0(VALU_DEP_3) | instskip(SKIP_1) | instid1(VALU_DEP_3)
	;; [unrolled: 4-line block ×5, first 2 shown]
	v_cndmask_b32_e32 v35, v35, v14, vcc_lo
	v_cmp_eq_u32_e32 vcc_lo, 7, v32
	v_cndmask_b32_e32 v33, v33, v17, vcc_lo
	s_delay_alu instid0(VALU_DEP_3) | instskip(SKIP_1) | instid1(VALU_DEP_2)
	v_cndmask_b32_e32 v35, v35, v16, vcc_lo
	v_cmp_eq_u32_e32 vcc_lo, 8, v32
	v_dual_cndmask_b32 v19, v33, v19 :: v_dual_cndmask_b32 v18, v35, v18
	v_cmp_eq_u32_e32 vcc_lo, 9, v32
	s_delay_alu instid0(VALU_DEP_2) | instskip(SKIP_1) | instid1(VALU_DEP_2)
	v_dual_cndmask_b32 v19, v19, v21 :: v_dual_cndmask_b32 v18, v18, v20
	v_cmp_eq_u32_e32 vcc_lo, 10, v32
	v_cndmask_b32_e32 v33, v19, v23, vcc_lo
	s_delay_alu instid0(VALU_DEP_3)
	v_cndmask_b32_e32 v35, v18, v22, vcc_lo
	v_cmp_eq_u32_e32 vcc_lo, 11, v32
	ds_load_b64 v[18:19], v34 offset:48
	v_cndmask_b32_e32 v33, v33, v25, vcc_lo
	v_cndmask_b32_e32 v35, v35, v24, vcc_lo
	v_cmp_eq_u32_e32 vcc_lo, 12, v32
	s_delay_alu instid0(VALU_DEP_3) | instskip(NEXT) | instid1(VALU_DEP_3)
	v_cndmask_b32_e32 v33, v33, v27, vcc_lo
	v_cndmask_b32_e32 v35, v35, v26, vcc_lo
	v_cmp_eq_u32_e32 vcc_lo, 13, v32
	s_delay_alu instid0(VALU_DEP_2) | instskip(SKIP_1) | instid1(VALU_DEP_1)
	v_dual_cndmask_b32 v32, v35, v28 :: v_dual_cndmask_b32 v33, v33, v29
	s_waitcnt lgkmcnt(0)
	v_fma_f64 v[30:31], v[32:33], v[18:19], v[30:31]
	s_and_saveexec_b32 s8, s0
	s_cbranch_execz .LBB13_52
; %bb.51:
	ds_load_b64 v[18:19], v34 offset:56
	s_waitcnt lgkmcnt(0)
	v_fma_f64 v[30:31], v[16:17], v[18:19], v[30:31]
.LBB13_52:
	s_or_b32 exec_lo, exec_lo, s8
.LBB13_53:
	s_delay_alu instid0(SALU_CYCLE_1)
	s_or_b32 exec_lo, exec_lo, s1
.LBB13_54:
	s_delay_alu instid0(SALU_CYCLE_1)
	s_or_b32 exec_lo, exec_lo, s7
.LBB13_55:
	s_delay_alu instid0(SALU_CYCLE_1)
	s_or_b32 exec_lo, exec_lo, s2
.LBB13_56:
	s_delay_alu instid0(SALU_CYCLE_1)
	s_or_b32 exec_lo, exec_lo, s6
.LBB13_57:
	s_delay_alu instid0(SALU_CYCLE_1)
	s_or_b32 exec_lo, exec_lo, s3
.LBB13_58:
	s_delay_alu instid0(SALU_CYCLE_1)
	s_or_b32 exec_lo, exec_lo, s5
	v_mov_b32_e32 v18, 0
	ds_load_b64 v[18:19], v18 offset:64
	s_waitcnt lgkmcnt(0)
	v_mul_f64 v[18:19], v[30:31], v[18:19]
.LBB13_59:
	s_or_b32 exec_lo, exec_lo, s4
	s_delay_alu instid0(SALU_CYCLE_1)
	s_mov_b32 s1, exec_lo
	s_barrier
	buffer_gl0_inv
	ds_store_b64 v34, v[20:21]
	s_waitcnt lgkmcnt(0)
	s_barrier
	buffer_gl0_inv
	v_cmpx_gt_u32_e32 9, v0
	s_cbranch_execz .LBB13_63
; %bb.60:
	v_dual_mov_b32 v30, 0 :: v_dual_mov_b32 v33, v1
	v_lshl_add_u32 v35, v0, 3, 0x70
	v_dual_mov_b32 v31, 0 :: v_dual_mov_b32 v32, v0
	s_mov_b32 s2, 0
.LBB13_61:                              ; =>This Inner Loop Header: Depth=1
	s_delay_alu instid0(VALU_DEP_1) | instskip(SKIP_3) | instid1(VALU_DEP_2)
	v_cmp_eq_u32_e32 vcc_lo, 1, v32
	v_cmp_eq_u32_e64 s0, 2, v32
	v_dual_cndmask_b32 v36, v3, v5 :: v_dual_cndmask_b32 v37, v2, v4
	v_cmp_eq_u32_e32 vcc_lo, 3, v32
	v_cndmask_b32_e64 v36, v36, v7, s0
	s_delay_alu instid0(VALU_DEP_3) | instskip(SKIP_1) | instid1(VALU_DEP_2)
	v_cndmask_b32_e64 v37, v37, v6, s0
	v_cmp_eq_u32_e64 s0, 4, v32
	v_dual_cndmask_b32 v36, v36, v9 :: v_dual_cndmask_b32 v37, v37, v8
	v_cmp_eq_u32_e32 vcc_lo, 5, v32
	s_delay_alu instid0(VALU_DEP_2) | instskip(NEXT) | instid1(VALU_DEP_3)
	v_cndmask_b32_e64 v36, v36, v11, s0
	v_cndmask_b32_e64 v37, v37, v10, s0
	v_cmp_eq_u32_e64 s0, 6, v32
	s_delay_alu instid0(VALU_DEP_2) | instskip(SKIP_1) | instid1(VALU_DEP_2)
	v_dual_cndmask_b32 v36, v36, v13 :: v_dual_cndmask_b32 v37, v37, v12
	v_cmp_eq_u32_e32 vcc_lo, 7, v32
	v_cndmask_b32_e64 v36, v36, v15, s0
	s_delay_alu instid0(VALU_DEP_3) | instskip(SKIP_1) | instid1(VALU_DEP_2)
	v_cndmask_b32_e64 v37, v37, v14, s0
	v_cmp_eq_u32_e64 s0, 8, v32
	v_dual_cndmask_b32 v36, v36, v17 :: v_dual_cndmask_b32 v37, v37, v16
	v_cmp_eq_u32_e32 vcc_lo, 9, v32
	s_delay_alu instid0(VALU_DEP_2) | instskip(NEXT) | instid1(VALU_DEP_3)
	v_cndmask_b32_e64 v36, v36, v19, s0
	v_cndmask_b32_e64 v37, v37, v18, s0
	v_cmp_eq_u32_e64 s0, 10, v32
	s_delay_alu instid0(VALU_DEP_2)
	v_dual_cndmask_b32 v38, v36, v21 :: v_dual_cndmask_b32 v39, v37, v20
	ds_load_b64 v[36:37], v35
	v_cmp_eq_u32_e32 vcc_lo, 11, v32
	v_add_nc_u32_e32 v35, 8, v35
	v_cndmask_b32_e64 v38, v38, v23, s0
	v_cndmask_b32_e64 v39, v39, v22, s0
	v_cmp_eq_u32_e64 s0, 12, v32
	s_delay_alu instid0(VALU_DEP_2) | instskip(SKIP_1) | instid1(VALU_DEP_2)
	v_dual_cndmask_b32 v38, v38, v25 :: v_dual_cndmask_b32 v39, v39, v24
	v_cmp_eq_u32_e32 vcc_lo, 13, v32
	v_cndmask_b32_e64 v38, v38, v27, s0
	s_delay_alu instid0(VALU_DEP_3) | instskip(NEXT) | instid1(VALU_DEP_1)
	v_cndmask_b32_e64 v40, v39, v26, s0
	v_dual_cndmask_b32 v39, v38, v29 :: v_dual_cndmask_b32 v38, v40, v28
	v_add_co_u32 v32, vcc_lo, v32, 1
	v_add_co_ci_u32_e32 v33, vcc_lo, 0, v33, vcc_lo
	s_waitcnt lgkmcnt(0)
	s_delay_alu instid0(VALU_DEP_3) | instskip(NEXT) | instid1(VALU_DEP_3)
	v_fma_f64 v[30:31], v[38:39], v[36:37], v[30:31]
	v_add_nc_u32_e32 v36, -1, v32
	s_delay_alu instid0(VALU_DEP_1) | instskip(SKIP_1) | instid1(SALU_CYCLE_1)
	v_cmp_lt_u32_e32 vcc_lo, 7, v36
	s_or_b32 s2, vcc_lo, s2
	s_and_not1_b32 exec_lo, exec_lo, s2
	s_cbranch_execnz .LBB13_61
; %bb.62:
	s_or_b32 exec_lo, exec_lo, s2
	v_mov_b32_e32 v20, 0
	ds_load_b64 v[20:21], v20 offset:72
	s_waitcnt lgkmcnt(0)
	v_mul_f64 v[20:21], v[30:31], v[20:21]
.LBB13_63:
	s_or_b32 exec_lo, exec_lo, s1
	s_delay_alu instid0(SALU_CYCLE_1)
	s_mov_b32 s1, exec_lo
	s_barrier
	buffer_gl0_inv
	ds_store_b64 v34, v[22:23]
	s_waitcnt lgkmcnt(0)
	s_barrier
	buffer_gl0_inv
	v_cmpx_gt_u32_e32 10, v0
	s_cbranch_execz .LBB13_67
; %bb.64:
	v_dual_mov_b32 v30, 0 :: v_dual_mov_b32 v33, v1
	v_lshl_add_u32 v35, v0, 3, 0x70
	v_dual_mov_b32 v31, 0 :: v_dual_mov_b32 v32, v0
	s_mov_b32 s2, 0
.LBB13_65:                              ; =>This Inner Loop Header: Depth=1
	s_delay_alu instid0(VALU_DEP_1) | instskip(SKIP_3) | instid1(VALU_DEP_2)
	v_cmp_eq_u32_e32 vcc_lo, 1, v32
	v_cmp_eq_u32_e64 s0, 2, v32
	v_dual_cndmask_b32 v36, v3, v5 :: v_dual_cndmask_b32 v37, v2, v4
	v_cmp_eq_u32_e32 vcc_lo, 3, v32
	v_cndmask_b32_e64 v36, v36, v7, s0
	s_delay_alu instid0(VALU_DEP_3) | instskip(SKIP_1) | instid1(VALU_DEP_2)
	v_cndmask_b32_e64 v37, v37, v6, s0
	v_cmp_eq_u32_e64 s0, 4, v32
	v_dual_cndmask_b32 v36, v36, v9 :: v_dual_cndmask_b32 v37, v37, v8
	v_cmp_eq_u32_e32 vcc_lo, 5, v32
	s_delay_alu instid0(VALU_DEP_2) | instskip(NEXT) | instid1(VALU_DEP_3)
	v_cndmask_b32_e64 v36, v36, v11, s0
	v_cndmask_b32_e64 v37, v37, v10, s0
	v_cmp_eq_u32_e64 s0, 6, v32
	s_delay_alu instid0(VALU_DEP_2) | instskip(SKIP_1) | instid1(VALU_DEP_2)
	v_dual_cndmask_b32 v36, v36, v13 :: v_dual_cndmask_b32 v37, v37, v12
	v_cmp_eq_u32_e32 vcc_lo, 7, v32
	v_cndmask_b32_e64 v36, v36, v15, s0
	s_delay_alu instid0(VALU_DEP_3) | instskip(SKIP_1) | instid1(VALU_DEP_2)
	v_cndmask_b32_e64 v37, v37, v14, s0
	v_cmp_eq_u32_e64 s0, 8, v32
	v_dual_cndmask_b32 v36, v36, v17 :: v_dual_cndmask_b32 v37, v37, v16
	v_cmp_eq_u32_e32 vcc_lo, 9, v32
	s_delay_alu instid0(VALU_DEP_2) | instskip(NEXT) | instid1(VALU_DEP_3)
	v_cndmask_b32_e64 v36, v36, v19, s0
	v_cndmask_b32_e64 v37, v37, v18, s0
	v_cmp_eq_u32_e64 s0, 10, v32
	s_delay_alu instid0(VALU_DEP_2)
	v_dual_cndmask_b32 v38, v36, v21 :: v_dual_cndmask_b32 v39, v37, v20
	ds_load_b64 v[36:37], v35
	v_cmp_eq_u32_e32 vcc_lo, 11, v32
	v_add_nc_u32_e32 v35, 8, v35
	v_cndmask_b32_e64 v38, v38, v23, s0
	v_cndmask_b32_e64 v39, v39, v22, s0
	v_cmp_eq_u32_e64 s0, 12, v32
	s_delay_alu instid0(VALU_DEP_2) | instskip(SKIP_1) | instid1(VALU_DEP_2)
	v_dual_cndmask_b32 v38, v38, v25 :: v_dual_cndmask_b32 v39, v39, v24
	v_cmp_eq_u32_e32 vcc_lo, 13, v32
	v_cndmask_b32_e64 v38, v38, v27, s0
	s_delay_alu instid0(VALU_DEP_3) | instskip(NEXT) | instid1(VALU_DEP_1)
	v_cndmask_b32_e64 v40, v39, v26, s0
	v_dual_cndmask_b32 v39, v38, v29 :: v_dual_cndmask_b32 v38, v40, v28
	v_add_co_u32 v32, vcc_lo, v32, 1
	v_add_co_ci_u32_e32 v33, vcc_lo, 0, v33, vcc_lo
	s_waitcnt lgkmcnt(0)
	s_delay_alu instid0(VALU_DEP_3) | instskip(NEXT) | instid1(VALU_DEP_3)
	v_fma_f64 v[30:31], v[38:39], v[36:37], v[30:31]
	v_add_nc_u32_e32 v36, -1, v32
	s_delay_alu instid0(VALU_DEP_1) | instskip(SKIP_1) | instid1(SALU_CYCLE_1)
	v_cmp_lt_u32_e32 vcc_lo, 8, v36
	s_or_b32 s2, vcc_lo, s2
	s_and_not1_b32 exec_lo, exec_lo, s2
	s_cbranch_execnz .LBB13_65
; %bb.66:
	s_or_b32 exec_lo, exec_lo, s2
	v_mov_b32_e32 v22, 0
	ds_load_b64 v[22:23], v22 offset:80
	s_waitcnt lgkmcnt(0)
	v_mul_f64 v[22:23], v[30:31], v[22:23]
.LBB13_67:
	s_or_b32 exec_lo, exec_lo, s1
	s_delay_alu instid0(SALU_CYCLE_1)
	s_mov_b32 s1, exec_lo
	s_barrier
	buffer_gl0_inv
	ds_store_b64 v34, v[24:25]
	s_waitcnt lgkmcnt(0)
	s_barrier
	buffer_gl0_inv
	v_cmpx_gt_u32_e32 11, v0
	s_cbranch_execz .LBB13_71
; %bb.68:
	v_dual_mov_b32 v30, 0 :: v_dual_mov_b32 v33, v1
	v_lshl_add_u32 v35, v0, 3, 0x70
	v_dual_mov_b32 v31, 0 :: v_dual_mov_b32 v32, v0
	s_mov_b32 s2, 0
.LBB13_69:                              ; =>This Inner Loop Header: Depth=1
	s_delay_alu instid0(VALU_DEP_1) | instskip(SKIP_3) | instid1(VALU_DEP_2)
	v_cmp_eq_u32_e32 vcc_lo, 1, v32
	v_cmp_eq_u32_e64 s0, 2, v32
	v_dual_cndmask_b32 v36, v3, v5 :: v_dual_cndmask_b32 v37, v2, v4
	v_cmp_eq_u32_e32 vcc_lo, 3, v32
	v_cndmask_b32_e64 v36, v36, v7, s0
	s_delay_alu instid0(VALU_DEP_3) | instskip(SKIP_1) | instid1(VALU_DEP_2)
	v_cndmask_b32_e64 v37, v37, v6, s0
	v_cmp_eq_u32_e64 s0, 4, v32
	v_dual_cndmask_b32 v36, v36, v9 :: v_dual_cndmask_b32 v37, v37, v8
	v_cmp_eq_u32_e32 vcc_lo, 5, v32
	s_delay_alu instid0(VALU_DEP_2) | instskip(NEXT) | instid1(VALU_DEP_3)
	v_cndmask_b32_e64 v36, v36, v11, s0
	v_cndmask_b32_e64 v37, v37, v10, s0
	v_cmp_eq_u32_e64 s0, 6, v32
	s_delay_alu instid0(VALU_DEP_2) | instskip(SKIP_1) | instid1(VALU_DEP_2)
	v_dual_cndmask_b32 v36, v36, v13 :: v_dual_cndmask_b32 v37, v37, v12
	v_cmp_eq_u32_e32 vcc_lo, 7, v32
	v_cndmask_b32_e64 v36, v36, v15, s0
	s_delay_alu instid0(VALU_DEP_3) | instskip(SKIP_1) | instid1(VALU_DEP_2)
	v_cndmask_b32_e64 v37, v37, v14, s0
	v_cmp_eq_u32_e64 s0, 8, v32
	v_dual_cndmask_b32 v36, v36, v17 :: v_dual_cndmask_b32 v37, v37, v16
	v_cmp_eq_u32_e32 vcc_lo, 9, v32
	s_delay_alu instid0(VALU_DEP_2) | instskip(NEXT) | instid1(VALU_DEP_3)
	v_cndmask_b32_e64 v36, v36, v19, s0
	v_cndmask_b32_e64 v37, v37, v18, s0
	v_cmp_eq_u32_e64 s0, 10, v32
	s_delay_alu instid0(VALU_DEP_2)
	v_dual_cndmask_b32 v38, v36, v21 :: v_dual_cndmask_b32 v39, v37, v20
	ds_load_b64 v[36:37], v35
	v_cmp_eq_u32_e32 vcc_lo, 11, v32
	v_add_nc_u32_e32 v35, 8, v35
	v_cndmask_b32_e64 v38, v38, v23, s0
	v_cndmask_b32_e64 v39, v39, v22, s0
	v_cmp_eq_u32_e64 s0, 12, v32
	s_delay_alu instid0(VALU_DEP_2) | instskip(SKIP_1) | instid1(VALU_DEP_2)
	v_dual_cndmask_b32 v38, v38, v25 :: v_dual_cndmask_b32 v39, v39, v24
	v_cmp_eq_u32_e32 vcc_lo, 13, v32
	v_cndmask_b32_e64 v38, v38, v27, s0
	s_delay_alu instid0(VALU_DEP_3) | instskip(NEXT) | instid1(VALU_DEP_1)
	v_cndmask_b32_e64 v40, v39, v26, s0
	v_dual_cndmask_b32 v39, v38, v29 :: v_dual_cndmask_b32 v38, v40, v28
	v_add_co_u32 v32, vcc_lo, v32, 1
	v_add_co_ci_u32_e32 v33, vcc_lo, 0, v33, vcc_lo
	s_waitcnt lgkmcnt(0)
	s_delay_alu instid0(VALU_DEP_3) | instskip(NEXT) | instid1(VALU_DEP_3)
	v_fma_f64 v[30:31], v[38:39], v[36:37], v[30:31]
	v_add_nc_u32_e32 v36, -1, v32
	s_delay_alu instid0(VALU_DEP_1) | instskip(SKIP_1) | instid1(SALU_CYCLE_1)
	v_cmp_lt_u32_e32 vcc_lo, 9, v36
	s_or_b32 s2, vcc_lo, s2
	s_and_not1_b32 exec_lo, exec_lo, s2
	s_cbranch_execnz .LBB13_69
; %bb.70:
	s_or_b32 exec_lo, exec_lo, s2
	v_mov_b32_e32 v24, 0
	ds_load_b64 v[24:25], v24 offset:88
	s_waitcnt lgkmcnt(0)
	v_mul_f64 v[24:25], v[30:31], v[24:25]
.LBB13_71:
	s_or_b32 exec_lo, exec_lo, s1
	s_delay_alu instid0(SALU_CYCLE_1)
	s_mov_b32 s1, exec_lo
	s_barrier
	buffer_gl0_inv
	ds_store_b64 v34, v[26:27]
	s_waitcnt lgkmcnt(0)
	s_barrier
	buffer_gl0_inv
	v_cmpx_gt_u32_e32 12, v0
	s_cbranch_execz .LBB13_75
; %bb.72:
	v_dual_mov_b32 v30, 0 :: v_dual_mov_b32 v33, v1
	v_lshl_add_u32 v35, v0, 3, 0x70
	v_dual_mov_b32 v31, 0 :: v_dual_mov_b32 v32, v0
	s_mov_b32 s2, 0
.LBB13_73:                              ; =>This Inner Loop Header: Depth=1
	s_delay_alu instid0(VALU_DEP_1) | instskip(SKIP_3) | instid1(VALU_DEP_2)
	v_cmp_eq_u32_e32 vcc_lo, 1, v32
	v_cmp_eq_u32_e64 s0, 2, v32
	v_dual_cndmask_b32 v36, v3, v5 :: v_dual_cndmask_b32 v37, v2, v4
	v_cmp_eq_u32_e32 vcc_lo, 3, v32
	v_cndmask_b32_e64 v36, v36, v7, s0
	s_delay_alu instid0(VALU_DEP_3) | instskip(SKIP_1) | instid1(VALU_DEP_2)
	v_cndmask_b32_e64 v37, v37, v6, s0
	v_cmp_eq_u32_e64 s0, 4, v32
	v_dual_cndmask_b32 v36, v36, v9 :: v_dual_cndmask_b32 v37, v37, v8
	v_cmp_eq_u32_e32 vcc_lo, 5, v32
	s_delay_alu instid0(VALU_DEP_2) | instskip(NEXT) | instid1(VALU_DEP_3)
	v_cndmask_b32_e64 v36, v36, v11, s0
	v_cndmask_b32_e64 v37, v37, v10, s0
	v_cmp_eq_u32_e64 s0, 6, v32
	s_delay_alu instid0(VALU_DEP_2) | instskip(SKIP_1) | instid1(VALU_DEP_2)
	v_dual_cndmask_b32 v36, v36, v13 :: v_dual_cndmask_b32 v37, v37, v12
	v_cmp_eq_u32_e32 vcc_lo, 7, v32
	v_cndmask_b32_e64 v36, v36, v15, s0
	s_delay_alu instid0(VALU_DEP_3) | instskip(SKIP_1) | instid1(VALU_DEP_2)
	v_cndmask_b32_e64 v37, v37, v14, s0
	v_cmp_eq_u32_e64 s0, 8, v32
	v_dual_cndmask_b32 v36, v36, v17 :: v_dual_cndmask_b32 v37, v37, v16
	v_cmp_eq_u32_e32 vcc_lo, 9, v32
	s_delay_alu instid0(VALU_DEP_2) | instskip(NEXT) | instid1(VALU_DEP_3)
	v_cndmask_b32_e64 v36, v36, v19, s0
	v_cndmask_b32_e64 v37, v37, v18, s0
	v_cmp_eq_u32_e64 s0, 10, v32
	s_delay_alu instid0(VALU_DEP_2)
	v_dual_cndmask_b32 v38, v36, v21 :: v_dual_cndmask_b32 v39, v37, v20
	ds_load_b64 v[36:37], v35
	v_cmp_eq_u32_e32 vcc_lo, 11, v32
	v_add_nc_u32_e32 v35, 8, v35
	v_cndmask_b32_e64 v38, v38, v23, s0
	v_cndmask_b32_e64 v39, v39, v22, s0
	v_cmp_eq_u32_e64 s0, 12, v32
	s_delay_alu instid0(VALU_DEP_2) | instskip(SKIP_1) | instid1(VALU_DEP_2)
	v_dual_cndmask_b32 v38, v38, v25 :: v_dual_cndmask_b32 v39, v39, v24
	v_cmp_eq_u32_e32 vcc_lo, 13, v32
	v_cndmask_b32_e64 v38, v38, v27, s0
	s_delay_alu instid0(VALU_DEP_3) | instskip(NEXT) | instid1(VALU_DEP_1)
	v_cndmask_b32_e64 v40, v39, v26, s0
	v_dual_cndmask_b32 v39, v38, v29 :: v_dual_cndmask_b32 v38, v40, v28
	v_add_co_u32 v32, vcc_lo, v32, 1
	v_add_co_ci_u32_e32 v33, vcc_lo, 0, v33, vcc_lo
	s_waitcnt lgkmcnt(0)
	s_delay_alu instid0(VALU_DEP_3) | instskip(NEXT) | instid1(VALU_DEP_3)
	v_fma_f64 v[30:31], v[38:39], v[36:37], v[30:31]
	v_add_nc_u32_e32 v36, -1, v32
	s_delay_alu instid0(VALU_DEP_1) | instskip(SKIP_1) | instid1(SALU_CYCLE_1)
	v_cmp_lt_u32_e32 vcc_lo, 10, v36
	s_or_b32 s2, vcc_lo, s2
	s_and_not1_b32 exec_lo, exec_lo, s2
	s_cbranch_execnz .LBB13_73
; %bb.74:
	s_or_b32 exec_lo, exec_lo, s2
	v_mov_b32_e32 v26, 0
	ds_load_b64 v[26:27], v26 offset:96
	s_waitcnt lgkmcnt(0)
	v_mul_f64 v[26:27], v[30:31], v[26:27]
.LBB13_75:
	s_or_b32 exec_lo, exec_lo, s1
	s_delay_alu instid0(SALU_CYCLE_1)
	s_mov_b32 s1, exec_lo
	s_barrier
	buffer_gl0_inv
	ds_store_b64 v34, v[28:29]
	s_waitcnt lgkmcnt(0)
	s_barrier
	buffer_gl0_inv
	v_cmpx_ne_u32_e32 13, v0
	s_cbranch_execz .LBB13_79
; %bb.76:
	v_dual_mov_b32 v30, 0 :: v_dual_mov_b32 v33, v1
	v_lshl_add_u32 v34, v0, 3, 0x70
	v_dual_mov_b32 v31, 0 :: v_dual_mov_b32 v32, v0
	s_mov_b32 s2, 0
.LBB13_77:                              ; =>This Inner Loop Header: Depth=1
	s_delay_alu instid0(VALU_DEP_1) | instskip(SKIP_4) | instid1(VALU_DEP_3)
	v_cmp_eq_u32_e32 vcc_lo, 1, v32
	v_cmp_eq_u32_e64 s0, 2, v32
	v_cndmask_b32_e32 v1, v3, v5, vcc_lo
	v_cndmask_b32_e32 v35, v2, v4, vcc_lo
	v_cmp_eq_u32_e32 vcc_lo, 3, v32
	v_cndmask_b32_e64 v1, v1, v7, s0
	s_delay_alu instid0(VALU_DEP_3) | instskip(SKIP_1) | instid1(VALU_DEP_3)
	v_cndmask_b32_e64 v35, v35, v6, s0
	v_cmp_eq_u32_e64 s0, 4, v32
	v_cndmask_b32_e32 v1, v1, v9, vcc_lo
	s_delay_alu instid0(VALU_DEP_3) | instskip(SKIP_1) | instid1(VALU_DEP_3)
	v_cndmask_b32_e32 v35, v35, v8, vcc_lo
	v_cmp_eq_u32_e32 vcc_lo, 5, v32
	v_cndmask_b32_e64 v1, v1, v11, s0
	s_delay_alu instid0(VALU_DEP_3) | instskip(SKIP_1) | instid1(VALU_DEP_3)
	v_cndmask_b32_e64 v35, v35, v10, s0
	v_cmp_eq_u32_e64 s0, 6, v32
	v_cndmask_b32_e32 v1, v1, v13, vcc_lo
	s_delay_alu instid0(VALU_DEP_3) | instskip(SKIP_1) | instid1(VALU_DEP_3)
	;; [unrolled: 8-line block ×3, first 2 shown]
	v_cndmask_b32_e32 v35, v35, v16, vcc_lo
	v_cmp_eq_u32_e32 vcc_lo, 9, v32
	v_cndmask_b32_e64 v1, v1, v19, s0
	s_delay_alu instid0(VALU_DEP_3) | instskip(SKIP_1) | instid1(VALU_DEP_3)
	v_cndmask_b32_e64 v35, v35, v18, s0
	v_cmp_eq_u32_e64 s0, 10, v32
	v_cndmask_b32_e32 v1, v1, v21, vcc_lo
	s_delay_alu instid0(VALU_DEP_3)
	v_cndmask_b32_e32 v37, v35, v20, vcc_lo
	ds_load_b64 v[35:36], v34
	v_cmp_eq_u32_e32 vcc_lo, 11, v32
	v_add_nc_u32_e32 v34, 8, v34
	v_cndmask_b32_e64 v1, v1, v23, s0
	v_cndmask_b32_e64 v37, v37, v22, s0
	v_cmp_eq_u32_e64 s0, 12, v32
	s_delay_alu instid0(VALU_DEP_3) | instskip(NEXT) | instid1(VALU_DEP_3)
	v_cndmask_b32_e32 v1, v1, v25, vcc_lo
	v_cndmask_b32_e32 v37, v37, v24, vcc_lo
	v_cmp_eq_u32_e32 vcc_lo, 13, v32
	s_delay_alu instid0(VALU_DEP_3) | instskip(NEXT) | instid1(VALU_DEP_3)
	v_cndmask_b32_e64 v1, v1, v27, s0
	v_cndmask_b32_e64 v37, v37, v26, s0
	s_delay_alu instid0(VALU_DEP_2) | instskip(NEXT) | instid1(VALU_DEP_2)
	v_cndmask_b32_e32 v38, v1, v29, vcc_lo
	v_cndmask_b32_e32 v37, v37, v28, vcc_lo
	v_add_co_u32 v32, vcc_lo, v32, 1
	v_add_co_ci_u32_e32 v33, vcc_lo, 0, v33, vcc_lo
	s_waitcnt lgkmcnt(0)
	s_delay_alu instid0(VALU_DEP_3) | instskip(NEXT) | instid1(VALU_DEP_3)
	v_fma_f64 v[30:31], v[37:38], v[35:36], v[30:31]
	v_add_nc_u32_e32 v1, -1, v32
	s_delay_alu instid0(VALU_DEP_1) | instskip(SKIP_1) | instid1(SALU_CYCLE_1)
	v_cmp_lt_u32_e32 vcc_lo, 11, v1
	s_or_b32 s2, vcc_lo, s2
	s_and_not1_b32 exec_lo, exec_lo, s2
	s_cbranch_execnz .LBB13_77
; %bb.78:
	s_or_b32 exec_lo, exec_lo, s2
	v_mov_b32_e32 v1, 0
	ds_load_b64 v[28:29], v1 offset:104
	s_waitcnt lgkmcnt(0)
	v_mul_f64 v[28:29], v[30:31], v[28:29]
.LBB13_79:
	s_or_b32 exec_lo, exec_lo, s1
	s_barrier
	buffer_gl0_inv
	s_cbranch_execnz .LBB13_15
	s_branch .LBB13_16
.LBB13_80:
	v_lshl_add_u32 v1, v0, 3, 0x70
	s_mov_b32 s0, exec_lo
	v_cmpx_eq_u32_e32 13, v0
	s_cbranch_execz .LBB13_82
; %bb.81:
	v_dual_mov_b32 v54, 0 :: v_dual_mov_b32 v31, v3
	v_dual_mov_b32 v30, v2 :: v_dual_mov_b32 v33, v5
	;; [unrolled: 1-line block ×14, first 2 shown]
	ds_store_b64 v1, v[26:27]
	v_mov_b32_e32 v2, v30
	v_dual_mov_b32 v3, v31 :: v_dual_mov_b32 v4, v32
	v_dual_mov_b32 v5, v33 :: v_dual_mov_b32 v6, v34
	;; [unrolled: 1-line block ×14, first 2 shown]
	v_mov_b32_e32 v31, v59
	v_mov_b32_e32 v32, v60
	;; [unrolled: 1-line block ×3, first 2 shown]
.LBB13_82:
	s_or_b32 exec_lo, exec_lo, s0
	v_mov_b32_e32 v52, 0
	s_waitcnt lgkmcnt(0)
	s_waitcnt_vscnt null, 0x0
	s_barrier
	buffer_gl0_inv
	s_mov_b32 s0, exec_lo
	ds_load_b64 v[30:31], v52 offset:216
	s_waitcnt lgkmcnt(0)
	v_fma_f64 v[30:31], v[28:29], v[30:31], 0
	s_delay_alu instid0(VALU_DEP_1)
	v_add_f64 v[26:27], v[26:27], -v[30:31]
	v_cmpx_lt_u32_e32 11, v0
	s_cbranch_execz .LBB13_84
; %bb.83:
	v_dual_mov_b32 v30, v2 :: v_dual_mov_b32 v31, v3
	v_dual_mov_b32 v34, v6 :: v_dual_mov_b32 v35, v7
	;; [unrolled: 1-line block ×13, first 2 shown]
	v_mov_b32_e32 v33, v5
	ds_store_b64 v1, v[24:25]
	v_mov_b32_e32 v2, v30
	v_dual_mov_b32 v3, v31 :: v_dual_mov_b32 v4, v32
	v_dual_mov_b32 v5, v33 :: v_dual_mov_b32 v6, v34
	;; [unrolled: 1-line block ×14, first 2 shown]
	v_mov_b32_e32 v31, v59
	v_mov_b32_e32 v32, v60
	;; [unrolled: 1-line block ×3, first 2 shown]
.LBB13_84:
	s_or_b32 exec_lo, exec_lo, s0
	s_waitcnt lgkmcnt(0)
	s_barrier
	buffer_gl0_inv
	ds_load_b128 v[30:33], v52 offset:208
	s_mov_b32 s0, exec_lo
	s_waitcnt lgkmcnt(0)
	v_fma_f64 v[30:31], v[26:27], v[30:31], 0
	s_delay_alu instid0(VALU_DEP_1) | instskip(NEXT) | instid1(VALU_DEP_1)
	v_fma_f64 v[30:31], v[28:29], v[32:33], v[30:31]
	v_add_f64 v[24:25], v[24:25], -v[30:31]
	v_cmpx_lt_u32_e32 10, v0
	s_cbranch_execz .LBB13_86
; %bb.85:
	v_dual_mov_b32 v50, 0 :: v_dual_mov_b32 v31, v3
	v_dual_mov_b32 v30, v2 :: v_dual_mov_b32 v33, v5
	;; [unrolled: 1-line block ×14, first 2 shown]
	ds_store_b64 v1, v[22:23]
	v_mov_b32_e32 v2, v30
	v_dual_mov_b32 v3, v31 :: v_dual_mov_b32 v4, v32
	v_dual_mov_b32 v5, v33 :: v_dual_mov_b32 v6, v34
	;; [unrolled: 1-line block ×14, first 2 shown]
	v_mov_b32_e32 v31, v59
	v_mov_b32_e32 v32, v60
	;; [unrolled: 1-line block ×3, first 2 shown]
.LBB13_86:
	s_or_b32 exec_lo, exec_lo, s0
	v_mov_b32_e32 v48, 0
	s_waitcnt lgkmcnt(0)
	s_barrier
	buffer_gl0_inv
	s_mov_b32 s0, exec_lo
	ds_load_2addr_b64 v[30:33], v48 offset0:25 offset1:26
	ds_load_b64 v[34:35], v48 offset:216
	s_waitcnt lgkmcnt(1)
	v_fma_f64 v[30:31], v[24:25], v[30:31], 0
	s_delay_alu instid0(VALU_DEP_1) | instskip(SKIP_1) | instid1(VALU_DEP_1)
	v_fma_f64 v[30:31], v[26:27], v[32:33], v[30:31]
	s_waitcnt lgkmcnt(0)
	v_fma_f64 v[30:31], v[28:29], v[34:35], v[30:31]
	s_delay_alu instid0(VALU_DEP_1)
	v_add_f64 v[22:23], v[22:23], -v[30:31]
	v_cmpx_lt_u32_e32 9, v0
	s_cbranch_execz .LBB13_88
; %bb.87:
	v_dual_mov_b32 v30, v2 :: v_dual_mov_b32 v31, v3
	v_dual_mov_b32 v34, v6 :: v_dual_mov_b32 v35, v7
	;; [unrolled: 1-line block ×13, first 2 shown]
	v_mov_b32_e32 v33, v5
	ds_store_b64 v1, v[20:21]
	v_mov_b32_e32 v2, v30
	v_dual_mov_b32 v3, v31 :: v_dual_mov_b32 v4, v32
	v_dual_mov_b32 v5, v33 :: v_dual_mov_b32 v6, v34
	;; [unrolled: 1-line block ×14, first 2 shown]
	v_mov_b32_e32 v31, v59
	v_mov_b32_e32 v32, v60
	;; [unrolled: 1-line block ×3, first 2 shown]
.LBB13_88:
	s_or_b32 exec_lo, exec_lo, s0
	s_waitcnt lgkmcnt(0)
	s_barrier
	buffer_gl0_inv
	ds_load_b128 v[30:33], v48 offset:192
	ds_load_b128 v[34:37], v48 offset:208
	s_mov_b32 s0, exec_lo
	s_waitcnt lgkmcnt(1)
	v_fma_f64 v[30:31], v[22:23], v[30:31], 0
	s_delay_alu instid0(VALU_DEP_1) | instskip(SKIP_1) | instid1(VALU_DEP_1)
	v_fma_f64 v[30:31], v[24:25], v[32:33], v[30:31]
	s_waitcnt lgkmcnt(0)
	v_fma_f64 v[30:31], v[26:27], v[34:35], v[30:31]
	s_delay_alu instid0(VALU_DEP_1) | instskip(NEXT) | instid1(VALU_DEP_1)
	v_fma_f64 v[30:31], v[28:29], v[36:37], v[30:31]
	v_add_f64 v[20:21], v[20:21], -v[30:31]
	v_cmpx_lt_u32_e32 8, v0
	s_cbranch_execz .LBB13_90
; %bb.89:
	v_dual_mov_b32 v46, 0 :: v_dual_mov_b32 v31, v3
	v_dual_mov_b32 v30, v2 :: v_dual_mov_b32 v33, v5
	;; [unrolled: 1-line block ×14, first 2 shown]
	ds_store_b64 v1, v[18:19]
	v_mov_b32_e32 v2, v30
	v_dual_mov_b32 v3, v31 :: v_dual_mov_b32 v4, v32
	v_dual_mov_b32 v5, v33 :: v_dual_mov_b32 v6, v34
	;; [unrolled: 1-line block ×14, first 2 shown]
	v_mov_b32_e32 v31, v59
	v_mov_b32_e32 v32, v60
	;; [unrolled: 1-line block ×3, first 2 shown]
.LBB13_90:
	s_or_b32 exec_lo, exec_lo, s0
	v_mov_b32_e32 v44, 0
	s_waitcnt lgkmcnt(0)
	s_barrier
	buffer_gl0_inv
	s_mov_b32 s0, exec_lo
	ds_load_2addr_b64 v[30:33], v44 offset0:23 offset1:24
	ds_load_2addr_b64 v[34:37], v44 offset0:25 offset1:26
	s_waitcnt lgkmcnt(1)
	v_fma_f64 v[30:31], v[20:21], v[30:31], 0
	s_delay_alu instid0(VALU_DEP_1) | instskip(SKIP_3) | instid1(VALU_DEP_1)
	v_fma_f64 v[30:31], v[22:23], v[32:33], v[30:31]
	ds_load_b64 v[32:33], v44 offset:216
	s_waitcnt lgkmcnt(1)
	v_fma_f64 v[30:31], v[24:25], v[34:35], v[30:31]
	v_fma_f64 v[30:31], v[26:27], v[36:37], v[30:31]
	s_waitcnt lgkmcnt(0)
	s_delay_alu instid0(VALU_DEP_1) | instskip(NEXT) | instid1(VALU_DEP_1)
	v_fma_f64 v[30:31], v[28:29], v[32:33], v[30:31]
	v_add_f64 v[18:19], v[18:19], -v[30:31]
	v_cmpx_lt_u32_e32 7, v0
	s_cbranch_execz .LBB13_92
; %bb.91:
	v_dual_mov_b32 v30, v2 :: v_dual_mov_b32 v31, v3
	v_dual_mov_b32 v34, v6 :: v_dual_mov_b32 v35, v7
	;; [unrolled: 1-line block ×13, first 2 shown]
	v_mov_b32_e32 v33, v5
	ds_store_b64 v1, v[16:17]
	v_mov_b32_e32 v2, v30
	v_dual_mov_b32 v3, v31 :: v_dual_mov_b32 v4, v32
	v_dual_mov_b32 v5, v33 :: v_dual_mov_b32 v6, v34
	;; [unrolled: 1-line block ×14, first 2 shown]
	v_mov_b32_e32 v31, v59
	v_mov_b32_e32 v32, v60
	v_mov_b32_e32 v33, v61
.LBB13_92:
	s_or_b32 exec_lo, exec_lo, s0
	s_waitcnt lgkmcnt(0)
	s_barrier
	buffer_gl0_inv
	ds_load_b128 v[30:33], v44 offset:176
	ds_load_b128 v[34:37], v44 offset:192
	s_mov_b32 s0, exec_lo
	s_waitcnt lgkmcnt(1)
	v_fma_f64 v[30:31], v[18:19], v[30:31], 0
	s_delay_alu instid0(VALU_DEP_1) | instskip(SKIP_1) | instid1(VALU_DEP_1)
	v_fma_f64 v[30:31], v[20:21], v[32:33], v[30:31]
	s_waitcnt lgkmcnt(0)
	v_fma_f64 v[30:31], v[22:23], v[34:35], v[30:31]
	s_delay_alu instid0(VALU_DEP_1) | instskip(SKIP_3) | instid1(VALU_DEP_1)
	v_fma_f64 v[34:35], v[24:25], v[36:37], v[30:31]
	ds_load_b128 v[30:33], v44 offset:208
	s_waitcnt lgkmcnt(0)
	v_fma_f64 v[30:31], v[26:27], v[30:31], v[34:35]
	v_fma_f64 v[30:31], v[28:29], v[32:33], v[30:31]
	s_delay_alu instid0(VALU_DEP_1)
	v_add_f64 v[16:17], v[16:17], -v[30:31]
	v_cmpx_lt_u32_e32 6, v0
	s_cbranch_execz .LBB13_94
; %bb.93:
	v_dual_mov_b32 v42, 0 :: v_dual_mov_b32 v31, v3
	v_dual_mov_b32 v30, v2 :: v_dual_mov_b32 v33, v5
	;; [unrolled: 1-line block ×14, first 2 shown]
	ds_store_b64 v1, v[14:15]
	v_mov_b32_e32 v2, v30
	v_dual_mov_b32 v3, v31 :: v_dual_mov_b32 v4, v32
	v_dual_mov_b32 v5, v33 :: v_dual_mov_b32 v6, v34
	;; [unrolled: 1-line block ×14, first 2 shown]
	v_mov_b32_e32 v31, v59
	v_mov_b32_e32 v32, v60
	;; [unrolled: 1-line block ×3, first 2 shown]
.LBB13_94:
	s_or_b32 exec_lo, exec_lo, s0
	v_mov_b32_e32 v40, 0
	s_waitcnt lgkmcnt(0)
	s_barrier
	buffer_gl0_inv
	s_mov_b32 s0, exec_lo
	ds_load_2addr_b64 v[30:33], v40 offset0:21 offset1:22
	ds_load_2addr_b64 v[34:37], v40 offset0:23 offset1:24
	s_waitcnt lgkmcnt(1)
	v_fma_f64 v[30:31], v[16:17], v[30:31], 0
	s_delay_alu instid0(VALU_DEP_1) | instskip(SKIP_1) | instid1(VALU_DEP_1)
	v_fma_f64 v[30:31], v[18:19], v[32:33], v[30:31]
	s_waitcnt lgkmcnt(0)
	v_fma_f64 v[30:31], v[20:21], v[34:35], v[30:31]
	s_delay_alu instid0(VALU_DEP_1) | instskip(SKIP_4) | instid1(VALU_DEP_1)
	v_fma_f64 v[34:35], v[22:23], v[36:37], v[30:31]
	ds_load_2addr_b64 v[30:33], v40 offset0:25 offset1:26
	ds_load_b64 v[36:37], v40 offset:216
	s_waitcnt lgkmcnt(1)
	v_fma_f64 v[30:31], v[24:25], v[30:31], v[34:35]
	v_fma_f64 v[30:31], v[26:27], v[32:33], v[30:31]
	s_waitcnt lgkmcnt(0)
	s_delay_alu instid0(VALU_DEP_1) | instskip(NEXT) | instid1(VALU_DEP_1)
	v_fma_f64 v[30:31], v[28:29], v[36:37], v[30:31]
	v_add_f64 v[14:15], v[14:15], -v[30:31]
	v_cmpx_lt_u32_e32 5, v0
	s_cbranch_execz .LBB13_96
; %bb.95:
	v_dual_mov_b32 v30, v2 :: v_dual_mov_b32 v31, v3
	v_dual_mov_b32 v34, v6 :: v_dual_mov_b32 v35, v7
	;; [unrolled: 1-line block ×13, first 2 shown]
	v_mov_b32_e32 v33, v5
	ds_store_b64 v1, v[12:13]
	v_mov_b32_e32 v2, v30
	v_dual_mov_b32 v3, v31 :: v_dual_mov_b32 v4, v32
	v_dual_mov_b32 v5, v33 :: v_dual_mov_b32 v6, v34
	;; [unrolled: 1-line block ×14, first 2 shown]
	v_mov_b32_e32 v31, v59
	v_mov_b32_e32 v32, v60
	;; [unrolled: 1-line block ×3, first 2 shown]
.LBB13_96:
	s_or_b32 exec_lo, exec_lo, s0
	s_waitcnt lgkmcnt(0)
	s_barrier
	buffer_gl0_inv
	ds_load_b128 v[30:33], v40 offset:160
	ds_load_b128 v[34:37], v40 offset:176
	s_mov_b32 s0, exec_lo
	s_waitcnt lgkmcnt(1)
	v_fma_f64 v[30:31], v[14:15], v[30:31], 0
	s_delay_alu instid0(VALU_DEP_1) | instskip(SKIP_1) | instid1(VALU_DEP_1)
	v_fma_f64 v[30:31], v[16:17], v[32:33], v[30:31]
	s_waitcnt lgkmcnt(0)
	v_fma_f64 v[30:31], v[18:19], v[34:35], v[30:31]
	s_delay_alu instid0(VALU_DEP_1) | instskip(SKIP_4) | instid1(VALU_DEP_1)
	v_fma_f64 v[38:39], v[20:21], v[36:37], v[30:31]
	ds_load_b128 v[30:33], v40 offset:192
	ds_load_b128 v[34:37], v40 offset:208
	s_waitcnt lgkmcnt(1)
	v_fma_f64 v[30:31], v[22:23], v[30:31], v[38:39]
	v_fma_f64 v[30:31], v[24:25], v[32:33], v[30:31]
	s_waitcnt lgkmcnt(0)
	s_delay_alu instid0(VALU_DEP_1) | instskip(NEXT) | instid1(VALU_DEP_1)
	v_fma_f64 v[30:31], v[26:27], v[34:35], v[30:31]
	v_fma_f64 v[30:31], v[28:29], v[36:37], v[30:31]
	s_delay_alu instid0(VALU_DEP_1)
	v_add_f64 v[12:13], v[12:13], -v[30:31]
	v_cmpx_lt_u32_e32 4, v0
	s_cbranch_execz .LBB13_98
; %bb.97:
	v_dual_mov_b32 v38, 0 :: v_dual_mov_b32 v31, v3
	v_dual_mov_b32 v30, v2 :: v_dual_mov_b32 v33, v5
	s_delay_alu instid0(VALU_DEP_4)
	v_dual_mov_b32 v41, v13 :: v_dual_mov_b32 v40, v12
	v_dual_mov_b32 v32, v4 :: v_dual_mov_b32 v35, v7
	;; [unrolled: 1-line block ×13, first 2 shown]
	v_mov_b32_e32 v2, v30
	v_dual_mov_b32 v3, v31 :: v_dual_mov_b32 v4, v32
	v_dual_mov_b32 v5, v33 :: v_dual_mov_b32 v6, v34
	;; [unrolled: 1-line block ×14, first 2 shown]
	v_mov_b32_e32 v31, v59
	v_mov_b32_e32 v32, v60
	;; [unrolled: 1-line block ×3, first 2 shown]
	ds_store_b64 v1, v[58:59]
.LBB13_98:
	s_or_b32 exec_lo, exec_lo, s0
	v_mov_b32_e32 v36, 0
	s_waitcnt lgkmcnt(0)
	s_barrier
	buffer_gl0_inv
	s_mov_b32 s0, exec_lo
	ds_load_2addr_b64 v[30:33], v36 offset0:19 offset1:20
	ds_load_2addr_b64 v[37:40], v36 offset0:21 offset1:22
	s_waitcnt lgkmcnt(1)
	v_fma_f64 v[30:31], v[12:13], v[30:31], 0
	s_delay_alu instid0(VALU_DEP_1) | instskip(SKIP_1) | instid1(VALU_DEP_1)
	v_fma_f64 v[30:31], v[14:15], v[32:33], v[30:31]
	s_waitcnt lgkmcnt(0)
	v_fma_f64 v[30:31], v[16:17], v[37:38], v[30:31]
	s_delay_alu instid0(VALU_DEP_1) | instskip(SKIP_4) | instid1(VALU_DEP_1)
	v_fma_f64 v[34:35], v[18:19], v[39:40], v[30:31]
	ds_load_2addr_b64 v[30:33], v36 offset0:23 offset1:24
	ds_load_2addr_b64 v[37:40], v36 offset0:25 offset1:26
	s_waitcnt lgkmcnt(1)
	v_fma_f64 v[30:31], v[20:21], v[30:31], v[34:35]
	v_fma_f64 v[30:31], v[22:23], v[32:33], v[30:31]
	ds_load_b64 v[32:33], v36 offset:216
	s_waitcnt lgkmcnt(1)
	v_fma_f64 v[30:31], v[24:25], v[37:38], v[30:31]
	s_delay_alu instid0(VALU_DEP_1) | instskip(SKIP_1) | instid1(VALU_DEP_1)
	v_fma_f64 v[30:31], v[26:27], v[39:40], v[30:31]
	s_waitcnt lgkmcnt(0)
	v_fma_f64 v[30:31], v[28:29], v[32:33], v[30:31]
	s_delay_alu instid0(VALU_DEP_1)
	v_add_f64 v[10:11], v[10:11], -v[30:31]
	v_cmpx_lt_u32_e32 3, v0
	s_cbranch_execz .LBB13_100
; %bb.99:
	v_dual_mov_b32 v30, v2 :: v_dual_mov_b32 v31, v3
	s_delay_alu instid0(VALU_DEP_3)
	v_dual_mov_b32 v39, v11 :: v_dual_mov_b32 v38, v10
	v_dual_mov_b32 v34, v6 :: v_dual_mov_b32 v35, v7
	;; [unrolled: 1-line block ×13, first 2 shown]
	v_mov_b32_e32 v59, v9
	v_mov_b32_e32 v2, v30
	s_delay_alu instid0(VALU_DEP_3) | instskip(NEXT) | instid1(VALU_DEP_4)
	v_dual_mov_b32 v3, v31 :: v_dual_mov_b32 v4, v32
	v_dual_mov_b32 v5, v33 :: v_dual_mov_b32 v6, v34
	;; [unrolled: 1-line block ×14, first 2 shown]
	v_mov_b32_e32 v31, v59
	v_mov_b32_e32 v32, v60
	;; [unrolled: 1-line block ×3, first 2 shown]
	ds_store_b64 v1, v[58:59]
.LBB13_100:
	s_or_b32 exec_lo, exec_lo, s0
	s_waitcnt lgkmcnt(0)
	s_barrier
	buffer_gl0_inv
	ds_load_b128 v[30:33], v36 offset:144
	ds_load_b128 v[37:40], v36 offset:160
	s_mov_b32 s0, exec_lo
	s_waitcnt lgkmcnt(1)
	v_fma_f64 v[30:31], v[10:11], v[30:31], 0
	s_delay_alu instid0(VALU_DEP_1) | instskip(SKIP_1) | instid1(VALU_DEP_1)
	v_fma_f64 v[30:31], v[12:13], v[32:33], v[30:31]
	s_waitcnt lgkmcnt(0)
	v_fma_f64 v[30:31], v[14:15], v[37:38], v[30:31]
	s_delay_alu instid0(VALU_DEP_1) | instskip(SKIP_4) | instid1(VALU_DEP_1)
	v_fma_f64 v[34:35], v[16:17], v[39:40], v[30:31]
	ds_load_b128 v[30:33], v36 offset:176
	ds_load_b128 v[37:40], v36 offset:192
	s_waitcnt lgkmcnt(1)
	v_fma_f64 v[30:31], v[18:19], v[30:31], v[34:35]
	v_fma_f64 v[30:31], v[20:21], v[32:33], v[30:31]
	s_waitcnt lgkmcnt(0)
	s_delay_alu instid0(VALU_DEP_1) | instskip(NEXT) | instid1(VALU_DEP_1)
	v_fma_f64 v[30:31], v[22:23], v[37:38], v[30:31]
	v_fma_f64 v[34:35], v[24:25], v[39:40], v[30:31]
	ds_load_b128 v[30:33], v36 offset:208
	s_waitcnt lgkmcnt(0)
	v_fma_f64 v[30:31], v[26:27], v[30:31], v[34:35]
	s_delay_alu instid0(VALU_DEP_1) | instskip(NEXT) | instid1(VALU_DEP_1)
	v_fma_f64 v[30:31], v[28:29], v[32:33], v[30:31]
	v_add_f64 v[8:9], v[8:9], -v[30:31]
	v_cmpx_lt_u32_e32 2, v0
	s_cbranch_execz .LBB13_102
; %bb.101:
	v_dual_mov_b32 v34, 0 :: v_dual_mov_b32 v31, v3
	v_dual_mov_b32 v30, v2 :: v_dual_mov_b32 v33, v5
	s_delay_alu instid0(VALU_DEP_4) | instskip(NEXT) | instid1(VALU_DEP_3)
	v_dual_mov_b32 v37, v9 :: v_dual_mov_b32 v36, v8
	v_dual_mov_b32 v32, v4 :: v_dual_mov_b32 v35, v34
	;; [unrolled: 1-line block ×13, first 2 shown]
	v_mov_b32_e32 v2, v30
	v_dual_mov_b32 v3, v31 :: v_dual_mov_b32 v4, v32
	v_dual_mov_b32 v5, v33 :: v_dual_mov_b32 v6, v34
	v_dual_mov_b32 v7, v35 :: v_dual_mov_b32 v8, v36
	v_dual_mov_b32 v9, v37 :: v_dual_mov_b32 v10, v38
	v_dual_mov_b32 v11, v39 :: v_dual_mov_b32 v12, v40
	v_dual_mov_b32 v13, v41 :: v_dual_mov_b32 v14, v42
	v_dual_mov_b32 v15, v43 :: v_dual_mov_b32 v16, v44
	v_dual_mov_b32 v17, v45 :: v_dual_mov_b32 v18, v46
	v_dual_mov_b32 v19, v47 :: v_dual_mov_b32 v20, v48
	v_dual_mov_b32 v21, v49 :: v_dual_mov_b32 v22, v50
	v_dual_mov_b32 v23, v51 :: v_dual_mov_b32 v24, v52
	v_dual_mov_b32 v25, v53 :: v_dual_mov_b32 v26, v54
	v_dual_mov_b32 v27, v55 :: v_dual_mov_b32 v28, v56
	v_dual_mov_b32 v29, v57 :: v_dual_mov_b32 v30, v58
	v_mov_b32_e32 v31, v59
	v_mov_b32_e32 v32, v60
	;; [unrolled: 1-line block ×3, first 2 shown]
	ds_store_b64 v1, v[58:59]
.LBB13_102:
	s_or_b32 exec_lo, exec_lo, s0
	v_mov_b32_e32 v34, 0
	s_waitcnt lgkmcnt(0)
	s_barrier
	buffer_gl0_inv
	s_mov_b32 s0, exec_lo
	ds_load_2addr_b64 v[30:33], v34 offset0:17 offset1:18
	ds_load_2addr_b64 v[35:38], v34 offset0:19 offset1:20
	s_waitcnt lgkmcnt(1)
	v_fma_f64 v[30:31], v[8:9], v[30:31], 0
	s_delay_alu instid0(VALU_DEP_1) | instskip(SKIP_1) | instid1(VALU_DEP_1)
	v_fma_f64 v[30:31], v[10:11], v[32:33], v[30:31]
	s_waitcnt lgkmcnt(0)
	v_fma_f64 v[30:31], v[12:13], v[35:36], v[30:31]
	s_delay_alu instid0(VALU_DEP_1) | instskip(SKIP_4) | instid1(VALU_DEP_1)
	v_fma_f64 v[39:40], v[14:15], v[37:38], v[30:31]
	ds_load_2addr_b64 v[30:33], v34 offset0:21 offset1:22
	ds_load_2addr_b64 v[35:38], v34 offset0:23 offset1:24
	s_waitcnt lgkmcnt(1)
	v_fma_f64 v[30:31], v[16:17], v[30:31], v[39:40]
	v_fma_f64 v[30:31], v[18:19], v[32:33], v[30:31]
	s_waitcnt lgkmcnt(0)
	s_delay_alu instid0(VALU_DEP_1) | instskip(NEXT) | instid1(VALU_DEP_1)
	v_fma_f64 v[30:31], v[20:21], v[35:36], v[30:31]
	v_fma_f64 v[35:36], v[22:23], v[37:38], v[30:31]
	ds_load_2addr_b64 v[30:33], v34 offset0:25 offset1:26
	ds_load_b64 v[37:38], v34 offset:216
	s_waitcnt lgkmcnt(1)
	v_fma_f64 v[30:31], v[24:25], v[30:31], v[35:36]
	s_delay_alu instid0(VALU_DEP_1) | instskip(SKIP_1) | instid1(VALU_DEP_1)
	v_fma_f64 v[30:31], v[26:27], v[32:33], v[30:31]
	s_waitcnt lgkmcnt(0)
	v_fma_f64 v[30:31], v[28:29], v[37:38], v[30:31]
	s_delay_alu instid0(VALU_DEP_1)
	v_add_f64 v[6:7], v[6:7], -v[30:31]
	v_cmpx_lt_u32_e32 1, v0
	s_cbranch_execz .LBB13_104
; %bb.103:
	v_dual_mov_b32 v32, v2 :: v_dual_mov_b32 v33, v3
	s_delay_alu instid0(VALU_DEP_3)
	v_dual_mov_b32 v37, v7 :: v_dual_mov_b32 v36, v6
	v_dual_mov_b32 v35, v34 :: v_dual_mov_b32 v38, v8
	;; [unrolled: 1-line block ×29, first 2 shown]
	v_mov_b32_e32 v33, v63
	ds_store_b64 v1, v[88:89]
.LBB13_104:
	s_or_b32 exec_lo, exec_lo, s0
	s_waitcnt lgkmcnt(0)
	s_barrier
	buffer_gl0_inv
	ds_load_b128 v[30:33], v34 offset:128
	ds_load_b128 v[35:38], v34 offset:144
	s_mov_b32 s0, exec_lo
	s_waitcnt lgkmcnt(1)
	v_fma_f64 v[30:31], v[6:7], v[30:31], 0
	s_delay_alu instid0(VALU_DEP_1) | instskip(SKIP_1) | instid1(VALU_DEP_1)
	v_fma_f64 v[30:31], v[8:9], v[32:33], v[30:31]
	s_waitcnt lgkmcnt(0)
	v_fma_f64 v[30:31], v[10:11], v[35:36], v[30:31]
	s_delay_alu instid0(VALU_DEP_1) | instskip(SKIP_4) | instid1(VALU_DEP_1)
	v_fma_f64 v[39:40], v[12:13], v[37:38], v[30:31]
	ds_load_b128 v[30:33], v34 offset:160
	ds_load_b128 v[35:38], v34 offset:176
	s_waitcnt lgkmcnt(1)
	v_fma_f64 v[30:31], v[14:15], v[30:31], v[39:40]
	v_fma_f64 v[30:31], v[16:17], v[32:33], v[30:31]
	s_waitcnt lgkmcnt(0)
	s_delay_alu instid0(VALU_DEP_1) | instskip(NEXT) | instid1(VALU_DEP_1)
	v_fma_f64 v[30:31], v[18:19], v[35:36], v[30:31]
	v_fma_f64 v[38:39], v[20:21], v[37:38], v[30:31]
	ds_load_b128 v[30:33], v34 offset:192
	ds_load_b128 v[34:37], v34 offset:208
	s_waitcnt lgkmcnt(1)
	v_fma_f64 v[30:31], v[22:23], v[30:31], v[38:39]
	s_delay_alu instid0(VALU_DEP_1) | instskip(SKIP_1) | instid1(VALU_DEP_1)
	v_fma_f64 v[30:31], v[24:25], v[32:33], v[30:31]
	s_waitcnt lgkmcnt(0)
	v_fma_f64 v[30:31], v[26:27], v[34:35], v[30:31]
	s_delay_alu instid0(VALU_DEP_1) | instskip(NEXT) | instid1(VALU_DEP_1)
	v_fma_f64 v[30:31], v[28:29], v[36:37], v[30:31]
	v_add_f64 v[4:5], v[4:5], -v[30:31]
	v_cmpx_ne_u32_e32 0, v0
	s_cbranch_execz .LBB13_106
; %bb.105:
	s_delay_alu instid0(VALU_DEP_2) | instskip(NEXT) | instid1(VALU_DEP_3)
	v_dual_mov_b32 v30, 0 :: v_dual_mov_b32 v33, v5
	v_dual_mov_b32 v32, v4 :: v_dual_mov_b32 v35, v7
	;; [unrolled: 1-line block ×3, first 2 shown]
	s_delay_alu instid0(VALU_DEP_3)
	v_dual_mov_b32 v31, v30 :: v_dual_mov_b32 v36, v8
	v_dual_mov_b32 v38, v10 :: v_dual_mov_b32 v39, v11
	;; [unrolled: 1-line block ×12, first 2 shown]
	v_mov_b32_e32 v2, v30
	v_dual_mov_b32 v3, v31 :: v_dual_mov_b32 v4, v32
	v_dual_mov_b32 v5, v33 :: v_dual_mov_b32 v6, v34
	;; [unrolled: 1-line block ×14, first 2 shown]
	v_mov_b32_e32 v31, v59
	v_mov_b32_e32 v32, v60
	;; [unrolled: 1-line block ×3, first 2 shown]
	ds_store_b64 v1, v[58:59]
.LBB13_106:
	s_or_b32 exec_lo, exec_lo, s0
	v_mov_b32_e32 v38, 0
	s_waitcnt lgkmcnt(0)
	s_barrier
	buffer_gl0_inv
	s_and_b32 vcc_lo, exec_lo, s20
	ds_load_2addr_b64 v[30:33], v38 offset0:15 offset1:16
	ds_load_2addr_b64 v[34:37], v38 offset0:17 offset1:18
	s_waitcnt lgkmcnt(1)
	v_fma_f64 v[0:1], v[4:5], v[30:31], 0
	s_delay_alu instid0(VALU_DEP_1) | instskip(SKIP_1) | instid1(VALU_DEP_1)
	v_fma_f64 v[0:1], v[6:7], v[32:33], v[0:1]
	s_waitcnt lgkmcnt(0)
	v_fma_f64 v[0:1], v[8:9], v[34:35], v[0:1]
	s_delay_alu instid0(VALU_DEP_1) | instskip(SKIP_4) | instid1(VALU_DEP_1)
	v_fma_f64 v[0:1], v[10:11], v[36:37], v[0:1]
	ds_load_2addr_b64 v[30:33], v38 offset0:19 offset1:20
	ds_load_2addr_b64 v[34:37], v38 offset0:21 offset1:22
	s_waitcnt lgkmcnt(1)
	v_fma_f64 v[0:1], v[12:13], v[30:31], v[0:1]
	v_fma_f64 v[0:1], v[14:15], v[32:33], v[0:1]
	s_waitcnt lgkmcnt(0)
	s_delay_alu instid0(VALU_DEP_1) | instskip(NEXT) | instid1(VALU_DEP_1)
	v_fma_f64 v[0:1], v[16:17], v[34:35], v[0:1]
	v_fma_f64 v[0:1], v[18:19], v[36:37], v[0:1]
	ds_load_2addr_b64 v[30:33], v38 offset0:23 offset1:24
	ds_load_2addr_b64 v[34:37], v38 offset0:25 offset1:26
	s_waitcnt lgkmcnt(1)
	v_fma_f64 v[0:1], v[20:21], v[30:31], v[0:1]
	ds_load_b64 v[30:31], v38 offset:216
	v_fma_f64 v[0:1], v[22:23], v[32:33], v[0:1]
	s_waitcnt lgkmcnt(1)
	s_delay_alu instid0(VALU_DEP_1) | instskip(NEXT) | instid1(VALU_DEP_1)
	v_fma_f64 v[0:1], v[24:25], v[34:35], v[0:1]
	v_fma_f64 v[0:1], v[26:27], v[36:37], v[0:1]
	s_waitcnt lgkmcnt(0)
	s_delay_alu instid0(VALU_DEP_1) | instskip(NEXT) | instid1(VALU_DEP_1)
	v_fma_f64 v[0:1], v[28:29], v[30:31], v[0:1]
	v_add_f64 v[2:3], v[2:3], -v[0:1]
	s_cbranch_vccz .LBB13_134
; %bb.107:
	v_dual_mov_b32 v0, s16 :: v_dual_mov_b32 v1, s17
	s_mov_b32 s7, exec_lo
	flat_load_b32 v0, v[0:1] offset:48
	s_waitcnt vmcnt(0) lgkmcnt(0)
	v_add_nc_u32_e32 v0, -1, v0
	s_delay_alu instid0(VALU_DEP_1)
	v_cmpx_ne_u32_e32 12, v0
	s_cbranch_execz .LBB13_109
; %bb.108:
	v_cmp_eq_u32_e32 vcc_lo, 1, v0
	v_cmp_eq_u32_e64 s0, 2, v0
	v_cmp_eq_u32_e64 s1, 3, v0
	;; [unrolled: 1-line block ×4, first 2 shown]
	v_dual_cndmask_b32 v1, v2, v4 :: v_dual_cndmask_b32 v30, v3, v5
	v_cmp_eq_u32_e64 s4, 6, v0
	v_cmp_eq_u32_e64 s5, 0, v0
	;; [unrolled: 1-line block ×3, first 2 shown]
	s_delay_alu instid0(VALU_DEP_4)
	v_cndmask_b32_e64 v1, v1, v6, s0
	v_cndmask_b32_e64 v30, v30, v7, s0
	;; [unrolled: 1-line block ×4, first 2 shown]
	v_cmp_eq_u32_e64 s0, 8, v0
	v_cndmask_b32_e64 v1, v1, v8, s1
	v_cndmask_b32_e64 v30, v30, v9, s1
	v_cndmask_b32_e32 v32, v5, v27, vcc_lo
	v_cndmask_b32_e64 v36, v9, v27, s1
	v_cndmask_b32_e64 v35, v8, v26, s1
	v_cndmask_b32_e64 v1, v1, v10, s2
	v_cndmask_b32_e64 v30, v30, v11, s2
	v_cndmask_b32_e64 v38, v11, v27, s2
	v_cndmask_b32_e64 v37, v10, v26, s2
	v_cmp_eq_u32_e64 s1, 10, v0
	v_cndmask_b32_e64 v1, v1, v12, s3
	v_cndmask_b32_e64 v31, v30, v13, s3
	;; [unrolled: 1-line block ×3, first 2 shown]
	v_cmp_eq_u32_e64 s2, 11, v0
	v_cndmask_b32_e64 v40, v13, v27, s3
	v_cndmask_b32_e64 v1, v1, v14, s4
	;; [unrolled: 1-line block ×3, first 2 shown]
	v_cndmask_b32_e32 v31, v4, v26, vcc_lo
	v_cmp_eq_u32_e32 vcc_lo, 9, v0
	v_cndmask_b32_e64 v39, v12, v26, s3
	v_cndmask_b32_e64 v1, v1, v16, s6
	;; [unrolled: 1-line block ×11, first 2 shown]
	s_delay_alu instid0(VALU_DEP_4)
	v_dual_cndmask_b32 v48, v21, v27 :: v_dual_cndmask_b32 v3, v3, v21
	v_cndmask_b32_e32 v47, v20, v26, vcc_lo
	v_cndmask_b32_e64 v50, v23, v27, s1
	v_cndmask_b32_e64 v49, v22, v26, s1
	;; [unrolled: 1-line block ×4, first 2 shown]
	v_cndmask_b32_e32 v1, v1, v20, vcc_lo
	v_cndmask_b32_e64 v3, v3, v23, s1
	v_cmp_eq_u32_e64 s3, 12, v0
	v_cmp_eq_u32_e32 vcc_lo, 13, v0
	s_delay_alu instid0(VALU_DEP_4) | instskip(NEXT) | instid1(VALU_DEP_4)
	v_cndmask_b32_e64 v1, v1, v22, s1
	v_cndmask_b32_e64 v3, v3, v25, s2
	v_dual_cndmask_b32 v55, v28, v26 :: v_dual_cndmask_b32 v56, v29, v27
	s_delay_alu instid0(VALU_DEP_3) | instskip(NEXT) | instid1(VALU_DEP_3)
	v_cndmask_b32_e64 v1, v1, v24, s2
	v_cndmask_b32_e64 v3, v3, v27, s3
	s_delay_alu instid0(VALU_DEP_2) | instskip(NEXT) | instid1(VALU_DEP_1)
	v_cndmask_b32_e64 v1, v1, v26, s3
	v_dual_cndmask_b32 v0, v1, v28 :: v_dual_cndmask_b32 v1, v3, v29
	v_cndmask_b32_e64 v29, v2, v26, s5
	s_delay_alu instid0(VALU_DEP_2) | instskip(NEXT) | instid1(VALU_DEP_3)
	v_cndmask_b32_e64 v53, v0, v26, s3
	v_cndmask_b32_e64 v54, v1, v27, s3
	s_delay_alu instid0(VALU_DEP_3)
	v_mov_b32_e32 v2, v29
	v_dual_mov_b32 v3, v30 :: v_dual_mov_b32 v6, v33
	v_dual_mov_b32 v4, v31 :: v_dual_mov_b32 v5, v32
	;; [unrolled: 1-line block ×13, first 2 shown]
	v_mov_b32_e32 v29, v56
	v_mov_b32_e32 v30, v57
	v_mov_b32_e32 v31, v58
	v_mov_b32_e32 v32, v59
	v_mov_b32_e32 v33, v60
.LBB13_109:
	s_or_b32 exec_lo, exec_lo, s7
	v_dual_mov_b32 v0, s16 :: v_dual_mov_b32 v1, s17
	s_mov_b32 s7, exec_lo
	flat_load_b32 v0, v[0:1] offset:44
	s_waitcnt vmcnt(0) lgkmcnt(0)
	v_add_nc_u32_e32 v0, -1, v0
	s_delay_alu instid0(VALU_DEP_1)
	v_cmpx_ne_u32_e32 11, v0
	s_cbranch_execz .LBB13_111
; %bb.110:
	v_cmp_eq_u32_e32 vcc_lo, 1, v0
	v_cmp_eq_u32_e64 s0, 2, v0
	v_cmp_eq_u32_e64 s1, 3, v0
	;; [unrolled: 1-line block ×4, first 2 shown]
	v_dual_cndmask_b32 v1, v2, v4 :: v_dual_cndmask_b32 v30, v3, v5
	v_cmp_eq_u32_e64 s4, 6, v0
	v_cmp_eq_u32_e64 s6, 7, v0
	;; [unrolled: 1-line block ×3, first 2 shown]
	s_delay_alu instid0(VALU_DEP_4)
	v_cndmask_b32_e64 v1, v1, v6, s0
	v_cndmask_b32_e64 v30, v30, v7, s0
	v_cndmask_b32_e64 v34, v7, v25, s0
	v_cndmask_b32_e64 v33, v6, v24, s0
	v_cmp_eq_u32_e64 s0, 8, v0
	v_cndmask_b32_e64 v1, v1, v8, s1
	v_cndmask_b32_e64 v30, v30, v9, s1
	v_cndmask_b32_e32 v32, v5, v25, vcc_lo
	v_cndmask_b32_e64 v36, v9, v25, s1
	v_cndmask_b32_e64 v35, v8, v24, s1
	;; [unrolled: 1-line block ×5, first 2 shown]
	v_cmp_eq_u32_e64 s1, 10, v0
	v_cndmask_b32_e64 v39, v12, v24, s3
	v_cndmask_b32_e64 v1, v1, v12, s3
	;; [unrolled: 1-line block ×4, first 2 shown]
	v_cmp_eq_u32_e64 s3, 12, v0
	v_cndmask_b32_e64 v38, v11, v25, s2
	v_cndmask_b32_e64 v1, v1, v14, s4
	;; [unrolled: 1-line block ×3, first 2 shown]
	v_cndmask_b32_e32 v31, v4, v24, vcc_lo
	v_cmp_eq_u32_e32 vcc_lo, 9, v0
	v_cndmask_b32_e64 v37, v10, v24, s2
	v_cndmask_b32_e64 v1, v1, v16, s6
	v_cndmask_b32_e64 v42, v15, v25, s4
	v_cndmask_b32_e64 v41, v14, v24, s4
	v_cndmask_b32_e64 v44, v17, v25, s6
	v_cndmask_b32_e64 v43, v16, v24, s6
	v_cndmask_b32_e64 v1, v1, v18, s0
	v_cndmask_b32_e64 v46, v19, v25, s0
	v_cndmask_b32_e64 v45, v18, v24, s0
	v_dual_cndmask_b32 v48, v21, v25 :: v_dual_cndmask_b32 v47, v20, v24
	v_cndmask_b32_e64 v50, v23, v25, s1
	v_cndmask_b32_e64 v49, v22, v24, s1
	;; [unrolled: 1-line block ×4, first 2 shown]
	v_cndmask_b32_e32 v1, v1, v20, vcc_lo
	v_cndmask_b32_e64 v3, v3, v17, s6
	v_cmp_eq_u32_e64 s2, 11, v0
	s_delay_alu instid0(VALU_DEP_3) | instskip(NEXT) | instid1(VALU_DEP_3)
	v_cndmask_b32_e64 v1, v1, v22, s1
	v_cndmask_b32_e64 v3, v3, v19, s0
	s_delay_alu instid0(VALU_DEP_2) | instskip(NEXT) | instid1(VALU_DEP_1)
	v_cndmask_b32_e64 v1, v1, v24, s2
	v_cndmask_b32_e64 v1, v1, v26, s3
	s_delay_alu instid0(VALU_DEP_3) | instskip(SKIP_1) | instid1(VALU_DEP_3)
	v_cndmask_b32_e32 v3, v3, v21, vcc_lo
	v_cmp_eq_u32_e32 vcc_lo, 13, v0
	v_cndmask_b32_e32 v0, v1, v28, vcc_lo
	s_delay_alu instid0(VALU_DEP_3) | instskip(SKIP_1) | instid1(VALU_DEP_3)
	v_cndmask_b32_e64 v3, v3, v23, s1
	v_dual_cndmask_b32 v56, v29, v25 :: v_dual_cndmask_b32 v55, v28, v24
	v_cndmask_b32_e64 v51, v0, v24, s2
	s_delay_alu instid0(VALU_DEP_3) | instskip(NEXT) | instid1(VALU_DEP_1)
	v_cndmask_b32_e64 v3, v3, v25, s2
	v_cndmask_b32_e64 v3, v3, v27, s3
	s_delay_alu instid0(VALU_DEP_1) | instskip(SKIP_1) | instid1(VALU_DEP_2)
	v_cndmask_b32_e32 v1, v3, v29, vcc_lo
	v_cndmask_b32_e64 v29, v2, v24, s5
	v_cndmask_b32_e64 v52, v1, v25, s2
	s_delay_alu instid0(VALU_DEP_2)
	v_mov_b32_e32 v2, v29
	v_dual_mov_b32 v3, v30 :: v_dual_mov_b32 v6, v33
	v_dual_mov_b32 v4, v31 :: v_dual_mov_b32 v5, v32
	;; [unrolled: 1-line block ×13, first 2 shown]
	v_mov_b32_e32 v29, v56
	v_mov_b32_e32 v30, v57
	;; [unrolled: 1-line block ×5, first 2 shown]
.LBB13_111:
	s_or_b32 exec_lo, exec_lo, s7
	v_dual_mov_b32 v0, s16 :: v_dual_mov_b32 v1, s17
	s_mov_b32 s7, exec_lo
	flat_load_b32 v0, v[0:1] offset:40
	s_waitcnt vmcnt(0) lgkmcnt(0)
	v_add_nc_u32_e32 v0, -1, v0
	s_delay_alu instid0(VALU_DEP_1)
	v_cmpx_ne_u32_e32 10, v0
	s_cbranch_execz .LBB13_113
; %bb.112:
	v_cmp_eq_u32_e32 vcc_lo, 1, v0
	v_cmp_eq_u32_e64 s0, 2, v0
	v_cmp_eq_u32_e64 s1, 3, v0
	;; [unrolled: 1-line block ×4, first 2 shown]
	v_dual_cndmask_b32 v1, v2, v4 :: v_dual_cndmask_b32 v30, v3, v5
	v_cmp_eq_u32_e64 s4, 6, v0
	v_cmp_eq_u32_e64 s5, 0, v0
	;; [unrolled: 1-line block ×3, first 2 shown]
	s_delay_alu instid0(VALU_DEP_4)
	v_cndmask_b32_e64 v1, v1, v6, s0
	v_cndmask_b32_e64 v30, v30, v7, s0
	;; [unrolled: 1-line block ×4, first 2 shown]
	v_cmp_eq_u32_e64 s0, 8, v0
	v_cndmask_b32_e64 v1, v1, v8, s1
	v_cndmask_b32_e64 v30, v30, v9, s1
	v_cndmask_b32_e32 v32, v5, v23, vcc_lo
	v_cndmask_b32_e64 v38, v11, v23, s2
	v_cndmask_b32_e64 v37, v10, v22, s2
	;; [unrolled: 1-line block ×6, first 2 shown]
	v_cmp_eq_u32_e64 s2, 11, v0
	v_cndmask_b32_e64 v1, v1, v12, s3
	v_cndmask_b32_e64 v31, v30, v13, s3
	;; [unrolled: 1-line block ×3, first 2 shown]
	v_cmp_eq_u32_e64 s3, 12, v0
	v_cndmask_b32_e64 v36, v9, v23, s1
	v_cndmask_b32_e64 v1, v1, v14, s4
	;; [unrolled: 1-line block ×3, first 2 shown]
	v_cndmask_b32_e32 v31, v4, v22, vcc_lo
	v_cmp_eq_u32_e32 vcc_lo, 9, v0
	v_cndmask_b32_e64 v35, v8, v22, s1
	v_cndmask_b32_e64 v1, v1, v16, s6
	;; [unrolled: 1-line block ×3, first 2 shown]
	v_cmp_eq_u32_e64 s1, 10, v0
	v_cndmask_b32_e64 v42, v15, v23, s4
	v_cndmask_b32_e64 v41, v14, v22, s4
	;; [unrolled: 1-line block ×8, first 2 shown]
	v_dual_cndmask_b32 v3, v3, v21 :: v_dual_cndmask_b32 v48, v21, v23
	v_cndmask_b32_e32 v47, v20, v22, vcc_lo
	v_cndmask_b32_e64 v52, v25, v23, s2
	v_cndmask_b32_e64 v51, v24, v22, s2
	;; [unrolled: 1-line block ×4, first 2 shown]
	v_cndmask_b32_e32 v1, v1, v20, vcc_lo
	v_cndmask_b32_e64 v3, v3, v23, s1
	v_cmp_eq_u32_e32 vcc_lo, 13, v0
	s_delay_alu instid0(VALU_DEP_3) | instskip(NEXT) | instid1(VALU_DEP_3)
	v_cndmask_b32_e64 v1, v1, v22, s1
	v_cndmask_b32_e64 v3, v3, v25, s2
	v_dual_cndmask_b32 v55, v28, v22 :: v_dual_cndmask_b32 v56, v29, v23
	s_delay_alu instid0(VALU_DEP_3) | instskip(NEXT) | instid1(VALU_DEP_3)
	v_cndmask_b32_e64 v1, v1, v24, s2
	v_cndmask_b32_e64 v3, v3, v27, s3
	s_delay_alu instid0(VALU_DEP_2) | instskip(NEXT) | instid1(VALU_DEP_1)
	v_cndmask_b32_e64 v1, v1, v26, s3
	v_dual_cndmask_b32 v0, v1, v28 :: v_dual_cndmask_b32 v1, v3, v29
	v_cndmask_b32_e64 v29, v2, v22, s5
	s_delay_alu instid0(VALU_DEP_2) | instskip(NEXT) | instid1(VALU_DEP_3)
	v_cndmask_b32_e64 v49, v0, v22, s1
	v_cndmask_b32_e64 v50, v1, v23, s1
	s_delay_alu instid0(VALU_DEP_3)
	v_mov_b32_e32 v2, v29
	v_dual_mov_b32 v3, v30 :: v_dual_mov_b32 v6, v33
	v_dual_mov_b32 v4, v31 :: v_dual_mov_b32 v5, v32
	;; [unrolled: 1-line block ×13, first 2 shown]
	v_mov_b32_e32 v29, v56
	v_mov_b32_e32 v30, v57
	;; [unrolled: 1-line block ×5, first 2 shown]
.LBB13_113:
	s_or_b32 exec_lo, exec_lo, s7
	v_dual_mov_b32 v0, s16 :: v_dual_mov_b32 v1, s17
	s_mov_b32 s7, exec_lo
	flat_load_b32 v0, v[0:1] offset:36
	s_waitcnt vmcnt(0) lgkmcnt(0)
	v_add_nc_u32_e32 v0, -1, v0
	s_delay_alu instid0(VALU_DEP_1)
	v_cmpx_ne_u32_e32 9, v0
	s_cbranch_execz .LBB13_115
; %bb.114:
	v_cmp_eq_u32_e32 vcc_lo, 1, v0
	v_cmp_eq_u32_e64 s0, 2, v0
	v_cmp_eq_u32_e64 s1, 3, v0
	v_cmp_eq_u32_e64 s2, 4, v0
	v_cmp_eq_u32_e64 s3, 5, v0
	v_dual_cndmask_b32 v1, v2, v4 :: v_dual_cndmask_b32 v30, v3, v5
	v_cmp_eq_u32_e64 s4, 6, v0
	v_cmp_eq_u32_e64 s5, 0, v0
	;; [unrolled: 1-line block ×3, first 2 shown]
	s_delay_alu instid0(VALU_DEP_4)
	v_cndmask_b32_e64 v1, v1, v6, s0
	v_cndmask_b32_e64 v30, v30, v7, s0
	;; [unrolled: 1-line block ×4, first 2 shown]
	v_cmp_eq_u32_e64 s0, 8, v0
	v_cndmask_b32_e64 v1, v1, v8, s1
	v_cndmask_b32_e64 v30, v30, v9, s1
	v_cndmask_b32_e32 v32, v5, v21, vcc_lo
	v_cndmask_b32_e64 v36, v9, v21, s1
	v_cndmask_b32_e64 v35, v8, v20, s1
	v_cndmask_b32_e64 v1, v1, v10, s2
	v_cndmask_b32_e64 v30, v30, v11, s2
	v_cndmask_b32_e64 v38, v11, v21, s2
	v_cndmask_b32_e64 v37, v10, v20, s2
	v_cndmask_b32_e64 v40, v13, v21, s3
	v_cndmask_b32_e64 v1, v1, v12, s3
	v_cndmask_b32_e64 v31, v30, v13, s3
	v_cndmask_b32_e64 v30, v3, v21, s5
	v_cmp_eq_u32_e64 s1, 10, v0
	v_cndmask_b32_e64 v39, v12, v20, s3
	v_cndmask_b32_e64 v1, v1, v14, s4
	;; [unrolled: 1-line block ×3, first 2 shown]
	v_cndmask_b32_e32 v31, v4, v20, vcc_lo
	v_cmp_eq_u32_e32 vcc_lo, 9, v0
	v_cmp_eq_u32_e64 s2, 11, v0
	v_cndmask_b32_e64 v1, v1, v16, s6
	v_cndmask_b32_e64 v3, v3, v17, s6
	v_cndmask_b32_e64 v46, v19, v21, s0
	v_cmp_eq_u32_e64 s3, 12, v0
	v_cndmask_b32_e64 v45, v18, v20, s0
	v_cndmask_b32_e64 v1, v1, v18, s0
	v_cndmask_b32_e64 v3, v3, v19, s0
	;; [unrolled: 4-line block ×3, first 2 shown]
	v_cndmask_b32_e64 v43, v16, v20, s6
	v_cndmask_b32_e64 v50, v23, v21, s1
	;; [unrolled: 1-line block ×9, first 2 shown]
	v_cndmask_b32_e32 v1, v1, v20, vcc_lo
	s_delay_alu instid0(VALU_DEP_1) | instskip(NEXT) | instid1(VALU_DEP_1)
	v_cndmask_b32_e64 v1, v1, v22, s1
	v_cndmask_b32_e64 v1, v1, v24, s2
	s_delay_alu instid0(VALU_DEP_1) | instskip(NEXT) | instid1(VALU_DEP_1)
	v_cndmask_b32_e64 v1, v1, v26, s3
	v_cndmask_b32_e64 v0, v1, v28, s0
	s_delay_alu instid0(VALU_DEP_1) | instskip(SKIP_1) | instid1(VALU_DEP_1)
	v_cndmask_b32_e32 v47, v0, v20, vcc_lo
	v_cndmask_b32_e32 v3, v3, v21, vcc_lo
	v_cndmask_b32_e64 v3, v3, v23, s1
	s_delay_alu instid0(VALU_DEP_1) | instskip(NEXT) | instid1(VALU_DEP_1)
	v_cndmask_b32_e64 v3, v3, v25, s2
	v_cndmask_b32_e64 v3, v3, v27, s3
	s_delay_alu instid0(VALU_DEP_1) | instskip(SKIP_1) | instid1(VALU_DEP_2)
	v_cndmask_b32_e64 v1, v3, v29, s0
	v_cndmask_b32_e64 v29, v2, v20, s5
	v_cndmask_b32_e32 v48, v1, v21, vcc_lo
	s_delay_alu instid0(VALU_DEP_2)
	v_mov_b32_e32 v2, v29
	v_dual_mov_b32 v6, v33 :: v_dual_mov_b32 v3, v30
	v_mov_b32_e32 v8, v35
	v_dual_mov_b32 v4, v31 :: v_dual_mov_b32 v5, v32
	v_dual_mov_b32 v10, v37 :: v_dual_mov_b32 v7, v34
	;; [unrolled: 1-line block ×11, first 2 shown]
	v_mov_b32_e32 v27, v54
	v_mov_b32_e32 v29, v56
	;; [unrolled: 1-line block ×6, first 2 shown]
.LBB13_115:
	s_or_b32 exec_lo, exec_lo, s7
	v_dual_mov_b32 v0, s16 :: v_dual_mov_b32 v1, s17
	s_mov_b32 s7, exec_lo
	flat_load_b32 v0, v[0:1] offset:32
	s_waitcnt vmcnt(0) lgkmcnt(0)
	v_add_nc_u32_e32 v0, -1, v0
	s_delay_alu instid0(VALU_DEP_1)
	v_cmpx_ne_u32_e32 8, v0
	s_cbranch_execz .LBB13_117
; %bb.116:
	v_cmp_eq_u32_e32 vcc_lo, 1, v0
	v_cmp_eq_u32_e64 s0, 2, v0
	v_cmp_eq_u32_e64 s1, 3, v0
	;; [unrolled: 1-line block ×4, first 2 shown]
	v_dual_cndmask_b32 v1, v2, v4 :: v_dual_cndmask_b32 v30, v3, v5
	v_cmp_eq_u32_e64 s4, 6, v0
	v_cmp_eq_u32_e64 s5, 0, v0
	;; [unrolled: 1-line block ×3, first 2 shown]
	s_delay_alu instid0(VALU_DEP_4)
	v_cndmask_b32_e64 v1, v1, v6, s0
	v_cndmask_b32_e64 v30, v30, v7, s0
	;; [unrolled: 1-line block ×4, first 2 shown]
	v_cmp_eq_u32_e64 s0, 8, v0
	v_cndmask_b32_e64 v1, v1, v8, s1
	v_cndmask_b32_e64 v30, v30, v9, s1
	v_cndmask_b32_e32 v32, v5, v19, vcc_lo
	v_cndmask_b32_e64 v36, v9, v19, s1
	v_cndmask_b32_e64 v35, v8, v18, s1
	;; [unrolled: 1-line block ×10, first 2 shown]
	v_cmp_eq_u32_e64 s1, 10, v0
	v_cndmask_b32_e64 v39, v12, v18, s3
	v_cndmask_b32_e64 v1, v1, v14, s4
	;; [unrolled: 1-line block ×3, first 2 shown]
	v_cndmask_b32_e32 v31, v4, v18, vcc_lo
	v_cmp_eq_u32_e32 vcc_lo, 9, v0
	v_cmp_eq_u32_e64 s2, 11, v0
	v_cndmask_b32_e64 v1, v1, v16, s6
	v_cndmask_b32_e64 v3, v3, v17, s6
	v_cmp_eq_u32_e64 s3, 12, v0
	v_cndmask_b32_e64 v42, v15, v19, s4
	v_cndmask_b32_e64 v41, v14, v18, s4
	;; [unrolled: 1-line block ×6, first 2 shown]
	v_dual_cndmask_b32 v47, v20, v18 :: v_dual_cndmask_b32 v48, v21, v19
	s_delay_alu instid0(VALU_DEP_4)
	v_cndmask_b32_e32 v3, v3, v21, vcc_lo
	v_cndmask_b32_e64 v50, v23, v19, s1
	v_cndmask_b32_e64 v49, v22, v18, s1
	;; [unrolled: 1-line block ×6, first 2 shown]
	v_cndmask_b32_e32 v1, v1, v20, vcc_lo
	v_cndmask_b32_e64 v3, v3, v23, s1
	v_cmp_eq_u32_e32 vcc_lo, 13, v0
	s_delay_alu instid0(VALU_DEP_3) | instskip(NEXT) | instid1(VALU_DEP_3)
	v_cndmask_b32_e64 v1, v1, v22, s1
	v_cndmask_b32_e64 v3, v3, v25, s2
	v_dual_cndmask_b32 v55, v28, v18 :: v_dual_cndmask_b32 v56, v29, v19
	s_delay_alu instid0(VALU_DEP_3) | instskip(NEXT) | instid1(VALU_DEP_3)
	v_cndmask_b32_e64 v1, v1, v24, s2
	v_cndmask_b32_e64 v3, v3, v27, s3
	s_delay_alu instid0(VALU_DEP_2) | instskip(NEXT) | instid1(VALU_DEP_1)
	v_cndmask_b32_e64 v1, v1, v26, s3
	v_dual_cndmask_b32 v0, v1, v28 :: v_dual_cndmask_b32 v1, v3, v29
	v_cndmask_b32_e64 v29, v2, v18, s5
	s_delay_alu instid0(VALU_DEP_2) | instskip(NEXT) | instid1(VALU_DEP_3)
	v_cndmask_b32_e64 v45, v0, v18, s0
	v_cndmask_b32_e64 v46, v1, v19, s0
	s_delay_alu instid0(VALU_DEP_3)
	v_mov_b32_e32 v2, v29
	v_dual_mov_b32 v3, v30 :: v_dual_mov_b32 v6, v33
	v_dual_mov_b32 v4, v31 :: v_dual_mov_b32 v5, v32
	;; [unrolled: 1-line block ×13, first 2 shown]
	v_mov_b32_e32 v29, v56
	v_mov_b32_e32 v30, v57
	;; [unrolled: 1-line block ×5, first 2 shown]
.LBB13_117:
	s_or_b32 exec_lo, exec_lo, s7
	v_dual_mov_b32 v0, s16 :: v_dual_mov_b32 v1, s17
	s_mov_b32 s7, exec_lo
	flat_load_b32 v0, v[0:1] offset:28
	s_waitcnt vmcnt(0) lgkmcnt(0)
	v_add_nc_u32_e32 v0, -1, v0
	s_delay_alu instid0(VALU_DEP_1)
	v_cmpx_ne_u32_e32 7, v0
	s_cbranch_execz .LBB13_119
; %bb.118:
	v_cmp_eq_u32_e32 vcc_lo, 1, v0
	v_cmp_eq_u32_e64 s0, 2, v0
	v_cmp_eq_u32_e64 s1, 3, v0
	;; [unrolled: 1-line block ×4, first 2 shown]
	v_dual_cndmask_b32 v1, v2, v4 :: v_dual_cndmask_b32 v30, v3, v5
	v_cmp_eq_u32_e64 s4, 6, v0
	v_cmp_eq_u32_e64 s5, 0, v0
	;; [unrolled: 1-line block ×3, first 2 shown]
	s_delay_alu instid0(VALU_DEP_4)
	v_cndmask_b32_e64 v1, v1, v6, s0
	v_cndmask_b32_e64 v30, v30, v7, s0
	;; [unrolled: 1-line block ×4, first 2 shown]
	v_cmp_eq_u32_e64 s0, 8, v0
	v_cndmask_b32_e64 v1, v1, v8, s1
	v_cndmask_b32_e64 v30, v30, v9, s1
	v_cndmask_b32_e32 v32, v5, v17, vcc_lo
	v_cndmask_b32_e64 v36, v9, v17, s1
	v_cndmask_b32_e64 v35, v8, v16, s1
	;; [unrolled: 1-line block ×6, first 2 shown]
	v_cmp_eq_u32_e64 s1, 10, v0
	v_cndmask_b32_e64 v1, v1, v12, s3
	v_cndmask_b32_e64 v31, v30, v13, s3
	;; [unrolled: 1-line block ×3, first 2 shown]
	v_cmp_eq_u32_e64 s2, 11, v0
	v_cndmask_b32_e64 v46, v19, v17, s0
	v_cndmask_b32_e64 v1, v1, v14, s4
	;; [unrolled: 1-line block ×3, first 2 shown]
	v_cndmask_b32_e32 v31, v4, v16, vcc_lo
	v_cmp_eq_u32_e32 vcc_lo, 9, v0
	v_cndmask_b32_e64 v45, v18, v16, s0
	v_cndmask_b32_e64 v1, v1, v16, s6
	;; [unrolled: 1-line block ×8, first 2 shown]
	v_cmp_eq_u32_e64 s0, 12, v0
	v_cndmask_b32_e64 v41, v14, v16, s4
	v_dual_cndmask_b32 v48, v21, v17 :: v_dual_cndmask_b32 v47, v20, v16
	v_cndmask_b32_e64 v50, v23, v17, s1
	v_cndmask_b32_e64 v49, v22, v16, s1
	;; [unrolled: 1-line block ×6, first 2 shown]
	v_cndmask_b32_e32 v1, v1, v20, vcc_lo
	s_delay_alu instid0(VALU_DEP_1) | instskip(NEXT) | instid1(VALU_DEP_1)
	v_cndmask_b32_e64 v1, v1, v22, s1
	v_cndmask_b32_e64 v1, v1, v24, s2
	s_delay_alu instid0(VALU_DEP_1) | instskip(SKIP_2) | instid1(VALU_DEP_3)
	v_cndmask_b32_e64 v1, v1, v26, s0
	v_cndmask_b32_e32 v3, v3, v21, vcc_lo
	v_cmp_eq_u32_e32 vcc_lo, 13, v0
	v_cndmask_b32_e32 v0, v1, v28, vcc_lo
	s_delay_alu instid0(VALU_DEP_3) | instskip(SKIP_1) | instid1(VALU_DEP_3)
	v_cndmask_b32_e64 v3, v3, v23, s1
	v_dual_cndmask_b32 v56, v29, v17 :: v_dual_cndmask_b32 v55, v28, v16
	v_cndmask_b32_e64 v43, v0, v16, s6
	s_delay_alu instid0(VALU_DEP_3) | instskip(NEXT) | instid1(VALU_DEP_1)
	v_cndmask_b32_e64 v3, v3, v25, s2
	v_cndmask_b32_e64 v3, v3, v27, s0
	s_delay_alu instid0(VALU_DEP_1) | instskip(SKIP_1) | instid1(VALU_DEP_2)
	v_cndmask_b32_e32 v1, v3, v29, vcc_lo
	v_cndmask_b32_e64 v29, v2, v16, s5
	v_cndmask_b32_e64 v44, v1, v17, s6
	s_delay_alu instid0(VALU_DEP_2)
	v_mov_b32_e32 v2, v29
	v_dual_mov_b32 v3, v30 :: v_dual_mov_b32 v6, v33
	v_dual_mov_b32 v4, v31 :: v_dual_mov_b32 v5, v32
	;; [unrolled: 1-line block ×13, first 2 shown]
	v_mov_b32_e32 v29, v56
	v_mov_b32_e32 v30, v57
	;; [unrolled: 1-line block ×5, first 2 shown]
.LBB13_119:
	s_or_b32 exec_lo, exec_lo, s7
	v_dual_mov_b32 v0, s16 :: v_dual_mov_b32 v1, s17
	s_mov_b32 s7, exec_lo
	flat_load_b32 v0, v[0:1] offset:24
	s_waitcnt vmcnt(0) lgkmcnt(0)
	v_add_nc_u32_e32 v0, -1, v0
	s_delay_alu instid0(VALU_DEP_1)
	v_cmpx_ne_u32_e32 6, v0
	s_cbranch_execz .LBB13_121
; %bb.120:
	v_cmp_eq_u32_e32 vcc_lo, 1, v0
	v_cmp_eq_u32_e64 s0, 2, v0
	v_cmp_eq_u32_e64 s1, 3, v0
	;; [unrolled: 1-line block ×4, first 2 shown]
	v_dual_cndmask_b32 v1, v2, v4 :: v_dual_cndmask_b32 v30, v3, v5
	v_cmp_eq_u32_e64 s4, 6, v0
	v_cmp_eq_u32_e64 s5, 0, v0
	;; [unrolled: 1-line block ×3, first 2 shown]
	s_delay_alu instid0(VALU_DEP_4)
	v_cndmask_b32_e64 v1, v1, v6, s0
	v_cndmask_b32_e64 v30, v30, v7, s0
	;; [unrolled: 1-line block ×4, first 2 shown]
	v_cmp_eq_u32_e64 s0, 8, v0
	v_cndmask_b32_e64 v1, v1, v8, s1
	v_cndmask_b32_e64 v30, v30, v9, s1
	v_cndmask_b32_e32 v32, v5, v15, vcc_lo
	v_cndmask_b32_e64 v36, v9, v15, s1
	v_cndmask_b32_e64 v35, v8, v14, s1
	v_cndmask_b32_e64 v1, v1, v10, s2
	v_cndmask_b32_e64 v30, v30, v11, s2
	v_cndmask_b32_e64 v38, v11, v15, s2
	v_cndmask_b32_e64 v37, v10, v14, s2
	v_cmp_eq_u32_e64 s1, 10, v0
	v_cndmask_b32_e64 v1, v1, v12, s3
	v_cndmask_b32_e64 v31, v30, v13, s3
	;; [unrolled: 1-line block ×3, first 2 shown]
	v_cmp_eq_u32_e64 s2, 11, v0
	v_cndmask_b32_e64 v46, v19, v15, s0
	v_cndmask_b32_e64 v1, v1, v14, s4
	;; [unrolled: 1-line block ×3, first 2 shown]
	v_cndmask_b32_e32 v31, v4, v14, vcc_lo
	v_cmp_eq_u32_e32 vcc_lo, 9, v0
	v_cndmask_b32_e64 v45, v18, v14, s0
	v_cndmask_b32_e64 v1, v1, v16, s6
	;; [unrolled: 1-line block ×8, first 2 shown]
	v_cmp_eq_u32_e64 s0, 12, v0
	v_cndmask_b32_e64 v43, v16, v14, s6
	v_dual_cndmask_b32 v47, v20, v14 :: v_dual_cndmask_b32 v48, v21, v15
	s_delay_alu instid0(VALU_DEP_4)
	v_cndmask_b32_e32 v3, v3, v21, vcc_lo
	v_cndmask_b32_e64 v50, v23, v15, s1
	v_cndmask_b32_e64 v49, v22, v14, s1
	;; [unrolled: 1-line block ×6, first 2 shown]
	v_cndmask_b32_e32 v1, v1, v20, vcc_lo
	v_cndmask_b32_e64 v3, v3, v23, s1
	v_cmp_eq_u32_e32 vcc_lo, 13, v0
	s_delay_alu instid0(VALU_DEP_3) | instskip(NEXT) | instid1(VALU_DEP_3)
	v_cndmask_b32_e64 v1, v1, v22, s1
	v_cndmask_b32_e64 v3, v3, v25, s2
	v_dual_cndmask_b32 v55, v28, v14 :: v_dual_cndmask_b32 v56, v29, v15
	s_delay_alu instid0(VALU_DEP_3) | instskip(NEXT) | instid1(VALU_DEP_3)
	v_cndmask_b32_e64 v1, v1, v24, s2
	v_cndmask_b32_e64 v3, v3, v27, s0
	s_delay_alu instid0(VALU_DEP_2) | instskip(NEXT) | instid1(VALU_DEP_1)
	v_cndmask_b32_e64 v1, v1, v26, s0
	v_dual_cndmask_b32 v0, v1, v28 :: v_dual_cndmask_b32 v1, v3, v29
	v_cndmask_b32_e64 v29, v2, v14, s5
	s_delay_alu instid0(VALU_DEP_2) | instskip(NEXT) | instid1(VALU_DEP_3)
	v_cndmask_b32_e64 v41, v0, v14, s4
	v_cndmask_b32_e64 v42, v1, v15, s4
	s_delay_alu instid0(VALU_DEP_3)
	v_mov_b32_e32 v2, v29
	v_dual_mov_b32 v3, v30 :: v_dual_mov_b32 v6, v33
	v_dual_mov_b32 v4, v31 :: v_dual_mov_b32 v5, v32
	v_dual_mov_b32 v8, v35 :: v_dual_mov_b32 v7, v34
	v_dual_mov_b32 v10, v37 :: v_dual_mov_b32 v9, v36
	v_dual_mov_b32 v12, v39 :: v_dual_mov_b32 v11, v38
	v_dual_mov_b32 v14, v41 :: v_dual_mov_b32 v13, v40
	v_dual_mov_b32 v16, v43 :: v_dual_mov_b32 v15, v42
	v_dual_mov_b32 v18, v45 :: v_dual_mov_b32 v17, v44
	v_dual_mov_b32 v20, v47 :: v_dual_mov_b32 v19, v46
	v_dual_mov_b32 v22, v49 :: v_dual_mov_b32 v21, v48
	v_dual_mov_b32 v24, v51 :: v_dual_mov_b32 v23, v50
	v_dual_mov_b32 v26, v53 :: v_dual_mov_b32 v25, v52
	v_dual_mov_b32 v28, v55 :: v_dual_mov_b32 v27, v54
	v_mov_b32_e32 v29, v56
	v_mov_b32_e32 v30, v57
	;; [unrolled: 1-line block ×5, first 2 shown]
.LBB13_121:
	s_or_b32 exec_lo, exec_lo, s7
	v_dual_mov_b32 v0, s16 :: v_dual_mov_b32 v1, s17
	s_mov_b32 s7, exec_lo
	flat_load_b32 v0, v[0:1] offset:20
	s_waitcnt vmcnt(0) lgkmcnt(0)
	v_add_nc_u32_e32 v0, -1, v0
	s_delay_alu instid0(VALU_DEP_1)
	v_cmpx_ne_u32_e32 5, v0
	s_cbranch_execz .LBB13_123
; %bb.122:
	v_cmp_eq_u32_e32 vcc_lo, 1, v0
	v_cmp_eq_u32_e64 s0, 2, v0
	v_cmp_eq_u32_e64 s1, 3, v0
	;; [unrolled: 1-line block ×4, first 2 shown]
	v_dual_cndmask_b32 v1, v2, v4 :: v_dual_cndmask_b32 v30, v3, v5
	v_cmp_eq_u32_e64 s4, 6, v0
	v_cmp_eq_u32_e64 s5, 0, v0
	;; [unrolled: 1-line block ×3, first 2 shown]
	s_delay_alu instid0(VALU_DEP_4)
	v_cndmask_b32_e64 v1, v1, v6, s0
	v_cndmask_b32_e64 v30, v30, v7, s0
	;; [unrolled: 1-line block ×4, first 2 shown]
	v_cmp_eq_u32_e64 s0, 8, v0
	v_cndmask_b32_e64 v1, v1, v8, s1
	v_cndmask_b32_e64 v30, v30, v9, s1
	v_cndmask_b32_e32 v32, v5, v13, vcc_lo
	v_cndmask_b32_e64 v36, v9, v13, s1
	v_cndmask_b32_e64 v35, v8, v12, s1
	;; [unrolled: 1-line block ×6, first 2 shown]
	v_cmp_eq_u32_e64 s1, 10, v0
	v_cndmask_b32_e64 v1, v1, v12, s3
	v_cndmask_b32_e64 v31, v30, v13, s3
	;; [unrolled: 1-line block ×3, first 2 shown]
	v_cmp_eq_u32_e64 s2, 11, v0
	v_cndmask_b32_e64 v46, v19, v13, s0
	v_cndmask_b32_e64 v1, v1, v14, s4
	;; [unrolled: 1-line block ×3, first 2 shown]
	v_cndmask_b32_e32 v31, v4, v12, vcc_lo
	v_cmp_eq_u32_e32 vcc_lo, 9, v0
	v_cndmask_b32_e64 v45, v18, v12, s0
	v_cndmask_b32_e64 v1, v1, v16, s6
	;; [unrolled: 1-line block ×8, first 2 shown]
	v_cmp_eq_u32_e64 s0, 12, v0
	v_cndmask_b32_e64 v43, v16, v12, s6
	v_dual_cndmask_b32 v48, v21, v13 :: v_dual_cndmask_b32 v47, v20, v12
	v_cndmask_b32_e64 v50, v23, v13, s1
	v_cndmask_b32_e64 v49, v22, v12, s1
	;; [unrolled: 1-line block ×6, first 2 shown]
	v_cndmask_b32_e32 v1, v1, v20, vcc_lo
	s_delay_alu instid0(VALU_DEP_1) | instskip(NEXT) | instid1(VALU_DEP_1)
	v_cndmask_b32_e64 v1, v1, v22, s1
	v_cndmask_b32_e64 v1, v1, v24, s2
	s_delay_alu instid0(VALU_DEP_1) | instskip(SKIP_2) | instid1(VALU_DEP_3)
	v_cndmask_b32_e64 v1, v1, v26, s0
	v_cndmask_b32_e32 v3, v3, v21, vcc_lo
	v_cmp_eq_u32_e32 vcc_lo, 13, v0
	v_cndmask_b32_e32 v0, v1, v28, vcc_lo
	s_delay_alu instid0(VALU_DEP_3) | instskip(SKIP_1) | instid1(VALU_DEP_3)
	v_cndmask_b32_e64 v3, v3, v23, s1
	v_dual_cndmask_b32 v56, v29, v13 :: v_dual_cndmask_b32 v55, v28, v12
	v_cndmask_b32_e64 v39, v0, v12, s3
	s_delay_alu instid0(VALU_DEP_3) | instskip(NEXT) | instid1(VALU_DEP_1)
	v_cndmask_b32_e64 v3, v3, v25, s2
	v_cndmask_b32_e64 v3, v3, v27, s0
	s_delay_alu instid0(VALU_DEP_1) | instskip(SKIP_1) | instid1(VALU_DEP_2)
	v_cndmask_b32_e32 v1, v3, v29, vcc_lo
	v_cndmask_b32_e64 v29, v2, v12, s5
	v_cndmask_b32_e64 v40, v1, v13, s3
	s_delay_alu instid0(VALU_DEP_2)
	v_mov_b32_e32 v2, v29
	v_dual_mov_b32 v3, v30 :: v_dual_mov_b32 v6, v33
	v_dual_mov_b32 v4, v31 :: v_dual_mov_b32 v5, v32
	;; [unrolled: 1-line block ×13, first 2 shown]
	v_mov_b32_e32 v29, v56
	v_mov_b32_e32 v30, v57
	;; [unrolled: 1-line block ×5, first 2 shown]
.LBB13_123:
	s_or_b32 exec_lo, exec_lo, s7
	v_dual_mov_b32 v0, s16 :: v_dual_mov_b32 v1, s17
	s_mov_b32 s7, exec_lo
	flat_load_b32 v0, v[0:1] offset:16
	s_waitcnt vmcnt(0) lgkmcnt(0)
	v_add_nc_u32_e32 v0, -1, v0
	s_delay_alu instid0(VALU_DEP_1)
	v_cmpx_ne_u32_e32 4, v0
	s_cbranch_execz .LBB13_125
; %bb.124:
	v_cmp_eq_u32_e32 vcc_lo, 1, v0
	v_cmp_eq_u32_e64 s0, 2, v0
	v_cmp_eq_u32_e64 s1, 3, v0
	;; [unrolled: 1-line block ×4, first 2 shown]
	v_dual_cndmask_b32 v1, v2, v4 :: v_dual_cndmask_b32 v30, v3, v5
	v_cmp_eq_u32_e64 s4, 6, v0
	v_cmp_eq_u32_e64 s5, 0, v0
	;; [unrolled: 1-line block ×3, first 2 shown]
	s_delay_alu instid0(VALU_DEP_4)
	v_cndmask_b32_e64 v1, v1, v6, s0
	v_cndmask_b32_e64 v30, v30, v7, s0
	;; [unrolled: 1-line block ×4, first 2 shown]
	v_cmp_eq_u32_e64 s0, 8, v0
	v_cndmask_b32_e64 v1, v1, v8, s1
	v_cndmask_b32_e64 v30, v30, v9, s1
	v_cndmask_b32_e32 v32, v5, v11, vcc_lo
	v_cndmask_b32_e64 v36, v9, v11, s1
	v_cndmask_b32_e64 v35, v8, v10, s1
	;; [unrolled: 1-line block ×6, first 2 shown]
	v_cmp_eq_u32_e64 s1, 10, v0
	v_cndmask_b32_e64 v1, v1, v12, s3
	v_cndmask_b32_e64 v31, v30, v13, s3
	;; [unrolled: 1-line block ×3, first 2 shown]
	v_cmp_eq_u32_e64 s3, 11, v0
	v_cndmask_b32_e64 v46, v19, v11, s0
	v_cndmask_b32_e64 v1, v1, v14, s4
	v_cndmask_b32_e64 v3, v31, v15, s4
	v_cndmask_b32_e32 v31, v4, v10, vcc_lo
	v_cmp_eq_u32_e32 vcc_lo, 9, v0
	v_cndmask_b32_e64 v45, v18, v10, s0
	v_cndmask_b32_e64 v1, v1, v16, s6
	;; [unrolled: 1-line block ×8, first 2 shown]
	v_cmp_eq_u32_e64 s0, 12, v0
	v_cndmask_b32_e64 v43, v16, v10, s6
	v_dual_cndmask_b32 v47, v20, v10 :: v_dual_cndmask_b32 v48, v21, v11
	s_delay_alu instid0(VALU_DEP_4)
	v_cndmask_b32_e32 v3, v3, v21, vcc_lo
	v_cndmask_b32_e64 v50, v23, v11, s1
	v_cndmask_b32_e64 v49, v22, v10, s1
	v_cndmask_b32_e64 v52, v25, v11, s3
	v_cndmask_b32_e64 v51, v24, v10, s3
	v_cndmask_b32_e64 v54, v27, v11, s0
	v_cndmask_b32_e64 v53, v26, v10, s0
	v_cndmask_b32_e32 v1, v1, v20, vcc_lo
	v_cndmask_b32_e64 v3, v3, v23, s1
	v_cmp_eq_u32_e32 vcc_lo, 13, v0
	s_delay_alu instid0(VALU_DEP_3) | instskip(NEXT) | instid1(VALU_DEP_3)
	v_cndmask_b32_e64 v1, v1, v22, s1
	v_cndmask_b32_e64 v3, v3, v25, s3
	v_dual_cndmask_b32 v55, v28, v10 :: v_dual_cndmask_b32 v56, v29, v11
	s_delay_alu instid0(VALU_DEP_3) | instskip(NEXT) | instid1(VALU_DEP_3)
	v_cndmask_b32_e64 v1, v1, v24, s3
	v_cndmask_b32_e64 v3, v3, v27, s0
	s_delay_alu instid0(VALU_DEP_2) | instskip(NEXT) | instid1(VALU_DEP_1)
	v_cndmask_b32_e64 v1, v1, v26, s0
	v_dual_cndmask_b32 v0, v1, v28 :: v_dual_cndmask_b32 v1, v3, v29
	v_cndmask_b32_e64 v29, v2, v10, s5
	s_delay_alu instid0(VALU_DEP_2) | instskip(NEXT) | instid1(VALU_DEP_3)
	v_cndmask_b32_e64 v37, v0, v10, s2
	v_cndmask_b32_e64 v38, v1, v11, s2
	s_delay_alu instid0(VALU_DEP_3)
	v_mov_b32_e32 v2, v29
	v_dual_mov_b32 v3, v30 :: v_dual_mov_b32 v6, v33
	v_dual_mov_b32 v4, v31 :: v_dual_mov_b32 v5, v32
	;; [unrolled: 1-line block ×13, first 2 shown]
	v_mov_b32_e32 v29, v56
	v_mov_b32_e32 v30, v57
	;; [unrolled: 1-line block ×5, first 2 shown]
.LBB13_125:
	s_or_b32 exec_lo, exec_lo, s7
	v_dual_mov_b32 v0, s16 :: v_dual_mov_b32 v1, s17
	s_mov_b32 s7, exec_lo
	flat_load_b32 v0, v[0:1] offset:12
	s_waitcnt vmcnt(0) lgkmcnt(0)
	v_add_nc_u32_e32 v0, -1, v0
	s_delay_alu instid0(VALU_DEP_1)
	v_cmpx_ne_u32_e32 3, v0
	s_cbranch_execz .LBB13_127
; %bb.126:
	v_cmp_eq_u32_e32 vcc_lo, 1, v0
	v_cmp_eq_u32_e64 s0, 2, v0
	v_cmp_eq_u32_e64 s1, 3, v0
	;; [unrolled: 1-line block ×4, first 2 shown]
	v_dual_cndmask_b32 v1, v2, v4 :: v_dual_cndmask_b32 v30, v3, v5
	v_cmp_eq_u32_e64 s4, 6, v0
	v_cmp_eq_u32_e64 s5, 0, v0
	;; [unrolled: 1-line block ×3, first 2 shown]
	s_delay_alu instid0(VALU_DEP_4)
	v_cndmask_b32_e64 v1, v1, v6, s0
	v_cndmask_b32_e64 v30, v30, v7, s0
	;; [unrolled: 1-line block ×4, first 2 shown]
	v_cmp_eq_u32_e64 s0, 8, v0
	v_cndmask_b32_e64 v1, v1, v8, s1
	v_cndmask_b32_e64 v30, v30, v9, s1
	v_cndmask_b32_e32 v32, v5, v9, vcc_lo
	v_cndmask_b32_e64 v38, v11, v9, s2
	v_cndmask_b32_e64 v37, v10, v8, s2
	;; [unrolled: 1-line block ×6, first 2 shown]
	v_cmp_eq_u32_e64 s2, 10, v0
	v_cndmask_b32_e64 v1, v1, v12, s3
	v_cndmask_b32_e64 v31, v30, v13, s3
	;; [unrolled: 1-line block ×3, first 2 shown]
	v_cmp_eq_u32_e64 s3, 11, v0
	v_cndmask_b32_e64 v46, v19, v9, s0
	v_cndmask_b32_e64 v1, v1, v14, s4
	;; [unrolled: 1-line block ×3, first 2 shown]
	v_cndmask_b32_e32 v31, v4, v8, vcc_lo
	v_cmp_eq_u32_e32 vcc_lo, 9, v0
	v_cndmask_b32_e64 v45, v18, v8, s0
	v_cndmask_b32_e64 v1, v1, v16, s6
	;; [unrolled: 1-line block ×8, first 2 shown]
	v_cmp_eq_u32_e64 s0, 12, v0
	v_cndmask_b32_e64 v43, v16, v8, s6
	v_dual_cndmask_b32 v48, v21, v9 :: v_dual_cndmask_b32 v47, v20, v8
	v_cndmask_b32_e64 v50, v23, v9, s2
	v_cndmask_b32_e64 v49, v22, v8, s2
	;; [unrolled: 1-line block ×6, first 2 shown]
	v_cndmask_b32_e32 v1, v1, v20, vcc_lo
	s_delay_alu instid0(VALU_DEP_1) | instskip(NEXT) | instid1(VALU_DEP_1)
	v_cndmask_b32_e64 v1, v1, v22, s2
	v_cndmask_b32_e64 v1, v1, v24, s3
	s_delay_alu instid0(VALU_DEP_1) | instskip(SKIP_2) | instid1(VALU_DEP_3)
	v_cndmask_b32_e64 v1, v1, v26, s0
	v_cndmask_b32_e32 v3, v3, v21, vcc_lo
	v_cmp_eq_u32_e32 vcc_lo, 13, v0
	v_cndmask_b32_e32 v0, v1, v28, vcc_lo
	s_delay_alu instid0(VALU_DEP_3) | instskip(SKIP_1) | instid1(VALU_DEP_3)
	v_cndmask_b32_e64 v3, v3, v23, s2
	v_dual_cndmask_b32 v56, v29, v9 :: v_dual_cndmask_b32 v55, v28, v8
	v_cndmask_b32_e64 v35, v0, v8, s1
	s_delay_alu instid0(VALU_DEP_3) | instskip(NEXT) | instid1(VALU_DEP_1)
	v_cndmask_b32_e64 v3, v3, v25, s3
	v_cndmask_b32_e64 v3, v3, v27, s0
	s_delay_alu instid0(VALU_DEP_1) | instskip(SKIP_1) | instid1(VALU_DEP_2)
	v_cndmask_b32_e32 v1, v3, v29, vcc_lo
	v_cndmask_b32_e64 v29, v2, v8, s5
	v_cndmask_b32_e64 v36, v1, v9, s1
	s_delay_alu instid0(VALU_DEP_2)
	v_mov_b32_e32 v2, v29
	v_dual_mov_b32 v3, v30 :: v_dual_mov_b32 v6, v33
	v_dual_mov_b32 v4, v31 :: v_dual_mov_b32 v5, v32
	;; [unrolled: 1-line block ×13, first 2 shown]
	v_mov_b32_e32 v29, v56
	v_mov_b32_e32 v30, v57
	;; [unrolled: 1-line block ×5, first 2 shown]
.LBB13_127:
	s_or_b32 exec_lo, exec_lo, s7
	v_dual_mov_b32 v0, s16 :: v_dual_mov_b32 v1, s17
	s_mov_b32 s7, exec_lo
	flat_load_b32 v0, v[0:1] offset:8
	s_waitcnt vmcnt(0) lgkmcnt(0)
	v_add_nc_u32_e32 v0, -1, v0
	s_delay_alu instid0(VALU_DEP_1)
	v_cmpx_ne_u32_e32 2, v0
	s_cbranch_execz .LBB13_129
; %bb.128:
	v_cmp_eq_u32_e32 vcc_lo, 1, v0
	v_cmp_eq_u32_e64 s0, 2, v0
	v_cmp_eq_u32_e64 s1, 3, v0
	;; [unrolled: 1-line block ×4, first 2 shown]
	v_dual_cndmask_b32 v1, v2, v4 :: v_dual_cndmask_b32 v30, v3, v5
	v_cmp_eq_u32_e64 s4, 6, v0
	v_cmp_eq_u32_e64 s5, 0, v0
	;; [unrolled: 1-line block ×3, first 2 shown]
	s_delay_alu instid0(VALU_DEP_4)
	v_cndmask_b32_e64 v1, v1, v6, s0
	v_cndmask_b32_e64 v30, v30, v7, s0
	v_cndmask_b32_e32 v32, v5, v7, vcc_lo
	v_cndmask_b32_e64 v36, v9, v7, s1
	v_cndmask_b32_e64 v35, v8, v6, s1
	;; [unrolled: 1-line block ×6, first 2 shown]
	v_cmp_eq_u32_e64 s1, 9, v0
	v_cndmask_b32_e64 v1, v1, v10, s2
	v_cndmask_b32_e64 v30, v30, v11, s2
	;; [unrolled: 1-line block ×4, first 2 shown]
	v_cmp_eq_u32_e64 s2, 10, v0
	v_cndmask_b32_e64 v1, v1, v12, s3
	v_cndmask_b32_e64 v31, v30, v13, s3
	;; [unrolled: 1-line block ×3, first 2 shown]
	v_cmp_eq_u32_e64 s3, 11, v0
	v_cndmask_b32_e64 v42, v15, v7, s4
	v_cndmask_b32_e64 v1, v1, v14, s4
	;; [unrolled: 1-line block ×3, first 2 shown]
	v_cndmask_b32_e32 v31, v4, v6, vcc_lo
	v_cmp_eq_u32_e32 vcc_lo, 8, v0
	v_cndmask_b32_e64 v41, v14, v6, s4
	v_cndmask_b32_e64 v1, v1, v16, s6
	v_cndmask_b32_e64 v3, v3, v17, s6
	v_cndmask_b32_e64 v44, v17, v7, s6
	v_cndmask_b32_e64 v43, v16, v6, s6
	v_cndmask_b32_e32 v45, v18, v6, vcc_lo
	v_dual_cndmask_b32 v1, v1, v18 :: v_dual_cndmask_b32 v46, v19, v7
	v_cndmask_b32_e64 v48, v21, v7, s1
	v_cndmask_b32_e64 v47, v20, v6, s1
	;; [unrolled: 1-line block ×6, first 2 shown]
	v_cndmask_b32_e32 v3, v3, v19, vcc_lo
	v_cndmask_b32_e64 v1, v1, v20, s1
	v_cmp_eq_u32_e32 vcc_lo, 12, v0
	s_delay_alu instid0(VALU_DEP_3) | instskip(NEXT) | instid1(VALU_DEP_3)
	v_cndmask_b32_e64 v3, v3, v21, s1
	v_cndmask_b32_e64 v1, v1, v22, s2
	v_cmp_eq_u32_e64 s1, 13, v0
	v_dual_cndmask_b32 v54, v27, v7 :: v_dual_cndmask_b32 v53, v26, v6
	s_delay_alu instid0(VALU_DEP_4) | instskip(NEXT) | instid1(VALU_DEP_4)
	v_cndmask_b32_e64 v3, v3, v23, s2
	v_cndmask_b32_e64 v1, v1, v24, s3
	s_delay_alu instid0(VALU_DEP_4) | instskip(SKIP_1) | instid1(VALU_DEP_4)
	v_cndmask_b32_e64 v56, v29, v7, s1
	v_cndmask_b32_e64 v55, v28, v6, s1
	;; [unrolled: 1-line block ×3, first 2 shown]
	s_delay_alu instid0(VALU_DEP_4) | instskip(NEXT) | instid1(VALU_DEP_2)
	v_cndmask_b32_e32 v1, v1, v26, vcc_lo
	v_cndmask_b32_e32 v3, v3, v27, vcc_lo
	s_delay_alu instid0(VALU_DEP_2) | instskip(NEXT) | instid1(VALU_DEP_2)
	v_cndmask_b32_e64 v0, v1, v28, s1
	v_cndmask_b32_e64 v1, v3, v29, s1
	;; [unrolled: 1-line block ×3, first 2 shown]
	s_delay_alu instid0(VALU_DEP_3) | instskip(NEXT) | instid1(VALU_DEP_3)
	v_cndmask_b32_e64 v33, v0, v6, s0
	v_cndmask_b32_e64 v34, v1, v7, s0
	s_delay_alu instid0(VALU_DEP_3)
	v_mov_b32_e32 v2, v29
	v_dual_mov_b32 v10, v37 :: v_dual_mov_b32 v3, v30
	v_mov_b32_e32 v8, v35
	v_dual_mov_b32 v4, v31 :: v_dual_mov_b32 v5, v32
	;; [unrolled: 2-line block ×3, first 2 shown]
	v_dual_mov_b32 v14, v41 :: v_dual_mov_b32 v9, v36
	v_dual_mov_b32 v16, v43 :: v_dual_mov_b32 v11, v38
	;; [unrolled: 1-line block ×8, first 2 shown]
	v_mov_b32_e32 v25, v52
	v_mov_b32_e32 v27, v54
	;; [unrolled: 1-line block ×7, first 2 shown]
.LBB13_129:
	s_or_b32 exec_lo, exec_lo, s7
	v_dual_mov_b32 v0, s16 :: v_dual_mov_b32 v1, s17
	s_mov_b32 s7, exec_lo
	flat_load_b32 v0, v[0:1] offset:4
	s_waitcnt vmcnt(0) lgkmcnt(0)
	v_add_nc_u32_e32 v0, -1, v0
	s_delay_alu instid0(VALU_DEP_1)
	v_cmpx_ne_u32_e32 1, v0
	s_cbranch_execz .LBB13_131
; %bb.130:
	v_cmp_eq_u32_e32 vcc_lo, 1, v0
	v_cmp_eq_u32_e64 s0, 2, v0
	v_cmp_eq_u32_e64 s1, 3, v0
	;; [unrolled: 1-line block ×4, first 2 shown]
	v_dual_cndmask_b32 v1, v2, v4 :: v_dual_cndmask_b32 v30, v3, v5
	v_cmp_eq_u32_e64 s4, 6, v0
	v_cmp_eq_u32_e64 s5, 0, v0
	;; [unrolled: 1-line block ×3, first 2 shown]
	s_delay_alu instid0(VALU_DEP_4)
	v_cndmask_b32_e64 v1, v1, v6, s0
	v_cndmask_b32_e64 v30, v30, v7, s0
	v_cndmask_b32_e64 v34, v7, v5, s0
	v_cndmask_b32_e64 v33, v6, v4, s0
	v_cmp_eq_u32_e64 s0, 8, v0
	v_cndmask_b32_e64 v1, v1, v8, s1
	v_cndmask_b32_e64 v30, v30, v9, s1
	v_cndmask_b32_e64 v36, v9, v5, s1
	v_cndmask_b32_e64 v35, v8, v4, s1
	v_cmp_eq_u32_e64 s1, 9, v0
	;; [unrolled: 5-line block ×3, first 2 shown]
	v_cndmask_b32_e64 v1, v1, v12, s3
	v_cndmask_b32_e64 v31, v30, v13, s3
	v_cndmask_b32_e64 v30, v3, v5, s5
	v_cndmask_b32_e64 v40, v13, v5, s3
	v_cndmask_b32_e64 v39, v12, v4, s3
	v_cndmask_b32_e64 v1, v1, v14, s4
	v_cndmask_b32_e64 v3, v31, v15, s4
	v_cmp_eq_u32_e64 s3, 11, v0
	v_cndmask_b32_e64 v46, v19, v5, s0
	v_cndmask_b32_e64 v45, v18, v4, s0
	;; [unrolled: 1-line block ×9, first 2 shown]
	v_cmp_eq_u32_e64 s0, 12, v0
	v_cndmask_b32_e64 v41, v14, v4, s4
	v_cndmask_b32_e64 v44, v17, v5, s6
	;; [unrolled: 1-line block ×4, first 2 shown]
	v_cmp_eq_u32_e64 s1, 13, v0
	v_cndmask_b32_e64 v43, v16, v4, s6
	v_cndmask_b32_e64 v50, v23, v5, s2
	;; [unrolled: 1-line block ×15, first 2 shown]
	s_delay_alu instid0(VALU_DEP_3) | instskip(NEXT) | instid1(VALU_DEP_3)
	v_cndmask_b32_e64 v0, v1, v28, s1
	v_cndmask_b32_e64 v1, v3, v29, s1
	;; [unrolled: 1-line block ×3, first 2 shown]
	s_delay_alu instid0(VALU_DEP_2) | instskip(NEXT) | instid1(VALU_DEP_2)
	v_dual_cndmask_b32 v31, v0, v4 :: v_dual_cndmask_b32 v32, v1, v5
	v_mov_b32_e32 v2, v29
	s_delay_alu instid0(VALU_DEP_2) | instskip(NEXT) | instid1(VALU_DEP_3)
	v_dual_mov_b32 v3, v30 :: v_dual_mov_b32 v4, v31
	v_dual_mov_b32 v5, v32 :: v_dual_mov_b32 v6, v33
	;; [unrolled: 1-line block ×13, first 2 shown]
	v_mov_b32_e32 v29, v56
	v_mov_b32_e32 v30, v57
	v_mov_b32_e32 v31, v58
	v_mov_b32_e32 v32, v59
	v_mov_b32_e32 v33, v60
.LBB13_131:
	s_or_b32 exec_lo, exec_lo, s7
	v_dual_mov_b32 v0, s16 :: v_dual_mov_b32 v1, s17
	s_mov_b32 s6, exec_lo
	flat_load_b32 v0, v[0:1]
	s_waitcnt vmcnt(0) lgkmcnt(0)
	v_add_nc_u32_e32 v0, -1, v0
	s_delay_alu instid0(VALU_DEP_1)
	v_cmpx_ne_u32_e32 0, v0
	s_cbranch_execz .LBB13_133
; %bb.132:
	v_cmp_eq_u32_e32 vcc_lo, 1, v0
	v_cmp_eq_u32_e64 s0, 2, v0
	v_cmp_eq_u32_e64 s1, 3, v0
	;; [unrolled: 1-line block ×4, first 2 shown]
	v_dual_cndmask_b32 v1, v2, v4 :: v_dual_cndmask_b32 v30, v3, v5
	v_cmp_eq_u32_e64 s4, 6, v0
	v_cmp_eq_u32_e64 s5, 7, v0
	v_cndmask_b32_e64 v32, v7, v3, s0
	s_delay_alu instid0(VALU_DEP_4)
	v_cndmask_b32_e64 v1, v1, v6, s0
	v_cndmask_b32_e64 v30, v30, v7, s0
	v_cndmask_b32_e64 v31, v6, v2, s0
	v_cmp_eq_u32_e64 s0, 8, v0
	v_cndmask_b32_e64 v34, v9, v3, s1
	v_cndmask_b32_e64 v1, v1, v8, s1
	v_cndmask_b32_e64 v30, v30, v9, s1
	v_cndmask_b32_e64 v33, v8, v2, s1
	v_cmp_eq_u32_e64 s1, 9, v0
	v_cndmask_b32_e64 v36, v11, v3, s2
	;; [unrolled: 5-line block ×4, first 2 shown]
	v_cndmask_b32_e64 v1, v1, v14, s4
	v_cndmask_b32_e64 v7, v30, v15, s4
	v_cndmask_b32_e32 v30, v5, v3, vcc_lo
	v_cndmask_b32_e64 v43, v18, v2, s0
	v_cndmask_b32_e64 v46, v21, v3, s1
	;; [unrolled: 1-line block ×9, first 2 shown]
	v_cmp_eq_u32_e64 s0, 12, v0
	v_cndmask_b32_e64 v40, v15, v3, s4
	v_cndmask_b32_e64 v39, v14, v2, s4
	v_cndmask_b32_e64 v1, v1, v20, s1
	v_cndmask_b32_e64 v5, v5, v21, s1
	v_cmp_eq_u32_e64 s1, 13, v0
	v_cndmask_b32_e64 v52, v27, v3, s0
	v_cndmask_b32_e64 v42, v17, v3, s5
	v_cndmask_b32_e64 v1, v1, v22, s2
	v_cndmask_b32_e64 v5, v5, v23, s2
	;; [unrolled: 5-line block ×3, first 2 shown]
	v_cndmask_b32_e64 v49, v24, v2, s3
	v_cndmask_b32_e64 v51, v26, v2, s0
	;; [unrolled: 1-line block ×6, first 2 shown]
	s_delay_alu instid0(VALU_DEP_3) | instskip(NEXT) | instid1(VALU_DEP_3)
	v_cndmask_b32_e64 v1, v1, v28, s1
	v_cndmask_b32_e64 v5, v5, v29, s1
	v_cndmask_b32_e32 v29, v4, v2, vcc_lo
	s_delay_alu instid0(VALU_DEP_3) | instskip(NEXT) | instid1(VALU_DEP_3)
	v_cndmask_b32_e64 v27, v1, v2, s2
	v_cndmask_b32_e64 v28, v5, v3, s2
	s_delay_alu instid0(VALU_DEP_2) | instskip(NEXT) | instid1(VALU_DEP_2)
	v_mov_b32_e32 v2, v27
	v_dual_mov_b32 v3, v28 :: v_dual_mov_b32 v4, v29
	v_dual_mov_b32 v5, v30 :: v_dual_mov_b32 v6, v31
	;; [unrolled: 1-line block ×12, first 2 shown]
	v_mov_b32_e32 v27, v52
	v_mov_b32_e32 v28, v53
	;; [unrolled: 1-line block ×7, first 2 shown]
.LBB13_133:
	s_or_b32 exec_lo, exec_lo, s6
.LBB13_134:
	s_delay_alu instid0(VALU_DEP_1)
	v_dual_mov_b32 v1, v3 :: v_dual_mov_b32 v0, v2
	v_dual_mov_b32 v3, v5 :: v_dual_mov_b32 v2, v4
	;; [unrolled: 1-line block ×4, first 2 shown]
	s_clause 0x3
	global_store_b64 v[60:61], v[0:1], off
	global_store_b64 v[62:63], v[2:3], off
	;; [unrolled: 1-line block ×4, first 2 shown]
	v_dual_mov_b32 v1, v11 :: v_dual_mov_b32 v0, v10
	v_dual_mov_b32 v3, v13 :: v_dual_mov_b32 v2, v12
	;; [unrolled: 1-line block ×5, first 2 shown]
	s_clause 0x4
	global_store_b64 v[64:65], v[0:1], off
	global_store_b64 v[70:71], v[2:3], off
	;; [unrolled: 1-line block ×5, first 2 shown]
	v_dual_mov_b32 v1, v21 :: v_dual_mov_b32 v0, v20
	v_dual_mov_b32 v3, v23 :: v_dual_mov_b32 v2, v22
	;; [unrolled: 1-line block ×5, first 2 shown]
	s_clause 0x4
	global_store_b64 v[78:79], v[0:1], off
	global_store_b64 v[80:81], v[2:3], off
	;; [unrolled: 1-line block ×5, first 2 shown]
	s_nop 0
	s_sendmsg sendmsg(MSG_DEALLOC_VGPRS)
	s_endpgm
	.section	.rodata,"a",@progbits
	.p2align	6, 0x0
	.amdhsa_kernel _ZN9rocsolver6v33100L18getri_kernel_smallILi14EdPdEEvT1_iilPiilS4_bb
		.amdhsa_group_segment_fixed_size 232
		.amdhsa_private_segment_fixed_size 0
		.amdhsa_kernarg_size 60
		.amdhsa_user_sgpr_count 15
		.amdhsa_user_sgpr_dispatch_ptr 0
		.amdhsa_user_sgpr_queue_ptr 0
		.amdhsa_user_sgpr_kernarg_segment_ptr 1
		.amdhsa_user_sgpr_dispatch_id 0
		.amdhsa_user_sgpr_private_segment_size 0
		.amdhsa_wavefront_size32 1
		.amdhsa_uses_dynamic_stack 0
		.amdhsa_enable_private_segment 0
		.amdhsa_system_sgpr_workgroup_id_x 1
		.amdhsa_system_sgpr_workgroup_id_y 0
		.amdhsa_system_sgpr_workgroup_id_z 0
		.amdhsa_system_sgpr_workgroup_info 0
		.amdhsa_system_vgpr_workitem_id 0
		.amdhsa_next_free_vgpr 90
		.amdhsa_next_free_sgpr 21
		.amdhsa_reserve_vcc 1
		.amdhsa_float_round_mode_32 0
		.amdhsa_float_round_mode_16_64 0
		.amdhsa_float_denorm_mode_32 3
		.amdhsa_float_denorm_mode_16_64 3
		.amdhsa_dx10_clamp 1
		.amdhsa_ieee_mode 1
		.amdhsa_fp16_overflow 0
		.amdhsa_workgroup_processor_mode 1
		.amdhsa_memory_ordered 1
		.amdhsa_forward_progress 0
		.amdhsa_shared_vgpr_count 0
		.amdhsa_exception_fp_ieee_invalid_op 0
		.amdhsa_exception_fp_denorm_src 0
		.amdhsa_exception_fp_ieee_div_zero 0
		.amdhsa_exception_fp_ieee_overflow 0
		.amdhsa_exception_fp_ieee_underflow 0
		.amdhsa_exception_fp_ieee_inexact 0
		.amdhsa_exception_int_div_zero 0
	.end_amdhsa_kernel
	.section	.text._ZN9rocsolver6v33100L18getri_kernel_smallILi14EdPdEEvT1_iilPiilS4_bb,"axG",@progbits,_ZN9rocsolver6v33100L18getri_kernel_smallILi14EdPdEEvT1_iilPiilS4_bb,comdat
.Lfunc_end13:
	.size	_ZN9rocsolver6v33100L18getri_kernel_smallILi14EdPdEEvT1_iilPiilS4_bb, .Lfunc_end13-_ZN9rocsolver6v33100L18getri_kernel_smallILi14EdPdEEvT1_iilPiilS4_bb
                                        ; -- End function
	.section	.AMDGPU.csdata,"",@progbits
; Kernel info:
; codeLenInByte = 24620
; NumSgprs: 23
; NumVgprs: 90
; ScratchSize: 0
; MemoryBound: 0
; FloatMode: 240
; IeeeMode: 1
; LDSByteSize: 232 bytes/workgroup (compile time only)
; SGPRBlocks: 2
; VGPRBlocks: 11
; NumSGPRsForWavesPerEU: 23
; NumVGPRsForWavesPerEU: 90
; Occupancy: 16
; WaveLimiterHint : 0
; COMPUTE_PGM_RSRC2:SCRATCH_EN: 0
; COMPUTE_PGM_RSRC2:USER_SGPR: 15
; COMPUTE_PGM_RSRC2:TRAP_HANDLER: 0
; COMPUTE_PGM_RSRC2:TGID_X_EN: 1
; COMPUTE_PGM_RSRC2:TGID_Y_EN: 0
; COMPUTE_PGM_RSRC2:TGID_Z_EN: 0
; COMPUTE_PGM_RSRC2:TIDIG_COMP_CNT: 0
	.section	.text._ZN9rocsolver6v33100L18getri_kernel_smallILi15EdPdEEvT1_iilPiilS4_bb,"axG",@progbits,_ZN9rocsolver6v33100L18getri_kernel_smallILi15EdPdEEvT1_iilPiilS4_bb,comdat
	.globl	_ZN9rocsolver6v33100L18getri_kernel_smallILi15EdPdEEvT1_iilPiilS4_bb ; -- Begin function _ZN9rocsolver6v33100L18getri_kernel_smallILi15EdPdEEvT1_iilPiilS4_bb
	.p2align	8
	.type	_ZN9rocsolver6v33100L18getri_kernel_smallILi15EdPdEEvT1_iilPiilS4_bb,@function
_ZN9rocsolver6v33100L18getri_kernel_smallILi15EdPdEEvT1_iilPiilS4_bb: ; @_ZN9rocsolver6v33100L18getri_kernel_smallILi15EdPdEEvT1_iilPiilS4_bb
; %bb.0:
	s_mov_b32 s2, exec_lo
	v_cmpx_gt_u32_e32 15, v0
	s_cbranch_execz .LBB14_16
; %bb.1:
	s_mov_b32 s18, s15
	s_clause 0x2
	s_load_b32 s8, s[0:1], 0x38
	s_load_b128 s[4:7], s[0:1], 0x10
	s_load_b128 s[12:15], s[0:1], 0x28
                                        ; implicit-def: $sgpr16_sgpr17
	s_waitcnt lgkmcnt(0)
	s_bitcmp1_b32 s8, 8
	s_cselect_b32 s20, -1, 0
	s_bfe_u32 s2, s8, 0x10008
	s_ashr_i32 s19, s18, 31
	s_cmp_eq_u32 s2, 0
	s_cbranch_scc1 .LBB14_3
; %bb.2:
	s_load_b32 s2, s[0:1], 0x20
	s_mul_i32 s3, s18, s13
	s_mul_hi_u32 s9, s18, s12
	s_mul_i32 s11, s19, s12
	s_add_i32 s3, s9, s3
	s_mul_i32 s10, s18, s12
	s_add_i32 s11, s3, s11
	s_delay_alu instid0(SALU_CYCLE_1)
	s_lshl_b64 s[10:11], s[10:11], 2
	s_waitcnt lgkmcnt(0)
	s_ashr_i32 s3, s2, 31
	s_add_u32 s6, s6, s10
	s_addc_u32 s7, s7, s11
	s_lshl_b64 s[2:3], s[2:3], 2
	s_delay_alu instid0(SALU_CYCLE_1)
	s_add_u32 s16, s6, s2
	s_addc_u32 s17, s7, s3
.LBB14_3:
	s_load_b128 s[0:3], s[0:1], 0x0
	s_mul_i32 s5, s18, s5
	s_mul_hi_u32 s6, s18, s4
	s_mul_i32 s7, s19, s4
	s_add_i32 s5, s6, s5
	s_mul_i32 s4, s18, s4
	s_add_i32 s5, s5, s7
	v_lshlrev_b32_e32 v34, 3, v0
	s_lshl_b64 s[4:5], s[4:5], 3
	s_waitcnt lgkmcnt(0)
	v_add3_u32 v1, s3, s3, v0
	s_ashr_i32 s7, s2, 31
	s_mov_b32 s6, s2
	s_add_u32 s2, s0, s4
	s_addc_u32 s5, s1, s5
	v_add_nc_u32_e32 v3, s3, v1
	s_lshl_b64 s[0:1], s[6:7], 3
	v_ashrrev_i32_e32 v2, 31, v1
	s_add_u32 s0, s2, s0
	s_addc_u32 s1, s5, s1
	v_add_co_u32 v64, s2, s0, v34
	v_add_nc_u32_e32 v5, s3, v3
	s_mov_b32 s4, s3
	s_ashr_i32 s5, s3, 31
	v_add_co_ci_u32_e64 v65, null, s1, 0, s2
	v_lshlrev_b64 v[1:2], 3, v[1:2]
	v_ashrrev_i32_e32 v4, 31, v3
	s_lshl_b64 s[4:5], s[4:5], 3
	v_ashrrev_i32_e32 v6, 31, v5
	v_add_co_u32 v66, vcc_lo, v64, s4
	v_add_nc_u32_e32 v7, s3, v5
	v_add_co_ci_u32_e32 v67, vcc_lo, s5, v65, vcc_lo
	v_lshlrev_b64 v[3:4], 3, v[3:4]
	v_add_co_u32 v68, vcc_lo, s0, v1
	v_add_co_ci_u32_e32 v69, vcc_lo, s1, v2, vcc_lo
	v_lshlrev_b64 v[1:2], 3, v[5:6]
	v_add_nc_u32_e32 v12, s3, v7
	v_add_co_u32 v70, vcc_lo, s0, v3
	v_ashrrev_i32_e32 v8, 31, v7
	v_add_co_ci_u32_e32 v71, vcc_lo, s1, v4, vcc_lo
	v_add_co_u32 v72, vcc_lo, s0, v1
	v_add_nc_u32_e32 v14, s3, v12
	v_add_co_ci_u32_e32 v73, vcc_lo, s1, v2, vcc_lo
	v_lshlrev_b64 v[1:2], 3, v[7:8]
	v_ashrrev_i32_e32 v13, 31, v12
	s_delay_alu instid0(VALU_DEP_4)
	v_ashrrev_i32_e32 v15, 31, v14
	v_add_nc_u32_e32 v16, s3, v14
	s_clause 0x3
	global_load_b64 v[4:5], v[66:67], off
	global_load_b64 v[6:7], v[68:69], off
	;; [unrolled: 1-line block ×4, first 2 shown]
	s_bitcmp0_b32 s8, 0
	v_lshlrev_b64 v[12:13], 3, v[12:13]
	v_add_co_u32 v74, vcc_lo, s0, v1
	v_add_co_ci_u32_e32 v75, vcc_lo, s1, v2, vcc_lo
	v_lshlrev_b64 v[1:2], 3, v[14:15]
	v_add_nc_u32_e32 v14, s3, v16
	v_add_co_u32 v76, vcc_lo, s0, v12
	v_ashrrev_i32_e32 v17, 31, v16
	v_add_co_ci_u32_e32 v77, vcc_lo, s1, v13, vcc_lo
	v_add_co_u32 v78, vcc_lo, s0, v1
	v_add_nc_u32_e32 v1, s3, v14
	v_ashrrev_i32_e32 v15, 31, v14
	v_lshlrev_b64 v[12:13], 3, v[16:17]
	v_add_co_ci_u32_e32 v79, vcc_lo, s1, v2, vcc_lo
	s_delay_alu instid0(VALU_DEP_4) | instskip(NEXT) | instid1(VALU_DEP_4)
	v_add_nc_u32_e32 v22, s3, v1
	v_lshlrev_b64 v[20:21], 3, v[14:15]
	v_ashrrev_i32_e32 v2, 31, v1
	v_add_co_u32 v80, vcc_lo, s0, v12
	s_delay_alu instid0(VALU_DEP_4)
	v_ashrrev_i32_e32 v23, 31, v22
	v_add_nc_u32_e32 v24, s3, v22
	v_add_co_ci_u32_e32 v81, vcc_lo, s1, v13, vcc_lo
	v_lshlrev_b64 v[1:2], 3, v[1:2]
	v_add_co_u32 v84, vcc_lo, s0, v20
	v_add_co_ci_u32_e32 v85, vcc_lo, s1, v21, vcc_lo
	v_lshlrev_b64 v[20:21], 3, v[22:23]
	v_ashrrev_i32_e32 v25, 31, v24
	v_add_nc_u32_e32 v22, s3, v24
	v_add_co_u32 v82, vcc_lo, s0, v1
	v_add_co_ci_u32_e32 v83, vcc_lo, s1, v2, vcc_lo
	s_delay_alu instid0(VALU_DEP_4) | instskip(NEXT) | instid1(VALU_DEP_4)
	v_lshlrev_b64 v[1:2], 3, v[24:25]
	v_add_nc_u32_e32 v24, s3, v22
	v_ashrrev_i32_e32 v23, 31, v22
	v_add_co_u32 v86, vcc_lo, s0, v20
	v_add_co_ci_u32_e32 v87, vcc_lo, s1, v21, vcc_lo
	s_delay_alu instid0(VALU_DEP_4) | instskip(NEXT) | instid1(VALU_DEP_4)
	v_ashrrev_i32_e32 v25, 31, v24
	v_lshlrev_b64 v[20:21], 3, v[22:23]
	v_add_co_u32 v88, vcc_lo, s0, v1
	v_add_co_ci_u32_e32 v89, vcc_lo, s1, v2, vcc_lo
	s_delay_alu instid0(VALU_DEP_4) | instskip(NEXT) | instid1(VALU_DEP_4)
	v_lshlrev_b64 v[1:2], 3, v[24:25]
	v_add_co_u32 v92, vcc_lo, s0, v20
	v_add_co_ci_u32_e32 v93, vcc_lo, s1, v21, vcc_lo
	s_clause 0x3
	global_load_b64 v[12:13], v[74:75], off
	global_load_b64 v[14:15], v[76:77], off
	;; [unrolled: 1-line block ×4, first 2 shown]
	v_add_co_u32 v90, vcc_lo, s0, v1
	v_mov_b32_e32 v1, 0
	v_add_co_ci_u32_e32 v91, vcc_lo, s1, v2, vcc_lo
	s_clause 0x6
	global_load_b64 v[20:21], v[84:85], off
	global_load_b64 v[22:23], v[82:83], off
	;; [unrolled: 1-line block ×5, first 2 shown]
	global_load_b64 v[2:3], v34, s[0:1]
	global_load_b64 v[30:31], v[90:91], off
	s_mov_b32 s0, -1
	s_cbranch_scc1 .LBB14_14
; %bb.4:
	v_cmp_eq_u32_e64 s0, 0, v0
	s_delay_alu instid0(VALU_DEP_1)
	s_and_saveexec_b32 s1, s0
	s_cbranch_execz .LBB14_6
; %bb.5:
	v_mov_b32_e32 v32, 0
	ds_store_b32 v32, v32 offset:120
.LBB14_6:
	s_or_b32 exec_lo, exec_lo, s1
	v_cmp_eq_u32_e32 vcc_lo, 1, v0
	s_mov_b32 s2, exec_lo
	s_waitcnt vmcnt(0) lgkmcnt(0)
	s_barrier
	buffer_gl0_inv
	v_dual_cndmask_b32 v32, v3, v5 :: v_dual_cndmask_b32 v33, v2, v4
	v_cmp_eq_u32_e32 vcc_lo, 2, v0
	s_delay_alu instid0(VALU_DEP_2) | instskip(SKIP_1) | instid1(VALU_DEP_2)
	v_dual_cndmask_b32 v32, v32, v7 :: v_dual_cndmask_b32 v33, v33, v6
	v_cmp_eq_u32_e32 vcc_lo, 3, v0
	v_dual_cndmask_b32 v32, v32, v9 :: v_dual_cndmask_b32 v33, v33, v8
	v_cmp_eq_u32_e32 vcc_lo, 4, v0
	s_delay_alu instid0(VALU_DEP_2) | instskip(SKIP_1) | instid1(VALU_DEP_2)
	v_dual_cndmask_b32 v32, v32, v11 :: v_dual_cndmask_b32 v33, v33, v10
	v_cmp_eq_u32_e32 vcc_lo, 5, v0
	;; [unrolled: 5-line block ×6, first 2 shown]
	v_dual_cndmask_b32 v32, v32, v29 :: v_dual_cndmask_b32 v35, v33, v28
	v_cmp_eq_u32_e32 vcc_lo, 14, v0
	s_delay_alu instid0(VALU_DEP_2) | instskip(NEXT) | instid1(VALU_DEP_1)
	v_dual_cndmask_b32 v33, v32, v31 :: v_dual_cndmask_b32 v32, v35, v30
	v_cmpx_eq_f64_e32 0, v[32:33]
	s_cbranch_execz .LBB14_10
; %bb.7:
	v_mov_b32_e32 v35, 0
	s_mov_b32 s3, 0
	ds_load_b32 v36, v35 offset:120
	s_waitcnt lgkmcnt(0)
	v_readfirstlane_b32 s1, v36
	v_add_nc_u32_e32 v36, 1, v0
	s_delay_alu instid0(VALU_DEP_2) | instskip(NEXT) | instid1(VALU_DEP_1)
	s_cmp_eq_u32 s1, 0
	v_cmp_gt_i32_e32 vcc_lo, s1, v36
	s_cselect_b32 s4, -1, 0
	s_delay_alu instid0(SALU_CYCLE_1) | instskip(NEXT) | instid1(SALU_CYCLE_1)
	s_or_b32 s4, s4, vcc_lo
	s_and_b32 exec_lo, exec_lo, s4
	s_cbranch_execz .LBB14_10
; %bb.8:
	v_mov_b32_e32 v37, s1
.LBB14_9:                               ; =>This Inner Loop Header: Depth=1
	ds_cmpstore_rtn_b32 v37, v35, v36, v37 offset:120
	s_waitcnt lgkmcnt(0)
	v_cmp_ne_u32_e32 vcc_lo, 0, v37
	v_cmp_le_i32_e64 s1, v37, v36
	s_delay_alu instid0(VALU_DEP_1) | instskip(NEXT) | instid1(SALU_CYCLE_1)
	s_and_b32 s1, vcc_lo, s1
	s_and_b32 s1, exec_lo, s1
	s_delay_alu instid0(SALU_CYCLE_1) | instskip(NEXT) | instid1(SALU_CYCLE_1)
	s_or_b32 s3, s1, s3
	s_and_not1_b32 exec_lo, exec_lo, s3
	s_cbranch_execnz .LBB14_9
.LBB14_10:
	s_or_b32 exec_lo, exec_lo, s2
	v_mov_b32_e32 v35, 0
	s_barrier
	buffer_gl0_inv
	ds_load_b32 v36, v35 offset:120
	s_and_saveexec_b32 s1, s0
	s_cbranch_execz .LBB14_12
; %bb.11:
	s_lshl_b64 s[2:3], s[18:19], 2
	s_delay_alu instid0(SALU_CYCLE_1)
	s_add_u32 s2, s14, s2
	s_addc_u32 s3, s15, s3
	s_waitcnt lgkmcnt(0)
	global_store_b32 v35, v36, s[2:3]
.LBB14_12:
	s_or_b32 exec_lo, exec_lo, s1
	s_waitcnt lgkmcnt(0)
	v_cmp_ne_u32_e32 vcc_lo, 0, v36
	s_cbranch_vccz .LBB14_17
; %bb.13:
	s_mov_b32 s0, 0
                                        ; implicit-def: $vgpr2_vgpr3_vgpr4_vgpr5_vgpr6_vgpr7_vgpr8_vgpr9_vgpr10_vgpr11_vgpr12_vgpr13_vgpr14_vgpr15_vgpr16_vgpr17_vgpr18_vgpr19_vgpr20_vgpr21_vgpr22_vgpr23_vgpr24_vgpr25_vgpr26_vgpr27_vgpr28_vgpr29_vgpr30_vgpr31_vgpr32_vgpr33
.LBB14_14:
	s_delay_alu instid0(SALU_CYCLE_1)
	s_and_b32 vcc_lo, exec_lo, s0
	s_cbranch_vccz .LBB14_16
.LBB14_15:
	s_lshl_b64 s[0:1], s[18:19], 2
	v_mov_b32_e32 v1, 0
	s_add_u32 s0, s14, s0
	s_addc_u32 s1, s15, s1
	global_load_b32 v1, v1, s[0:1]
	s_waitcnt vmcnt(0)
	v_cmp_ne_u32_e32 vcc_lo, 0, v1
	s_cbranch_vccz .LBB14_84
.LBB14_16:
	s_nop 0
	s_sendmsg sendmsg(MSG_DEALLOC_VGPRS)
	s_endpgm
.LBB14_17:
	v_div_scale_f64 v[35:36], null, v[32:33], v[32:33], 1.0
	v_div_scale_f64 v[41:42], vcc_lo, 1.0, v[32:33], 1.0
	v_cmp_eq_u32_e64 s1, 12, v0
	v_cmp_eq_u32_e64 s2, 11, v0
	;; [unrolled: 1-line block ×13, first 2 shown]
	v_rcp_f64_e32 v[37:38], v[35:36]
	s_waitcnt_depctr 0xfff
	v_fma_f64 v[39:40], -v[35:36], v[37:38], 1.0
	s_delay_alu instid0(VALU_DEP_1) | instskip(NEXT) | instid1(VALU_DEP_1)
	v_fma_f64 v[37:38], v[37:38], v[39:40], v[37:38]
	v_fma_f64 v[39:40], -v[35:36], v[37:38], 1.0
	s_delay_alu instid0(VALU_DEP_1) | instskip(NEXT) | instid1(VALU_DEP_1)
	v_fma_f64 v[37:38], v[37:38], v[39:40], v[37:38]
	v_mul_f64 v[39:40], v[41:42], v[37:38]
	s_delay_alu instid0(VALU_DEP_1) | instskip(NEXT) | instid1(VALU_DEP_1)
	v_fma_f64 v[35:36], -v[35:36], v[39:40], v[41:42]
	v_div_fmas_f64 v[35:36], v[35:36], v[37:38], v[39:40]
	v_cmp_eq_u32_e32 vcc_lo, 13, v0
	s_delay_alu instid0(VALU_DEP_2) | instskip(NEXT) | instid1(VALU_DEP_1)
	v_div_fixup_f64 v[32:33], v[35:36], v[32:33], 1.0
	v_dual_cndmask_b32 v29, v29, v33 :: v_dual_add_nc_u32 v36, 0x80, v34
	s_delay_alu instid0(VALU_DEP_2)
	v_cndmask_b32_e32 v28, v28, v32, vcc_lo
	v_cmp_eq_u32_e32 vcc_lo, 2, v0
	v_cndmask_b32_e64 v31, v31, v33, s10
	v_cndmask_b32_e64 v30, v30, v32, s10
	;; [unrolled: 1-line block ×4, first 2 shown]
	v_cndmask_b32_e32 v7, v7, v33, vcc_lo
	v_cndmask_b32_e64 v25, v25, v33, s2
	v_cndmask_b32_e64 v24, v24, v32, s2
	;; [unrolled: 1-line block ×20, first 2 shown]
	v_xor_b32_e32 v38, 0x80000000, v33
	v_dual_mov_b32 v37, v32 :: v_dual_cndmask_b32 v6, v6, v32
	v_cndmask_b32_e64 v3, v3, v33, s13
	v_cndmask_b32_e64 v2, v2, v32, s13
	ds_store_2addr_b64 v34, v[37:38], v[4:5] offset1:16
	s_waitcnt lgkmcnt(0)
	s_waitcnt_vscnt null, 0x0
	s_barrier
	buffer_gl0_inv
	s_and_saveexec_b32 s1, s0
	s_cbranch_execz .LBB14_19
; %bb.18:
	ds_load_b64 v[4:5], v36
	v_mov_b32_e32 v34, 0
	ds_load_b64 v[34:35], v34 offset:8
	s_waitcnt lgkmcnt(1)
	v_fma_f64 v[4:5], v[32:33], v[4:5], 0
	s_waitcnt lgkmcnt(0)
	s_delay_alu instid0(VALU_DEP_1)
	v_mul_f64 v[4:5], v[4:5], v[34:35]
.LBB14_19:
	s_or_b32 exec_lo, exec_lo, s1
	v_cmp_gt_u32_e32 vcc_lo, 2, v0
	s_barrier
	buffer_gl0_inv
	ds_store_b64 v36, v[6:7]
	s_waitcnt lgkmcnt(0)
	s_barrier
	buffer_gl0_inv
	s_and_saveexec_b32 s2, vcc_lo
	s_cbranch_execz .LBB14_23
; %bb.20:
	v_cmp_eq_u32_e64 s1, 1, v0
	s_delay_alu instid0(VALU_DEP_1) | instskip(SKIP_2) | instid1(VALU_DEP_1)
	v_cndmask_b32_e64 v32, v3, v5, s1
	v_cndmask_b32_e64 v33, v2, v4, s1
	v_cmp_eq_u32_e64 s1, 2, v0
	v_cndmask_b32_e64 v7, v32, v7, s1
	s_delay_alu instid0(VALU_DEP_3) | instskip(SKIP_1) | instid1(VALU_DEP_1)
	v_cndmask_b32_e64 v6, v33, v6, s1
	v_cmp_eq_u32_e64 s1, 3, v0
	v_cndmask_b32_e64 v7, v7, v9, s1
	s_delay_alu instid0(VALU_DEP_3) | instskip(SKIP_1) | instid1(VALU_DEP_1)
	;; [unrolled: 4-line block ×9, first 2 shown]
	v_cndmask_b32_e64 v6, v6, v22, s1
	v_cmp_eq_u32_e64 s1, 11, v0
	v_cndmask_b32_e64 v32, v7, v25, s1
	s_delay_alu instid0(VALU_DEP_3)
	v_cndmask_b32_e64 v33, v6, v24, s1
	v_cmp_eq_u32_e64 s1, 12, v0
	ds_load_b64 v[6:7], v36
	v_cndmask_b32_e64 v32, v32, v27, s1
	v_cndmask_b32_e64 v33, v33, v26, s1
	v_cmp_eq_u32_e64 s1, 13, v0
	s_delay_alu instid0(VALU_DEP_1) | instskip(NEXT) | instid1(VALU_DEP_3)
	v_cndmask_b32_e64 v32, v32, v29, s1
	v_cndmask_b32_e64 v34, v33, v28, s1
	v_cmp_eq_u32_e64 s1, 14, v0
	s_delay_alu instid0(VALU_DEP_1) | instskip(NEXT) | instid1(VALU_DEP_3)
	v_cndmask_b32_e64 v33, v32, v31, s1
	v_cndmask_b32_e64 v32, v34, v30, s1
	s_waitcnt lgkmcnt(0)
	s_delay_alu instid0(VALU_DEP_1)
	v_fma_f64 v[6:7], v[32:33], v[6:7], 0
	s_and_saveexec_b32 s1, s0
	s_cbranch_execz .LBB14_22
; %bb.21:
	v_mov_b32_e32 v32, 0
	ds_load_b64 v[32:33], v32 offset:136
	s_waitcnt lgkmcnt(0)
	v_fma_f64 v[6:7], v[4:5], v[32:33], v[6:7]
.LBB14_22:
	s_or_b32 exec_lo, exec_lo, s1
	v_mov_b32_e32 v32, 0
	ds_load_b64 v[32:33], v32 offset:16
	s_waitcnt lgkmcnt(0)
	v_mul_f64 v[6:7], v[6:7], v[32:33]
.LBB14_23:
	s_or_b32 exec_lo, exec_lo, s2
	s_delay_alu instid0(SALU_CYCLE_1)
	s_mov_b32 s3, exec_lo
	s_barrier
	buffer_gl0_inv
	ds_store_b64 v36, v[8:9]
	s_waitcnt lgkmcnt(0)
	s_barrier
	buffer_gl0_inv
	v_cmpx_gt_u32_e32 3, v0
	s_cbranch_execz .LBB14_27
; %bb.24:
	v_dual_mov_b32 v32, 0 :: v_dual_mov_b32 v35, v1
	v_lshl_add_u32 v37, v0, 3, 0x80
	v_dual_mov_b32 v33, 0 :: v_dual_mov_b32 v34, v0
	s_mov_b32 s4, 0
.LBB14_25:                              ; =>This Inner Loop Header: Depth=1
	s_delay_alu instid0(VALU_DEP_1) | instskip(SKIP_1) | instid1(VALU_DEP_2)
	v_cmp_eq_u32_e64 s1, 1, v34
	v_cmp_eq_u32_e64 s2, 2, v34
	v_cndmask_b32_e64 v38, v3, v5, s1
	v_cndmask_b32_e64 v39, v2, v4, s1
	v_cmp_eq_u32_e64 s1, 3, v34
	s_delay_alu instid0(VALU_DEP_3) | instskip(NEXT) | instid1(VALU_DEP_3)
	v_cndmask_b32_e64 v38, v38, v7, s2
	v_cndmask_b32_e64 v39, v39, v6, s2
	v_cmp_eq_u32_e64 s2, 4, v34
	s_delay_alu instid0(VALU_DEP_3) | instskip(NEXT) | instid1(VALU_DEP_3)
	;; [unrolled: 4-line block ×9, first 2 shown]
	v_cndmask_b32_e64 v40, v38, v23, s2
	v_cndmask_b32_e64 v41, v39, v22, s2
	ds_load_b64 v[38:39], v37
	v_cmp_eq_u32_e64 s2, 12, v34
	v_add_nc_u32_e32 v37, 8, v37
	v_cndmask_b32_e64 v40, v40, v25, s1
	v_cndmask_b32_e64 v41, v41, v24, s1
	v_cmp_eq_u32_e64 s1, 13, v34
	s_delay_alu instid0(VALU_DEP_3) | instskip(NEXT) | instid1(VALU_DEP_3)
	v_cndmask_b32_e64 v40, v40, v27, s2
	v_cndmask_b32_e64 v41, v41, v26, s2
	v_cmp_eq_u32_e64 s2, 14, v34
	s_delay_alu instid0(VALU_DEP_3) | instskip(NEXT) | instid1(VALU_DEP_3)
	v_cndmask_b32_e64 v40, v40, v29, s1
	v_cndmask_b32_e64 v42, v41, v28, s1
	v_add_co_u32 v34, s1, v34, 1
	s_delay_alu instid0(VALU_DEP_1) | instskip(NEXT) | instid1(VALU_DEP_4)
	v_add_co_ci_u32_e64 v35, s1, 0, v35, s1
	v_cndmask_b32_e64 v41, v40, v31, s2
	s_delay_alu instid0(VALU_DEP_4) | instskip(SKIP_1) | instid1(VALU_DEP_1)
	v_cndmask_b32_e64 v40, v42, v30, s2
	s_waitcnt lgkmcnt(0)
	v_fma_f64 v[32:33], v[40:41], v[38:39], v[32:33]
	v_add_nc_u32_e32 v38, -1, v34
	s_delay_alu instid0(VALU_DEP_1) | instskip(NEXT) | instid1(VALU_DEP_1)
	v_cmp_lt_u32_e64 s1, 1, v38
	s_or_b32 s4, s1, s4
	s_delay_alu instid0(SALU_CYCLE_1)
	s_and_not1_b32 exec_lo, exec_lo, s4
	s_cbranch_execnz .LBB14_25
; %bb.26:
	s_or_b32 exec_lo, exec_lo, s4
	v_mov_b32_e32 v8, 0
	ds_load_b64 v[8:9], v8 offset:24
	s_waitcnt lgkmcnt(0)
	v_mul_f64 v[8:9], v[32:33], v[8:9]
.LBB14_27:
	s_or_b32 exec_lo, exec_lo, s3
	v_cmp_gt_u32_e64 s1, 4, v0
	s_barrier
	buffer_gl0_inv
	ds_store_b64 v36, v[10:11]
	s_waitcnt lgkmcnt(0)
	s_barrier
	buffer_gl0_inv
	s_and_saveexec_b32 s4, s1
	s_cbranch_execz .LBB14_31
; %bb.28:
	v_dual_mov_b32 v32, 0 :: v_dual_mov_b32 v35, v1
	v_lshl_add_u32 v37, v0, 3, 0x80
	v_dual_mov_b32 v33, 0 :: v_dual_mov_b32 v34, v0
	s_mov_b32 s5, 0
.LBB14_29:                              ; =>This Inner Loop Header: Depth=1
	s_delay_alu instid0(VALU_DEP_1) | instskip(SKIP_1) | instid1(VALU_DEP_2)
	v_cmp_eq_u32_e64 s2, 1, v34
	v_cmp_eq_u32_e64 s3, 2, v34
	v_cndmask_b32_e64 v38, v3, v5, s2
	v_cndmask_b32_e64 v39, v2, v4, s2
	v_cmp_eq_u32_e64 s2, 3, v34
	s_delay_alu instid0(VALU_DEP_3) | instskip(NEXT) | instid1(VALU_DEP_3)
	v_cndmask_b32_e64 v38, v38, v7, s3
	v_cndmask_b32_e64 v39, v39, v6, s3
	v_cmp_eq_u32_e64 s3, 4, v34
	s_delay_alu instid0(VALU_DEP_3) | instskip(NEXT) | instid1(VALU_DEP_3)
	;; [unrolled: 4-line block ×9, first 2 shown]
	v_cndmask_b32_e64 v40, v38, v23, s3
	v_cndmask_b32_e64 v41, v39, v22, s3
	ds_load_b64 v[38:39], v37
	v_cmp_eq_u32_e64 s3, 12, v34
	v_add_nc_u32_e32 v37, 8, v37
	v_cndmask_b32_e64 v40, v40, v25, s2
	v_cndmask_b32_e64 v41, v41, v24, s2
	v_cmp_eq_u32_e64 s2, 13, v34
	s_delay_alu instid0(VALU_DEP_3) | instskip(NEXT) | instid1(VALU_DEP_3)
	v_cndmask_b32_e64 v40, v40, v27, s3
	v_cndmask_b32_e64 v41, v41, v26, s3
	v_cmp_eq_u32_e64 s3, 14, v34
	s_delay_alu instid0(VALU_DEP_3) | instskip(NEXT) | instid1(VALU_DEP_3)
	v_cndmask_b32_e64 v40, v40, v29, s2
	v_cndmask_b32_e64 v42, v41, v28, s2
	v_add_co_u32 v34, s2, v34, 1
	s_delay_alu instid0(VALU_DEP_1) | instskip(NEXT) | instid1(VALU_DEP_4)
	v_add_co_ci_u32_e64 v35, s2, 0, v35, s2
	v_cndmask_b32_e64 v41, v40, v31, s3
	s_delay_alu instid0(VALU_DEP_4) | instskip(SKIP_1) | instid1(VALU_DEP_1)
	v_cndmask_b32_e64 v40, v42, v30, s3
	s_waitcnt lgkmcnt(0)
	v_fma_f64 v[32:33], v[40:41], v[38:39], v[32:33]
	v_add_nc_u32_e32 v38, -1, v34
	s_delay_alu instid0(VALU_DEP_1) | instskip(NEXT) | instid1(VALU_DEP_1)
	v_cmp_lt_u32_e64 s2, 2, v38
	s_or_b32 s5, s2, s5
	s_delay_alu instid0(SALU_CYCLE_1)
	s_and_not1_b32 exec_lo, exec_lo, s5
	s_cbranch_execnz .LBB14_29
; %bb.30:
	s_or_b32 exec_lo, exec_lo, s5
	v_mov_b32_e32 v10, 0
	ds_load_b64 v[10:11], v10 offset:32
	s_waitcnt lgkmcnt(0)
	v_mul_f64 v[10:11], v[32:33], v[10:11]
.LBB14_31:
	s_or_b32 exec_lo, exec_lo, s4
	s_delay_alu instid0(SALU_CYCLE_1)
	s_mov_b32 s4, exec_lo
	s_barrier
	buffer_gl0_inv
	ds_store_b64 v36, v[12:13]
	s_waitcnt lgkmcnt(0)
	s_barrier
	buffer_gl0_inv
	v_cmpx_gt_u32_e32 5, v0
	s_cbranch_execz .LBB14_35
; %bb.32:
	v_dual_mov_b32 v32, 0 :: v_dual_mov_b32 v35, v1
	v_lshl_add_u32 v37, v0, 3, 0x80
	v_dual_mov_b32 v33, 0 :: v_dual_mov_b32 v34, v0
	s_mov_b32 s5, 0
.LBB14_33:                              ; =>This Inner Loop Header: Depth=1
	s_delay_alu instid0(VALU_DEP_1) | instskip(SKIP_1) | instid1(VALU_DEP_2)
	v_cmp_eq_u32_e64 s2, 1, v34
	v_cmp_eq_u32_e64 s3, 2, v34
	v_cndmask_b32_e64 v38, v3, v5, s2
	v_cndmask_b32_e64 v39, v2, v4, s2
	v_cmp_eq_u32_e64 s2, 3, v34
	s_delay_alu instid0(VALU_DEP_3) | instskip(NEXT) | instid1(VALU_DEP_3)
	v_cndmask_b32_e64 v38, v38, v7, s3
	v_cndmask_b32_e64 v39, v39, v6, s3
	v_cmp_eq_u32_e64 s3, 4, v34
	s_delay_alu instid0(VALU_DEP_3) | instskip(NEXT) | instid1(VALU_DEP_3)
	;; [unrolled: 4-line block ×9, first 2 shown]
	v_cndmask_b32_e64 v40, v38, v23, s3
	v_cndmask_b32_e64 v41, v39, v22, s3
	ds_load_b64 v[38:39], v37
	v_cmp_eq_u32_e64 s3, 12, v34
	v_add_nc_u32_e32 v37, 8, v37
	v_cndmask_b32_e64 v40, v40, v25, s2
	v_cndmask_b32_e64 v41, v41, v24, s2
	v_cmp_eq_u32_e64 s2, 13, v34
	s_delay_alu instid0(VALU_DEP_3) | instskip(NEXT) | instid1(VALU_DEP_3)
	v_cndmask_b32_e64 v40, v40, v27, s3
	v_cndmask_b32_e64 v41, v41, v26, s3
	v_cmp_eq_u32_e64 s3, 14, v34
	s_delay_alu instid0(VALU_DEP_3) | instskip(NEXT) | instid1(VALU_DEP_3)
	v_cndmask_b32_e64 v40, v40, v29, s2
	v_cndmask_b32_e64 v42, v41, v28, s2
	v_add_co_u32 v34, s2, v34, 1
	s_delay_alu instid0(VALU_DEP_1) | instskip(NEXT) | instid1(VALU_DEP_4)
	v_add_co_ci_u32_e64 v35, s2, 0, v35, s2
	v_cndmask_b32_e64 v41, v40, v31, s3
	s_delay_alu instid0(VALU_DEP_4) | instskip(SKIP_1) | instid1(VALU_DEP_1)
	v_cndmask_b32_e64 v40, v42, v30, s3
	s_waitcnt lgkmcnt(0)
	v_fma_f64 v[32:33], v[40:41], v[38:39], v[32:33]
	v_add_nc_u32_e32 v38, -1, v34
	s_delay_alu instid0(VALU_DEP_1) | instskip(NEXT) | instid1(VALU_DEP_1)
	v_cmp_lt_u32_e64 s2, 3, v38
	s_or_b32 s5, s2, s5
	s_delay_alu instid0(SALU_CYCLE_1)
	s_and_not1_b32 exec_lo, exec_lo, s5
	s_cbranch_execnz .LBB14_33
; %bb.34:
	s_or_b32 exec_lo, exec_lo, s5
	v_mov_b32_e32 v12, 0
	ds_load_b64 v[12:13], v12 offset:40
	s_waitcnt lgkmcnt(0)
	v_mul_f64 v[12:13], v[32:33], v[12:13]
.LBB14_35:
	s_or_b32 exec_lo, exec_lo, s4
	v_cmp_gt_u32_e64 s2, 6, v0
	s_barrier
	buffer_gl0_inv
	ds_store_b64 v36, v[14:15]
	s_waitcnt lgkmcnt(0)
	s_barrier
	buffer_gl0_inv
	s_and_saveexec_b32 s5, s2
	s_cbranch_execz .LBB14_39
; %bb.36:
	v_dual_mov_b32 v32, 0 :: v_dual_mov_b32 v35, v1
	v_lshl_add_u32 v37, v0, 3, 0x80
	v_dual_mov_b32 v33, 0 :: v_dual_mov_b32 v34, v0
	s_mov_b32 s6, 0
.LBB14_37:                              ; =>This Inner Loop Header: Depth=1
	s_delay_alu instid0(VALU_DEP_1) | instskip(SKIP_1) | instid1(VALU_DEP_2)
	v_cmp_eq_u32_e64 s3, 1, v34
	v_cmp_eq_u32_e64 s4, 2, v34
	v_cndmask_b32_e64 v38, v3, v5, s3
	v_cndmask_b32_e64 v39, v2, v4, s3
	v_cmp_eq_u32_e64 s3, 3, v34
	s_delay_alu instid0(VALU_DEP_3) | instskip(NEXT) | instid1(VALU_DEP_3)
	v_cndmask_b32_e64 v38, v38, v7, s4
	v_cndmask_b32_e64 v39, v39, v6, s4
	v_cmp_eq_u32_e64 s4, 4, v34
	s_delay_alu instid0(VALU_DEP_3) | instskip(NEXT) | instid1(VALU_DEP_3)
	;; [unrolled: 4-line block ×9, first 2 shown]
	v_cndmask_b32_e64 v40, v38, v23, s4
	v_cndmask_b32_e64 v41, v39, v22, s4
	ds_load_b64 v[38:39], v37
	v_cmp_eq_u32_e64 s4, 12, v34
	v_add_nc_u32_e32 v37, 8, v37
	v_cndmask_b32_e64 v40, v40, v25, s3
	v_cndmask_b32_e64 v41, v41, v24, s3
	v_cmp_eq_u32_e64 s3, 13, v34
	s_delay_alu instid0(VALU_DEP_3) | instskip(NEXT) | instid1(VALU_DEP_3)
	v_cndmask_b32_e64 v40, v40, v27, s4
	v_cndmask_b32_e64 v41, v41, v26, s4
	v_cmp_eq_u32_e64 s4, 14, v34
	s_delay_alu instid0(VALU_DEP_3) | instskip(NEXT) | instid1(VALU_DEP_3)
	v_cndmask_b32_e64 v40, v40, v29, s3
	v_cndmask_b32_e64 v42, v41, v28, s3
	v_add_co_u32 v34, s3, v34, 1
	s_delay_alu instid0(VALU_DEP_1) | instskip(NEXT) | instid1(VALU_DEP_4)
	v_add_co_ci_u32_e64 v35, s3, 0, v35, s3
	v_cndmask_b32_e64 v41, v40, v31, s4
	s_delay_alu instid0(VALU_DEP_4) | instskip(SKIP_1) | instid1(VALU_DEP_1)
	v_cndmask_b32_e64 v40, v42, v30, s4
	s_waitcnt lgkmcnt(0)
	v_fma_f64 v[32:33], v[40:41], v[38:39], v[32:33]
	v_add_nc_u32_e32 v38, -1, v34
	s_delay_alu instid0(VALU_DEP_1) | instskip(NEXT) | instid1(VALU_DEP_1)
	v_cmp_lt_u32_e64 s3, 4, v38
	s_or_b32 s6, s3, s6
	s_delay_alu instid0(SALU_CYCLE_1)
	s_and_not1_b32 exec_lo, exec_lo, s6
	s_cbranch_execnz .LBB14_37
; %bb.38:
	s_or_b32 exec_lo, exec_lo, s6
	v_mov_b32_e32 v14, 0
	ds_load_b64 v[14:15], v14 offset:48
	s_waitcnt lgkmcnt(0)
	v_mul_f64 v[14:15], v[32:33], v[14:15]
.LBB14_39:
	s_or_b32 exec_lo, exec_lo, s5
	s_delay_alu instid0(SALU_CYCLE_1)
	s_mov_b32 s5, exec_lo
	s_barrier
	buffer_gl0_inv
	ds_store_b64 v36, v[16:17]
	s_waitcnt lgkmcnt(0)
	s_barrier
	buffer_gl0_inv
	v_cmpx_gt_u32_e32 7, v0
	s_cbranch_execz .LBB14_43
; %bb.40:
	v_dual_mov_b32 v32, 0 :: v_dual_mov_b32 v35, v1
	v_lshl_add_u32 v37, v0, 3, 0x80
	v_dual_mov_b32 v33, 0 :: v_dual_mov_b32 v34, v0
	s_mov_b32 s6, 0
.LBB14_41:                              ; =>This Inner Loop Header: Depth=1
	s_delay_alu instid0(VALU_DEP_1) | instskip(SKIP_1) | instid1(VALU_DEP_2)
	v_cmp_eq_u32_e64 s3, 1, v34
	v_cmp_eq_u32_e64 s4, 2, v34
	v_cndmask_b32_e64 v38, v3, v5, s3
	v_cndmask_b32_e64 v39, v2, v4, s3
	v_cmp_eq_u32_e64 s3, 3, v34
	s_delay_alu instid0(VALU_DEP_3) | instskip(NEXT) | instid1(VALU_DEP_3)
	v_cndmask_b32_e64 v38, v38, v7, s4
	v_cndmask_b32_e64 v39, v39, v6, s4
	v_cmp_eq_u32_e64 s4, 4, v34
	s_delay_alu instid0(VALU_DEP_3) | instskip(NEXT) | instid1(VALU_DEP_3)
	;; [unrolled: 4-line block ×9, first 2 shown]
	v_cndmask_b32_e64 v40, v38, v23, s4
	v_cndmask_b32_e64 v41, v39, v22, s4
	ds_load_b64 v[38:39], v37
	v_cmp_eq_u32_e64 s4, 12, v34
	v_add_nc_u32_e32 v37, 8, v37
	v_cndmask_b32_e64 v40, v40, v25, s3
	v_cndmask_b32_e64 v41, v41, v24, s3
	v_cmp_eq_u32_e64 s3, 13, v34
	s_delay_alu instid0(VALU_DEP_3) | instskip(NEXT) | instid1(VALU_DEP_3)
	v_cndmask_b32_e64 v40, v40, v27, s4
	v_cndmask_b32_e64 v41, v41, v26, s4
	v_cmp_eq_u32_e64 s4, 14, v34
	s_delay_alu instid0(VALU_DEP_3) | instskip(NEXT) | instid1(VALU_DEP_3)
	v_cndmask_b32_e64 v40, v40, v29, s3
	v_cndmask_b32_e64 v42, v41, v28, s3
	v_add_co_u32 v34, s3, v34, 1
	s_delay_alu instid0(VALU_DEP_1) | instskip(NEXT) | instid1(VALU_DEP_4)
	v_add_co_ci_u32_e64 v35, s3, 0, v35, s3
	v_cndmask_b32_e64 v41, v40, v31, s4
	s_delay_alu instid0(VALU_DEP_4) | instskip(SKIP_1) | instid1(VALU_DEP_1)
	v_cndmask_b32_e64 v40, v42, v30, s4
	s_waitcnt lgkmcnt(0)
	v_fma_f64 v[32:33], v[40:41], v[38:39], v[32:33]
	v_add_nc_u32_e32 v38, -1, v34
	s_delay_alu instid0(VALU_DEP_1) | instskip(NEXT) | instid1(VALU_DEP_1)
	v_cmp_lt_u32_e64 s3, 5, v38
	s_or_b32 s6, s3, s6
	s_delay_alu instid0(SALU_CYCLE_1)
	s_and_not1_b32 exec_lo, exec_lo, s6
	s_cbranch_execnz .LBB14_41
; %bb.42:
	s_or_b32 exec_lo, exec_lo, s6
	v_mov_b32_e32 v16, 0
	ds_load_b64 v[16:17], v16 offset:56
	s_waitcnt lgkmcnt(0)
	v_mul_f64 v[16:17], v[32:33], v[16:17]
.LBB14_43:
	s_or_b32 exec_lo, exec_lo, s5
	s_delay_alu instid0(SALU_CYCLE_1)
	s_mov_b32 s4, exec_lo
	s_barrier
	buffer_gl0_inv
	ds_store_b64 v36, v[18:19]
	s_waitcnt lgkmcnt(0)
	s_barrier
	buffer_gl0_inv
	v_cmpx_gt_u32_e32 8, v0
	s_cbranch_execz .LBB14_59
; %bb.44:
	v_cmp_eq_u32_e64 s3, 1, v0
	s_mov_b32 s5, exec_lo
	s_delay_alu instid0(VALU_DEP_1) | instskip(SKIP_2) | instid1(VALU_DEP_1)
	v_cndmask_b32_e64 v32, v3, v5, s3
	v_cndmask_b32_e64 v33, v2, v4, s3
	v_cmp_eq_u32_e64 s3, 2, v0
	v_cndmask_b32_e64 v32, v32, v7, s3
	s_delay_alu instid0(VALU_DEP_3) | instskip(SKIP_1) | instid1(VALU_DEP_1)
	v_cndmask_b32_e64 v33, v33, v6, s3
	v_cmp_eq_u32_e64 s3, 3, v0
	v_cndmask_b32_e64 v32, v32, v9, s3
	s_delay_alu instid0(VALU_DEP_3) | instskip(SKIP_1) | instid1(VALU_DEP_1)
	;; [unrolled: 4-line block ×9, first 2 shown]
	v_cndmask_b32_e64 v33, v33, v22, s3
	v_cmp_eq_u32_e64 s3, 11, v0
	v_cndmask_b32_e64 v34, v32, v25, s3
	s_delay_alu instid0(VALU_DEP_3)
	v_cndmask_b32_e64 v35, v33, v24, s3
	v_cmp_eq_u32_e64 s3, 12, v0
	ds_load_b64 v[32:33], v36
	v_cndmask_b32_e64 v34, v34, v27, s3
	v_cndmask_b32_e64 v35, v35, v26, s3
	v_cmp_eq_u32_e64 s3, 13, v0
	s_delay_alu instid0(VALU_DEP_1) | instskip(NEXT) | instid1(VALU_DEP_3)
	v_cndmask_b32_e64 v34, v34, v29, s3
	v_cndmask_b32_e64 v37, v35, v28, s3
	v_cmp_eq_u32_e64 s3, 14, v0
	s_delay_alu instid0(VALU_DEP_1) | instskip(NEXT) | instid1(VALU_DEP_3)
	v_cndmask_b32_e64 v35, v34, v31, s3
	v_cndmask_b32_e64 v34, v37, v30, s3
	s_waitcnt lgkmcnt(0)
	s_delay_alu instid0(VALU_DEP_1)
	v_fma_f64 v[32:33], v[34:35], v[32:33], 0
	v_cmpx_ne_u32_e32 7, v0
	s_cbranch_execz .LBB14_58
; %bb.45:
	v_add_nc_u32_e32 v37, 1, v0
	s_delay_alu instid0(VALU_DEP_1) | instskip(NEXT) | instid1(VALU_DEP_1)
	v_cmp_eq_u32_e64 s3, 1, v37
	v_cndmask_b32_e64 v34, v3, v5, s3
	v_cndmask_b32_e64 v35, v2, v4, s3
	v_cmp_eq_u32_e64 s3, 2, v37
	s_delay_alu instid0(VALU_DEP_1) | instskip(NEXT) | instid1(VALU_DEP_3)
	v_cndmask_b32_e64 v34, v34, v7, s3
	v_cndmask_b32_e64 v35, v35, v6, s3
	v_cmp_eq_u32_e64 s3, 3, v37
	s_delay_alu instid0(VALU_DEP_1) | instskip(NEXT) | instid1(VALU_DEP_3)
	;; [unrolled: 4-line block ×10, first 2 shown]
	v_cndmask_b32_e64 v38, v34, v25, s3
	v_cndmask_b32_e64 v39, v35, v24, s3
	v_cmp_eq_u32_e64 s3, 12, v37
	ds_load_b64 v[34:35], v36 offset:8
	v_cndmask_b32_e64 v38, v38, v27, s3
	v_cndmask_b32_e64 v39, v39, v26, s3
	v_cmp_eq_u32_e64 s3, 13, v37
	s_delay_alu instid0(VALU_DEP_1) | instskip(NEXT) | instid1(VALU_DEP_3)
	v_cndmask_b32_e64 v38, v38, v29, s3
	v_cndmask_b32_e64 v39, v39, v28, s3
	v_cmp_eq_u32_e64 s3, 14, v37
	s_delay_alu instid0(VALU_DEP_1) | instskip(NEXT) | instid1(VALU_DEP_3)
	v_cndmask_b32_e64 v38, v38, v31, s3
	v_cndmask_b32_e64 v37, v39, v30, s3
	s_waitcnt lgkmcnt(0)
	s_delay_alu instid0(VALU_DEP_1)
	v_fma_f64 v[32:33], v[37:38], v[34:35], v[32:33]
	s_and_saveexec_b32 s3, s2
	s_cbranch_execz .LBB14_57
; %bb.46:
	v_add_nc_u32_e32 v37, 2, v0
	s_mov_b32 s6, exec_lo
	s_delay_alu instid0(VALU_DEP_1) | instskip(NEXT) | instid1(VALU_DEP_1)
	v_cmp_eq_u32_e64 s2, 1, v37
	v_cndmask_b32_e64 v34, v3, v5, s2
	v_cndmask_b32_e64 v35, v2, v4, s2
	v_cmp_eq_u32_e64 s2, 2, v37
	s_delay_alu instid0(VALU_DEP_1) | instskip(NEXT) | instid1(VALU_DEP_3)
	v_cndmask_b32_e64 v34, v34, v7, s2
	v_cndmask_b32_e64 v35, v35, v6, s2
	v_cmp_eq_u32_e64 s2, 3, v37
	s_delay_alu instid0(VALU_DEP_1) | instskip(NEXT) | instid1(VALU_DEP_3)
	;; [unrolled: 4-line block ×10, first 2 shown]
	v_cndmask_b32_e64 v38, v34, v25, s2
	v_cndmask_b32_e64 v39, v35, v24, s2
	v_cmp_eq_u32_e64 s2, 12, v37
	ds_load_b64 v[34:35], v36 offset:16
	v_cndmask_b32_e64 v38, v38, v27, s2
	v_cndmask_b32_e64 v39, v39, v26, s2
	v_cmp_eq_u32_e64 s2, 13, v37
	s_delay_alu instid0(VALU_DEP_1) | instskip(NEXT) | instid1(VALU_DEP_3)
	v_cndmask_b32_e64 v38, v38, v29, s2
	v_cndmask_b32_e64 v39, v39, v28, s2
	v_cmp_eq_u32_e64 s2, 14, v37
	s_delay_alu instid0(VALU_DEP_1) | instskip(NEXT) | instid1(VALU_DEP_3)
	v_cndmask_b32_e64 v38, v38, v31, s2
	v_cndmask_b32_e64 v37, v39, v30, s2
	s_waitcnt lgkmcnt(0)
	s_delay_alu instid0(VALU_DEP_1)
	v_fma_f64 v[32:33], v[37:38], v[34:35], v[32:33]
	v_cmpx_ne_u32_e32 5, v0
	s_cbranch_execz .LBB14_56
; %bb.47:
	v_add_nc_u32_e32 v37, 3, v0
	s_delay_alu instid0(VALU_DEP_1) | instskip(NEXT) | instid1(VALU_DEP_1)
	v_cmp_eq_u32_e64 s2, 1, v37
	v_cndmask_b32_e64 v34, v3, v5, s2
	v_cndmask_b32_e64 v35, v2, v4, s2
	v_cmp_eq_u32_e64 s2, 2, v37
	s_delay_alu instid0(VALU_DEP_1) | instskip(NEXT) | instid1(VALU_DEP_3)
	v_cndmask_b32_e64 v34, v34, v7, s2
	v_cndmask_b32_e64 v35, v35, v6, s2
	v_cmp_eq_u32_e64 s2, 3, v37
	s_delay_alu instid0(VALU_DEP_1) | instskip(NEXT) | instid1(VALU_DEP_3)
	;; [unrolled: 4-line block ×10, first 2 shown]
	v_cndmask_b32_e64 v38, v34, v25, s2
	v_cndmask_b32_e64 v39, v35, v24, s2
	v_cmp_eq_u32_e64 s2, 12, v37
	ds_load_b64 v[34:35], v36 offset:24
	v_cndmask_b32_e64 v38, v38, v27, s2
	v_cndmask_b32_e64 v39, v39, v26, s2
	v_cmp_eq_u32_e64 s2, 13, v37
	s_delay_alu instid0(VALU_DEP_1) | instskip(NEXT) | instid1(VALU_DEP_3)
	v_cndmask_b32_e64 v38, v38, v29, s2
	v_cndmask_b32_e64 v39, v39, v28, s2
	v_cmp_eq_u32_e64 s2, 14, v37
	s_delay_alu instid0(VALU_DEP_1) | instskip(NEXT) | instid1(VALU_DEP_3)
	v_cndmask_b32_e64 v38, v38, v31, s2
	v_cndmask_b32_e64 v37, v39, v30, s2
	s_waitcnt lgkmcnt(0)
	s_delay_alu instid0(VALU_DEP_1)
	v_fma_f64 v[32:33], v[37:38], v[34:35], v[32:33]
	s_and_saveexec_b32 s2, s1
	s_cbranch_execz .LBB14_55
; %bb.48:
	v_or_b32_e32 v37, 4, v0
	s_mov_b32 s7, exec_lo
	s_delay_alu instid0(VALU_DEP_1) | instskip(NEXT) | instid1(VALU_DEP_1)
	v_cmp_eq_u32_e64 s1, 1, v37
	v_cndmask_b32_e64 v34, v3, v5, s1
	v_cndmask_b32_e64 v35, v2, v4, s1
	v_cmp_eq_u32_e64 s1, 2, v37
	s_delay_alu instid0(VALU_DEP_1) | instskip(NEXT) | instid1(VALU_DEP_3)
	v_cndmask_b32_e64 v34, v34, v7, s1
	v_cndmask_b32_e64 v35, v35, v6, s1
	v_cmp_eq_u32_e64 s1, 3, v37
	s_delay_alu instid0(VALU_DEP_1) | instskip(NEXT) | instid1(VALU_DEP_3)
	;; [unrolled: 4-line block ×10, first 2 shown]
	v_cndmask_b32_e64 v38, v34, v25, s1
	v_cndmask_b32_e64 v39, v35, v24, s1
	v_cmp_eq_u32_e64 s1, 12, v37
	ds_load_b64 v[34:35], v36 offset:32
	v_cndmask_b32_e64 v38, v38, v27, s1
	v_cndmask_b32_e64 v39, v39, v26, s1
	v_cmp_eq_u32_e64 s1, 13, v37
	s_delay_alu instid0(VALU_DEP_1) | instskip(NEXT) | instid1(VALU_DEP_3)
	v_cndmask_b32_e64 v38, v38, v29, s1
	v_cndmask_b32_e64 v39, v39, v28, s1
	v_cmp_eq_u32_e64 s1, 14, v37
	s_delay_alu instid0(VALU_DEP_1) | instskip(NEXT) | instid1(VALU_DEP_3)
	v_cndmask_b32_e64 v38, v38, v31, s1
	v_cndmask_b32_e64 v37, v39, v30, s1
	s_waitcnt lgkmcnt(0)
	s_delay_alu instid0(VALU_DEP_1)
	v_fma_f64 v[32:33], v[37:38], v[34:35], v[32:33]
	v_cmpx_ne_u32_e32 3, v0
	s_cbranch_execz .LBB14_54
; %bb.49:
	v_add_nc_u32_e32 v37, 5, v0
	s_delay_alu instid0(VALU_DEP_1) | instskip(NEXT) | instid1(VALU_DEP_1)
	v_cmp_eq_u32_e64 s1, 1, v37
	v_cndmask_b32_e64 v34, v3, v5, s1
	v_cndmask_b32_e64 v35, v2, v4, s1
	v_cmp_eq_u32_e64 s1, 2, v37
	s_delay_alu instid0(VALU_DEP_1) | instskip(NEXT) | instid1(VALU_DEP_3)
	v_cndmask_b32_e64 v34, v34, v7, s1
	v_cndmask_b32_e64 v35, v35, v6, s1
	v_cmp_eq_u32_e64 s1, 3, v37
	s_delay_alu instid0(VALU_DEP_1) | instskip(NEXT) | instid1(VALU_DEP_3)
	;; [unrolled: 4-line block ×10, first 2 shown]
	v_cndmask_b32_e64 v38, v34, v25, s1
	v_cndmask_b32_e64 v39, v35, v24, s1
	v_cmp_eq_u32_e64 s1, 12, v37
	ds_load_b64 v[34:35], v36 offset:40
	v_cndmask_b32_e64 v38, v38, v27, s1
	v_cndmask_b32_e64 v39, v39, v26, s1
	v_cmp_eq_u32_e64 s1, 13, v37
	s_delay_alu instid0(VALU_DEP_1) | instskip(NEXT) | instid1(VALU_DEP_3)
	v_cndmask_b32_e64 v38, v38, v29, s1
	v_cndmask_b32_e64 v39, v39, v28, s1
	v_cmp_eq_u32_e64 s1, 14, v37
	s_delay_alu instid0(VALU_DEP_1) | instskip(NEXT) | instid1(VALU_DEP_3)
	v_cndmask_b32_e64 v38, v38, v31, s1
	v_cndmask_b32_e64 v37, v39, v30, s1
	s_waitcnt lgkmcnt(0)
	s_delay_alu instid0(VALU_DEP_1)
	v_fma_f64 v[32:33], v[37:38], v[34:35], v[32:33]
	s_and_saveexec_b32 s1, vcc_lo
	s_cbranch_execz .LBB14_53
; %bb.50:
	v_or_b32_e32 v34, 6, v0
	s_delay_alu instid0(VALU_DEP_1) | instskip(SKIP_3) | instid1(VALU_DEP_3)
	v_cmp_eq_u32_e32 vcc_lo, 1, v34
	v_cndmask_b32_e32 v35, v3, v5, vcc_lo
	v_cndmask_b32_e32 v37, v2, v4, vcc_lo
	v_cmp_eq_u32_e32 vcc_lo, 2, v34
	v_cndmask_b32_e32 v35, v35, v7, vcc_lo
	s_delay_alu instid0(VALU_DEP_3) | instskip(SKIP_1) | instid1(VALU_DEP_3)
	v_cndmask_b32_e32 v37, v37, v6, vcc_lo
	v_cmp_eq_u32_e32 vcc_lo, 3, v34
	v_cndmask_b32_e32 v35, v35, v9, vcc_lo
	s_delay_alu instid0(VALU_DEP_3) | instskip(SKIP_1) | instid1(VALU_DEP_3)
	v_cndmask_b32_e32 v37, v37, v8, vcc_lo
	v_cmp_eq_u32_e32 vcc_lo, 4, v34
	v_cndmask_b32_e32 v35, v35, v11, vcc_lo
	s_delay_alu instid0(VALU_DEP_3) | instskip(SKIP_1) | instid1(VALU_DEP_3)
	v_cndmask_b32_e32 v37, v37, v10, vcc_lo
	v_cmp_eq_u32_e32 vcc_lo, 5, v34
	v_cndmask_b32_e32 v35, v35, v13, vcc_lo
	s_delay_alu instid0(VALU_DEP_3) | instskip(SKIP_1) | instid1(VALU_DEP_3)
	v_cndmask_b32_e32 v37, v37, v12, vcc_lo
	v_cmp_eq_u32_e32 vcc_lo, 6, v34
	v_cndmask_b32_e32 v35, v35, v15, vcc_lo
	s_delay_alu instid0(VALU_DEP_3) | instskip(SKIP_1) | instid1(VALU_DEP_3)
	v_cndmask_b32_e32 v37, v37, v14, vcc_lo
	v_cmp_eq_u32_e32 vcc_lo, 7, v34
	v_cndmask_b32_e32 v35, v35, v17, vcc_lo
	s_delay_alu instid0(VALU_DEP_3) | instskip(SKIP_1) | instid1(VALU_DEP_2)
	v_cndmask_b32_e32 v37, v37, v16, vcc_lo
	v_cmp_eq_u32_e32 vcc_lo, 8, v34
	v_dual_cndmask_b32 v19, v35, v19 :: v_dual_cndmask_b32 v18, v37, v18
	v_cmp_eq_u32_e32 vcc_lo, 9, v34
	s_delay_alu instid0(VALU_DEP_2) | instskip(SKIP_1) | instid1(VALU_DEP_2)
	v_dual_cndmask_b32 v19, v19, v21 :: v_dual_cndmask_b32 v18, v18, v20
	v_cmp_eq_u32_e32 vcc_lo, 10, v34
	v_dual_cndmask_b32 v19, v19, v23 :: v_dual_cndmask_b32 v18, v18, v22
	v_cmp_eq_u32_e32 vcc_lo, 11, v34
	s_delay_alu instid0(VALU_DEP_2) | instskip(NEXT) | instid1(VALU_DEP_3)
	v_cndmask_b32_e32 v35, v19, v25, vcc_lo
	v_cndmask_b32_e32 v37, v18, v24, vcc_lo
	v_cmp_eq_u32_e32 vcc_lo, 12, v34
	ds_load_b64 v[18:19], v36 offset:48
	v_cndmask_b32_e32 v35, v35, v27, vcc_lo
	v_cndmask_b32_e32 v37, v37, v26, vcc_lo
	v_cmp_eq_u32_e32 vcc_lo, 13, v34
	s_delay_alu instid0(VALU_DEP_3) | instskip(NEXT) | instid1(VALU_DEP_3)
	v_cndmask_b32_e32 v35, v35, v29, vcc_lo
	v_cndmask_b32_e32 v37, v37, v28, vcc_lo
	v_cmp_eq_u32_e32 vcc_lo, 14, v34
	s_delay_alu instid0(VALU_DEP_2) | instskip(SKIP_1) | instid1(VALU_DEP_1)
	v_dual_cndmask_b32 v34, v37, v30 :: v_dual_cndmask_b32 v35, v35, v31
	s_waitcnt lgkmcnt(0)
	v_fma_f64 v[32:33], v[34:35], v[18:19], v[32:33]
	s_and_saveexec_b32 s8, s0
	s_cbranch_execz .LBB14_52
; %bb.51:
	ds_load_b64 v[18:19], v36 offset:56
	s_waitcnt lgkmcnt(0)
	v_fma_f64 v[32:33], v[16:17], v[18:19], v[32:33]
.LBB14_52:
	s_or_b32 exec_lo, exec_lo, s8
.LBB14_53:
	s_delay_alu instid0(SALU_CYCLE_1)
	s_or_b32 exec_lo, exec_lo, s1
.LBB14_54:
	s_delay_alu instid0(SALU_CYCLE_1)
	s_or_b32 exec_lo, exec_lo, s7
.LBB14_55:
	s_delay_alu instid0(SALU_CYCLE_1)
	s_or_b32 exec_lo, exec_lo, s2
.LBB14_56:
	s_delay_alu instid0(SALU_CYCLE_1)
	s_or_b32 exec_lo, exec_lo, s6
.LBB14_57:
	s_delay_alu instid0(SALU_CYCLE_1)
	s_or_b32 exec_lo, exec_lo, s3
.LBB14_58:
	s_delay_alu instid0(SALU_CYCLE_1)
	s_or_b32 exec_lo, exec_lo, s5
	v_mov_b32_e32 v18, 0
	ds_load_b64 v[18:19], v18 offset:64
	s_waitcnt lgkmcnt(0)
	v_mul_f64 v[18:19], v[32:33], v[18:19]
.LBB14_59:
	s_or_b32 exec_lo, exec_lo, s4
	s_delay_alu instid0(SALU_CYCLE_1)
	s_mov_b32 s1, exec_lo
	s_barrier
	buffer_gl0_inv
	ds_store_b64 v36, v[20:21]
	s_waitcnt lgkmcnt(0)
	s_barrier
	buffer_gl0_inv
	v_cmpx_gt_u32_e32 9, v0
	s_cbranch_execz .LBB14_63
; %bb.60:
	v_dual_mov_b32 v32, 0 :: v_dual_mov_b32 v35, v1
	v_lshl_add_u32 v37, v0, 3, 0x80
	v_dual_mov_b32 v33, 0 :: v_dual_mov_b32 v34, v0
	s_mov_b32 s2, 0
.LBB14_61:                              ; =>This Inner Loop Header: Depth=1
	s_delay_alu instid0(VALU_DEP_1) | instskip(SKIP_3) | instid1(VALU_DEP_2)
	v_cmp_eq_u32_e32 vcc_lo, 1, v34
	v_cmp_eq_u32_e64 s0, 2, v34
	v_dual_cndmask_b32 v38, v3, v5 :: v_dual_cndmask_b32 v39, v2, v4
	v_cmp_eq_u32_e32 vcc_lo, 3, v34
	v_cndmask_b32_e64 v38, v38, v7, s0
	s_delay_alu instid0(VALU_DEP_3) | instskip(SKIP_1) | instid1(VALU_DEP_2)
	v_cndmask_b32_e64 v39, v39, v6, s0
	v_cmp_eq_u32_e64 s0, 4, v34
	v_dual_cndmask_b32 v38, v38, v9 :: v_dual_cndmask_b32 v39, v39, v8
	v_cmp_eq_u32_e32 vcc_lo, 5, v34
	s_delay_alu instid0(VALU_DEP_2) | instskip(NEXT) | instid1(VALU_DEP_3)
	v_cndmask_b32_e64 v38, v38, v11, s0
	v_cndmask_b32_e64 v39, v39, v10, s0
	v_cmp_eq_u32_e64 s0, 6, v34
	s_delay_alu instid0(VALU_DEP_2) | instskip(SKIP_1) | instid1(VALU_DEP_2)
	v_dual_cndmask_b32 v38, v38, v13 :: v_dual_cndmask_b32 v39, v39, v12
	v_cmp_eq_u32_e32 vcc_lo, 7, v34
	v_cndmask_b32_e64 v38, v38, v15, s0
	s_delay_alu instid0(VALU_DEP_3) | instskip(SKIP_1) | instid1(VALU_DEP_2)
	v_cndmask_b32_e64 v39, v39, v14, s0
	v_cmp_eq_u32_e64 s0, 8, v34
	v_dual_cndmask_b32 v38, v38, v17 :: v_dual_cndmask_b32 v39, v39, v16
	v_cmp_eq_u32_e32 vcc_lo, 9, v34
	s_delay_alu instid0(VALU_DEP_2) | instskip(NEXT) | instid1(VALU_DEP_3)
	v_cndmask_b32_e64 v38, v38, v19, s0
	v_cndmask_b32_e64 v39, v39, v18, s0
	v_cmp_eq_u32_e64 s0, 10, v34
	s_delay_alu instid0(VALU_DEP_2) | instskip(SKIP_1) | instid1(VALU_DEP_2)
	v_dual_cndmask_b32 v38, v38, v21 :: v_dual_cndmask_b32 v39, v39, v20
	v_cmp_eq_u32_e32 vcc_lo, 11, v34
	v_cndmask_b32_e64 v40, v38, v23, s0
	s_delay_alu instid0(VALU_DEP_3)
	v_cndmask_b32_e64 v41, v39, v22, s0
	ds_load_b64 v[38:39], v37
	v_cmp_eq_u32_e64 s0, 12, v34
	v_add_nc_u32_e32 v37, 8, v37
	v_dual_cndmask_b32 v40, v40, v25 :: v_dual_cndmask_b32 v41, v41, v24
	v_cmp_eq_u32_e32 vcc_lo, 13, v34
	s_delay_alu instid0(VALU_DEP_2) | instskip(NEXT) | instid1(VALU_DEP_3)
	v_cndmask_b32_e64 v40, v40, v27, s0
	v_cndmask_b32_e64 v41, v41, v26, s0
	v_cmp_eq_u32_e64 s0, 14, v34
	s_delay_alu instid0(VALU_DEP_3) | instskip(NEXT) | instid1(VALU_DEP_3)
	v_cndmask_b32_e32 v40, v40, v29, vcc_lo
	v_cndmask_b32_e32 v42, v41, v28, vcc_lo
	v_add_co_u32 v34, vcc_lo, v34, 1
	v_add_co_ci_u32_e32 v35, vcc_lo, 0, v35, vcc_lo
	s_delay_alu instid0(VALU_DEP_4) | instskip(NEXT) | instid1(VALU_DEP_4)
	v_cndmask_b32_e64 v41, v40, v31, s0
	v_cndmask_b32_e64 v40, v42, v30, s0
	s_waitcnt lgkmcnt(0)
	s_delay_alu instid0(VALU_DEP_1) | instskip(SKIP_1) | instid1(VALU_DEP_1)
	v_fma_f64 v[32:33], v[40:41], v[38:39], v[32:33]
	v_add_nc_u32_e32 v38, -1, v34
	v_cmp_lt_u32_e32 vcc_lo, 7, v38
	s_or_b32 s2, vcc_lo, s2
	s_delay_alu instid0(SALU_CYCLE_1)
	s_and_not1_b32 exec_lo, exec_lo, s2
	s_cbranch_execnz .LBB14_61
; %bb.62:
	s_or_b32 exec_lo, exec_lo, s2
	v_mov_b32_e32 v20, 0
	ds_load_b64 v[20:21], v20 offset:72
	s_waitcnt lgkmcnt(0)
	v_mul_f64 v[20:21], v[32:33], v[20:21]
.LBB14_63:
	s_or_b32 exec_lo, exec_lo, s1
	s_delay_alu instid0(SALU_CYCLE_1)
	s_mov_b32 s1, exec_lo
	s_barrier
	buffer_gl0_inv
	ds_store_b64 v36, v[22:23]
	s_waitcnt lgkmcnt(0)
	s_barrier
	buffer_gl0_inv
	v_cmpx_gt_u32_e32 10, v0
	s_cbranch_execz .LBB14_67
; %bb.64:
	v_dual_mov_b32 v32, 0 :: v_dual_mov_b32 v35, v1
	v_lshl_add_u32 v37, v0, 3, 0x80
	v_dual_mov_b32 v33, 0 :: v_dual_mov_b32 v34, v0
	s_mov_b32 s2, 0
.LBB14_65:                              ; =>This Inner Loop Header: Depth=1
	s_delay_alu instid0(VALU_DEP_1) | instskip(SKIP_3) | instid1(VALU_DEP_2)
	v_cmp_eq_u32_e32 vcc_lo, 1, v34
	v_cmp_eq_u32_e64 s0, 2, v34
	v_dual_cndmask_b32 v38, v3, v5 :: v_dual_cndmask_b32 v39, v2, v4
	v_cmp_eq_u32_e32 vcc_lo, 3, v34
	v_cndmask_b32_e64 v38, v38, v7, s0
	s_delay_alu instid0(VALU_DEP_3) | instskip(SKIP_1) | instid1(VALU_DEP_2)
	v_cndmask_b32_e64 v39, v39, v6, s0
	v_cmp_eq_u32_e64 s0, 4, v34
	v_dual_cndmask_b32 v38, v38, v9 :: v_dual_cndmask_b32 v39, v39, v8
	v_cmp_eq_u32_e32 vcc_lo, 5, v34
	s_delay_alu instid0(VALU_DEP_2) | instskip(NEXT) | instid1(VALU_DEP_3)
	v_cndmask_b32_e64 v38, v38, v11, s0
	v_cndmask_b32_e64 v39, v39, v10, s0
	v_cmp_eq_u32_e64 s0, 6, v34
	s_delay_alu instid0(VALU_DEP_2) | instskip(SKIP_1) | instid1(VALU_DEP_2)
	v_dual_cndmask_b32 v38, v38, v13 :: v_dual_cndmask_b32 v39, v39, v12
	v_cmp_eq_u32_e32 vcc_lo, 7, v34
	v_cndmask_b32_e64 v38, v38, v15, s0
	s_delay_alu instid0(VALU_DEP_3) | instskip(SKIP_1) | instid1(VALU_DEP_2)
	v_cndmask_b32_e64 v39, v39, v14, s0
	v_cmp_eq_u32_e64 s0, 8, v34
	v_dual_cndmask_b32 v38, v38, v17 :: v_dual_cndmask_b32 v39, v39, v16
	v_cmp_eq_u32_e32 vcc_lo, 9, v34
	s_delay_alu instid0(VALU_DEP_2) | instskip(NEXT) | instid1(VALU_DEP_3)
	v_cndmask_b32_e64 v38, v38, v19, s0
	v_cndmask_b32_e64 v39, v39, v18, s0
	v_cmp_eq_u32_e64 s0, 10, v34
	s_delay_alu instid0(VALU_DEP_2) | instskip(SKIP_1) | instid1(VALU_DEP_2)
	v_dual_cndmask_b32 v38, v38, v21 :: v_dual_cndmask_b32 v39, v39, v20
	v_cmp_eq_u32_e32 vcc_lo, 11, v34
	v_cndmask_b32_e64 v40, v38, v23, s0
	s_delay_alu instid0(VALU_DEP_3)
	v_cndmask_b32_e64 v41, v39, v22, s0
	ds_load_b64 v[38:39], v37
	v_cmp_eq_u32_e64 s0, 12, v34
	v_add_nc_u32_e32 v37, 8, v37
	v_dual_cndmask_b32 v40, v40, v25 :: v_dual_cndmask_b32 v41, v41, v24
	v_cmp_eq_u32_e32 vcc_lo, 13, v34
	s_delay_alu instid0(VALU_DEP_2) | instskip(NEXT) | instid1(VALU_DEP_3)
	v_cndmask_b32_e64 v40, v40, v27, s0
	v_cndmask_b32_e64 v41, v41, v26, s0
	v_cmp_eq_u32_e64 s0, 14, v34
	s_delay_alu instid0(VALU_DEP_3) | instskip(NEXT) | instid1(VALU_DEP_3)
	v_cndmask_b32_e32 v40, v40, v29, vcc_lo
	v_cndmask_b32_e32 v42, v41, v28, vcc_lo
	v_add_co_u32 v34, vcc_lo, v34, 1
	v_add_co_ci_u32_e32 v35, vcc_lo, 0, v35, vcc_lo
	s_delay_alu instid0(VALU_DEP_4) | instskip(NEXT) | instid1(VALU_DEP_4)
	v_cndmask_b32_e64 v41, v40, v31, s0
	v_cndmask_b32_e64 v40, v42, v30, s0
	s_waitcnt lgkmcnt(0)
	s_delay_alu instid0(VALU_DEP_1) | instskip(SKIP_1) | instid1(VALU_DEP_1)
	v_fma_f64 v[32:33], v[40:41], v[38:39], v[32:33]
	v_add_nc_u32_e32 v38, -1, v34
	v_cmp_lt_u32_e32 vcc_lo, 8, v38
	s_or_b32 s2, vcc_lo, s2
	s_delay_alu instid0(SALU_CYCLE_1)
	s_and_not1_b32 exec_lo, exec_lo, s2
	s_cbranch_execnz .LBB14_65
; %bb.66:
	s_or_b32 exec_lo, exec_lo, s2
	v_mov_b32_e32 v22, 0
	ds_load_b64 v[22:23], v22 offset:80
	s_waitcnt lgkmcnt(0)
	v_mul_f64 v[22:23], v[32:33], v[22:23]
.LBB14_67:
	s_or_b32 exec_lo, exec_lo, s1
	s_delay_alu instid0(SALU_CYCLE_1)
	s_mov_b32 s1, exec_lo
	s_barrier
	buffer_gl0_inv
	ds_store_b64 v36, v[24:25]
	s_waitcnt lgkmcnt(0)
	s_barrier
	buffer_gl0_inv
	v_cmpx_gt_u32_e32 11, v0
	s_cbranch_execz .LBB14_71
; %bb.68:
	v_dual_mov_b32 v32, 0 :: v_dual_mov_b32 v35, v1
	v_lshl_add_u32 v37, v0, 3, 0x80
	v_dual_mov_b32 v33, 0 :: v_dual_mov_b32 v34, v0
	s_mov_b32 s2, 0
.LBB14_69:                              ; =>This Inner Loop Header: Depth=1
	s_delay_alu instid0(VALU_DEP_1) | instskip(SKIP_3) | instid1(VALU_DEP_2)
	v_cmp_eq_u32_e32 vcc_lo, 1, v34
	v_cmp_eq_u32_e64 s0, 2, v34
	v_dual_cndmask_b32 v38, v3, v5 :: v_dual_cndmask_b32 v39, v2, v4
	v_cmp_eq_u32_e32 vcc_lo, 3, v34
	v_cndmask_b32_e64 v38, v38, v7, s0
	s_delay_alu instid0(VALU_DEP_3) | instskip(SKIP_1) | instid1(VALU_DEP_2)
	v_cndmask_b32_e64 v39, v39, v6, s0
	v_cmp_eq_u32_e64 s0, 4, v34
	v_dual_cndmask_b32 v38, v38, v9 :: v_dual_cndmask_b32 v39, v39, v8
	v_cmp_eq_u32_e32 vcc_lo, 5, v34
	s_delay_alu instid0(VALU_DEP_2) | instskip(NEXT) | instid1(VALU_DEP_3)
	v_cndmask_b32_e64 v38, v38, v11, s0
	v_cndmask_b32_e64 v39, v39, v10, s0
	v_cmp_eq_u32_e64 s0, 6, v34
	s_delay_alu instid0(VALU_DEP_2) | instskip(SKIP_1) | instid1(VALU_DEP_2)
	v_dual_cndmask_b32 v38, v38, v13 :: v_dual_cndmask_b32 v39, v39, v12
	v_cmp_eq_u32_e32 vcc_lo, 7, v34
	v_cndmask_b32_e64 v38, v38, v15, s0
	s_delay_alu instid0(VALU_DEP_3) | instskip(SKIP_1) | instid1(VALU_DEP_2)
	v_cndmask_b32_e64 v39, v39, v14, s0
	v_cmp_eq_u32_e64 s0, 8, v34
	v_dual_cndmask_b32 v38, v38, v17 :: v_dual_cndmask_b32 v39, v39, v16
	v_cmp_eq_u32_e32 vcc_lo, 9, v34
	s_delay_alu instid0(VALU_DEP_2) | instskip(NEXT) | instid1(VALU_DEP_3)
	v_cndmask_b32_e64 v38, v38, v19, s0
	v_cndmask_b32_e64 v39, v39, v18, s0
	v_cmp_eq_u32_e64 s0, 10, v34
	s_delay_alu instid0(VALU_DEP_2) | instskip(SKIP_1) | instid1(VALU_DEP_2)
	v_dual_cndmask_b32 v38, v38, v21 :: v_dual_cndmask_b32 v39, v39, v20
	v_cmp_eq_u32_e32 vcc_lo, 11, v34
	v_cndmask_b32_e64 v40, v38, v23, s0
	s_delay_alu instid0(VALU_DEP_3)
	v_cndmask_b32_e64 v41, v39, v22, s0
	ds_load_b64 v[38:39], v37
	v_cmp_eq_u32_e64 s0, 12, v34
	v_add_nc_u32_e32 v37, 8, v37
	v_dual_cndmask_b32 v40, v40, v25 :: v_dual_cndmask_b32 v41, v41, v24
	v_cmp_eq_u32_e32 vcc_lo, 13, v34
	s_delay_alu instid0(VALU_DEP_2) | instskip(NEXT) | instid1(VALU_DEP_3)
	v_cndmask_b32_e64 v40, v40, v27, s0
	v_cndmask_b32_e64 v41, v41, v26, s0
	v_cmp_eq_u32_e64 s0, 14, v34
	s_delay_alu instid0(VALU_DEP_3) | instskip(NEXT) | instid1(VALU_DEP_3)
	v_cndmask_b32_e32 v40, v40, v29, vcc_lo
	v_cndmask_b32_e32 v42, v41, v28, vcc_lo
	v_add_co_u32 v34, vcc_lo, v34, 1
	v_add_co_ci_u32_e32 v35, vcc_lo, 0, v35, vcc_lo
	s_delay_alu instid0(VALU_DEP_4) | instskip(NEXT) | instid1(VALU_DEP_4)
	v_cndmask_b32_e64 v41, v40, v31, s0
	v_cndmask_b32_e64 v40, v42, v30, s0
	s_waitcnt lgkmcnt(0)
	s_delay_alu instid0(VALU_DEP_1) | instskip(SKIP_1) | instid1(VALU_DEP_1)
	v_fma_f64 v[32:33], v[40:41], v[38:39], v[32:33]
	v_add_nc_u32_e32 v38, -1, v34
	v_cmp_lt_u32_e32 vcc_lo, 9, v38
	s_or_b32 s2, vcc_lo, s2
	s_delay_alu instid0(SALU_CYCLE_1)
	s_and_not1_b32 exec_lo, exec_lo, s2
	s_cbranch_execnz .LBB14_69
; %bb.70:
	s_or_b32 exec_lo, exec_lo, s2
	v_mov_b32_e32 v24, 0
	ds_load_b64 v[24:25], v24 offset:88
	s_waitcnt lgkmcnt(0)
	v_mul_f64 v[24:25], v[32:33], v[24:25]
.LBB14_71:
	s_or_b32 exec_lo, exec_lo, s1
	s_delay_alu instid0(SALU_CYCLE_1)
	s_mov_b32 s1, exec_lo
	s_barrier
	buffer_gl0_inv
	ds_store_b64 v36, v[26:27]
	s_waitcnt lgkmcnt(0)
	s_barrier
	buffer_gl0_inv
	v_cmpx_gt_u32_e32 12, v0
	s_cbranch_execz .LBB14_75
; %bb.72:
	v_dual_mov_b32 v32, 0 :: v_dual_mov_b32 v35, v1
	v_lshl_add_u32 v37, v0, 3, 0x80
	v_dual_mov_b32 v33, 0 :: v_dual_mov_b32 v34, v0
	s_mov_b32 s2, 0
.LBB14_73:                              ; =>This Inner Loop Header: Depth=1
	s_delay_alu instid0(VALU_DEP_1) | instskip(SKIP_3) | instid1(VALU_DEP_2)
	v_cmp_eq_u32_e32 vcc_lo, 1, v34
	v_cmp_eq_u32_e64 s0, 2, v34
	v_dual_cndmask_b32 v38, v3, v5 :: v_dual_cndmask_b32 v39, v2, v4
	v_cmp_eq_u32_e32 vcc_lo, 3, v34
	v_cndmask_b32_e64 v38, v38, v7, s0
	s_delay_alu instid0(VALU_DEP_3) | instskip(SKIP_1) | instid1(VALU_DEP_2)
	v_cndmask_b32_e64 v39, v39, v6, s0
	v_cmp_eq_u32_e64 s0, 4, v34
	v_dual_cndmask_b32 v38, v38, v9 :: v_dual_cndmask_b32 v39, v39, v8
	v_cmp_eq_u32_e32 vcc_lo, 5, v34
	s_delay_alu instid0(VALU_DEP_2) | instskip(NEXT) | instid1(VALU_DEP_3)
	v_cndmask_b32_e64 v38, v38, v11, s0
	v_cndmask_b32_e64 v39, v39, v10, s0
	v_cmp_eq_u32_e64 s0, 6, v34
	s_delay_alu instid0(VALU_DEP_2) | instskip(SKIP_1) | instid1(VALU_DEP_2)
	v_dual_cndmask_b32 v38, v38, v13 :: v_dual_cndmask_b32 v39, v39, v12
	v_cmp_eq_u32_e32 vcc_lo, 7, v34
	v_cndmask_b32_e64 v38, v38, v15, s0
	s_delay_alu instid0(VALU_DEP_3) | instskip(SKIP_1) | instid1(VALU_DEP_2)
	v_cndmask_b32_e64 v39, v39, v14, s0
	v_cmp_eq_u32_e64 s0, 8, v34
	v_dual_cndmask_b32 v38, v38, v17 :: v_dual_cndmask_b32 v39, v39, v16
	v_cmp_eq_u32_e32 vcc_lo, 9, v34
	s_delay_alu instid0(VALU_DEP_2) | instskip(NEXT) | instid1(VALU_DEP_3)
	v_cndmask_b32_e64 v38, v38, v19, s0
	v_cndmask_b32_e64 v39, v39, v18, s0
	v_cmp_eq_u32_e64 s0, 10, v34
	s_delay_alu instid0(VALU_DEP_2) | instskip(SKIP_1) | instid1(VALU_DEP_2)
	v_dual_cndmask_b32 v38, v38, v21 :: v_dual_cndmask_b32 v39, v39, v20
	v_cmp_eq_u32_e32 vcc_lo, 11, v34
	v_cndmask_b32_e64 v40, v38, v23, s0
	s_delay_alu instid0(VALU_DEP_3)
	v_cndmask_b32_e64 v41, v39, v22, s0
	ds_load_b64 v[38:39], v37
	v_cmp_eq_u32_e64 s0, 12, v34
	v_add_nc_u32_e32 v37, 8, v37
	v_dual_cndmask_b32 v40, v40, v25 :: v_dual_cndmask_b32 v41, v41, v24
	v_cmp_eq_u32_e32 vcc_lo, 13, v34
	s_delay_alu instid0(VALU_DEP_2) | instskip(NEXT) | instid1(VALU_DEP_3)
	v_cndmask_b32_e64 v40, v40, v27, s0
	v_cndmask_b32_e64 v41, v41, v26, s0
	v_cmp_eq_u32_e64 s0, 14, v34
	s_delay_alu instid0(VALU_DEP_3) | instskip(NEXT) | instid1(VALU_DEP_3)
	v_cndmask_b32_e32 v40, v40, v29, vcc_lo
	v_cndmask_b32_e32 v42, v41, v28, vcc_lo
	v_add_co_u32 v34, vcc_lo, v34, 1
	v_add_co_ci_u32_e32 v35, vcc_lo, 0, v35, vcc_lo
	s_delay_alu instid0(VALU_DEP_4) | instskip(NEXT) | instid1(VALU_DEP_4)
	v_cndmask_b32_e64 v41, v40, v31, s0
	v_cndmask_b32_e64 v40, v42, v30, s0
	s_waitcnt lgkmcnt(0)
	s_delay_alu instid0(VALU_DEP_1) | instskip(SKIP_1) | instid1(VALU_DEP_1)
	v_fma_f64 v[32:33], v[40:41], v[38:39], v[32:33]
	v_add_nc_u32_e32 v38, -1, v34
	v_cmp_lt_u32_e32 vcc_lo, 10, v38
	s_or_b32 s2, vcc_lo, s2
	s_delay_alu instid0(SALU_CYCLE_1)
	s_and_not1_b32 exec_lo, exec_lo, s2
	s_cbranch_execnz .LBB14_73
; %bb.74:
	s_or_b32 exec_lo, exec_lo, s2
	v_mov_b32_e32 v26, 0
	ds_load_b64 v[26:27], v26 offset:96
	s_waitcnt lgkmcnt(0)
	v_mul_f64 v[26:27], v[32:33], v[26:27]
.LBB14_75:
	s_or_b32 exec_lo, exec_lo, s1
	s_delay_alu instid0(SALU_CYCLE_1)
	s_mov_b32 s1, exec_lo
	s_barrier
	buffer_gl0_inv
	ds_store_b64 v36, v[28:29]
	s_waitcnt lgkmcnt(0)
	s_barrier
	buffer_gl0_inv
	v_cmpx_gt_u32_e32 13, v0
	s_cbranch_execz .LBB14_79
; %bb.76:
	v_dual_mov_b32 v32, 0 :: v_dual_mov_b32 v35, v1
	v_lshl_add_u32 v37, v0, 3, 0x80
	v_dual_mov_b32 v33, 0 :: v_dual_mov_b32 v34, v0
	s_mov_b32 s2, 0
.LBB14_77:                              ; =>This Inner Loop Header: Depth=1
	s_delay_alu instid0(VALU_DEP_1) | instskip(SKIP_3) | instid1(VALU_DEP_2)
	v_cmp_eq_u32_e32 vcc_lo, 1, v34
	v_cmp_eq_u32_e64 s0, 2, v34
	v_dual_cndmask_b32 v38, v3, v5 :: v_dual_cndmask_b32 v39, v2, v4
	v_cmp_eq_u32_e32 vcc_lo, 3, v34
	v_cndmask_b32_e64 v38, v38, v7, s0
	s_delay_alu instid0(VALU_DEP_3) | instskip(SKIP_1) | instid1(VALU_DEP_2)
	v_cndmask_b32_e64 v39, v39, v6, s0
	v_cmp_eq_u32_e64 s0, 4, v34
	v_dual_cndmask_b32 v38, v38, v9 :: v_dual_cndmask_b32 v39, v39, v8
	v_cmp_eq_u32_e32 vcc_lo, 5, v34
	s_delay_alu instid0(VALU_DEP_2) | instskip(NEXT) | instid1(VALU_DEP_3)
	v_cndmask_b32_e64 v38, v38, v11, s0
	v_cndmask_b32_e64 v39, v39, v10, s0
	v_cmp_eq_u32_e64 s0, 6, v34
	s_delay_alu instid0(VALU_DEP_2) | instskip(SKIP_1) | instid1(VALU_DEP_2)
	v_dual_cndmask_b32 v38, v38, v13 :: v_dual_cndmask_b32 v39, v39, v12
	v_cmp_eq_u32_e32 vcc_lo, 7, v34
	v_cndmask_b32_e64 v38, v38, v15, s0
	s_delay_alu instid0(VALU_DEP_3) | instskip(SKIP_1) | instid1(VALU_DEP_2)
	v_cndmask_b32_e64 v39, v39, v14, s0
	v_cmp_eq_u32_e64 s0, 8, v34
	v_dual_cndmask_b32 v38, v38, v17 :: v_dual_cndmask_b32 v39, v39, v16
	v_cmp_eq_u32_e32 vcc_lo, 9, v34
	s_delay_alu instid0(VALU_DEP_2) | instskip(NEXT) | instid1(VALU_DEP_3)
	v_cndmask_b32_e64 v38, v38, v19, s0
	v_cndmask_b32_e64 v39, v39, v18, s0
	v_cmp_eq_u32_e64 s0, 10, v34
	s_delay_alu instid0(VALU_DEP_2) | instskip(SKIP_1) | instid1(VALU_DEP_2)
	v_dual_cndmask_b32 v38, v38, v21 :: v_dual_cndmask_b32 v39, v39, v20
	v_cmp_eq_u32_e32 vcc_lo, 11, v34
	v_cndmask_b32_e64 v40, v38, v23, s0
	s_delay_alu instid0(VALU_DEP_3)
	v_cndmask_b32_e64 v41, v39, v22, s0
	ds_load_b64 v[38:39], v37
	v_cmp_eq_u32_e64 s0, 12, v34
	v_add_nc_u32_e32 v37, 8, v37
	v_dual_cndmask_b32 v40, v40, v25 :: v_dual_cndmask_b32 v41, v41, v24
	v_cmp_eq_u32_e32 vcc_lo, 13, v34
	s_delay_alu instid0(VALU_DEP_2) | instskip(NEXT) | instid1(VALU_DEP_3)
	v_cndmask_b32_e64 v40, v40, v27, s0
	v_cndmask_b32_e64 v41, v41, v26, s0
	v_cmp_eq_u32_e64 s0, 14, v34
	s_delay_alu instid0(VALU_DEP_3) | instskip(NEXT) | instid1(VALU_DEP_3)
	v_cndmask_b32_e32 v40, v40, v29, vcc_lo
	v_cndmask_b32_e32 v42, v41, v28, vcc_lo
	v_add_co_u32 v34, vcc_lo, v34, 1
	v_add_co_ci_u32_e32 v35, vcc_lo, 0, v35, vcc_lo
	s_delay_alu instid0(VALU_DEP_4) | instskip(NEXT) | instid1(VALU_DEP_4)
	v_cndmask_b32_e64 v41, v40, v31, s0
	v_cndmask_b32_e64 v40, v42, v30, s0
	s_waitcnt lgkmcnt(0)
	s_delay_alu instid0(VALU_DEP_1) | instskip(SKIP_1) | instid1(VALU_DEP_1)
	v_fma_f64 v[32:33], v[40:41], v[38:39], v[32:33]
	v_add_nc_u32_e32 v38, -1, v34
	v_cmp_lt_u32_e32 vcc_lo, 11, v38
	s_or_b32 s2, vcc_lo, s2
	s_delay_alu instid0(SALU_CYCLE_1)
	s_and_not1_b32 exec_lo, exec_lo, s2
	s_cbranch_execnz .LBB14_77
; %bb.78:
	s_or_b32 exec_lo, exec_lo, s2
	v_mov_b32_e32 v28, 0
	ds_load_b64 v[28:29], v28 offset:104
	s_waitcnt lgkmcnt(0)
	v_mul_f64 v[28:29], v[32:33], v[28:29]
.LBB14_79:
	s_or_b32 exec_lo, exec_lo, s1
	s_delay_alu instid0(SALU_CYCLE_1)
	s_mov_b32 s1, exec_lo
	s_barrier
	buffer_gl0_inv
	ds_store_b64 v36, v[30:31]
	s_waitcnt lgkmcnt(0)
	s_barrier
	buffer_gl0_inv
	v_cmpx_ne_u32_e32 14, v0
	s_cbranch_execz .LBB14_83
; %bb.80:
	v_dual_mov_b32 v32, 0 :: v_dual_mov_b32 v35, v1
	v_lshl_add_u32 v36, v0, 3, 0x80
	v_dual_mov_b32 v33, 0 :: v_dual_mov_b32 v34, v0
	s_mov_b32 s2, 0
.LBB14_81:                              ; =>This Inner Loop Header: Depth=1
	s_delay_alu instid0(VALU_DEP_1) | instskip(SKIP_4) | instid1(VALU_DEP_3)
	v_cmp_eq_u32_e32 vcc_lo, 1, v34
	v_cmp_eq_u32_e64 s0, 2, v34
	v_cndmask_b32_e32 v1, v3, v5, vcc_lo
	v_cndmask_b32_e32 v37, v2, v4, vcc_lo
	v_cmp_eq_u32_e32 vcc_lo, 3, v34
	v_cndmask_b32_e64 v1, v1, v7, s0
	s_delay_alu instid0(VALU_DEP_3) | instskip(SKIP_1) | instid1(VALU_DEP_3)
	v_cndmask_b32_e64 v37, v37, v6, s0
	v_cmp_eq_u32_e64 s0, 4, v34
	v_cndmask_b32_e32 v1, v1, v9, vcc_lo
	s_delay_alu instid0(VALU_DEP_3) | instskip(SKIP_1) | instid1(VALU_DEP_3)
	v_cndmask_b32_e32 v37, v37, v8, vcc_lo
	v_cmp_eq_u32_e32 vcc_lo, 5, v34
	v_cndmask_b32_e64 v1, v1, v11, s0
	s_delay_alu instid0(VALU_DEP_3) | instskip(SKIP_1) | instid1(VALU_DEP_3)
	v_cndmask_b32_e64 v37, v37, v10, s0
	v_cmp_eq_u32_e64 s0, 6, v34
	v_cndmask_b32_e32 v1, v1, v13, vcc_lo
	s_delay_alu instid0(VALU_DEP_3) | instskip(SKIP_1) | instid1(VALU_DEP_3)
	;; [unrolled: 8-line block ×4, first 2 shown]
	v_cndmask_b32_e32 v37, v37, v20, vcc_lo
	v_cmp_eq_u32_e32 vcc_lo, 11, v34
	v_cndmask_b32_e64 v1, v1, v23, s0
	s_delay_alu instid0(VALU_DEP_3)
	v_cndmask_b32_e64 v39, v37, v22, s0
	ds_load_b64 v[37:38], v36
	v_add_nc_u32_e32 v36, 8, v36
	v_cmp_eq_u32_e64 s0, 12, v34
	v_cndmask_b32_e32 v1, v1, v25, vcc_lo
	v_cndmask_b32_e32 v39, v39, v24, vcc_lo
	v_cmp_eq_u32_e32 vcc_lo, 13, v34
	s_delay_alu instid0(VALU_DEP_3) | instskip(NEXT) | instid1(VALU_DEP_3)
	v_cndmask_b32_e64 v1, v1, v27, s0
	v_cndmask_b32_e64 v39, v39, v26, s0
	v_cmp_eq_u32_e64 s0, 14, v34
	s_delay_alu instid0(VALU_DEP_3) | instskip(NEXT) | instid1(VALU_DEP_3)
	v_cndmask_b32_e32 v1, v1, v29, vcc_lo
	v_cndmask_b32_e32 v39, v39, v28, vcc_lo
	v_add_co_u32 v34, vcc_lo, v34, 1
	v_add_co_ci_u32_e32 v35, vcc_lo, 0, v35, vcc_lo
	s_delay_alu instid0(VALU_DEP_4) | instskip(NEXT) | instid1(VALU_DEP_4)
	v_cndmask_b32_e64 v40, v1, v31, s0
	v_cndmask_b32_e64 v39, v39, v30, s0
	s_delay_alu instid0(VALU_DEP_4) | instskip(SKIP_1) | instid1(VALU_DEP_2)
	v_add_nc_u32_e32 v1, -1, v34
	s_waitcnt lgkmcnt(0)
	v_fma_f64 v[32:33], v[39:40], v[37:38], v[32:33]
	s_delay_alu instid0(VALU_DEP_2) | instskip(SKIP_1) | instid1(SALU_CYCLE_1)
	v_cmp_lt_u32_e32 vcc_lo, 12, v1
	s_or_b32 s2, vcc_lo, s2
	s_and_not1_b32 exec_lo, exec_lo, s2
	s_cbranch_execnz .LBB14_81
; %bb.82:
	s_or_b32 exec_lo, exec_lo, s2
	v_mov_b32_e32 v1, 0
	ds_load_b64 v[30:31], v1 offset:112
	s_waitcnt lgkmcnt(0)
	v_mul_f64 v[30:31], v[32:33], v[30:31]
.LBB14_83:
	s_or_b32 exec_lo, exec_lo, s1
	s_barrier
	buffer_gl0_inv
	s_cbranch_execnz .LBB14_15
	s_branch .LBB14_16
.LBB14_84:
	v_lshl_add_u32 v1, v0, 3, 0x80
	s_mov_b32 s0, exec_lo
	v_cmpx_eq_u32_e32 14, v0
	s_cbranch_execz .LBB14_86
; %bb.85:
	v_dual_mov_b32 v58, 0 :: v_dual_mov_b32 v33, v3
	v_dual_mov_b32 v32, v2 :: v_dual_mov_b32 v35, v5
	;; [unrolled: 1-line block ×14, first 2 shown]
	v_mov_b32_e32 v59, v58
	v_mov_b32_e32 v60, v30
	ds_store_b64 v1, v[28:29]
	v_mov_b32_e32 v2, v32
	v_dual_mov_b32 v3, v33 :: v_dual_mov_b32 v4, v34
	v_dual_mov_b32 v5, v35 :: v_dual_mov_b32 v6, v36
	v_dual_mov_b32 v7, v37 :: v_dual_mov_b32 v8, v38
	v_dual_mov_b32 v9, v39 :: v_dual_mov_b32 v10, v40
	v_dual_mov_b32 v11, v41 :: v_dual_mov_b32 v12, v42
	v_dual_mov_b32 v13, v43 :: v_dual_mov_b32 v14, v44
	v_dual_mov_b32 v15, v45 :: v_dual_mov_b32 v16, v46
	v_dual_mov_b32 v17, v47 :: v_dual_mov_b32 v18, v48
	v_dual_mov_b32 v19, v49 :: v_dual_mov_b32 v20, v50
	v_dual_mov_b32 v21, v51 :: v_dual_mov_b32 v22, v52
	v_dual_mov_b32 v23, v53 :: v_dual_mov_b32 v24, v54
	v_dual_mov_b32 v25, v55 :: v_dual_mov_b32 v26, v56
	v_dual_mov_b32 v27, v57 :: v_dual_mov_b32 v28, v58
	v_dual_mov_b32 v29, v59 :: v_dual_mov_b32 v30, v60
	v_dual_mov_b32 v31, v61 :: v_dual_mov_b32 v32, v62
	v_mov_b32_e32 v33, v63
.LBB14_86:
	s_or_b32 exec_lo, exec_lo, s0
	v_mov_b32_e32 v56, 0
	s_waitcnt lgkmcnt(0)
	s_waitcnt_vscnt null, 0x0
	s_barrier
	buffer_gl0_inv
	s_mov_b32 s0, exec_lo
	ds_load_b64 v[32:33], v56 offset:240
	s_waitcnt lgkmcnt(0)
	v_fma_f64 v[32:33], v[30:31], v[32:33], 0
	s_delay_alu instid0(VALU_DEP_1)
	v_add_f64 v[28:29], v[28:29], -v[32:33]
	v_cmpx_lt_u32_e32 12, v0
	s_cbranch_execz .LBB14_88
; %bb.87:
	v_dual_mov_b32 v32, v2 :: v_dual_mov_b32 v33, v3
	v_dual_mov_b32 v34, v4 :: v_dual_mov_b32 v35, v5
	;; [unrolled: 1-line block ×14, first 2 shown]
	v_mov_b32_e32 v61, v31
	ds_store_b64 v1, v[26:27]
	v_mov_b32_e32 v2, v32
	v_dual_mov_b32 v3, v33 :: v_dual_mov_b32 v4, v34
	v_dual_mov_b32 v5, v35 :: v_dual_mov_b32 v6, v36
	;; [unrolled: 1-line block ×15, first 2 shown]
	v_mov_b32_e32 v33, v63
.LBB14_88:
	s_or_b32 exec_lo, exec_lo, s0
	s_waitcnt lgkmcnt(0)
	s_barrier
	buffer_gl0_inv
	ds_load_2addr_b64 v[32:35], v56 offset0:29 offset1:30
	s_mov_b32 s0, exec_lo
	s_waitcnt lgkmcnt(0)
	v_fma_f64 v[32:33], v[28:29], v[32:33], 0
	s_delay_alu instid0(VALU_DEP_1) | instskip(NEXT) | instid1(VALU_DEP_1)
	v_fma_f64 v[32:33], v[30:31], v[34:35], v[32:33]
	v_add_f64 v[26:27], v[26:27], -v[32:33]
	v_cmpx_lt_u32_e32 11, v0
	s_cbranch_execz .LBB14_90
; %bb.89:
	v_dual_mov_b32 v54, 0 :: v_dual_mov_b32 v33, v3
	v_dual_mov_b32 v32, v2 :: v_dual_mov_b32 v35, v5
	;; [unrolled: 1-line block ×15, first 2 shown]
	ds_store_b64 v1, v[24:25]
	v_mov_b32_e32 v2, v32
	v_dual_mov_b32 v3, v33 :: v_dual_mov_b32 v4, v34
	v_dual_mov_b32 v5, v35 :: v_dual_mov_b32 v6, v36
	;; [unrolled: 1-line block ×15, first 2 shown]
	v_mov_b32_e32 v33, v63
.LBB14_90:
	s_or_b32 exec_lo, exec_lo, s0
	v_mov_b32_e32 v52, 0
	s_waitcnt lgkmcnt(0)
	s_barrier
	buffer_gl0_inv
	s_mov_b32 s0, exec_lo
	ds_load_b128 v[32:35], v52 offset:224
	ds_load_b64 v[36:37], v52 offset:240
	s_waitcnt lgkmcnt(1)
	v_fma_f64 v[32:33], v[26:27], v[32:33], 0
	s_delay_alu instid0(VALU_DEP_1) | instskip(SKIP_1) | instid1(VALU_DEP_1)
	v_fma_f64 v[32:33], v[28:29], v[34:35], v[32:33]
	s_waitcnt lgkmcnt(0)
	v_fma_f64 v[32:33], v[30:31], v[36:37], v[32:33]
	s_delay_alu instid0(VALU_DEP_1)
	v_add_f64 v[24:25], v[24:25], -v[32:33]
	v_cmpx_lt_u32_e32 10, v0
	s_cbranch_execz .LBB14_92
; %bb.91:
	v_dual_mov_b32 v32, v2 :: v_dual_mov_b32 v33, v3
	v_dual_mov_b32 v34, v4 :: v_dual_mov_b32 v35, v5
	v_dual_mov_b32 v36, v6 :: v_dual_mov_b32 v37, v7
	v_dual_mov_b32 v38, v8 :: v_dual_mov_b32 v39, v9
	v_dual_mov_b32 v40, v10 :: v_dual_mov_b32 v41, v11
	v_dual_mov_b32 v42, v12 :: v_dual_mov_b32 v43, v13
	v_dual_mov_b32 v44, v14 :: v_dual_mov_b32 v45, v15
	v_dual_mov_b32 v46, v16 :: v_dual_mov_b32 v47, v17
	v_dual_mov_b32 v48, v18 :: v_dual_mov_b32 v49, v19
	v_dual_mov_b32 v50, v20 :: v_dual_mov_b32 v51, v21
	v_dual_mov_b32 v53, v52 :: v_dual_mov_b32 v56, v26
	v_dual_mov_b32 v54, v24 :: v_dual_mov_b32 v55, v25
	v_dual_mov_b32 v57, v27 :: v_dual_mov_b32 v58, v28
	v_dual_mov_b32 v59, v29 :: v_dual_mov_b32 v60, v30
	v_mov_b32_e32 v61, v31
	ds_store_b64 v1, v[22:23]
	v_mov_b32_e32 v2, v32
	v_dual_mov_b32 v3, v33 :: v_dual_mov_b32 v4, v34
	v_dual_mov_b32 v5, v35 :: v_dual_mov_b32 v6, v36
	;; [unrolled: 1-line block ×15, first 2 shown]
	v_mov_b32_e32 v33, v63
.LBB14_92:
	s_or_b32 exec_lo, exec_lo, s0
	s_waitcnt lgkmcnt(0)
	s_barrier
	buffer_gl0_inv
	ds_load_2addr_b64 v[32:35], v52 offset0:27 offset1:28
	ds_load_2addr_b64 v[36:39], v52 offset0:29 offset1:30
	s_mov_b32 s0, exec_lo
	s_waitcnt lgkmcnt(1)
	v_fma_f64 v[32:33], v[24:25], v[32:33], 0
	s_delay_alu instid0(VALU_DEP_1) | instskip(SKIP_1) | instid1(VALU_DEP_1)
	v_fma_f64 v[32:33], v[26:27], v[34:35], v[32:33]
	s_waitcnt lgkmcnt(0)
	v_fma_f64 v[32:33], v[28:29], v[36:37], v[32:33]
	s_delay_alu instid0(VALU_DEP_1) | instskip(NEXT) | instid1(VALU_DEP_1)
	v_fma_f64 v[32:33], v[30:31], v[38:39], v[32:33]
	v_add_f64 v[22:23], v[22:23], -v[32:33]
	v_cmpx_lt_u32_e32 9, v0
	s_cbranch_execz .LBB14_94
; %bb.93:
	v_dual_mov_b32 v50, 0 :: v_dual_mov_b32 v33, v3
	v_dual_mov_b32 v32, v2 :: v_dual_mov_b32 v35, v5
	;; [unrolled: 1-line block ×15, first 2 shown]
	ds_store_b64 v1, v[20:21]
	v_mov_b32_e32 v2, v32
	v_dual_mov_b32 v3, v33 :: v_dual_mov_b32 v4, v34
	v_dual_mov_b32 v5, v35 :: v_dual_mov_b32 v6, v36
	;; [unrolled: 1-line block ×15, first 2 shown]
	v_mov_b32_e32 v33, v63
.LBB14_94:
	s_or_b32 exec_lo, exec_lo, s0
	v_mov_b32_e32 v48, 0
	s_waitcnt lgkmcnt(0)
	s_barrier
	buffer_gl0_inv
	s_mov_b32 s0, exec_lo
	ds_load_b128 v[32:35], v48 offset:208
	ds_load_b128 v[36:39], v48 offset:224
	s_waitcnt lgkmcnt(1)
	v_fma_f64 v[32:33], v[22:23], v[32:33], 0
	s_delay_alu instid0(VALU_DEP_1) | instskip(SKIP_3) | instid1(VALU_DEP_1)
	v_fma_f64 v[32:33], v[24:25], v[34:35], v[32:33]
	ds_load_b64 v[34:35], v48 offset:240
	s_waitcnt lgkmcnt(1)
	v_fma_f64 v[32:33], v[26:27], v[36:37], v[32:33]
	v_fma_f64 v[32:33], v[28:29], v[38:39], v[32:33]
	s_waitcnt lgkmcnt(0)
	s_delay_alu instid0(VALU_DEP_1) | instskip(NEXT) | instid1(VALU_DEP_1)
	v_fma_f64 v[32:33], v[30:31], v[34:35], v[32:33]
	v_add_f64 v[20:21], v[20:21], -v[32:33]
	v_cmpx_lt_u32_e32 8, v0
	s_cbranch_execz .LBB14_96
; %bb.95:
	v_dual_mov_b32 v32, v2 :: v_dual_mov_b32 v33, v3
	v_dual_mov_b32 v34, v4 :: v_dual_mov_b32 v35, v5
	;; [unrolled: 1-line block ×14, first 2 shown]
	v_mov_b32_e32 v61, v31
	ds_store_b64 v1, v[18:19]
	v_mov_b32_e32 v2, v32
	v_dual_mov_b32 v3, v33 :: v_dual_mov_b32 v4, v34
	v_dual_mov_b32 v5, v35 :: v_dual_mov_b32 v6, v36
	v_dual_mov_b32 v7, v37 :: v_dual_mov_b32 v8, v38
	v_dual_mov_b32 v9, v39 :: v_dual_mov_b32 v10, v40
	v_dual_mov_b32 v11, v41 :: v_dual_mov_b32 v12, v42
	v_dual_mov_b32 v13, v43 :: v_dual_mov_b32 v14, v44
	v_dual_mov_b32 v15, v45 :: v_dual_mov_b32 v16, v46
	v_dual_mov_b32 v17, v47 :: v_dual_mov_b32 v18, v48
	v_dual_mov_b32 v19, v49 :: v_dual_mov_b32 v20, v50
	v_dual_mov_b32 v21, v51 :: v_dual_mov_b32 v22, v52
	v_dual_mov_b32 v23, v53 :: v_dual_mov_b32 v24, v54
	v_dual_mov_b32 v25, v55 :: v_dual_mov_b32 v26, v56
	v_dual_mov_b32 v27, v57 :: v_dual_mov_b32 v28, v58
	v_dual_mov_b32 v29, v59 :: v_dual_mov_b32 v30, v60
	v_dual_mov_b32 v31, v61 :: v_dual_mov_b32 v32, v62
	v_mov_b32_e32 v33, v63
.LBB14_96:
	s_or_b32 exec_lo, exec_lo, s0
	s_waitcnt lgkmcnt(0)
	s_barrier
	buffer_gl0_inv
	ds_load_2addr_b64 v[32:35], v48 offset0:25 offset1:26
	ds_load_2addr_b64 v[36:39], v48 offset0:27 offset1:28
	s_mov_b32 s0, exec_lo
	s_waitcnt lgkmcnt(1)
	v_fma_f64 v[32:33], v[20:21], v[32:33], 0
	s_delay_alu instid0(VALU_DEP_1) | instskip(SKIP_1) | instid1(VALU_DEP_1)
	v_fma_f64 v[32:33], v[22:23], v[34:35], v[32:33]
	s_waitcnt lgkmcnt(0)
	v_fma_f64 v[32:33], v[24:25], v[36:37], v[32:33]
	s_delay_alu instid0(VALU_DEP_1) | instskip(SKIP_3) | instid1(VALU_DEP_1)
	v_fma_f64 v[36:37], v[26:27], v[38:39], v[32:33]
	ds_load_2addr_b64 v[32:35], v48 offset0:29 offset1:30
	s_waitcnt lgkmcnt(0)
	v_fma_f64 v[32:33], v[28:29], v[32:33], v[36:37]
	v_fma_f64 v[32:33], v[30:31], v[34:35], v[32:33]
	s_delay_alu instid0(VALU_DEP_1)
	v_add_f64 v[18:19], v[18:19], -v[32:33]
	v_cmpx_lt_u32_e32 7, v0
	s_cbranch_execz .LBB14_98
; %bb.97:
	v_dual_mov_b32 v46, 0 :: v_dual_mov_b32 v33, v3
	v_dual_mov_b32 v32, v2 :: v_dual_mov_b32 v35, v5
	;; [unrolled: 1-line block ×15, first 2 shown]
	ds_store_b64 v1, v[16:17]
	v_mov_b32_e32 v2, v32
	v_dual_mov_b32 v3, v33 :: v_dual_mov_b32 v4, v34
	v_dual_mov_b32 v5, v35 :: v_dual_mov_b32 v6, v36
	v_dual_mov_b32 v7, v37 :: v_dual_mov_b32 v8, v38
	v_dual_mov_b32 v9, v39 :: v_dual_mov_b32 v10, v40
	v_dual_mov_b32 v11, v41 :: v_dual_mov_b32 v12, v42
	v_dual_mov_b32 v13, v43 :: v_dual_mov_b32 v14, v44
	v_dual_mov_b32 v15, v45 :: v_dual_mov_b32 v16, v46
	v_dual_mov_b32 v17, v47 :: v_dual_mov_b32 v18, v48
	v_dual_mov_b32 v19, v49 :: v_dual_mov_b32 v20, v50
	v_dual_mov_b32 v21, v51 :: v_dual_mov_b32 v22, v52
	v_dual_mov_b32 v23, v53 :: v_dual_mov_b32 v24, v54
	v_dual_mov_b32 v25, v55 :: v_dual_mov_b32 v26, v56
	v_dual_mov_b32 v27, v57 :: v_dual_mov_b32 v28, v58
	v_dual_mov_b32 v29, v59 :: v_dual_mov_b32 v30, v60
	v_dual_mov_b32 v31, v61 :: v_dual_mov_b32 v32, v62
	v_mov_b32_e32 v33, v63
.LBB14_98:
	s_or_b32 exec_lo, exec_lo, s0
	v_mov_b32_e32 v44, 0
	s_waitcnt lgkmcnt(0)
	s_barrier
	buffer_gl0_inv
	s_mov_b32 s0, exec_lo
	ds_load_b128 v[32:35], v44 offset:192
	ds_load_b128 v[36:39], v44 offset:208
	s_waitcnt lgkmcnt(1)
	v_fma_f64 v[32:33], v[18:19], v[32:33], 0
	s_delay_alu instid0(VALU_DEP_1) | instskip(SKIP_1) | instid1(VALU_DEP_1)
	v_fma_f64 v[32:33], v[20:21], v[34:35], v[32:33]
	s_waitcnt lgkmcnt(0)
	v_fma_f64 v[32:33], v[22:23], v[36:37], v[32:33]
	s_delay_alu instid0(VALU_DEP_1) | instskip(SKIP_4) | instid1(VALU_DEP_1)
	v_fma_f64 v[36:37], v[24:25], v[38:39], v[32:33]
	ds_load_b128 v[32:35], v44 offset:224
	ds_load_b64 v[38:39], v44 offset:240
	s_waitcnt lgkmcnt(1)
	v_fma_f64 v[32:33], v[26:27], v[32:33], v[36:37]
	v_fma_f64 v[32:33], v[28:29], v[34:35], v[32:33]
	s_waitcnt lgkmcnt(0)
	s_delay_alu instid0(VALU_DEP_1) | instskip(NEXT) | instid1(VALU_DEP_1)
	v_fma_f64 v[32:33], v[30:31], v[38:39], v[32:33]
	v_add_f64 v[16:17], v[16:17], -v[32:33]
	v_cmpx_lt_u32_e32 6, v0
	s_cbranch_execz .LBB14_100
; %bb.99:
	v_dual_mov_b32 v32, v2 :: v_dual_mov_b32 v33, v3
	v_dual_mov_b32 v34, v4 :: v_dual_mov_b32 v35, v5
	;; [unrolled: 1-line block ×15, first 2 shown]
	v_mov_b32_e32 v63, v15
	v_mov_b32_e32 v2, v32
	v_dual_mov_b32 v3, v33 :: v_dual_mov_b32 v4, v34
	v_dual_mov_b32 v5, v35 :: v_dual_mov_b32 v6, v36
	;; [unrolled: 1-line block ×15, first 2 shown]
	v_mov_b32_e32 v33, v63
	ds_store_b64 v1, v[62:63]
.LBB14_100:
	s_or_b32 exec_lo, exec_lo, s0
	s_waitcnt lgkmcnt(0)
	s_barrier
	buffer_gl0_inv
	ds_load_2addr_b64 v[32:35], v44 offset0:23 offset1:24
	ds_load_2addr_b64 v[36:39], v44 offset0:25 offset1:26
	s_mov_b32 s0, exec_lo
	s_waitcnt lgkmcnt(1)
	v_fma_f64 v[32:33], v[16:17], v[32:33], 0
	s_delay_alu instid0(VALU_DEP_1) | instskip(SKIP_1) | instid1(VALU_DEP_1)
	v_fma_f64 v[32:33], v[18:19], v[34:35], v[32:33]
	s_waitcnt lgkmcnt(0)
	v_fma_f64 v[32:33], v[20:21], v[36:37], v[32:33]
	s_delay_alu instid0(VALU_DEP_1) | instskip(SKIP_4) | instid1(VALU_DEP_1)
	v_fma_f64 v[40:41], v[22:23], v[38:39], v[32:33]
	ds_load_2addr_b64 v[32:35], v44 offset0:27 offset1:28
	ds_load_2addr_b64 v[36:39], v44 offset0:29 offset1:30
	s_waitcnt lgkmcnt(1)
	v_fma_f64 v[32:33], v[24:25], v[32:33], v[40:41]
	v_fma_f64 v[32:33], v[26:27], v[34:35], v[32:33]
	s_waitcnt lgkmcnt(0)
	s_delay_alu instid0(VALU_DEP_1) | instskip(NEXT) | instid1(VALU_DEP_1)
	v_fma_f64 v[32:33], v[28:29], v[36:37], v[32:33]
	v_fma_f64 v[32:33], v[30:31], v[38:39], v[32:33]
	s_delay_alu instid0(VALU_DEP_1)
	v_add_f64 v[14:15], v[14:15], -v[32:33]
	v_cmpx_lt_u32_e32 5, v0
	s_cbranch_execz .LBB14_102
; %bb.101:
	v_dual_mov_b32 v42, 0 :: v_dual_mov_b32 v33, v3
	v_dual_mov_b32 v32, v2 :: v_dual_mov_b32 v35, v5
	s_delay_alu instid0(VALU_DEP_4)
	v_dual_mov_b32 v45, v15 :: v_dual_mov_b32 v44, v14
	v_dual_mov_b32 v34, v4 :: v_dual_mov_b32 v37, v7
	;; [unrolled: 1-line block ×14, first 2 shown]
	v_mov_b32_e32 v2, v32
	v_dual_mov_b32 v3, v33 :: v_dual_mov_b32 v4, v34
	v_dual_mov_b32 v5, v35 :: v_dual_mov_b32 v6, v36
	;; [unrolled: 1-line block ×15, first 2 shown]
	v_mov_b32_e32 v33, v63
	ds_store_b64 v1, v[62:63]
.LBB14_102:
	s_or_b32 exec_lo, exec_lo, s0
	v_mov_b32_e32 v40, 0
	s_waitcnt lgkmcnt(0)
	s_barrier
	buffer_gl0_inv
	s_mov_b32 s0, exec_lo
	ds_load_b128 v[32:35], v40 offset:176
	ds_load_b128 v[36:39], v40 offset:192
	s_waitcnt lgkmcnt(1)
	v_fma_f64 v[32:33], v[14:15], v[32:33], 0
	s_delay_alu instid0(VALU_DEP_1) | instskip(SKIP_1) | instid1(VALU_DEP_1)
	v_fma_f64 v[32:33], v[16:17], v[34:35], v[32:33]
	s_waitcnt lgkmcnt(0)
	v_fma_f64 v[32:33], v[18:19], v[36:37], v[32:33]
	s_delay_alu instid0(VALU_DEP_1) | instskip(SKIP_4) | instid1(VALU_DEP_1)
	v_fma_f64 v[41:42], v[20:21], v[38:39], v[32:33]
	ds_load_b128 v[32:35], v40 offset:208
	ds_load_b128 v[36:39], v40 offset:224
	s_waitcnt lgkmcnt(1)
	v_fma_f64 v[32:33], v[22:23], v[32:33], v[41:42]
	v_fma_f64 v[32:33], v[24:25], v[34:35], v[32:33]
	ds_load_b64 v[34:35], v40 offset:240
	s_waitcnt lgkmcnt(1)
	v_fma_f64 v[32:33], v[26:27], v[36:37], v[32:33]
	s_delay_alu instid0(VALU_DEP_1) | instskip(SKIP_1) | instid1(VALU_DEP_1)
	v_fma_f64 v[32:33], v[28:29], v[38:39], v[32:33]
	s_waitcnt lgkmcnt(0)
	v_fma_f64 v[32:33], v[30:31], v[34:35], v[32:33]
	s_delay_alu instid0(VALU_DEP_1)
	v_add_f64 v[12:13], v[12:13], -v[32:33]
	v_cmpx_lt_u32_e32 4, v0
	s_cbranch_execz .LBB14_104
; %bb.103:
	v_dual_mov_b32 v32, v2 :: v_dual_mov_b32 v33, v3
	s_delay_alu instid0(VALU_DEP_3)
	v_dual_mov_b32 v43, v13 :: v_dual_mov_b32 v42, v12
	v_dual_mov_b32 v34, v4 :: v_dual_mov_b32 v35, v5
	;; [unrolled: 1-line block ×14, first 2 shown]
	v_mov_b32_e32 v63, v11
	v_mov_b32_e32 v2, v32
	v_dual_mov_b32 v3, v33 :: v_dual_mov_b32 v4, v34
	v_dual_mov_b32 v5, v35 :: v_dual_mov_b32 v6, v36
	v_dual_mov_b32 v7, v37 :: v_dual_mov_b32 v8, v38
	v_dual_mov_b32 v9, v39 :: v_dual_mov_b32 v10, v40
	v_dual_mov_b32 v11, v41 :: v_dual_mov_b32 v12, v42
	v_dual_mov_b32 v13, v43 :: v_dual_mov_b32 v14, v44
	v_dual_mov_b32 v15, v45 :: v_dual_mov_b32 v16, v46
	v_dual_mov_b32 v17, v47 :: v_dual_mov_b32 v18, v48
	v_dual_mov_b32 v19, v49 :: v_dual_mov_b32 v20, v50
	v_dual_mov_b32 v21, v51 :: v_dual_mov_b32 v22, v52
	v_dual_mov_b32 v23, v53 :: v_dual_mov_b32 v24, v54
	v_dual_mov_b32 v25, v55 :: v_dual_mov_b32 v26, v56
	v_dual_mov_b32 v27, v57 :: v_dual_mov_b32 v28, v58
	v_dual_mov_b32 v29, v59 :: v_dual_mov_b32 v30, v60
	v_dual_mov_b32 v31, v61 :: v_dual_mov_b32 v32, v62
	v_mov_b32_e32 v33, v63
	ds_store_b64 v1, v[62:63]
.LBB14_104:
	s_or_b32 exec_lo, exec_lo, s0
	s_waitcnt lgkmcnt(0)
	s_barrier
	buffer_gl0_inv
	ds_load_2addr_b64 v[32:35], v40 offset0:21 offset1:22
	ds_load_2addr_b64 v[36:39], v40 offset0:23 offset1:24
	s_mov_b32 s0, exec_lo
	s_waitcnt lgkmcnt(1)
	v_fma_f64 v[32:33], v[12:13], v[32:33], 0
	s_delay_alu instid0(VALU_DEP_1) | instskip(SKIP_1) | instid1(VALU_DEP_1)
	v_fma_f64 v[32:33], v[14:15], v[34:35], v[32:33]
	s_waitcnt lgkmcnt(0)
	v_fma_f64 v[32:33], v[16:17], v[36:37], v[32:33]
	s_delay_alu instid0(VALU_DEP_1) | instskip(SKIP_4) | instid1(VALU_DEP_1)
	v_fma_f64 v[41:42], v[18:19], v[38:39], v[32:33]
	ds_load_2addr_b64 v[32:35], v40 offset0:25 offset1:26
	ds_load_2addr_b64 v[36:39], v40 offset0:27 offset1:28
	s_waitcnt lgkmcnt(1)
	v_fma_f64 v[32:33], v[20:21], v[32:33], v[41:42]
	v_fma_f64 v[32:33], v[22:23], v[34:35], v[32:33]
	s_waitcnt lgkmcnt(0)
	s_delay_alu instid0(VALU_DEP_1) | instskip(NEXT) | instid1(VALU_DEP_1)
	v_fma_f64 v[32:33], v[24:25], v[36:37], v[32:33]
	v_fma_f64 v[36:37], v[26:27], v[38:39], v[32:33]
	ds_load_2addr_b64 v[32:35], v40 offset0:29 offset1:30
	s_waitcnt lgkmcnt(0)
	v_fma_f64 v[32:33], v[28:29], v[32:33], v[36:37]
	s_delay_alu instid0(VALU_DEP_1) | instskip(NEXT) | instid1(VALU_DEP_1)
	v_fma_f64 v[32:33], v[30:31], v[34:35], v[32:33]
	v_add_f64 v[10:11], v[10:11], -v[32:33]
	v_cmpx_lt_u32_e32 3, v0
	s_cbranch_execz .LBB14_106
; %bb.105:
	v_dual_mov_b32 v38, 0 :: v_dual_mov_b32 v33, v3
	v_dual_mov_b32 v32, v2 :: v_dual_mov_b32 v35, v5
	s_delay_alu instid0(VALU_DEP_4)
	v_dual_mov_b32 v41, v11 :: v_dual_mov_b32 v40, v10
	v_dual_mov_b32 v34, v4 :: v_dual_mov_b32 v37, v7
	;; [unrolled: 1-line block ×14, first 2 shown]
	v_mov_b32_e32 v2, v32
	v_dual_mov_b32 v3, v33 :: v_dual_mov_b32 v4, v34
	v_dual_mov_b32 v5, v35 :: v_dual_mov_b32 v6, v36
	;; [unrolled: 1-line block ×15, first 2 shown]
	v_mov_b32_e32 v33, v63
	ds_store_b64 v1, v[62:63]
.LBB14_106:
	s_or_b32 exec_lo, exec_lo, s0
	v_mov_b32_e32 v36, 0
	s_waitcnt lgkmcnt(0)
	s_barrier
	buffer_gl0_inv
	s_mov_b32 s0, exec_lo
	ds_load_b128 v[32:35], v36 offset:160
	ds_load_b128 v[37:40], v36 offset:176
	s_waitcnt lgkmcnt(1)
	v_fma_f64 v[32:33], v[10:11], v[32:33], 0
	s_delay_alu instid0(VALU_DEP_1) | instskip(SKIP_1) | instid1(VALU_DEP_1)
	v_fma_f64 v[32:33], v[12:13], v[34:35], v[32:33]
	s_waitcnt lgkmcnt(0)
	v_fma_f64 v[32:33], v[14:15], v[37:38], v[32:33]
	s_delay_alu instid0(VALU_DEP_1) | instskip(SKIP_4) | instid1(VALU_DEP_1)
	v_fma_f64 v[41:42], v[16:17], v[39:40], v[32:33]
	ds_load_b128 v[32:35], v36 offset:192
	ds_load_b128 v[37:40], v36 offset:208
	s_waitcnt lgkmcnt(1)
	v_fma_f64 v[32:33], v[18:19], v[32:33], v[41:42]
	v_fma_f64 v[32:33], v[20:21], v[34:35], v[32:33]
	s_waitcnt lgkmcnt(0)
	s_delay_alu instid0(VALU_DEP_1) | instskip(NEXT) | instid1(VALU_DEP_1)
	v_fma_f64 v[32:33], v[22:23], v[37:38], v[32:33]
	v_fma_f64 v[37:38], v[24:25], v[39:40], v[32:33]
	ds_load_b128 v[32:35], v36 offset:224
	ds_load_b64 v[39:40], v36 offset:240
	s_waitcnt lgkmcnt(1)
	v_fma_f64 v[32:33], v[26:27], v[32:33], v[37:38]
	s_delay_alu instid0(VALU_DEP_1) | instskip(SKIP_1) | instid1(VALU_DEP_1)
	v_fma_f64 v[32:33], v[28:29], v[34:35], v[32:33]
	s_waitcnt lgkmcnt(0)
	v_fma_f64 v[32:33], v[30:31], v[39:40], v[32:33]
	s_delay_alu instid0(VALU_DEP_1)
	v_add_f64 v[8:9], v[8:9], -v[32:33]
	v_cmpx_lt_u32_e32 2, v0
	s_cbranch_execz .LBB14_108
; %bb.107:
	v_dual_mov_b32 v32, v2 :: v_dual_mov_b32 v33, v3
	s_delay_alu instid0(VALU_DEP_3)
	v_dual_mov_b32 v39, v9 :: v_dual_mov_b32 v38, v8
	v_dual_mov_b32 v34, v4 :: v_dual_mov_b32 v35, v5
	;; [unrolled: 1-line block ×14, first 2 shown]
	v_mov_b32_e32 v63, v7
	v_mov_b32_e32 v2, v32
	v_dual_mov_b32 v3, v33 :: v_dual_mov_b32 v4, v34
	v_dual_mov_b32 v5, v35 :: v_dual_mov_b32 v6, v36
	;; [unrolled: 1-line block ×15, first 2 shown]
	v_mov_b32_e32 v33, v63
	ds_store_b64 v1, v[62:63]
.LBB14_108:
	s_or_b32 exec_lo, exec_lo, s0
	s_waitcnt lgkmcnt(0)
	s_barrier
	buffer_gl0_inv
	ds_load_2addr_b64 v[32:35], v36 offset0:19 offset1:20
	ds_load_2addr_b64 v[37:40], v36 offset0:21 offset1:22
	s_mov_b32 s0, exec_lo
	s_waitcnt lgkmcnt(1)
	v_fma_f64 v[32:33], v[8:9], v[32:33], 0
	s_delay_alu instid0(VALU_DEP_1) | instskip(SKIP_1) | instid1(VALU_DEP_1)
	v_fma_f64 v[32:33], v[10:11], v[34:35], v[32:33]
	s_waitcnt lgkmcnt(0)
	v_fma_f64 v[32:33], v[12:13], v[37:38], v[32:33]
	s_delay_alu instid0(VALU_DEP_1) | instskip(SKIP_4) | instid1(VALU_DEP_1)
	v_fma_f64 v[41:42], v[14:15], v[39:40], v[32:33]
	ds_load_2addr_b64 v[32:35], v36 offset0:23 offset1:24
	ds_load_2addr_b64 v[37:40], v36 offset0:25 offset1:26
	s_waitcnt lgkmcnt(1)
	v_fma_f64 v[32:33], v[16:17], v[32:33], v[41:42]
	v_fma_f64 v[32:33], v[18:19], v[34:35], v[32:33]
	s_waitcnt lgkmcnt(0)
	s_delay_alu instid0(VALU_DEP_1) | instskip(NEXT) | instid1(VALU_DEP_1)
	v_fma_f64 v[32:33], v[20:21], v[37:38], v[32:33]
	v_fma_f64 v[40:41], v[22:23], v[39:40], v[32:33]
	ds_load_2addr_b64 v[32:35], v36 offset0:27 offset1:28
	ds_load_2addr_b64 v[36:39], v36 offset0:29 offset1:30
	s_waitcnt lgkmcnt(1)
	v_fma_f64 v[32:33], v[24:25], v[32:33], v[40:41]
	s_delay_alu instid0(VALU_DEP_1) | instskip(SKIP_1) | instid1(VALU_DEP_1)
	v_fma_f64 v[32:33], v[26:27], v[34:35], v[32:33]
	s_waitcnt lgkmcnt(0)
	v_fma_f64 v[32:33], v[28:29], v[36:37], v[32:33]
	s_delay_alu instid0(VALU_DEP_1) | instskip(NEXT) | instid1(VALU_DEP_1)
	v_fma_f64 v[32:33], v[30:31], v[38:39], v[32:33]
	v_add_f64 v[6:7], v[6:7], -v[32:33]
	v_cmpx_lt_u32_e32 1, v0
	s_cbranch_execz .LBB14_110
; %bb.109:
	s_delay_alu instid0(VALU_DEP_2) | instskip(SKIP_1) | instid1(VALU_DEP_4)
	v_dual_mov_b32 v34, 0 :: v_dual_mov_b32 v37, v7
	v_dual_mov_b32 v32, v2 :: v_dual_mov_b32 v39, v9
	;; [unrolled: 1-line block ×3, first 2 shown]
	s_delay_alu instid0(VALU_DEP_3)
	v_dual_mov_b32 v35, v34 :: v_dual_mov_b32 v38, v8
	v_dual_mov_b32 v40, v10 :: v_dual_mov_b32 v41, v11
	;; [unrolled: 1-line block ×13, first 2 shown]
	v_mov_b32_e32 v2, v32
	v_dual_mov_b32 v3, v33 :: v_dual_mov_b32 v4, v34
	v_dual_mov_b32 v5, v35 :: v_dual_mov_b32 v6, v36
	;; [unrolled: 1-line block ×15, first 2 shown]
	v_mov_b32_e32 v33, v63
	ds_store_b64 v1, v[62:63]
.LBB14_110:
	s_or_b32 exec_lo, exec_lo, s0
	v_mov_b32_e32 v34, 0
	s_waitcnt lgkmcnt(0)
	s_barrier
	buffer_gl0_inv
	s_mov_b32 s0, exec_lo
	ds_load_b128 v[35:38], v34 offset:144
	ds_load_b128 v[39:42], v34 offset:160
	s_waitcnt lgkmcnt(1)
	v_fma_f64 v[32:33], v[6:7], v[35:36], 0
	s_delay_alu instid0(VALU_DEP_1) | instskip(SKIP_1) | instid1(VALU_DEP_1)
	v_fma_f64 v[32:33], v[8:9], v[37:38], v[32:33]
	s_waitcnt lgkmcnt(0)
	v_fma_f64 v[32:33], v[10:11], v[39:40], v[32:33]
	s_delay_alu instid0(VALU_DEP_1) | instskip(SKIP_4) | instid1(VALU_DEP_1)
	v_fma_f64 v[32:33], v[12:13], v[41:42], v[32:33]
	ds_load_b128 v[35:38], v34 offset:176
	ds_load_b128 v[39:42], v34 offset:192
	s_waitcnt lgkmcnt(1)
	v_fma_f64 v[32:33], v[14:15], v[35:36], v[32:33]
	v_fma_f64 v[32:33], v[16:17], v[37:38], v[32:33]
	s_waitcnt lgkmcnt(0)
	s_delay_alu instid0(VALU_DEP_1) | instskip(NEXT) | instid1(VALU_DEP_1)
	v_fma_f64 v[32:33], v[18:19], v[39:40], v[32:33]
	v_fma_f64 v[32:33], v[20:21], v[41:42], v[32:33]
	ds_load_b128 v[35:38], v34 offset:208
	ds_load_b128 v[39:42], v34 offset:224
	s_waitcnt lgkmcnt(1)
	v_fma_f64 v[32:33], v[22:23], v[35:36], v[32:33]
	ds_load_b64 v[35:36], v34 offset:240
	v_fma_f64 v[32:33], v[24:25], v[37:38], v[32:33]
	s_waitcnt lgkmcnt(1)
	s_delay_alu instid0(VALU_DEP_1) | instskip(NEXT) | instid1(VALU_DEP_1)
	v_fma_f64 v[32:33], v[26:27], v[39:40], v[32:33]
	v_fma_f64 v[32:33], v[28:29], v[41:42], v[32:33]
	s_waitcnt lgkmcnt(0)
	s_delay_alu instid0(VALU_DEP_1) | instskip(NEXT) | instid1(VALU_DEP_1)
	v_fma_f64 v[32:33], v[30:31], v[35:36], v[32:33]
	v_add_f64 v[4:5], v[4:5], -v[32:33]
	v_cmpx_ne_u32_e32 0, v0
	s_cbranch_execz .LBB14_112
; %bb.111:
	s_delay_alu instid0(VALU_DEP_2)
	v_dual_mov_b32 v37, v5 :: v_dual_mov_b32 v36, v4
	v_dual_mov_b32 v35, v34 :: v_dual_mov_b32 v40, v8
	v_dual_mov_b32 v38, v6 :: v_dual_mov_b32 v39, v7
	v_dual_mov_b32 v41, v9 :: v_dual_mov_b32 v42, v10
	v_dual_mov_b32 v43, v11 :: v_dual_mov_b32 v44, v12
	v_dual_mov_b32 v45, v13 :: v_dual_mov_b32 v46, v14
	v_dual_mov_b32 v47, v15 :: v_dual_mov_b32 v48, v16
	v_dual_mov_b32 v49, v17 :: v_dual_mov_b32 v50, v18
	v_dual_mov_b32 v51, v19 :: v_dual_mov_b32 v52, v20
	v_dual_mov_b32 v53, v21 :: v_dual_mov_b32 v54, v22
	v_dual_mov_b32 v55, v23 :: v_dual_mov_b32 v56, v24
	v_dual_mov_b32 v57, v25 :: v_dual_mov_b32 v58, v26
	v_dual_mov_b32 v59, v27 :: v_dual_mov_b32 v60, v28
	v_dual_mov_b32 v61, v29 :: v_dual_mov_b32 v62, v30
	v_dual_mov_b32 v63, v31 :: v_dual_mov_b32 v94, v2
	v_dual_mov_b32 v95, v3 :: v_dual_mov_b32 v2, v34
	v_dual_mov_b32 v3, v35 :: v_dual_mov_b32 v4, v36
	v_dual_mov_b32 v5, v37 :: v_dual_mov_b32 v6, v38
	v_dual_mov_b32 v7, v39 :: v_dual_mov_b32 v8, v40
	v_dual_mov_b32 v9, v41 :: v_dual_mov_b32 v10, v42
	v_dual_mov_b32 v11, v43 :: v_dual_mov_b32 v12, v44
	v_dual_mov_b32 v13, v45 :: v_dual_mov_b32 v14, v46
	v_dual_mov_b32 v15, v47 :: v_dual_mov_b32 v16, v48
	v_dual_mov_b32 v17, v49 :: v_dual_mov_b32 v18, v50
	v_dual_mov_b32 v19, v51 :: v_dual_mov_b32 v20, v52
	v_dual_mov_b32 v21, v53 :: v_dual_mov_b32 v22, v54
	v_dual_mov_b32 v23, v55 :: v_dual_mov_b32 v24, v56
	v_dual_mov_b32 v25, v57 :: v_dual_mov_b32 v26, v58
	v_dual_mov_b32 v27, v59 :: v_dual_mov_b32 v28, v60
	v_dual_mov_b32 v29, v61 :: v_dual_mov_b32 v30, v62
	v_dual_mov_b32 v31, v63 :: v_dual_mov_b32 v32, v64
	v_mov_b32_e32 v33, v65
	ds_store_b64 v1, v[94:95]
.LBB14_112:
	s_or_b32 exec_lo, exec_lo, s0
	s_waitcnt lgkmcnt(0)
	s_barrier
	buffer_gl0_inv
	ds_load_2addr_b64 v[35:38], v34 offset0:17 offset1:18
	ds_load_2addr_b64 v[39:42], v34 offset0:19 offset1:20
	s_and_b32 vcc_lo, exec_lo, s20
	s_waitcnt lgkmcnt(1)
	v_fma_f64 v[0:1], v[4:5], v[35:36], 0
	s_delay_alu instid0(VALU_DEP_1) | instskip(SKIP_1) | instid1(VALU_DEP_1)
	v_fma_f64 v[0:1], v[6:7], v[37:38], v[0:1]
	s_waitcnt lgkmcnt(0)
	v_fma_f64 v[0:1], v[8:9], v[39:40], v[0:1]
	s_delay_alu instid0(VALU_DEP_1) | instskip(SKIP_4) | instid1(VALU_DEP_1)
	v_fma_f64 v[0:1], v[10:11], v[41:42], v[0:1]
	ds_load_2addr_b64 v[35:38], v34 offset0:21 offset1:22
	ds_load_2addr_b64 v[39:42], v34 offset0:23 offset1:24
	s_waitcnt lgkmcnt(1)
	v_fma_f64 v[0:1], v[12:13], v[35:36], v[0:1]
	v_fma_f64 v[0:1], v[14:15], v[37:38], v[0:1]
	s_waitcnt lgkmcnt(0)
	s_delay_alu instid0(VALU_DEP_1) | instskip(NEXT) | instid1(VALU_DEP_1)
	v_fma_f64 v[0:1], v[16:17], v[39:40], v[0:1]
	v_fma_f64 v[0:1], v[18:19], v[41:42], v[0:1]
	ds_load_2addr_b64 v[35:38], v34 offset0:25 offset1:26
	ds_load_2addr_b64 v[39:42], v34 offset0:27 offset1:28
	s_waitcnt lgkmcnt(1)
	v_fma_f64 v[0:1], v[20:21], v[35:36], v[0:1]
	ds_load_2addr_b64 v[32:35], v34 offset0:29 offset1:30
	v_fma_f64 v[0:1], v[22:23], v[37:38], v[0:1]
	s_waitcnt lgkmcnt(1)
	s_delay_alu instid0(VALU_DEP_1) | instskip(NEXT) | instid1(VALU_DEP_1)
	v_fma_f64 v[0:1], v[24:25], v[39:40], v[0:1]
	v_fma_f64 v[0:1], v[26:27], v[41:42], v[0:1]
	s_waitcnt lgkmcnt(0)
	s_delay_alu instid0(VALU_DEP_1) | instskip(NEXT) | instid1(VALU_DEP_1)
	v_fma_f64 v[0:1], v[28:29], v[32:33], v[0:1]
	v_fma_f64 v[0:1], v[30:31], v[34:35], v[0:1]
	s_delay_alu instid0(VALU_DEP_1)
	v_add_f64 v[2:3], v[2:3], -v[0:1]
	s_cbranch_vccz .LBB14_142
; %bb.113:
	v_dual_mov_b32 v0, s16 :: v_dual_mov_b32 v1, s17
	s_mov_b32 s7, exec_lo
	flat_load_b32 v0, v[0:1] offset:52
	s_waitcnt vmcnt(0) lgkmcnt(0)
	v_add_nc_u32_e32 v0, -1, v0
	s_delay_alu instid0(VALU_DEP_1)
	v_cmpx_ne_u32_e32 13, v0
	s_cbranch_execz .LBB14_115
; %bb.114:
	v_cmp_eq_u32_e32 vcc_lo, 1, v0
	v_cmp_eq_u32_e64 s0, 2, v0
	v_cmp_eq_u32_e64 s1, 3, v0
	;; [unrolled: 1-line block ×4, first 2 shown]
	v_dual_cndmask_b32 v1, v2, v4 :: v_dual_cndmask_b32 v32, v3, v5
	v_cmp_eq_u32_e64 s4, 6, v0
	v_cmp_eq_u32_e64 s5, 7, v0
	;; [unrolled: 1-line block ×3, first 2 shown]
	s_delay_alu instid0(VALU_DEP_4)
	v_cndmask_b32_e64 v1, v1, v6, s0
	v_cndmask_b32_e64 v32, v32, v7, s0
	;; [unrolled: 1-line block ×4, first 2 shown]
	v_cmp_eq_u32_e64 s0, 8, v0
	v_cndmask_b32_e64 v1, v1, v8, s1
	v_cndmask_b32_e64 v32, v32, v9, s1
	v_cndmask_b32_e32 v34, v5, v29, vcc_lo
	v_cndmask_b32_e64 v38, v9, v29, s1
	v_cndmask_b32_e64 v37, v8, v28, s1
	;; [unrolled: 1-line block ×4, first 2 shown]
	v_cmp_eq_u32_e64 s1, 10, v0
	v_cndmask_b32_e64 v40, v11, v29, s2
	v_cndmask_b32_e64 v39, v10, v28, s2
	;; [unrolled: 1-line block ×4, first 2 shown]
	v_cmp_eq_u32_e64 s2, 11, v0
	v_cndmask_b32_e64 v42, v13, v29, s3
	v_cndmask_b32_e64 v41, v12, v28, s3
	;; [unrolled: 1-line block ×5, first 2 shown]
	v_cmp_eq_u32_e64 s3, 12, v0
	v_cndmask_b32_e64 v48, v19, v29, s0
	v_cndmask_b32_e64 v1, v1, v16, s5
	;; [unrolled: 1-line block ×3, first 2 shown]
	v_cndmask_b32_e32 v33, v4, v28, vcc_lo
	v_cmp_eq_u32_e32 vcc_lo, 9, v0
	v_cndmask_b32_e64 v47, v18, v28, s0
	v_cndmask_b32_e64 v1, v1, v18, s0
	v_cndmask_b32_e64 v3, v3, v19, s0
	v_cmp_eq_u32_e64 s0, 13, v0
	v_dual_cndmask_b32 v50, v21, v29 :: v_dual_cndmask_b32 v49, v20, v28
	s_delay_alu instid0(VALU_DEP_4) | instskip(NEXT) | instid1(VALU_DEP_4)
	v_cndmask_b32_e32 v1, v1, v20, vcc_lo
	v_cndmask_b32_e32 v3, v3, v21, vcc_lo
	v_cmp_eq_u32_e32 vcc_lo, 14, v0
	v_cndmask_b32_e64 v44, v15, v29, s4
	v_cndmask_b32_e64 v43, v14, v28, s4
	;; [unrolled: 1-line block ×4, first 2 shown]
	v_cndmask_b32_e32 v60, v31, v29, vcc_lo
	v_cndmask_b32_e64 v1, v1, v22, s1
	v_cndmask_b32_e64 v52, v23, v29, s1
	;; [unrolled: 1-line block ×8, first 2 shown]
	v_cndmask_b32_e32 v59, v30, v28, vcc_lo
	s_delay_alu instid0(VALU_DEP_4) | instskip(NEXT) | instid1(VALU_DEP_1)
	v_cndmask_b32_e64 v1, v1, v26, s3
	v_cndmask_b32_e64 v1, v1, v28, s0
	s_delay_alu instid0(VALU_DEP_1) | instskip(SKIP_1) | instid1(VALU_DEP_2)
	v_cndmask_b32_e32 v0, v1, v30, vcc_lo
	v_cndmask_b32_e64 v3, v3, v23, s1
	v_cndmask_b32_e64 v57, v0, v28, s0
	s_delay_alu instid0(VALU_DEP_2) | instskip(NEXT) | instid1(VALU_DEP_1)
	v_cndmask_b32_e64 v3, v3, v25, s2
	v_cndmask_b32_e64 v3, v3, v27, s3
	s_delay_alu instid0(VALU_DEP_1) | instskip(NEXT) | instid1(VALU_DEP_1)
	v_cndmask_b32_e64 v3, v3, v29, s0
	v_cndmask_b32_e32 v1, v3, v31, vcc_lo
	v_cndmask_b32_e64 v31, v2, v28, s6
	s_delay_alu instid0(VALU_DEP_2) | instskip(NEXT) | instid1(VALU_DEP_2)
	v_cndmask_b32_e64 v58, v1, v29, s0
	v_mov_b32_e32 v2, v31
	v_dual_mov_b32 v4, v33 :: v_dual_mov_b32 v3, v32
	v_dual_mov_b32 v6, v35 :: v_dual_mov_b32 v5, v34
	v_dual_mov_b32 v8, v37 :: v_dual_mov_b32 v7, v36
	v_dual_mov_b32 v10, v39 :: v_dual_mov_b32 v9, v38
	v_dual_mov_b32 v12, v41 :: v_dual_mov_b32 v11, v40
	v_dual_mov_b32 v14, v43 :: v_dual_mov_b32 v13, v42
	v_dual_mov_b32 v16, v45 :: v_dual_mov_b32 v15, v44
	v_dual_mov_b32 v18, v47 :: v_dual_mov_b32 v17, v46
	v_dual_mov_b32 v20, v49 :: v_dual_mov_b32 v19, v48
	v_dual_mov_b32 v22, v51 :: v_dual_mov_b32 v21, v50
	v_dual_mov_b32 v24, v53 :: v_dual_mov_b32 v23, v52
	v_dual_mov_b32 v26, v55 :: v_dual_mov_b32 v25, v54
	v_dual_mov_b32 v28, v57 :: v_dual_mov_b32 v27, v56
	v_dual_mov_b32 v30, v59 :: v_dual_mov_b32 v29, v58
	v_mov_b32_e32 v31, v60
	v_mov_b32_e32 v32, v61
	;; [unrolled: 1-line block ×3, first 2 shown]
.LBB14_115:
	s_or_b32 exec_lo, exec_lo, s7
	v_dual_mov_b32 v0, s16 :: v_dual_mov_b32 v1, s17
	s_mov_b32 s7, exec_lo
	flat_load_b32 v0, v[0:1] offset:48
	s_waitcnt vmcnt(0) lgkmcnt(0)
	v_add_nc_u32_e32 v0, -1, v0
	s_delay_alu instid0(VALU_DEP_1)
	v_cmpx_ne_u32_e32 12, v0
	s_cbranch_execz .LBB14_117
; %bb.116:
	v_cmp_eq_u32_e32 vcc_lo, 1, v0
	v_cmp_eq_u32_e64 s0, 2, v0
	v_cmp_eq_u32_e64 s1, 3, v0
	;; [unrolled: 1-line block ×4, first 2 shown]
	v_dual_cndmask_b32 v1, v2, v4 :: v_dual_cndmask_b32 v32, v3, v5
	v_cmp_eq_u32_e64 s4, 6, v0
	v_cmp_eq_u32_e64 s5, 7, v0
	;; [unrolled: 1-line block ×3, first 2 shown]
	s_delay_alu instid0(VALU_DEP_4)
	v_cndmask_b32_e64 v1, v1, v6, s0
	v_cndmask_b32_e64 v32, v32, v7, s0
	;; [unrolled: 1-line block ×4, first 2 shown]
	v_cmp_eq_u32_e64 s0, 8, v0
	v_cndmask_b32_e64 v1, v1, v8, s1
	v_cndmask_b32_e64 v32, v32, v9, s1
	v_cndmask_b32_e32 v34, v5, v27, vcc_lo
	v_cndmask_b32_e64 v38, v9, v27, s1
	v_cndmask_b32_e64 v37, v8, v26, s1
	;; [unrolled: 1-line block ×4, first 2 shown]
	v_cmp_eq_u32_e64 s1, 10, v0
	v_cndmask_b32_e64 v40, v11, v27, s2
	v_cndmask_b32_e64 v39, v10, v26, s2
	;; [unrolled: 1-line block ×4, first 2 shown]
	v_cmp_eq_u32_e64 s2, 11, v0
	v_cndmask_b32_e64 v42, v13, v27, s3
	v_cndmask_b32_e64 v41, v12, v26, s3
	;; [unrolled: 1-line block ×5, first 2 shown]
	v_cmp_eq_u32_e64 s3, 12, v0
	v_cndmask_b32_e64 v48, v19, v27, s0
	v_cndmask_b32_e64 v1, v1, v16, s5
	;; [unrolled: 1-line block ×3, first 2 shown]
	v_cndmask_b32_e32 v33, v4, v26, vcc_lo
	v_cmp_eq_u32_e32 vcc_lo, 9, v0
	v_cndmask_b32_e64 v47, v18, v26, s0
	v_cndmask_b32_e64 v1, v1, v18, s0
	;; [unrolled: 1-line block ×3, first 2 shown]
	v_cmp_eq_u32_e64 s0, 13, v0
	v_cndmask_b32_e32 v49, v20, v26, vcc_lo
	v_cndmask_b32_e64 v44, v15, v27, s4
	v_cndmask_b32_e32 v1, v1, v20, vcc_lo
	v_dual_cndmask_b32 v3, v3, v21 :: v_dual_cndmask_b32 v50, v21, v27
	v_cmp_eq_u32_e32 vcc_lo, 14, v0
	v_cndmask_b32_e64 v43, v14, v26, s4
	v_cndmask_b32_e64 v46, v17, v27, s5
	s_delay_alu instid0(VALU_DEP_4)
	v_cndmask_b32_e64 v3, v3, v23, s1
	v_cndmask_b32_e64 v45, v16, v26, s5
	v_cndmask_b32_e32 v60, v31, v27, vcc_lo
	v_cndmask_b32_e64 v1, v1, v22, s1
	v_cndmask_b32_e64 v52, v23, v27, s1
	;; [unrolled: 1-line block ×11, first 2 shown]
	v_cndmask_b32_e32 v59, v30, v26, vcc_lo
	v_cndmask_b32_e64 v3, v3, v29, s0
	s_delay_alu instid0(VALU_DEP_3) | instskip(NEXT) | instid1(VALU_DEP_1)
	v_cndmask_b32_e64 v1, v1, v28, s0
	v_dual_cndmask_b32 v0, v1, v30 :: v_dual_cndmask_b32 v1, v3, v31
	v_cndmask_b32_e64 v31, v2, v26, s6
	s_delay_alu instid0(VALU_DEP_2) | instskip(NEXT) | instid1(VALU_DEP_3)
	v_cndmask_b32_e64 v55, v0, v26, s3
	v_cndmask_b32_e64 v56, v1, v27, s3
	s_delay_alu instid0(VALU_DEP_3)
	v_mov_b32_e32 v2, v31
	v_dual_mov_b32 v3, v32 :: v_dual_mov_b32 v4, v33
	v_dual_mov_b32 v5, v34 :: v_dual_mov_b32 v6, v35
	;; [unrolled: 1-line block ×14, first 2 shown]
	v_mov_b32_e32 v31, v60
	v_mov_b32_e32 v32, v61
	v_mov_b32_e32 v33, v62
.LBB14_117:
	s_or_b32 exec_lo, exec_lo, s7
	v_dual_mov_b32 v0, s16 :: v_dual_mov_b32 v1, s17
	s_mov_b32 s7, exec_lo
	flat_load_b32 v0, v[0:1] offset:44
	s_waitcnt vmcnt(0) lgkmcnt(0)
	v_add_nc_u32_e32 v0, -1, v0
	s_delay_alu instid0(VALU_DEP_1)
	v_cmpx_ne_u32_e32 11, v0
	s_cbranch_execz .LBB14_119
; %bb.118:
	v_cmp_eq_u32_e32 vcc_lo, 1, v0
	v_cmp_eq_u32_e64 s0, 2, v0
	v_cmp_eq_u32_e64 s1, 3, v0
	;; [unrolled: 1-line block ×4, first 2 shown]
	v_dual_cndmask_b32 v1, v2, v4 :: v_dual_cndmask_b32 v32, v3, v5
	v_cmp_eq_u32_e64 s4, 6, v0
	v_cmp_eq_u32_e64 s5, 7, v0
	;; [unrolled: 1-line block ×3, first 2 shown]
	s_delay_alu instid0(VALU_DEP_4)
	v_cndmask_b32_e64 v1, v1, v6, s0
	v_cndmask_b32_e64 v32, v32, v7, s0
	;; [unrolled: 1-line block ×4, first 2 shown]
	v_cmp_eq_u32_e64 s0, 8, v0
	v_cndmask_b32_e64 v1, v1, v8, s1
	v_cndmask_b32_e64 v32, v32, v9, s1
	v_cndmask_b32_e32 v34, v5, v25, vcc_lo
	v_cndmask_b32_e64 v38, v9, v25, s1
	v_cndmask_b32_e64 v37, v8, v24, s1
	;; [unrolled: 1-line block ×4, first 2 shown]
	v_cmp_eq_u32_e64 s1, 10, v0
	v_cndmask_b32_e64 v40, v11, v25, s2
	v_cndmask_b32_e64 v39, v10, v24, s2
	;; [unrolled: 1-line block ×4, first 2 shown]
	v_cmp_eq_u32_e64 s2, 11, v0
	v_cndmask_b32_e64 v42, v13, v25, s3
	v_cndmask_b32_e64 v41, v12, v24, s3
	;; [unrolled: 1-line block ×5, first 2 shown]
	v_cmp_eq_u32_e64 s3, 12, v0
	v_cndmask_b32_e64 v48, v19, v25, s0
	v_cndmask_b32_e64 v1, v1, v16, s5
	;; [unrolled: 1-line block ×3, first 2 shown]
	v_cndmask_b32_e32 v33, v4, v24, vcc_lo
	v_cmp_eq_u32_e32 vcc_lo, 9, v0
	v_cndmask_b32_e64 v47, v18, v24, s0
	v_cndmask_b32_e64 v1, v1, v18, s0
	;; [unrolled: 1-line block ×3, first 2 shown]
	v_cmp_eq_u32_e64 s0, 13, v0
	v_dual_cndmask_b32 v50, v21, v25 :: v_dual_cndmask_b32 v49, v20, v24
	s_delay_alu instid0(VALU_DEP_4) | instskip(NEXT) | instid1(VALU_DEP_4)
	v_cndmask_b32_e32 v1, v1, v20, vcc_lo
	v_cndmask_b32_e32 v3, v3, v21, vcc_lo
	v_cmp_eq_u32_e32 vcc_lo, 14, v0
	v_cndmask_b32_e64 v44, v15, v25, s4
	v_cndmask_b32_e64 v43, v14, v24, s4
	;; [unrolled: 1-line block ×4, first 2 shown]
	v_cndmask_b32_e32 v60, v31, v25, vcc_lo
	v_cndmask_b32_e64 v1, v1, v22, s1
	v_cndmask_b32_e64 v52, v23, v25, s1
	;; [unrolled: 1-line block ×8, first 2 shown]
	v_cndmask_b32_e32 v59, v30, v24, vcc_lo
	s_delay_alu instid0(VALU_DEP_4) | instskip(NEXT) | instid1(VALU_DEP_1)
	v_cndmask_b32_e64 v1, v1, v26, s3
	v_cndmask_b32_e64 v1, v1, v28, s0
	s_delay_alu instid0(VALU_DEP_1) | instskip(SKIP_1) | instid1(VALU_DEP_2)
	v_cndmask_b32_e32 v0, v1, v30, vcc_lo
	v_cndmask_b32_e64 v3, v3, v23, s1
	v_cndmask_b32_e64 v53, v0, v24, s2
	s_delay_alu instid0(VALU_DEP_2) | instskip(NEXT) | instid1(VALU_DEP_1)
	v_cndmask_b32_e64 v3, v3, v25, s2
	v_cndmask_b32_e64 v3, v3, v27, s3
	s_delay_alu instid0(VALU_DEP_1) | instskip(NEXT) | instid1(VALU_DEP_1)
	v_cndmask_b32_e64 v3, v3, v29, s0
	v_cndmask_b32_e32 v1, v3, v31, vcc_lo
	v_cndmask_b32_e64 v31, v2, v24, s6
	s_delay_alu instid0(VALU_DEP_2) | instskip(NEXT) | instid1(VALU_DEP_2)
	v_cndmask_b32_e64 v54, v1, v25, s2
	v_mov_b32_e32 v2, v31
	v_dual_mov_b32 v4, v33 :: v_dual_mov_b32 v3, v32
	v_dual_mov_b32 v6, v35 :: v_dual_mov_b32 v5, v34
	;; [unrolled: 1-line block ×14, first 2 shown]
	v_mov_b32_e32 v31, v60
	v_mov_b32_e32 v32, v61
	;; [unrolled: 1-line block ×3, first 2 shown]
.LBB14_119:
	s_or_b32 exec_lo, exec_lo, s7
	v_dual_mov_b32 v0, s16 :: v_dual_mov_b32 v1, s17
	s_mov_b32 s7, exec_lo
	flat_load_b32 v0, v[0:1] offset:40
	s_waitcnt vmcnt(0) lgkmcnt(0)
	v_add_nc_u32_e32 v0, -1, v0
	s_delay_alu instid0(VALU_DEP_1)
	v_cmpx_ne_u32_e32 10, v0
	s_cbranch_execz .LBB14_121
; %bb.120:
	v_cmp_eq_u32_e32 vcc_lo, 1, v0
	v_cmp_eq_u32_e64 s0, 2, v0
	v_cmp_eq_u32_e64 s1, 3, v0
	;; [unrolled: 1-line block ×4, first 2 shown]
	v_dual_cndmask_b32 v1, v2, v4 :: v_dual_cndmask_b32 v32, v3, v5
	v_cmp_eq_u32_e64 s4, 6, v0
	v_cmp_eq_u32_e64 s5, 7, v0
	;; [unrolled: 1-line block ×3, first 2 shown]
	s_delay_alu instid0(VALU_DEP_4)
	v_cndmask_b32_e64 v1, v1, v6, s0
	v_cndmask_b32_e64 v32, v32, v7, s0
	;; [unrolled: 1-line block ×4, first 2 shown]
	v_cmp_eq_u32_e64 s0, 8, v0
	v_cndmask_b32_e64 v1, v1, v8, s1
	v_cndmask_b32_e64 v32, v32, v9, s1
	v_cndmask_b32_e32 v34, v5, v23, vcc_lo
	v_cndmask_b32_e64 v38, v9, v23, s1
	v_cndmask_b32_e64 v37, v8, v22, s1
	;; [unrolled: 1-line block ×4, first 2 shown]
	v_cmp_eq_u32_e64 s1, 10, v0
	v_cndmask_b32_e64 v40, v11, v23, s2
	v_cndmask_b32_e64 v39, v10, v22, s2
	;; [unrolled: 1-line block ×4, first 2 shown]
	v_cmp_eq_u32_e64 s2, 11, v0
	v_cndmask_b32_e64 v42, v13, v23, s3
	v_cndmask_b32_e64 v41, v12, v22, s3
	;; [unrolled: 1-line block ×5, first 2 shown]
	v_cmp_eq_u32_e64 s3, 12, v0
	v_cndmask_b32_e64 v48, v19, v23, s0
	v_cndmask_b32_e64 v1, v1, v16, s5
	;; [unrolled: 1-line block ×3, first 2 shown]
	v_cndmask_b32_e32 v33, v4, v22, vcc_lo
	v_cmp_eq_u32_e32 vcc_lo, 9, v0
	v_cndmask_b32_e64 v47, v18, v22, s0
	v_cndmask_b32_e64 v1, v1, v18, s0
	;; [unrolled: 1-line block ×3, first 2 shown]
	v_cmp_eq_u32_e64 s0, 13, v0
	v_cndmask_b32_e32 v49, v20, v22, vcc_lo
	v_cndmask_b32_e64 v44, v15, v23, s4
	v_cndmask_b32_e32 v1, v1, v20, vcc_lo
	v_dual_cndmask_b32 v3, v3, v21 :: v_dual_cndmask_b32 v50, v21, v23
	v_cmp_eq_u32_e32 vcc_lo, 14, v0
	v_cndmask_b32_e64 v43, v14, v22, s4
	v_cndmask_b32_e64 v46, v17, v23, s5
	s_delay_alu instid0(VALU_DEP_4)
	v_cndmask_b32_e64 v3, v3, v23, s1
	v_cndmask_b32_e64 v45, v16, v22, s5
	v_cndmask_b32_e32 v60, v31, v23, vcc_lo
	v_cndmask_b32_e64 v1, v1, v22, s1
	v_cndmask_b32_e64 v54, v25, v23, s2
	;; [unrolled: 1-line block ×11, first 2 shown]
	v_cndmask_b32_e32 v59, v30, v22, vcc_lo
	v_cndmask_b32_e64 v3, v3, v29, s0
	s_delay_alu instid0(VALU_DEP_3) | instskip(NEXT) | instid1(VALU_DEP_1)
	v_cndmask_b32_e64 v1, v1, v28, s0
	v_dual_cndmask_b32 v0, v1, v30 :: v_dual_cndmask_b32 v1, v3, v31
	v_cndmask_b32_e64 v31, v2, v22, s6
	s_delay_alu instid0(VALU_DEP_2) | instskip(NEXT) | instid1(VALU_DEP_3)
	v_cndmask_b32_e64 v51, v0, v22, s1
	v_cndmask_b32_e64 v52, v1, v23, s1
	s_delay_alu instid0(VALU_DEP_3)
	v_mov_b32_e32 v2, v31
	v_dual_mov_b32 v3, v32 :: v_dual_mov_b32 v4, v33
	v_dual_mov_b32 v5, v34 :: v_dual_mov_b32 v6, v35
	;; [unrolled: 1-line block ×14, first 2 shown]
	v_mov_b32_e32 v31, v60
	v_mov_b32_e32 v32, v61
	;; [unrolled: 1-line block ×3, first 2 shown]
.LBB14_121:
	s_or_b32 exec_lo, exec_lo, s7
	v_dual_mov_b32 v0, s16 :: v_dual_mov_b32 v1, s17
	s_mov_b32 s7, exec_lo
	flat_load_b32 v0, v[0:1] offset:36
	s_waitcnt vmcnt(0) lgkmcnt(0)
	v_add_nc_u32_e32 v0, -1, v0
	s_delay_alu instid0(VALU_DEP_1)
	v_cmpx_ne_u32_e32 9, v0
	s_cbranch_execz .LBB14_123
; %bb.122:
	v_cmp_eq_u32_e32 vcc_lo, 1, v0
	v_cmp_eq_u32_e64 s0, 2, v0
	v_cmp_eq_u32_e64 s1, 3, v0
	;; [unrolled: 1-line block ×4, first 2 shown]
	v_dual_cndmask_b32 v1, v2, v4 :: v_dual_cndmask_b32 v32, v3, v5
	v_cmp_eq_u32_e64 s4, 6, v0
	v_cmp_eq_u32_e64 s5, 7, v0
	;; [unrolled: 1-line block ×3, first 2 shown]
	s_delay_alu instid0(VALU_DEP_4)
	v_cndmask_b32_e64 v1, v1, v6, s0
	v_cndmask_b32_e64 v32, v32, v7, s0
	;; [unrolled: 1-line block ×4, first 2 shown]
	v_cmp_eq_u32_e64 s0, 8, v0
	v_cndmask_b32_e64 v1, v1, v8, s1
	v_cndmask_b32_e64 v32, v32, v9, s1
	v_cndmask_b32_e32 v34, v5, v21, vcc_lo
	v_cndmask_b32_e64 v38, v9, v21, s1
	v_cndmask_b32_e64 v37, v8, v20, s1
	;; [unrolled: 1-line block ×6, first 2 shown]
	v_cmp_eq_u32_e64 s1, 10, v0
	v_cndmask_b32_e64 v1, v1, v12, s3
	v_cndmask_b32_e64 v32, v32, v13, s3
	;; [unrolled: 1-line block ×4, first 2 shown]
	v_cmp_eq_u32_e64 s2, 11, v0
	v_cndmask_b32_e64 v1, v1, v14, s4
	v_cndmask_b32_e64 v33, v32, v15, s4
	;; [unrolled: 1-line block ×3, first 2 shown]
	v_cmp_eq_u32_e64 s3, 12, v0
	v_cndmask_b32_e64 v48, v19, v21, s0
	v_cndmask_b32_e64 v1, v1, v16, s5
	;; [unrolled: 1-line block ×3, first 2 shown]
	v_cndmask_b32_e32 v33, v4, v20, vcc_lo
	v_cmp_eq_u32_e32 vcc_lo, 9, v0
	v_cndmask_b32_e64 v47, v18, v20, s0
	v_cndmask_b32_e64 v1, v1, v18, s0
	;; [unrolled: 1-line block ×3, first 2 shown]
	v_cmp_eq_u32_e64 s0, 13, v0
	v_cndmask_b32_e64 v44, v15, v21, s4
	v_cndmask_b32_e64 v43, v14, v20, s4
	;; [unrolled: 1-line block ×12, first 2 shown]
	v_cndmask_b32_e32 v1, v1, v20, vcc_lo
	v_cndmask_b32_e32 v3, v3, v21, vcc_lo
	s_delay_alu instid0(VALU_DEP_2) | instskip(NEXT) | instid1(VALU_DEP_2)
	v_cndmask_b32_e64 v1, v1, v22, s1
	v_cndmask_b32_e64 v3, v3, v23, s1
	v_cmp_eq_u32_e64 s1, 14, v0
	s_delay_alu instid0(VALU_DEP_3) | instskip(NEXT) | instid1(VALU_DEP_3)
	v_cndmask_b32_e64 v1, v1, v24, s2
	v_cndmask_b32_e64 v3, v3, v25, s2
	s_delay_alu instid0(VALU_DEP_3) | instskip(SKIP_1) | instid1(VALU_DEP_4)
	v_cndmask_b32_e64 v60, v31, v21, s1
	v_cndmask_b32_e64 v59, v30, v20, s1
	;; [unrolled: 1-line block ×3, first 2 shown]
	s_delay_alu instid0(VALU_DEP_4) | instskip(NEXT) | instid1(VALU_DEP_2)
	v_cndmask_b32_e64 v3, v3, v27, s3
	v_cndmask_b32_e64 v1, v1, v28, s0
	s_delay_alu instid0(VALU_DEP_2) | instskip(NEXT) | instid1(VALU_DEP_2)
	v_cndmask_b32_e64 v3, v3, v29, s0
	v_cndmask_b32_e64 v0, v1, v30, s1
	s_delay_alu instid0(VALU_DEP_2) | instskip(SKIP_1) | instid1(VALU_DEP_2)
	v_cndmask_b32_e64 v1, v3, v31, s1
	v_cndmask_b32_e64 v31, v2, v20, s6
	v_dual_cndmask_b32 v49, v0, v20 :: v_dual_cndmask_b32 v50, v1, v21
	s_delay_alu instid0(VALU_DEP_2)
	v_mov_b32_e32 v2, v31
	v_dual_mov_b32 v3, v32 :: v_dual_mov_b32 v6, v35
	v_dual_mov_b32 v4, v33 :: v_dual_mov_b32 v5, v34
	;; [unrolled: 1-line block ×14, first 2 shown]
	v_mov_b32_e32 v31, v60
	v_mov_b32_e32 v32, v61
	;; [unrolled: 1-line block ×3, first 2 shown]
.LBB14_123:
	s_or_b32 exec_lo, exec_lo, s7
	v_dual_mov_b32 v0, s16 :: v_dual_mov_b32 v1, s17
	s_mov_b32 s7, exec_lo
	flat_load_b32 v0, v[0:1] offset:32
	s_waitcnt vmcnt(0) lgkmcnt(0)
	v_add_nc_u32_e32 v0, -1, v0
	s_delay_alu instid0(VALU_DEP_1)
	v_cmpx_ne_u32_e32 8, v0
	s_cbranch_execz .LBB14_125
; %bb.124:
	v_cmp_eq_u32_e32 vcc_lo, 1, v0
	v_cmp_eq_u32_e64 s0, 2, v0
	v_cmp_eq_u32_e64 s1, 3, v0
	;; [unrolled: 1-line block ×4, first 2 shown]
	v_dual_cndmask_b32 v1, v2, v4 :: v_dual_cndmask_b32 v32, v3, v5
	v_cmp_eq_u32_e64 s4, 6, v0
	v_cmp_eq_u32_e64 s5, 7, v0
	;; [unrolled: 1-line block ×3, first 2 shown]
	s_delay_alu instid0(VALU_DEP_4)
	v_cndmask_b32_e64 v1, v1, v6, s0
	v_cndmask_b32_e64 v32, v32, v7, s0
	;; [unrolled: 1-line block ×4, first 2 shown]
	v_cmp_eq_u32_e64 s0, 8, v0
	v_cndmask_b32_e64 v1, v1, v8, s1
	v_cndmask_b32_e64 v32, v32, v9, s1
	v_cndmask_b32_e32 v34, v5, v19, vcc_lo
	v_cndmask_b32_e64 v38, v9, v19, s1
	v_cndmask_b32_e64 v37, v8, v18, s1
	v_cndmask_b32_e64 v1, v1, v10, s2
	v_cndmask_b32_e64 v32, v32, v11, s2
	v_cndmask_b32_e64 v40, v11, v19, s2
	v_cndmask_b32_e64 v39, v10, v18, s2
	v_cmp_eq_u32_e64 s1, 10, v0
	v_cndmask_b32_e64 v1, v1, v12, s3
	v_cndmask_b32_e64 v32, v32, v13, s3
	;; [unrolled: 1-line block ×4, first 2 shown]
	v_cmp_eq_u32_e64 s2, 11, v0
	v_cndmask_b32_e64 v1, v1, v14, s4
	v_cndmask_b32_e64 v33, v32, v15, s4
	;; [unrolled: 1-line block ×3, first 2 shown]
	v_cmp_eq_u32_e64 s3, 12, v0
	v_cndmask_b32_e64 v44, v15, v19, s4
	v_cndmask_b32_e64 v1, v1, v16, s5
	;; [unrolled: 1-line block ×3, first 2 shown]
	v_cndmask_b32_e32 v33, v4, v18, vcc_lo
	v_cmp_eq_u32_e32 vcc_lo, 9, v0
	v_cndmask_b32_e64 v43, v14, v18, s4
	v_cndmask_b32_e64 v1, v1, v18, s0
	;; [unrolled: 1-line block ×5, first 2 shown]
	v_dual_cndmask_b32 v49, v20, v18 :: v_dual_cndmask_b32 v50, v21, v19
	s_delay_alu instid0(VALU_DEP_4)
	v_cndmask_b32_e32 v3, v3, v21, vcc_lo
	v_cndmask_b32_e64 v52, v23, v19, s1
	v_cndmask_b32_e64 v51, v22, v18, s1
	;; [unrolled: 1-line block ×6, first 2 shown]
	v_cndmask_b32_e32 v1, v1, v20, vcc_lo
	v_cndmask_b32_e64 v3, v3, v23, s1
	v_cmp_eq_u32_e32 vcc_lo, 13, v0
	s_delay_alu instid0(VALU_DEP_3) | instskip(SKIP_1) | instid1(VALU_DEP_4)
	v_cndmask_b32_e64 v1, v1, v22, s1
	v_cmp_eq_u32_e64 s1, 14, v0
	v_cndmask_b32_e64 v3, v3, v25, s2
	v_dual_cndmask_b32 v58, v29, v19 :: v_dual_cndmask_b32 v57, v28, v18
	s_delay_alu instid0(VALU_DEP_4) | instskip(NEXT) | instid1(VALU_DEP_4)
	v_cndmask_b32_e64 v1, v1, v24, s2
	v_cndmask_b32_e64 v60, v31, v19, s1
	;; [unrolled: 1-line block ×4, first 2 shown]
	s_delay_alu instid0(VALU_DEP_4) | instskip(NEXT) | instid1(VALU_DEP_1)
	v_cndmask_b32_e64 v1, v1, v26, s3
	v_cndmask_b32_e32 v1, v1, v28, vcc_lo
	s_delay_alu instid0(VALU_DEP_1) | instskip(NEXT) | instid1(VALU_DEP_1)
	v_cndmask_b32_e64 v0, v1, v30, s1
	v_cndmask_b32_e64 v47, v0, v18, s0
	v_cndmask_b32_e32 v3, v3, v29, vcc_lo
	s_delay_alu instid0(VALU_DEP_1) | instskip(SKIP_1) | instid1(VALU_DEP_2)
	v_cndmask_b32_e64 v1, v3, v31, s1
	v_cndmask_b32_e64 v31, v2, v18, s6
	v_cndmask_b32_e64 v48, v1, v19, s0
	s_delay_alu instid0(VALU_DEP_2)
	v_mov_b32_e32 v2, v31
	v_dual_mov_b32 v4, v33 :: v_dual_mov_b32 v3, v32
	v_dual_mov_b32 v8, v37 :: v_dual_mov_b32 v5, v34
	v_mov_b32_e32 v10, v39
	v_dual_mov_b32 v6, v35 :: v_dual_mov_b32 v7, v36
	v_dual_mov_b32 v12, v41 :: v_dual_mov_b32 v9, v38
	;; [unrolled: 1-line block ×11, first 2 shown]
	v_mov_b32_e32 v29, v58
	v_mov_b32_e32 v31, v60
	;; [unrolled: 1-line block ×4, first 2 shown]
.LBB14_125:
	s_or_b32 exec_lo, exec_lo, s7
	v_dual_mov_b32 v0, s16 :: v_dual_mov_b32 v1, s17
	s_mov_b32 s7, exec_lo
	flat_load_b32 v0, v[0:1] offset:28
	s_waitcnt vmcnt(0) lgkmcnt(0)
	v_add_nc_u32_e32 v0, -1, v0
	s_delay_alu instid0(VALU_DEP_1)
	v_cmpx_ne_u32_e32 7, v0
	s_cbranch_execz .LBB14_127
; %bb.126:
	v_cmp_eq_u32_e32 vcc_lo, 1, v0
	v_cmp_eq_u32_e64 s0, 2, v0
	v_cmp_eq_u32_e64 s1, 3, v0
	v_cmp_eq_u32_e64 s2, 4, v0
	v_cmp_eq_u32_e64 s3, 5, v0
	v_dual_cndmask_b32 v1, v2, v4 :: v_dual_cndmask_b32 v32, v3, v5
	v_cmp_eq_u32_e64 s4, 6, v0
	v_cmp_eq_u32_e64 s5, 7, v0
	v_cmp_eq_u32_e64 s6, 0, v0
	s_delay_alu instid0(VALU_DEP_4)
	v_cndmask_b32_e64 v1, v1, v6, s0
	v_cndmask_b32_e64 v32, v32, v7, s0
	;; [unrolled: 1-line block ×4, first 2 shown]
	v_cmp_eq_u32_e64 s0, 8, v0
	v_cndmask_b32_e64 v1, v1, v8, s1
	v_cndmask_b32_e64 v32, v32, v9, s1
	v_cndmask_b32_e32 v34, v5, v17, vcc_lo
	v_cndmask_b32_e64 v38, v9, v17, s1
	v_cndmask_b32_e64 v37, v8, v16, s1
	;; [unrolled: 1-line block ×6, first 2 shown]
	v_cmp_eq_u32_e64 s1, 10, v0
	v_cndmask_b32_e64 v1, v1, v12, s3
	v_cndmask_b32_e64 v32, v32, v13, s3
	v_cmp_eq_u32_e64 s2, 11, v0
	v_cndmask_b32_e64 v48, v19, v17, s0
	v_cndmask_b32_e64 v47, v18, v16, s0
	v_cndmask_b32_e64 v1, v1, v14, s4
	v_cndmask_b32_e64 v33, v32, v15, s4
	v_cndmask_b32_e64 v32, v3, v17, s6
	v_cndmask_b32_e64 v42, v13, v17, s3
	v_cndmask_b32_e64 v41, v12, v16, s3
	v_cndmask_b32_e64 v1, v1, v16, s5
	v_cndmask_b32_e64 v3, v33, v17, s5
	v_cndmask_b32_e32 v33, v4, v16, vcc_lo
	v_cmp_eq_u32_e32 vcc_lo, 9, v0
	v_cndmask_b32_e64 v44, v15, v17, s4
	v_cndmask_b32_e64 v1, v1, v18, s0
	;; [unrolled: 1-line block ×3, first 2 shown]
	v_cmp_eq_u32_e64 s0, 12, v0
	v_cndmask_b32_e64 v43, v14, v16, s4
	v_dual_cndmask_b32 v50, v21, v17 :: v_dual_cndmask_b32 v49, v20, v16
	v_cndmask_b32_e64 v52, v23, v17, s1
	v_cndmask_b32_e64 v51, v22, v16, s1
	;; [unrolled: 1-line block ×6, first 2 shown]
	v_cndmask_b32_e32 v1, v1, v20, vcc_lo
	v_cndmask_b32_e32 v3, v3, v21, vcc_lo
	v_cmp_eq_u32_e32 vcc_lo, 13, v0
	s_delay_alu instid0(VALU_DEP_3) | instskip(NEXT) | instid1(VALU_DEP_3)
	v_cndmask_b32_e64 v1, v1, v22, s1
	v_cndmask_b32_e64 v3, v3, v23, s1
	v_cmp_eq_u32_e64 s1, 14, v0
	v_dual_cndmask_b32 v58, v29, v17 :: v_dual_cndmask_b32 v57, v28, v16
	s_delay_alu instid0(VALU_DEP_4) | instskip(NEXT) | instid1(VALU_DEP_4)
	v_cndmask_b32_e64 v1, v1, v24, s2
	v_cndmask_b32_e64 v3, v3, v25, s2
	s_delay_alu instid0(VALU_DEP_4) | instskip(SKIP_1) | instid1(VALU_DEP_4)
	v_cndmask_b32_e64 v60, v31, v17, s1
	v_cndmask_b32_e64 v59, v30, v16, s1
	;; [unrolled: 1-line block ×3, first 2 shown]
	s_delay_alu instid0(VALU_DEP_4) | instskip(NEXT) | instid1(VALU_DEP_2)
	v_cndmask_b32_e64 v3, v3, v27, s0
	v_cndmask_b32_e32 v1, v1, v28, vcc_lo
	s_delay_alu instid0(VALU_DEP_1) | instskip(NEXT) | instid1(VALU_DEP_1)
	v_cndmask_b32_e64 v0, v1, v30, s1
	v_cndmask_b32_e64 v45, v0, v16, s5
	s_delay_alu instid0(VALU_DEP_4) | instskip(NEXT) | instid1(VALU_DEP_1)
	v_cndmask_b32_e32 v3, v3, v29, vcc_lo
	v_cndmask_b32_e64 v1, v3, v31, s1
	v_cndmask_b32_e64 v31, v2, v16, s6
	s_delay_alu instid0(VALU_DEP_2) | instskip(NEXT) | instid1(VALU_DEP_2)
	v_cndmask_b32_e64 v46, v1, v17, s5
	v_mov_b32_e32 v2, v31
	v_dual_mov_b32 v8, v37 :: v_dual_mov_b32 v3, v32
	v_mov_b32_e32 v10, v39
	v_dual_mov_b32 v4, v33 :: v_dual_mov_b32 v5, v34
	;; [unrolled: 2-line block ×3, first 2 shown]
	v_dual_mov_b32 v14, v43 :: v_dual_mov_b32 v9, v38
	v_dual_mov_b32 v16, v45 :: v_dual_mov_b32 v11, v40
	;; [unrolled: 1-line block ×9, first 2 shown]
	v_mov_b32_e32 v27, v56
	v_mov_b32_e32 v29, v58
	;; [unrolled: 1-line block ×5, first 2 shown]
.LBB14_127:
	s_or_b32 exec_lo, exec_lo, s7
	v_dual_mov_b32 v0, s16 :: v_dual_mov_b32 v1, s17
	s_mov_b32 s7, exec_lo
	flat_load_b32 v0, v[0:1] offset:24
	s_waitcnt vmcnt(0) lgkmcnt(0)
	v_add_nc_u32_e32 v0, -1, v0
	s_delay_alu instid0(VALU_DEP_1)
	v_cmpx_ne_u32_e32 6, v0
	s_cbranch_execz .LBB14_129
; %bb.128:
	v_cmp_eq_u32_e32 vcc_lo, 1, v0
	v_cmp_eq_u32_e64 s0, 2, v0
	v_cmp_eq_u32_e64 s1, 3, v0
	;; [unrolled: 1-line block ×4, first 2 shown]
	v_dual_cndmask_b32 v1, v2, v4 :: v_dual_cndmask_b32 v32, v3, v5
	v_cmp_eq_u32_e64 s4, 6, v0
	v_cmp_eq_u32_e64 s5, 7, v0
	;; [unrolled: 1-line block ×3, first 2 shown]
	s_delay_alu instid0(VALU_DEP_4)
	v_cndmask_b32_e64 v1, v1, v6, s0
	v_cndmask_b32_e64 v32, v32, v7, s0
	;; [unrolled: 1-line block ×4, first 2 shown]
	v_cmp_eq_u32_e64 s0, 8, v0
	v_cndmask_b32_e64 v1, v1, v8, s1
	v_cndmask_b32_e64 v32, v32, v9, s1
	v_cndmask_b32_e32 v34, v5, v15, vcc_lo
	v_cndmask_b32_e64 v38, v9, v15, s1
	v_cndmask_b32_e64 v37, v8, v14, s1
	;; [unrolled: 1-line block ×6, first 2 shown]
	v_cmp_eq_u32_e64 s1, 10, v0
	v_cndmask_b32_e64 v1, v1, v12, s3
	v_cndmask_b32_e64 v32, v32, v13, s3
	v_cmp_eq_u32_e64 s2, 11, v0
	v_cndmask_b32_e64 v48, v19, v15, s0
	v_cndmask_b32_e64 v47, v18, v14, s0
	;; [unrolled: 1-line block ×9, first 2 shown]
	v_cndmask_b32_e32 v33, v4, v14, vcc_lo
	v_cmp_eq_u32_e32 vcc_lo, 9, v0
	v_cndmask_b32_e64 v46, v17, v15, s5
	v_cndmask_b32_e64 v1, v1, v18, s0
	;; [unrolled: 1-line block ×3, first 2 shown]
	v_cmp_eq_u32_e64 s0, 12, v0
	v_cndmask_b32_e64 v45, v16, v14, s5
	v_dual_cndmask_b32 v49, v20, v14 :: v_dual_cndmask_b32 v50, v21, v15
	s_delay_alu instid0(VALU_DEP_4)
	v_cndmask_b32_e32 v3, v3, v21, vcc_lo
	v_cndmask_b32_e64 v52, v23, v15, s1
	v_cndmask_b32_e64 v51, v22, v14, s1
	;; [unrolled: 1-line block ×6, first 2 shown]
	v_cndmask_b32_e32 v1, v1, v20, vcc_lo
	v_cndmask_b32_e64 v3, v3, v23, s1
	v_cmp_eq_u32_e32 vcc_lo, 13, v0
	s_delay_alu instid0(VALU_DEP_3) | instskip(SKIP_1) | instid1(VALU_DEP_4)
	v_cndmask_b32_e64 v1, v1, v22, s1
	v_cmp_eq_u32_e64 s1, 14, v0
	v_cndmask_b32_e64 v3, v3, v25, s2
	v_dual_cndmask_b32 v58, v29, v15 :: v_dual_cndmask_b32 v57, v28, v14
	s_delay_alu instid0(VALU_DEP_4) | instskip(NEXT) | instid1(VALU_DEP_4)
	v_cndmask_b32_e64 v1, v1, v24, s2
	v_cndmask_b32_e64 v60, v31, v15, s1
	;; [unrolled: 1-line block ×4, first 2 shown]
	s_delay_alu instid0(VALU_DEP_4) | instskip(NEXT) | instid1(VALU_DEP_1)
	v_cndmask_b32_e64 v1, v1, v26, s0
	v_cndmask_b32_e32 v1, v1, v28, vcc_lo
	s_delay_alu instid0(VALU_DEP_1) | instskip(NEXT) | instid1(VALU_DEP_1)
	v_cndmask_b32_e64 v0, v1, v30, s1
	v_cndmask_b32_e64 v43, v0, v14, s4
	v_cndmask_b32_e32 v3, v3, v29, vcc_lo
	s_delay_alu instid0(VALU_DEP_1) | instskip(SKIP_1) | instid1(VALU_DEP_2)
	v_cndmask_b32_e64 v1, v3, v31, s1
	v_cndmask_b32_e64 v31, v2, v14, s6
	;; [unrolled: 1-line block ×3, first 2 shown]
	s_delay_alu instid0(VALU_DEP_2)
	v_mov_b32_e32 v2, v31
	v_dual_mov_b32 v4, v33 :: v_dual_mov_b32 v3, v32
	v_dual_mov_b32 v8, v37 :: v_dual_mov_b32 v5, v34
	v_mov_b32_e32 v10, v39
	v_dual_mov_b32 v6, v35 :: v_dual_mov_b32 v7, v36
	v_dual_mov_b32 v12, v41 :: v_dual_mov_b32 v9, v38
	;; [unrolled: 1-line block ×11, first 2 shown]
	v_mov_b32_e32 v29, v58
	v_mov_b32_e32 v31, v60
	;; [unrolled: 1-line block ×4, first 2 shown]
.LBB14_129:
	s_or_b32 exec_lo, exec_lo, s7
	v_dual_mov_b32 v0, s16 :: v_dual_mov_b32 v1, s17
	s_mov_b32 s7, exec_lo
	flat_load_b32 v0, v[0:1] offset:20
	s_waitcnt vmcnt(0) lgkmcnt(0)
	v_add_nc_u32_e32 v0, -1, v0
	s_delay_alu instid0(VALU_DEP_1)
	v_cmpx_ne_u32_e32 5, v0
	s_cbranch_execz .LBB14_131
; %bb.130:
	v_cmp_eq_u32_e32 vcc_lo, 1, v0
	v_cmp_eq_u32_e64 s0, 2, v0
	v_cmp_eq_u32_e64 s1, 3, v0
	;; [unrolled: 1-line block ×4, first 2 shown]
	v_dual_cndmask_b32 v1, v2, v4 :: v_dual_cndmask_b32 v32, v3, v5
	v_cmp_eq_u32_e64 s4, 6, v0
	v_cmp_eq_u32_e64 s5, 7, v0
	;; [unrolled: 1-line block ×3, first 2 shown]
	s_delay_alu instid0(VALU_DEP_4)
	v_cndmask_b32_e64 v1, v1, v6, s0
	v_cndmask_b32_e64 v32, v32, v7, s0
	;; [unrolled: 1-line block ×4, first 2 shown]
	v_cmp_eq_u32_e64 s0, 8, v0
	v_cndmask_b32_e64 v1, v1, v8, s1
	v_cndmask_b32_e64 v32, v32, v9, s1
	v_cndmask_b32_e32 v34, v5, v13, vcc_lo
	v_cndmask_b32_e64 v38, v9, v13, s1
	v_cndmask_b32_e64 v37, v8, v12, s1
	;; [unrolled: 1-line block ×6, first 2 shown]
	v_cmp_eq_u32_e64 s1, 10, v0
	v_cndmask_b32_e64 v1, v1, v12, s3
	v_cndmask_b32_e64 v32, v32, v13, s3
	v_cmp_eq_u32_e64 s2, 11, v0
	v_cndmask_b32_e64 v48, v19, v13, s0
	v_cndmask_b32_e64 v47, v18, v12, s0
	;; [unrolled: 1-line block ×9, first 2 shown]
	v_cndmask_b32_e32 v33, v4, v12, vcc_lo
	v_cmp_eq_u32_e32 vcc_lo, 9, v0
	v_cndmask_b32_e64 v46, v17, v13, s5
	v_cndmask_b32_e64 v1, v1, v18, s0
	;; [unrolled: 1-line block ×3, first 2 shown]
	v_cmp_eq_u32_e64 s0, 12, v0
	v_cndmask_b32_e64 v45, v16, v12, s5
	v_dual_cndmask_b32 v50, v21, v13 :: v_dual_cndmask_b32 v49, v20, v12
	v_cndmask_b32_e64 v52, v23, v13, s1
	v_cndmask_b32_e64 v51, v22, v12, s1
	;; [unrolled: 1-line block ×6, first 2 shown]
	v_cndmask_b32_e32 v1, v1, v20, vcc_lo
	v_cndmask_b32_e32 v3, v3, v21, vcc_lo
	v_cmp_eq_u32_e32 vcc_lo, 13, v0
	s_delay_alu instid0(VALU_DEP_3) | instskip(NEXT) | instid1(VALU_DEP_3)
	v_cndmask_b32_e64 v1, v1, v22, s1
	v_cndmask_b32_e64 v3, v3, v23, s1
	v_cmp_eq_u32_e64 s1, 14, v0
	v_dual_cndmask_b32 v58, v29, v13 :: v_dual_cndmask_b32 v57, v28, v12
	s_delay_alu instid0(VALU_DEP_4) | instskip(NEXT) | instid1(VALU_DEP_4)
	v_cndmask_b32_e64 v1, v1, v24, s2
	v_cndmask_b32_e64 v3, v3, v25, s2
	s_delay_alu instid0(VALU_DEP_4) | instskip(SKIP_1) | instid1(VALU_DEP_4)
	v_cndmask_b32_e64 v60, v31, v13, s1
	v_cndmask_b32_e64 v59, v30, v12, s1
	;; [unrolled: 1-line block ×3, first 2 shown]
	s_delay_alu instid0(VALU_DEP_4) | instskip(NEXT) | instid1(VALU_DEP_2)
	v_cndmask_b32_e64 v3, v3, v27, s0
	v_cndmask_b32_e32 v1, v1, v28, vcc_lo
	s_delay_alu instid0(VALU_DEP_1) | instskip(NEXT) | instid1(VALU_DEP_1)
	v_cndmask_b32_e64 v0, v1, v30, s1
	v_cndmask_b32_e64 v41, v0, v12, s3
	s_delay_alu instid0(VALU_DEP_4) | instskip(NEXT) | instid1(VALU_DEP_1)
	v_cndmask_b32_e32 v3, v3, v29, vcc_lo
	v_cndmask_b32_e64 v1, v3, v31, s1
	v_cndmask_b32_e64 v31, v2, v12, s6
	s_delay_alu instid0(VALU_DEP_2) | instskip(NEXT) | instid1(VALU_DEP_2)
	v_cndmask_b32_e64 v42, v1, v13, s3
	v_mov_b32_e32 v2, v31
	v_dual_mov_b32 v8, v37 :: v_dual_mov_b32 v3, v32
	v_mov_b32_e32 v10, v39
	v_dual_mov_b32 v4, v33 :: v_dual_mov_b32 v5, v34
	;; [unrolled: 2-line block ×3, first 2 shown]
	v_dual_mov_b32 v14, v43 :: v_dual_mov_b32 v9, v38
	v_dual_mov_b32 v16, v45 :: v_dual_mov_b32 v11, v40
	;; [unrolled: 1-line block ×9, first 2 shown]
	v_mov_b32_e32 v27, v56
	v_mov_b32_e32 v29, v58
	;; [unrolled: 1-line block ×5, first 2 shown]
.LBB14_131:
	s_or_b32 exec_lo, exec_lo, s7
	v_dual_mov_b32 v0, s16 :: v_dual_mov_b32 v1, s17
	s_mov_b32 s7, exec_lo
	flat_load_b32 v0, v[0:1] offset:16
	s_waitcnt vmcnt(0) lgkmcnt(0)
	v_add_nc_u32_e32 v0, -1, v0
	s_delay_alu instid0(VALU_DEP_1)
	v_cmpx_ne_u32_e32 4, v0
	s_cbranch_execz .LBB14_133
; %bb.132:
	v_cmp_eq_u32_e32 vcc_lo, 1, v0
	v_cmp_eq_u32_e64 s0, 2, v0
	v_cmp_eq_u32_e64 s1, 3, v0
	;; [unrolled: 1-line block ×4, first 2 shown]
	v_dual_cndmask_b32 v1, v2, v4 :: v_dual_cndmask_b32 v32, v3, v5
	v_cmp_eq_u32_e64 s4, 6, v0
	v_cmp_eq_u32_e64 s5, 7, v0
	;; [unrolled: 1-line block ×3, first 2 shown]
	s_delay_alu instid0(VALU_DEP_4)
	v_cndmask_b32_e64 v1, v1, v6, s0
	v_cndmask_b32_e64 v32, v32, v7, s0
	;; [unrolled: 1-line block ×4, first 2 shown]
	v_cmp_eq_u32_e64 s0, 8, v0
	v_cndmask_b32_e64 v1, v1, v8, s1
	v_cndmask_b32_e64 v32, v32, v9, s1
	v_cndmask_b32_e32 v34, v5, v11, vcc_lo
	v_cndmask_b32_e64 v38, v9, v11, s1
	v_cndmask_b32_e64 v37, v8, v10, s1
	;; [unrolled: 1-line block ×6, first 2 shown]
	v_cmp_eq_u32_e64 s1, 10, v0
	v_cndmask_b32_e64 v1, v1, v12, s3
	v_cndmask_b32_e64 v32, v32, v13, s3
	v_cmp_eq_u32_e64 s3, 11, v0
	v_cndmask_b32_e64 v48, v19, v11, s0
	v_cndmask_b32_e64 v47, v18, v10, s0
	;; [unrolled: 1-line block ×9, first 2 shown]
	v_cndmask_b32_e32 v33, v4, v10, vcc_lo
	v_cmp_eq_u32_e32 vcc_lo, 9, v0
	v_cndmask_b32_e64 v46, v17, v11, s5
	v_cndmask_b32_e64 v1, v1, v18, s0
	;; [unrolled: 1-line block ×3, first 2 shown]
	v_cmp_eq_u32_e64 s0, 12, v0
	v_cndmask_b32_e64 v45, v16, v10, s5
	v_dual_cndmask_b32 v49, v20, v10 :: v_dual_cndmask_b32 v50, v21, v11
	s_delay_alu instid0(VALU_DEP_4)
	v_cndmask_b32_e32 v3, v3, v21, vcc_lo
	v_cndmask_b32_e64 v52, v23, v11, s1
	v_cndmask_b32_e64 v51, v22, v10, s1
	;; [unrolled: 1-line block ×6, first 2 shown]
	v_cndmask_b32_e32 v1, v1, v20, vcc_lo
	v_cndmask_b32_e64 v3, v3, v23, s1
	v_cmp_eq_u32_e32 vcc_lo, 13, v0
	s_delay_alu instid0(VALU_DEP_3) | instskip(SKIP_1) | instid1(VALU_DEP_4)
	v_cndmask_b32_e64 v1, v1, v22, s1
	v_cmp_eq_u32_e64 s1, 14, v0
	v_cndmask_b32_e64 v3, v3, v25, s3
	v_dual_cndmask_b32 v58, v29, v11 :: v_dual_cndmask_b32 v57, v28, v10
	s_delay_alu instid0(VALU_DEP_4) | instskip(NEXT) | instid1(VALU_DEP_4)
	v_cndmask_b32_e64 v1, v1, v24, s3
	v_cndmask_b32_e64 v60, v31, v11, s1
	;; [unrolled: 1-line block ×4, first 2 shown]
	s_delay_alu instid0(VALU_DEP_4) | instskip(NEXT) | instid1(VALU_DEP_1)
	v_cndmask_b32_e64 v1, v1, v26, s0
	v_cndmask_b32_e32 v1, v1, v28, vcc_lo
	s_delay_alu instid0(VALU_DEP_1) | instskip(NEXT) | instid1(VALU_DEP_1)
	v_cndmask_b32_e64 v0, v1, v30, s1
	v_cndmask_b32_e64 v39, v0, v10, s2
	v_cndmask_b32_e32 v3, v3, v29, vcc_lo
	s_delay_alu instid0(VALU_DEP_1) | instskip(SKIP_1) | instid1(VALU_DEP_2)
	v_cndmask_b32_e64 v1, v3, v31, s1
	v_cndmask_b32_e64 v31, v2, v10, s6
	v_cndmask_b32_e64 v40, v1, v11, s2
	s_delay_alu instid0(VALU_DEP_2)
	v_mov_b32_e32 v2, v31
	v_dual_mov_b32 v4, v33 :: v_dual_mov_b32 v3, v32
	v_dual_mov_b32 v8, v37 :: v_dual_mov_b32 v5, v34
	v_mov_b32_e32 v10, v39
	v_dual_mov_b32 v6, v35 :: v_dual_mov_b32 v7, v36
	v_dual_mov_b32 v12, v41 :: v_dual_mov_b32 v9, v38
	;; [unrolled: 1-line block ×11, first 2 shown]
	v_mov_b32_e32 v29, v58
	v_mov_b32_e32 v31, v60
	;; [unrolled: 1-line block ×4, first 2 shown]
.LBB14_133:
	s_or_b32 exec_lo, exec_lo, s7
	v_dual_mov_b32 v0, s16 :: v_dual_mov_b32 v1, s17
	s_mov_b32 s7, exec_lo
	flat_load_b32 v0, v[0:1] offset:12
	s_waitcnt vmcnt(0) lgkmcnt(0)
	v_add_nc_u32_e32 v0, -1, v0
	s_delay_alu instid0(VALU_DEP_1)
	v_cmpx_ne_u32_e32 3, v0
	s_cbranch_execz .LBB14_135
; %bb.134:
	v_cmp_eq_u32_e32 vcc_lo, 1, v0
	v_cmp_eq_u32_e64 s0, 2, v0
	v_cmp_eq_u32_e64 s1, 3, v0
	;; [unrolled: 1-line block ×4, first 2 shown]
	v_dual_cndmask_b32 v1, v2, v4 :: v_dual_cndmask_b32 v32, v3, v5
	v_cmp_eq_u32_e64 s4, 6, v0
	v_cmp_eq_u32_e64 s5, 7, v0
	;; [unrolled: 1-line block ×3, first 2 shown]
	s_delay_alu instid0(VALU_DEP_4)
	v_cndmask_b32_e64 v1, v1, v6, s0
	v_cndmask_b32_e64 v32, v32, v7, s0
	v_cndmask_b32_e64 v36, v7, v9, s0
	v_cndmask_b32_e64 v35, v6, v8, s0
	v_cmp_eq_u32_e64 s0, 8, v0
	v_cndmask_b32_e64 v1, v1, v8, s1
	v_cndmask_b32_e64 v32, v32, v9, s1
	v_cndmask_b32_e32 v34, v5, v9, vcc_lo
	v_cndmask_b32_e64 v40, v11, v9, s2
	v_cndmask_b32_e64 v39, v10, v8, s2
	;; [unrolled: 1-line block ×6, first 2 shown]
	v_cmp_eq_u32_e64 s2, 10, v0
	v_cndmask_b32_e64 v1, v1, v12, s3
	v_cndmask_b32_e64 v32, v32, v13, s3
	v_cmp_eq_u32_e64 s3, 11, v0
	v_cndmask_b32_e64 v48, v19, v9, s0
	v_cndmask_b32_e64 v47, v18, v8, s0
	;; [unrolled: 1-line block ×9, first 2 shown]
	v_cndmask_b32_e32 v33, v4, v8, vcc_lo
	v_cmp_eq_u32_e32 vcc_lo, 9, v0
	v_cndmask_b32_e64 v46, v17, v9, s5
	v_cndmask_b32_e64 v1, v1, v18, s0
	;; [unrolled: 1-line block ×3, first 2 shown]
	v_cmp_eq_u32_e64 s0, 12, v0
	v_cndmask_b32_e64 v45, v16, v8, s5
	v_dual_cndmask_b32 v50, v21, v9 :: v_dual_cndmask_b32 v49, v20, v8
	v_cndmask_b32_e64 v52, v23, v9, s2
	v_cndmask_b32_e64 v51, v22, v8, s2
	;; [unrolled: 1-line block ×6, first 2 shown]
	v_cndmask_b32_e32 v1, v1, v20, vcc_lo
	v_cndmask_b32_e32 v3, v3, v21, vcc_lo
	v_cmp_eq_u32_e32 vcc_lo, 13, v0
	s_delay_alu instid0(VALU_DEP_3) | instskip(NEXT) | instid1(VALU_DEP_3)
	v_cndmask_b32_e64 v1, v1, v22, s2
	v_cndmask_b32_e64 v3, v3, v23, s2
	v_cmp_eq_u32_e64 s2, 14, v0
	v_dual_cndmask_b32 v58, v29, v9 :: v_dual_cndmask_b32 v57, v28, v8
	s_delay_alu instid0(VALU_DEP_4) | instskip(NEXT) | instid1(VALU_DEP_4)
	v_cndmask_b32_e64 v1, v1, v24, s3
	v_cndmask_b32_e64 v3, v3, v25, s3
	s_delay_alu instid0(VALU_DEP_4) | instskip(SKIP_1) | instid1(VALU_DEP_4)
	v_cndmask_b32_e64 v60, v31, v9, s2
	v_cndmask_b32_e64 v59, v30, v8, s2
	;; [unrolled: 1-line block ×3, first 2 shown]
	s_delay_alu instid0(VALU_DEP_4) | instskip(NEXT) | instid1(VALU_DEP_2)
	v_cndmask_b32_e64 v3, v3, v27, s0
	v_cndmask_b32_e32 v1, v1, v28, vcc_lo
	s_delay_alu instid0(VALU_DEP_1) | instskip(NEXT) | instid1(VALU_DEP_1)
	v_cndmask_b32_e64 v0, v1, v30, s2
	v_cndmask_b32_e64 v37, v0, v8, s1
	s_delay_alu instid0(VALU_DEP_4) | instskip(NEXT) | instid1(VALU_DEP_1)
	v_cndmask_b32_e32 v3, v3, v29, vcc_lo
	v_cndmask_b32_e64 v1, v3, v31, s2
	v_cndmask_b32_e64 v31, v2, v8, s6
	s_delay_alu instid0(VALU_DEP_2) | instskip(NEXT) | instid1(VALU_DEP_2)
	v_cndmask_b32_e64 v38, v1, v9, s1
	v_mov_b32_e32 v2, v31
	v_dual_mov_b32 v8, v37 :: v_dual_mov_b32 v3, v32
	v_mov_b32_e32 v10, v39
	v_dual_mov_b32 v4, v33 :: v_dual_mov_b32 v5, v34
	v_mov_b32_e32 v12, v41
	v_dual_mov_b32 v6, v35 :: v_dual_mov_b32 v7, v36
	v_dual_mov_b32 v14, v43 :: v_dual_mov_b32 v9, v38
	v_dual_mov_b32 v16, v45 :: v_dual_mov_b32 v11, v40
	;; [unrolled: 1-line block ×9, first 2 shown]
	v_mov_b32_e32 v27, v56
	v_mov_b32_e32 v29, v58
	;; [unrolled: 1-line block ×5, first 2 shown]
.LBB14_135:
	s_or_b32 exec_lo, exec_lo, s7
	v_dual_mov_b32 v0, s16 :: v_dual_mov_b32 v1, s17
	s_mov_b32 s7, exec_lo
	flat_load_b32 v0, v[0:1] offset:8
	s_waitcnt vmcnt(0) lgkmcnt(0)
	v_add_nc_u32_e32 v0, -1, v0
	s_delay_alu instid0(VALU_DEP_1)
	v_cmpx_ne_u32_e32 2, v0
	s_cbranch_execz .LBB14_137
; %bb.136:
	v_cmp_eq_u32_e32 vcc_lo, 1, v0
	v_cmp_eq_u32_e64 s0, 2, v0
	v_cmp_eq_u32_e64 s1, 3, v0
	;; [unrolled: 1-line block ×4, first 2 shown]
	v_dual_cndmask_b32 v1, v2, v4 :: v_dual_cndmask_b32 v32, v3, v5
	v_cmp_eq_u32_e64 s4, 6, v0
	v_cmp_eq_u32_e64 s5, 7, v0
	;; [unrolled: 1-line block ×3, first 2 shown]
	s_delay_alu instid0(VALU_DEP_4) | instskip(SKIP_3) | instid1(VALU_DEP_4)
	v_cndmask_b32_e64 v1, v1, v6, s0
	v_cndmask_b32_e64 v32, v32, v7, s0
	v_dual_cndmask_b32 v34, v5, v7 :: v_dual_cndmask_b32 v33, v4, v6
	v_cmp_eq_u32_e32 vcc_lo, 8, v0
	v_cndmask_b32_e64 v1, v1, v8, s1
	s_delay_alu instid0(VALU_DEP_4)
	v_cndmask_b32_e64 v32, v32, v9, s1
	v_cndmask_b32_e64 v38, v9, v7, s1
	;; [unrolled: 1-line block ×6, first 2 shown]
	v_cmp_eq_u32_e64 s1, 9, v0
	v_cndmask_b32_e64 v39, v10, v6, s2
	v_cndmask_b32_e64 v42, v13, v7, s3
	;; [unrolled: 1-line block ×5, first 2 shown]
	v_cmp_eq_u32_e64 s2, 10, v0
	v_cmp_eq_u32_e64 s3, 11, v0
	v_cndmask_b32_e64 v1, v1, v14, s4
	v_cndmask_b32_e64 v35, v32, v15, s4
	;; [unrolled: 1-line block ×9, first 2 shown]
	v_cndmask_b32_e32 v47, v18, v6, vcc_lo
	v_dual_cndmask_b32 v1, v1, v18 :: v_dual_cndmask_b32 v48, v19, v7
	v_cndmask_b32_e64 v50, v21, v7, s1
	v_cndmask_b32_e64 v49, v20, v6, s1
	;; [unrolled: 1-line block ×3, first 2 shown]
	s_delay_alu instid0(VALU_DEP_4)
	v_cndmask_b32_e64 v1, v1, v20, s1
	v_cndmask_b32_e64 v51, v22, v6, s2
	;; [unrolled: 1-line block ×4, first 2 shown]
	v_cndmask_b32_e32 v3, v3, v19, vcc_lo
	v_cndmask_b32_e64 v1, v1, v22, s2
	v_cmp_eq_u32_e32 vcc_lo, 12, v0
	s_delay_alu instid0(VALU_DEP_3) | instskip(NEXT) | instid1(VALU_DEP_3)
	v_cndmask_b32_e64 v3, v3, v21, s1
	v_cndmask_b32_e64 v1, v1, v24, s3
	v_cmp_eq_u32_e64 s1, 13, v0
	v_dual_cndmask_b32 v56, v27, v7 :: v_dual_cndmask_b32 v55, v26, v6
	s_delay_alu instid0(VALU_DEP_4) | instskip(SKIP_1) | instid1(VALU_DEP_4)
	v_cndmask_b32_e64 v3, v3, v23, s2
	v_cmp_eq_u32_e64 s2, 14, v0
	v_cndmask_b32_e64 v58, v29, v7, s1
	v_cndmask_b32_e64 v57, v28, v6, s1
	s_delay_alu instid0(VALU_DEP_4) | instskip(NEXT) | instid1(VALU_DEP_4)
	v_cndmask_b32_e64 v3, v3, v25, s3
	v_cndmask_b32_e64 v60, v31, v7, s2
	;; [unrolled: 1-line block ×3, first 2 shown]
	v_cndmask_b32_e32 v1, v1, v26, vcc_lo
	s_delay_alu instid0(VALU_DEP_1) | instskip(NEXT) | instid1(VALU_DEP_1)
	v_cndmask_b32_e64 v1, v1, v28, s1
	v_cndmask_b32_e64 v0, v1, v30, s2
	s_delay_alu instid0(VALU_DEP_1) | instskip(SKIP_1) | instid1(VALU_DEP_1)
	v_cndmask_b32_e64 v35, v0, v6, s0
	v_cndmask_b32_e32 v3, v3, v27, vcc_lo
	v_cndmask_b32_e64 v3, v3, v29, s1
	s_delay_alu instid0(VALU_DEP_1) | instskip(SKIP_1) | instid1(VALU_DEP_2)
	v_cndmask_b32_e64 v1, v3, v31, s2
	v_cndmask_b32_e64 v31, v2, v6, s6
	;; [unrolled: 1-line block ×3, first 2 shown]
	s_delay_alu instid0(VALU_DEP_2)
	v_mov_b32_e32 v2, v31
	v_dual_mov_b32 v8, v37 :: v_dual_mov_b32 v3, v32
	v_mov_b32_e32 v6, v35
	v_dual_mov_b32 v4, v33 :: v_dual_mov_b32 v5, v34
	v_dual_mov_b32 v10, v39 :: v_dual_mov_b32 v7, v36
	;; [unrolled: 1-line block ×12, first 2 shown]
	v_mov_b32_e32 v29, v58
	v_mov_b32_e32 v31, v60
	;; [unrolled: 1-line block ×4, first 2 shown]
.LBB14_137:
	s_or_b32 exec_lo, exec_lo, s7
	v_dual_mov_b32 v0, s16 :: v_dual_mov_b32 v1, s17
	s_mov_b32 s7, exec_lo
	flat_load_b32 v0, v[0:1] offset:4
	s_waitcnt vmcnt(0) lgkmcnt(0)
	v_add_nc_u32_e32 v0, -1, v0
	s_delay_alu instid0(VALU_DEP_1)
	v_cmpx_ne_u32_e32 1, v0
	s_cbranch_execz .LBB14_139
; %bb.138:
	v_cmp_eq_u32_e32 vcc_lo, 1, v0
	v_cmp_eq_u32_e64 s0, 2, v0
	v_cmp_eq_u32_e64 s1, 3, v0
	;; [unrolled: 1-line block ×4, first 2 shown]
	v_dual_cndmask_b32 v1, v2, v4 :: v_dual_cndmask_b32 v32, v3, v5
	v_cmp_eq_u32_e64 s4, 6, v0
	v_cmp_eq_u32_e64 s5, 7, v0
	;; [unrolled: 1-line block ×3, first 2 shown]
	s_delay_alu instid0(VALU_DEP_4)
	v_cndmask_b32_e64 v1, v1, v6, s0
	v_cndmask_b32_e64 v32, v32, v7, s0
	v_cndmask_b32_e64 v36, v7, v5, s0
	v_cndmask_b32_e64 v35, v6, v4, s0
	v_cmp_eq_u32_e64 s0, 8, v0
	v_cndmask_b32_e64 v1, v1, v8, s1
	v_cndmask_b32_e64 v32, v32, v9, s1
	v_cndmask_b32_e64 v38, v9, v5, s1
	v_cndmask_b32_e64 v37, v8, v4, s1
	v_cmp_eq_u32_e64 s1, 9, v0
	;; [unrolled: 5-line block ×4, first 2 shown]
	v_cndmask_b32_e64 v1, v1, v14, s4
	v_cndmask_b32_e64 v33, v32, v15, s4
	;; [unrolled: 1-line block ×12, first 2 shown]
	v_cmp_eq_u32_e64 s0, 12, v0
	v_cndmask_b32_e64 v51, v22, v4, s2
	v_cndmask_b32_e64 v44, v15, v5, s4
	v_cndmask_b32_e64 v1, v1, v20, s1
	v_cndmask_b32_e64 v3, v3, v21, s1
	v_cmp_eq_u32_e64 s1, 13, v0
	v_cndmask_b32_e64 v43, v14, v4, s4
	v_cndmask_b32_e64 v46, v17, v5, s5
	v_cndmask_b32_e64 v1, v1, v22, s2
	v_cndmask_b32_e64 v3, v3, v23, s2
	v_cmp_eq_u32_e64 s2, 14, v0
	v_cndmask_b32_e64 v45, v16, v4, s5
	v_cndmask_b32_e64 v54, v25, v5, s3
	v_cndmask_b32_e64 v1, v1, v24, s3
	v_cndmask_b32_e64 v3, v3, v25, s3
	v_cndmask_b32_e64 v60, v31, v5, s2
	v_cndmask_b32_e64 v53, v24, v4, s3
	;; [unrolled: 1-line block ×11, first 2 shown]
	s_delay_alu instid0(VALU_DEP_3) | instskip(NEXT) | instid1(VALU_DEP_3)
	v_cndmask_b32_e64 v0, v1, v30, s2
	v_cndmask_b32_e64 v1, v3, v31, s2
	;; [unrolled: 1-line block ×3, first 2 shown]
	s_delay_alu instid0(VALU_DEP_2) | instskip(NEXT) | instid1(VALU_DEP_2)
	v_dual_cndmask_b32 v33, v0, v4 :: v_dual_cndmask_b32 v34, v1, v5
	v_mov_b32_e32 v2, v31
	s_delay_alu instid0(VALU_DEP_2) | instskip(NEXT) | instid1(VALU_DEP_3)
	v_dual_mov_b32 v3, v32 :: v_dual_mov_b32 v4, v33
	v_dual_mov_b32 v6, v35 :: v_dual_mov_b32 v5, v34
	;; [unrolled: 1-line block ×14, first 2 shown]
	v_mov_b32_e32 v31, v60
	v_mov_b32_e32 v32, v61
	v_mov_b32_e32 v33, v62
.LBB14_139:
	s_or_b32 exec_lo, exec_lo, s7
	v_dual_mov_b32 v0, s16 :: v_dual_mov_b32 v1, s17
	s_mov_b32 s6, exec_lo
	flat_load_b32 v0, v[0:1]
	s_waitcnt vmcnt(0) lgkmcnt(0)
	v_add_nc_u32_e32 v0, -1, v0
	s_delay_alu instid0(VALU_DEP_1)
	v_cmpx_ne_u32_e32 0, v0
	s_cbranch_execz .LBB14_141
; %bb.140:
	v_cmp_eq_u32_e32 vcc_lo, 1, v0
	v_cmp_eq_u32_e64 s0, 2, v0
	v_cmp_eq_u32_e64 s1, 3, v0
	v_cmp_eq_u32_e64 s2, 4, v0
	v_cmp_eq_u32_e64 s3, 5, v0
	v_dual_cndmask_b32 v1, v2, v4 :: v_dual_cndmask_b32 v32, v3, v5
	v_cmp_eq_u32_e64 s4, 6, v0
	v_cmp_eq_u32_e64 s5, 7, v0
	v_cndmask_b32_e64 v34, v7, v3, s0
	s_delay_alu instid0(VALU_DEP_4)
	v_cndmask_b32_e64 v1, v1, v6, s0
	v_cndmask_b32_e64 v32, v32, v7, s0
	;; [unrolled: 1-line block ×3, first 2 shown]
	v_cmp_eq_u32_e64 s0, 8, v0
	v_cndmask_b32_e64 v36, v9, v3, s1
	v_cndmask_b32_e64 v1, v1, v8, s1
	;; [unrolled: 1-line block ×8, first 2 shown]
	v_cmp_eq_u32_e64 s2, 10, v0
	v_cndmask_b32_e64 v39, v12, v2, s3
	v_cndmask_b32_e64 v46, v19, v3, s0
	;; [unrolled: 1-line block ×4, first 2 shown]
	v_cmp_eq_u32_e64 s3, 11, v0
	v_cndmask_b32_e64 v45, v18, v2, s0
	v_cndmask_b32_e64 v50, v23, v3, s2
	;; [unrolled: 1-line block ×4, first 2 shown]
	v_cndmask_b32_e32 v32, v5, v3, vcc_lo
	v_cndmask_b32_e64 v49, v22, v2, s2
	v_cndmask_b32_e64 v42, v15, v3, s4
	;; [unrolled: 1-line block ×5, first 2 shown]
	v_cmp_eq_u32_e64 s1, 9, v0
	v_cndmask_b32_e64 v41, v14, v2, s4
	v_cndmask_b32_e64 v1, v1, v18, s0
	v_cndmask_b32_e64 v5, v5, v19, s0
	v_cmp_eq_u32_e64 s0, 12, v0
	v_cndmask_b32_e64 v48, v21, v3, s1
	v_cndmask_b32_e64 v47, v20, v2, s1
	v_cndmask_b32_e64 v1, v1, v20, s1
	v_cndmask_b32_e64 v5, v5, v21, s1
	v_cmp_eq_u32_e64 s1, 13, v0
	v_cndmask_b32_e64 v54, v27, v3, s0
	;; [unrolled: 5-line block ×3, first 2 shown]
	v_cndmask_b32_e64 v44, v17, v3, s5
	v_cndmask_b32_e64 v1, v1, v24, s3
	;; [unrolled: 1-line block ×8, first 2 shown]
	v_cmp_eq_u32_e64 s0, 0, v0
	v_cndmask_b32_e64 v55, v28, v2, s1
	v_cndmask_b32_e64 v58, v31, v3, s2
	v_cndmask_b32_e64 v1, v1, v28, s1
	v_cndmask_b32_e64 v5, v5, v29, s1
	v_cndmask_b32_e64 v57, v30, v2, s2
	s_delay_alu instid0(VALU_DEP_3) | instskip(NEXT) | instid1(VALU_DEP_3)
	v_cndmask_b32_e64 v1, v1, v30, s2
	v_cndmask_b32_e64 v5, v5, v31, s2
	v_cndmask_b32_e32 v31, v4, v2, vcc_lo
	s_delay_alu instid0(VALU_DEP_3) | instskip(NEXT) | instid1(VALU_DEP_3)
	v_cndmask_b32_e64 v29, v1, v2, s0
	v_cndmask_b32_e64 v30, v5, v3, s0
	s_delay_alu instid0(VALU_DEP_2) | instskip(NEXT) | instid1(VALU_DEP_2)
	v_mov_b32_e32 v2, v29
	v_dual_mov_b32 v3, v30 :: v_dual_mov_b32 v4, v31
	v_dual_mov_b32 v5, v32 :: v_dual_mov_b32 v6, v33
	;; [unrolled: 1-line block ×13, first 2 shown]
	v_mov_b32_e32 v29, v56
	v_mov_b32_e32 v30, v57
	;; [unrolled: 1-line block ×5, first 2 shown]
.LBB14_141:
	s_or_b32 exec_lo, exec_lo, s6
.LBB14_142:
	s_delay_alu instid0(VALU_DEP_1)
	v_dual_mov_b32 v1, v3 :: v_dual_mov_b32 v0, v2
	v_dual_mov_b32 v3, v5 :: v_dual_mov_b32 v2, v4
	v_dual_mov_b32 v5, v7 :: v_dual_mov_b32 v4, v6
	v_dual_mov_b32 v7, v9 :: v_dual_mov_b32 v6, v8
	v_dual_mov_b32 v9, v11 :: v_dual_mov_b32 v8, v10
	s_clause 0x4
	global_store_b64 v[64:65], v[0:1], off
	global_store_b64 v[66:67], v[2:3], off
	global_store_b64 v[68:69], v[4:5], off
	global_store_b64 v[70:71], v[6:7], off
	global_store_b64 v[72:73], v[8:9], off
	v_dual_mov_b32 v1, v13 :: v_dual_mov_b32 v0, v12
	v_dual_mov_b32 v3, v15 :: v_dual_mov_b32 v2, v14
	v_dual_mov_b32 v5, v17 :: v_dual_mov_b32 v4, v16
	v_dual_mov_b32 v7, v19 :: v_dual_mov_b32 v6, v18
	v_dual_mov_b32 v9, v21 :: v_dual_mov_b32 v8, v20
	s_clause 0x4
	global_store_b64 v[74:75], v[0:1], off
	global_store_b64 v[76:77], v[2:3], off
	global_store_b64 v[78:79], v[4:5], off
	global_store_b64 v[80:81], v[6:7], off
	global_store_b64 v[84:85], v[8:9], off
	;; [unrolled: 11-line block ×3, first 2 shown]
	s_nop 0
	s_sendmsg sendmsg(MSG_DEALLOC_VGPRS)
	s_endpgm
	.section	.rodata,"a",@progbits
	.p2align	6, 0x0
	.amdhsa_kernel _ZN9rocsolver6v33100L18getri_kernel_smallILi15EdPdEEvT1_iilPiilS4_bb
		.amdhsa_group_segment_fixed_size 248
		.amdhsa_private_segment_fixed_size 0
		.amdhsa_kernarg_size 60
		.amdhsa_user_sgpr_count 15
		.amdhsa_user_sgpr_dispatch_ptr 0
		.amdhsa_user_sgpr_queue_ptr 0
		.amdhsa_user_sgpr_kernarg_segment_ptr 1
		.amdhsa_user_sgpr_dispatch_id 0
		.amdhsa_user_sgpr_private_segment_size 0
		.amdhsa_wavefront_size32 1
		.amdhsa_uses_dynamic_stack 0
		.amdhsa_enable_private_segment 0
		.amdhsa_system_sgpr_workgroup_id_x 1
		.amdhsa_system_sgpr_workgroup_id_y 0
		.amdhsa_system_sgpr_workgroup_id_z 0
		.amdhsa_system_sgpr_workgroup_info 0
		.amdhsa_system_vgpr_workitem_id 0
		.amdhsa_next_free_vgpr 96
		.amdhsa_next_free_sgpr 21
		.amdhsa_reserve_vcc 1
		.amdhsa_float_round_mode_32 0
		.amdhsa_float_round_mode_16_64 0
		.amdhsa_float_denorm_mode_32 3
		.amdhsa_float_denorm_mode_16_64 3
		.amdhsa_dx10_clamp 1
		.amdhsa_ieee_mode 1
		.amdhsa_fp16_overflow 0
		.amdhsa_workgroup_processor_mode 1
		.amdhsa_memory_ordered 1
		.amdhsa_forward_progress 0
		.amdhsa_shared_vgpr_count 0
		.amdhsa_exception_fp_ieee_invalid_op 0
		.amdhsa_exception_fp_denorm_src 0
		.amdhsa_exception_fp_ieee_div_zero 0
		.amdhsa_exception_fp_ieee_overflow 0
		.amdhsa_exception_fp_ieee_underflow 0
		.amdhsa_exception_fp_ieee_inexact 0
		.amdhsa_exception_int_div_zero 0
	.end_amdhsa_kernel
	.section	.text._ZN9rocsolver6v33100L18getri_kernel_smallILi15EdPdEEvT1_iilPiilS4_bb,"axG",@progbits,_ZN9rocsolver6v33100L18getri_kernel_smallILi15EdPdEEvT1_iilPiilS4_bb,comdat
.Lfunc_end14:
	.size	_ZN9rocsolver6v33100L18getri_kernel_smallILi15EdPdEEvT1_iilPiilS4_bb, .Lfunc_end14-_ZN9rocsolver6v33100L18getri_kernel_smallILi15EdPdEEvT1_iilPiilS4_bb
                                        ; -- End function
	.section	.AMDGPU.csdata,"",@progbits
; Kernel info:
; codeLenInByte = 27584
; NumSgprs: 23
; NumVgprs: 96
; ScratchSize: 0
; MemoryBound: 0
; FloatMode: 240
; IeeeMode: 1
; LDSByteSize: 248 bytes/workgroup (compile time only)
; SGPRBlocks: 2
; VGPRBlocks: 11
; NumSGPRsForWavesPerEU: 23
; NumVGPRsForWavesPerEU: 96
; Occupancy: 16
; WaveLimiterHint : 0
; COMPUTE_PGM_RSRC2:SCRATCH_EN: 0
; COMPUTE_PGM_RSRC2:USER_SGPR: 15
; COMPUTE_PGM_RSRC2:TRAP_HANDLER: 0
; COMPUTE_PGM_RSRC2:TGID_X_EN: 1
; COMPUTE_PGM_RSRC2:TGID_Y_EN: 0
; COMPUTE_PGM_RSRC2:TGID_Z_EN: 0
; COMPUTE_PGM_RSRC2:TIDIG_COMP_CNT: 0
	.section	.text._ZN9rocsolver6v33100L18getri_kernel_smallILi16EdPdEEvT1_iilPiilS4_bb,"axG",@progbits,_ZN9rocsolver6v33100L18getri_kernel_smallILi16EdPdEEvT1_iilPiilS4_bb,comdat
	.globl	_ZN9rocsolver6v33100L18getri_kernel_smallILi16EdPdEEvT1_iilPiilS4_bb ; -- Begin function _ZN9rocsolver6v33100L18getri_kernel_smallILi16EdPdEEvT1_iilPiilS4_bb
	.p2align	8
	.type	_ZN9rocsolver6v33100L18getri_kernel_smallILi16EdPdEEvT1_iilPiilS4_bb,@function
_ZN9rocsolver6v33100L18getri_kernel_smallILi16EdPdEEvT1_iilPiilS4_bb: ; @_ZN9rocsolver6v33100L18getri_kernel_smallILi16EdPdEEvT1_iilPiilS4_bb
; %bb.0:
	s_mov_b32 s2, exec_lo
	v_cmpx_gt_u32_e32 16, v0
	s_cbranch_execz .LBB15_16
; %bb.1:
	s_clause 0x2
	s_load_b32 s8, s[0:1], 0x38
	s_load_b128 s[4:7], s[0:1], 0x10
	s_load_b128 s[16:19], s[0:1], 0x28
	s_mov_b32 s22, s15
                                        ; implicit-def: $sgpr20_sgpr21
	s_waitcnt lgkmcnt(0)
	s_bitcmp1_b32 s8, 8
	s_cselect_b32 s15, -1, 0
	s_bfe_u32 s2, s8, 0x10008
	s_ashr_i32 s23, s22, 31
	s_cmp_eq_u32 s2, 0
	s_cbranch_scc1 .LBB15_3
; %bb.2:
	s_load_b32 s2, s[0:1], 0x20
	s_mul_i32 s3, s22, s17
	s_mul_hi_u32 s9, s22, s16
	s_mul_i32 s11, s23, s16
	s_add_i32 s3, s9, s3
	s_mul_i32 s10, s22, s16
	s_add_i32 s11, s3, s11
	s_delay_alu instid0(SALU_CYCLE_1)
	s_lshl_b64 s[10:11], s[10:11], 2
	s_waitcnt lgkmcnt(0)
	s_ashr_i32 s3, s2, 31
	s_add_u32 s6, s6, s10
	s_addc_u32 s7, s7, s11
	s_lshl_b64 s[2:3], s[2:3], 2
	s_delay_alu instid0(SALU_CYCLE_1)
	s_add_u32 s20, s6, s2
	s_addc_u32 s21, s7, s3
.LBB15_3:
	s_load_b128 s[0:3], s[0:1], 0x0
	s_mul_i32 s5, s22, s5
	s_mul_hi_u32 s6, s22, s4
	s_mul_i32 s7, s23, s4
	s_add_i32 s5, s6, s5
	s_mul_i32 s4, s22, s4
	s_add_i32 s5, s5, s7
	v_lshlrev_b32_e32 v36, 3, v0
	s_lshl_b64 s[4:5], s[4:5], 3
	s_waitcnt lgkmcnt(0)
	v_add3_u32 v1, s3, s3, v0
	s_ashr_i32 s7, s2, 31
	s_mov_b32 s6, s2
	s_add_u32 s2, s0, s4
	s_addc_u32 s5, s1, s5
	v_add_nc_u32_e32 v3, s3, v1
	s_lshl_b64 s[0:1], s[6:7], 3
	v_ashrrev_i32_e32 v2, 31, v1
	s_add_u32 s0, s2, s0
	s_addc_u32 s1, s5, s1
	v_add_co_u32 v65, s2, s0, v36
	v_add_nc_u32_e32 v5, s3, v3
	s_mov_b32 s4, s3
	s_ashr_i32 s5, s3, 31
	v_add_co_ci_u32_e64 v66, null, s1, 0, s2
	v_lshlrev_b64 v[1:2], 3, v[1:2]
	v_ashrrev_i32_e32 v4, 31, v3
	s_lshl_b64 s[4:5], s[4:5], 3
	v_ashrrev_i32_e32 v6, 31, v5
	v_add_co_u32 v67, vcc_lo, v65, s4
	v_add_nc_u32_e32 v7, s3, v5
	v_add_co_ci_u32_e32 v68, vcc_lo, s5, v66, vcc_lo
	v_lshlrev_b64 v[3:4], 3, v[3:4]
	v_add_co_u32 v71, vcc_lo, s0, v1
	v_add_co_ci_u32_e32 v72, vcc_lo, s1, v2, vcc_lo
	v_lshlrev_b64 v[1:2], 3, v[5:6]
	v_add_nc_u32_e32 v12, s3, v7
	v_add_co_u32 v69, vcc_lo, s0, v3
	v_ashrrev_i32_e32 v8, 31, v7
	v_add_co_ci_u32_e32 v70, vcc_lo, s1, v4, vcc_lo
	v_add_co_u32 v73, vcc_lo, s0, v1
	v_add_nc_u32_e32 v14, s3, v12
	v_add_co_ci_u32_e32 v74, vcc_lo, s1, v2, vcc_lo
	v_lshlrev_b64 v[1:2], 3, v[7:8]
	v_ashrrev_i32_e32 v13, 31, v12
	s_delay_alu instid0(VALU_DEP_4)
	v_ashrrev_i32_e32 v15, 31, v14
	v_add_nc_u32_e32 v16, s3, v14
	s_clause 0x3
	global_load_b64 v[4:5], v[67:68], off
	global_load_b64 v[6:7], v[71:72], off
	;; [unrolled: 1-line block ×4, first 2 shown]
	s_bitcmp0_b32 s8, 0
	v_lshlrev_b64 v[12:13], 3, v[12:13]
	v_add_co_u32 v77, vcc_lo, s0, v1
	v_add_co_ci_u32_e32 v78, vcc_lo, s1, v2, vcc_lo
	v_lshlrev_b64 v[1:2], 3, v[14:15]
	v_add_nc_u32_e32 v14, s3, v16
	v_add_co_u32 v75, vcc_lo, s0, v12
	v_ashrrev_i32_e32 v17, 31, v16
	v_add_co_ci_u32_e32 v76, vcc_lo, s1, v13, vcc_lo
	v_add_co_u32 v79, vcc_lo, s0, v1
	v_add_nc_u32_e32 v1, s3, v14
	v_ashrrev_i32_e32 v15, 31, v14
	v_lshlrev_b64 v[12:13], 3, v[16:17]
	v_add_co_ci_u32_e32 v80, vcc_lo, s1, v2, vcc_lo
	s_delay_alu instid0(VALU_DEP_4) | instskip(NEXT) | instid1(VALU_DEP_4)
	v_add_nc_u32_e32 v22, s3, v1
	v_lshlrev_b64 v[20:21], 3, v[14:15]
	v_ashrrev_i32_e32 v2, 31, v1
	v_add_co_u32 v81, vcc_lo, s0, v12
	s_delay_alu instid0(VALU_DEP_4)
	v_ashrrev_i32_e32 v23, 31, v22
	v_add_nc_u32_e32 v24, s3, v22
	v_add_co_ci_u32_e32 v82, vcc_lo, s1, v13, vcc_lo
	v_lshlrev_b64 v[1:2], 3, v[1:2]
	v_add_co_u32 v83, vcc_lo, s0, v20
	v_add_co_ci_u32_e32 v84, vcc_lo, s1, v21, vcc_lo
	v_lshlrev_b64 v[20:21], 3, v[22:23]
	v_ashrrev_i32_e32 v25, 31, v24
	v_add_nc_u32_e32 v22, s3, v24
	v_add_co_u32 v85, vcc_lo, s0, v1
	v_add_co_ci_u32_e32 v86, vcc_lo, s1, v2, vcc_lo
	s_delay_alu instid0(VALU_DEP_4) | instskip(NEXT) | instid1(VALU_DEP_4)
	v_lshlrev_b64 v[1:2], 3, v[24:25]
	v_ashrrev_i32_e32 v23, 31, v22
	v_add_nc_u32_e32 v24, s3, v22
	v_add_co_u32 v87, vcc_lo, s0, v20
	v_add_co_ci_u32_e32 v88, vcc_lo, s1, v21, vcc_lo
	s_delay_alu instid0(VALU_DEP_4) | instskip(NEXT) | instid1(VALU_DEP_4)
	v_lshlrev_b64 v[20:21], 3, v[22:23]
	v_add_nc_u32_e32 v22, s3, v24
	v_ashrrev_i32_e32 v25, 31, v24
	v_add_co_u32 v95, vcc_lo, s0, v1
	v_add_co_ci_u32_e32 v96, vcc_lo, s1, v2, vcc_lo
	s_delay_alu instid0(VALU_DEP_4) | instskip(NEXT) | instid1(VALU_DEP_4)
	v_ashrrev_i32_e32 v23, 31, v22
	v_lshlrev_b64 v[1:2], 3, v[24:25]
	v_add_co_u32 v91, vcc_lo, s0, v20
	v_add_co_ci_u32_e32 v92, vcc_lo, s1, v21, vcc_lo
	s_delay_alu instid0(VALU_DEP_4) | instskip(NEXT) | instid1(VALU_DEP_4)
	v_lshlrev_b64 v[20:21], 3, v[22:23]
	v_add_co_u32 v93, vcc_lo, s0, v1
	v_mov_b32_e32 v1, 0
	v_add_co_ci_u32_e32 v94, vcc_lo, s1, v2, vcc_lo
	s_delay_alu instid0(VALU_DEP_4)
	v_add_co_u32 v89, vcc_lo, s0, v20
	s_clause 0x3
	global_load_b64 v[12:13], v[77:78], off
	global_load_b64 v[14:15], v[75:76], off
	;; [unrolled: 1-line block ×4, first 2 shown]
	v_add_co_ci_u32_e32 v90, vcc_lo, s1, v21, vcc_lo
	s_clause 0x7
	global_load_b64 v[20:21], v[83:84], off
	global_load_b64 v[22:23], v[85:86], off
	;; [unrolled: 1-line block ×6, first 2 shown]
	global_load_b64 v[2:3], v36, s[0:1]
	global_load_b64 v[32:33], v[89:90], off
	s_mov_b32 s0, -1
	s_cbranch_scc1 .LBB15_14
; %bb.4:
	v_cmp_eq_u32_e64 s0, 0, v0
	s_delay_alu instid0(VALU_DEP_1)
	s_and_saveexec_b32 s1, s0
	s_cbranch_execz .LBB15_6
; %bb.5:
	v_mov_b32_e32 v34, 0
	ds_store_b32 v34, v34 offset:256
.LBB15_6:
	s_or_b32 exec_lo, exec_lo, s1
	v_cmp_eq_u32_e32 vcc_lo, 1, v0
	s_mov_b32 s2, exec_lo
	s_waitcnt vmcnt(0) lgkmcnt(0)
	s_barrier
	buffer_gl0_inv
	v_dual_cndmask_b32 v34, v3, v5 :: v_dual_cndmask_b32 v35, v2, v4
	v_cmp_eq_u32_e32 vcc_lo, 2, v0
	s_delay_alu instid0(VALU_DEP_2) | instskip(SKIP_1) | instid1(VALU_DEP_2)
	v_dual_cndmask_b32 v34, v34, v7 :: v_dual_cndmask_b32 v35, v35, v6
	v_cmp_eq_u32_e32 vcc_lo, 3, v0
	v_dual_cndmask_b32 v34, v34, v9 :: v_dual_cndmask_b32 v35, v35, v8
	v_cmp_eq_u32_e32 vcc_lo, 4, v0
	s_delay_alu instid0(VALU_DEP_2) | instskip(SKIP_1) | instid1(VALU_DEP_2)
	v_dual_cndmask_b32 v34, v34, v11 :: v_dual_cndmask_b32 v35, v35, v10
	v_cmp_eq_u32_e32 vcc_lo, 5, v0
	;; [unrolled: 5-line block ×7, first 2 shown]
	v_dual_cndmask_b32 v35, v34, v33 :: v_dual_cndmask_b32 v34, v37, v32
	s_delay_alu instid0(VALU_DEP_1)
	v_cmpx_eq_f64_e32 0, v[34:35]
	s_cbranch_execz .LBB15_10
; %bb.7:
	v_mov_b32_e32 v37, 0
	s_mov_b32 s3, 0
	ds_load_b32 v38, v37 offset:256
	s_waitcnt lgkmcnt(0)
	v_readfirstlane_b32 s1, v38
	v_add_nc_u32_e32 v38, 1, v0
	s_delay_alu instid0(VALU_DEP_2) | instskip(NEXT) | instid1(VALU_DEP_1)
	s_cmp_eq_u32 s1, 0
	v_cmp_gt_i32_e32 vcc_lo, s1, v38
	s_cselect_b32 s4, -1, 0
	s_delay_alu instid0(SALU_CYCLE_1) | instskip(NEXT) | instid1(SALU_CYCLE_1)
	s_or_b32 s4, s4, vcc_lo
	s_and_b32 exec_lo, exec_lo, s4
	s_cbranch_execz .LBB15_10
; %bb.8:
	v_mov_b32_e32 v39, s1
.LBB15_9:                               ; =>This Inner Loop Header: Depth=1
	ds_cmpstore_rtn_b32 v39, v37, v38, v39 offset:256
	s_waitcnt lgkmcnt(0)
	v_cmp_ne_u32_e32 vcc_lo, 0, v39
	v_cmp_le_i32_e64 s1, v39, v38
	s_delay_alu instid0(VALU_DEP_1) | instskip(NEXT) | instid1(SALU_CYCLE_1)
	s_and_b32 s1, vcc_lo, s1
	s_and_b32 s1, exec_lo, s1
	s_delay_alu instid0(SALU_CYCLE_1) | instskip(NEXT) | instid1(SALU_CYCLE_1)
	s_or_b32 s3, s1, s3
	s_and_not1_b32 exec_lo, exec_lo, s3
	s_cbranch_execnz .LBB15_9
.LBB15_10:
	s_or_b32 exec_lo, exec_lo, s2
	v_mov_b32_e32 v37, 0
	s_barrier
	buffer_gl0_inv
	ds_load_b32 v38, v37 offset:256
	s_and_saveexec_b32 s1, s0
	s_cbranch_execz .LBB15_12
; %bb.11:
	s_lshl_b64 s[2:3], s[22:23], 2
	s_delay_alu instid0(SALU_CYCLE_1)
	s_add_u32 s2, s18, s2
	s_addc_u32 s3, s19, s3
	s_waitcnt lgkmcnt(0)
	global_store_b32 v37, v38, s[2:3]
.LBB15_12:
	s_or_b32 exec_lo, exec_lo, s1
	s_waitcnt lgkmcnt(0)
	v_cmp_ne_u32_e32 vcc_lo, 0, v38
	s_cbranch_vccz .LBB15_17
; %bb.13:
	s_mov_b32 s0, 0
                                        ; implicit-def: $vgpr2_vgpr3_vgpr4_vgpr5_vgpr6_vgpr7_vgpr8_vgpr9_vgpr10_vgpr11_vgpr12_vgpr13_vgpr14_vgpr15_vgpr16_vgpr17_vgpr18_vgpr19_vgpr20_vgpr21_vgpr22_vgpr23_vgpr24_vgpr25_vgpr26_vgpr27_vgpr28_vgpr29_vgpr30_vgpr31_vgpr32_vgpr33
.LBB15_14:
	s_delay_alu instid0(SALU_CYCLE_1)
	s_and_b32 vcc_lo, exec_lo, s0
	s_cbranch_vccz .LBB15_16
.LBB15_15:
	s_lshl_b64 s[0:1], s[22:23], 2
	v_mov_b32_e32 v1, 0
	s_add_u32 s0, s18, s0
	s_addc_u32 s1, s19, s1
	global_load_b32 v1, v1, s[0:1]
	s_waitcnt vmcnt(0)
	v_cmp_ne_u32_e32 vcc_lo, 0, v1
	s_cbranch_vccz .LBB15_88
.LBB15_16:
	s_nop 0
	s_sendmsg sendmsg(MSG_DEALLOC_VGPRS)
	s_endpgm
.LBB15_17:
	v_div_scale_f64 v[37:38], null, v[34:35], v[34:35], 1.0
	v_div_scale_f64 v[43:44], vcc_lo, 1.0, v[34:35], 1.0
	v_cmp_eq_u32_e64 s1, 13, v0
	v_cmp_eq_u32_e64 s2, 12, v0
	;; [unrolled: 1-line block ×14, first 2 shown]
	v_rcp_f64_e32 v[39:40], v[37:38]
	s_waitcnt_depctr 0xfff
	v_fma_f64 v[41:42], -v[37:38], v[39:40], 1.0
	s_delay_alu instid0(VALU_DEP_1) | instskip(NEXT) | instid1(VALU_DEP_1)
	v_fma_f64 v[39:40], v[39:40], v[41:42], v[39:40]
	v_fma_f64 v[41:42], -v[37:38], v[39:40], 1.0
	s_delay_alu instid0(VALU_DEP_1) | instskip(NEXT) | instid1(VALU_DEP_1)
	v_fma_f64 v[39:40], v[39:40], v[41:42], v[39:40]
	v_mul_f64 v[41:42], v[43:44], v[39:40]
	s_delay_alu instid0(VALU_DEP_1) | instskip(NEXT) | instid1(VALU_DEP_1)
	v_fma_f64 v[37:38], -v[37:38], v[41:42], v[43:44]
	v_div_fmas_f64 v[37:38], v[37:38], v[39:40], v[41:42]
	v_cmp_eq_u32_e32 vcc_lo, 14, v0
	s_delay_alu instid0(VALU_DEP_2) | instskip(NEXT) | instid1(VALU_DEP_1)
	v_div_fixup_f64 v[34:35], v[37:38], v[34:35], 1.0
	v_dual_cndmask_b32 v31, v31, v35 :: v_dual_add_nc_u32 v38, 0x80, v36
	s_delay_alu instid0(VALU_DEP_2)
	v_cndmask_b32_e32 v30, v30, v34, vcc_lo
	v_cmp_eq_u32_e32 vcc_lo, 2, v0
	v_cndmask_b32_e64 v33, v33, v35, s11
	v_cndmask_b32_e64 v32, v32, v34, s11
	;; [unrolled: 1-line block ×4, first 2 shown]
	v_cndmask_b32_e32 v7, v7, v35, vcc_lo
	v_cndmask_b32_e64 v27, v27, v35, s2
	v_cndmask_b32_e64 v26, v26, v34, s2
	;; [unrolled: 1-line block ×22, first 2 shown]
	v_xor_b32_e32 v40, 0x80000000, v35
	v_mov_b32_e32 v39, v34
	v_cndmask_b32_e32 v6, v6, v34, vcc_lo
	v_cndmask_b32_e64 v3, v3, v35, s14
	v_cndmask_b32_e64 v2, v2, v34, s14
	ds_store_2addr_b64 v36, v[39:40], v[4:5] offset1:16
	s_waitcnt lgkmcnt(0)
	s_waitcnt_vscnt null, 0x0
	s_barrier
	buffer_gl0_inv
	s_and_saveexec_b32 s1, s0
	s_cbranch_execz .LBB15_19
; %bb.18:
	ds_load_b64 v[4:5], v38
	v_mov_b32_e32 v36, 0
	ds_load_b64 v[36:37], v36 offset:8
	s_waitcnt lgkmcnt(1)
	v_fma_f64 v[4:5], v[34:35], v[4:5], 0
	s_waitcnt lgkmcnt(0)
	s_delay_alu instid0(VALU_DEP_1)
	v_mul_f64 v[4:5], v[4:5], v[36:37]
.LBB15_19:
	s_or_b32 exec_lo, exec_lo, s1
	v_cmp_gt_u32_e32 vcc_lo, 2, v0
	s_barrier
	buffer_gl0_inv
	ds_store_b64 v38, v[6:7]
	s_waitcnt lgkmcnt(0)
	s_barrier
	buffer_gl0_inv
	s_and_saveexec_b32 s2, vcc_lo
	s_cbranch_execz .LBB15_23
; %bb.20:
	v_cmp_eq_u32_e64 s1, 1, v0
	s_delay_alu instid0(VALU_DEP_1) | instskip(SKIP_2) | instid1(VALU_DEP_1)
	v_cndmask_b32_e64 v34, v3, v5, s1
	v_cndmask_b32_e64 v35, v2, v4, s1
	v_cmp_eq_u32_e64 s1, 2, v0
	v_cndmask_b32_e64 v7, v34, v7, s1
	s_delay_alu instid0(VALU_DEP_3) | instskip(SKIP_1) | instid1(VALU_DEP_1)
	v_cndmask_b32_e64 v6, v35, v6, s1
	v_cmp_eq_u32_e64 s1, 3, v0
	v_cndmask_b32_e64 v7, v7, v9, s1
	s_delay_alu instid0(VALU_DEP_3) | instskip(SKIP_1) | instid1(VALU_DEP_1)
	;; [unrolled: 4-line block ×10, first 2 shown]
	v_cndmask_b32_e64 v6, v6, v24, s1
	v_cmp_eq_u32_e64 s1, 12, v0
	v_cndmask_b32_e64 v34, v7, v27, s1
	s_delay_alu instid0(VALU_DEP_3)
	v_cndmask_b32_e64 v35, v6, v26, s1
	v_cmp_eq_u32_e64 s1, 13, v0
	ds_load_b64 v[6:7], v38
	v_cndmask_b32_e64 v34, v34, v29, s1
	v_cndmask_b32_e64 v35, v35, v28, s1
	v_cmp_eq_u32_e64 s1, 14, v0
	s_delay_alu instid0(VALU_DEP_1) | instskip(NEXT) | instid1(VALU_DEP_3)
	v_cndmask_b32_e64 v34, v34, v31, s1
	v_cndmask_b32_e64 v36, v35, v30, s1
	v_cmp_eq_u32_e64 s1, 15, v0
	s_delay_alu instid0(VALU_DEP_1) | instskip(NEXT) | instid1(VALU_DEP_3)
	v_cndmask_b32_e64 v35, v34, v33, s1
	v_cndmask_b32_e64 v34, v36, v32, s1
	s_waitcnt lgkmcnt(0)
	s_delay_alu instid0(VALU_DEP_1)
	v_fma_f64 v[6:7], v[34:35], v[6:7], 0
	s_and_saveexec_b32 s1, s0
	s_cbranch_execz .LBB15_22
; %bb.21:
	v_mov_b32_e32 v34, 0
	ds_load_b64 v[34:35], v34 offset:136
	s_waitcnt lgkmcnt(0)
	v_fma_f64 v[6:7], v[4:5], v[34:35], v[6:7]
.LBB15_22:
	s_or_b32 exec_lo, exec_lo, s1
	v_mov_b32_e32 v34, 0
	ds_load_b64 v[34:35], v34 offset:16
	s_waitcnt lgkmcnt(0)
	v_mul_f64 v[6:7], v[6:7], v[34:35]
.LBB15_23:
	s_or_b32 exec_lo, exec_lo, s2
	s_delay_alu instid0(SALU_CYCLE_1)
	s_mov_b32 s3, exec_lo
	s_barrier
	buffer_gl0_inv
	ds_store_b64 v38, v[8:9]
	s_waitcnt lgkmcnt(0)
	s_barrier
	buffer_gl0_inv
	v_cmpx_gt_u32_e32 3, v0
	s_cbranch_execz .LBB15_27
; %bb.24:
	v_dual_mov_b32 v34, 0 :: v_dual_mov_b32 v37, v1
	v_lshl_add_u32 v39, v0, 3, 0x80
	v_dual_mov_b32 v35, 0 :: v_dual_mov_b32 v36, v0
	s_mov_b32 s4, 0
.LBB15_25:                              ; =>This Inner Loop Header: Depth=1
	s_delay_alu instid0(VALU_DEP_1) | instskip(SKIP_1) | instid1(VALU_DEP_2)
	v_cmp_eq_u32_e64 s1, 1, v36
	v_cmp_eq_u32_e64 s2, 2, v36
	v_cndmask_b32_e64 v40, v3, v5, s1
	v_cndmask_b32_e64 v41, v2, v4, s1
	v_cmp_eq_u32_e64 s1, 3, v36
	s_delay_alu instid0(VALU_DEP_3) | instskip(NEXT) | instid1(VALU_DEP_3)
	v_cndmask_b32_e64 v40, v40, v7, s2
	v_cndmask_b32_e64 v41, v41, v6, s2
	v_cmp_eq_u32_e64 s2, 4, v36
	s_delay_alu instid0(VALU_DEP_3) | instskip(NEXT) | instid1(VALU_DEP_3)
	;; [unrolled: 4-line block ×10, first 2 shown]
	v_cndmask_b32_e64 v42, v40, v25, s1
	v_cndmask_b32_e64 v43, v41, v24, s1
	ds_load_b64 v[40:41], v39
	v_cmp_eq_u32_e64 s1, 13, v36
	v_add_nc_u32_e32 v39, 8, v39
	v_cndmask_b32_e64 v42, v42, v27, s2
	v_cndmask_b32_e64 v43, v43, v26, s2
	v_cmp_eq_u32_e64 s2, 14, v36
	s_delay_alu instid0(VALU_DEP_3) | instskip(NEXT) | instid1(VALU_DEP_3)
	v_cndmask_b32_e64 v42, v42, v29, s1
	v_cndmask_b32_e64 v43, v43, v28, s1
	v_cmp_eq_u32_e64 s1, 15, v36
	s_delay_alu instid0(VALU_DEP_3) | instskip(NEXT) | instid1(VALU_DEP_3)
	v_cndmask_b32_e64 v42, v42, v31, s2
	v_cndmask_b32_e64 v44, v43, v30, s2
	s_delay_alu instid0(VALU_DEP_2) | instskip(NEXT) | instid1(VALU_DEP_2)
	v_cndmask_b32_e64 v43, v42, v33, s1
	v_cndmask_b32_e64 v42, v44, v32, s1
	v_add_co_u32 v36, s1, v36, 1
	s_delay_alu instid0(VALU_DEP_1) | instskip(SKIP_1) | instid1(VALU_DEP_3)
	v_add_co_ci_u32_e64 v37, s1, 0, v37, s1
	s_waitcnt lgkmcnt(0)
	v_fma_f64 v[34:35], v[42:43], v[40:41], v[34:35]
	s_delay_alu instid0(VALU_DEP_3) | instskip(NEXT) | instid1(VALU_DEP_1)
	v_add_nc_u32_e32 v40, -1, v36
	v_cmp_lt_u32_e64 s1, 1, v40
	s_delay_alu instid0(VALU_DEP_1) | instskip(NEXT) | instid1(SALU_CYCLE_1)
	s_or_b32 s4, s1, s4
	s_and_not1_b32 exec_lo, exec_lo, s4
	s_cbranch_execnz .LBB15_25
; %bb.26:
	s_or_b32 exec_lo, exec_lo, s4
	v_mov_b32_e32 v8, 0
	ds_load_b64 v[8:9], v8 offset:24
	s_waitcnt lgkmcnt(0)
	v_mul_f64 v[8:9], v[34:35], v[8:9]
.LBB15_27:
	s_or_b32 exec_lo, exec_lo, s3
	v_cmp_gt_u32_e64 s1, 4, v0
	s_barrier
	buffer_gl0_inv
	ds_store_b64 v38, v[10:11]
	s_waitcnt lgkmcnt(0)
	s_barrier
	buffer_gl0_inv
	s_and_saveexec_b32 s4, s1
	s_cbranch_execz .LBB15_31
; %bb.28:
	v_dual_mov_b32 v34, 0 :: v_dual_mov_b32 v37, v1
	v_lshl_add_u32 v39, v0, 3, 0x80
	v_dual_mov_b32 v35, 0 :: v_dual_mov_b32 v36, v0
	s_mov_b32 s5, 0
.LBB15_29:                              ; =>This Inner Loop Header: Depth=1
	s_delay_alu instid0(VALU_DEP_1) | instskip(SKIP_1) | instid1(VALU_DEP_2)
	v_cmp_eq_u32_e64 s2, 1, v36
	v_cmp_eq_u32_e64 s3, 2, v36
	v_cndmask_b32_e64 v40, v3, v5, s2
	v_cndmask_b32_e64 v41, v2, v4, s2
	v_cmp_eq_u32_e64 s2, 3, v36
	s_delay_alu instid0(VALU_DEP_3) | instskip(NEXT) | instid1(VALU_DEP_3)
	v_cndmask_b32_e64 v40, v40, v7, s3
	v_cndmask_b32_e64 v41, v41, v6, s3
	v_cmp_eq_u32_e64 s3, 4, v36
	s_delay_alu instid0(VALU_DEP_3) | instskip(NEXT) | instid1(VALU_DEP_3)
	;; [unrolled: 4-line block ×10, first 2 shown]
	v_cndmask_b32_e64 v42, v40, v25, s2
	v_cndmask_b32_e64 v43, v41, v24, s2
	ds_load_b64 v[40:41], v39
	v_cmp_eq_u32_e64 s2, 13, v36
	v_add_nc_u32_e32 v39, 8, v39
	v_cndmask_b32_e64 v42, v42, v27, s3
	v_cndmask_b32_e64 v43, v43, v26, s3
	v_cmp_eq_u32_e64 s3, 14, v36
	s_delay_alu instid0(VALU_DEP_3) | instskip(NEXT) | instid1(VALU_DEP_3)
	v_cndmask_b32_e64 v42, v42, v29, s2
	v_cndmask_b32_e64 v43, v43, v28, s2
	v_cmp_eq_u32_e64 s2, 15, v36
	s_delay_alu instid0(VALU_DEP_3) | instskip(NEXT) | instid1(VALU_DEP_3)
	v_cndmask_b32_e64 v42, v42, v31, s3
	v_cndmask_b32_e64 v44, v43, v30, s3
	s_delay_alu instid0(VALU_DEP_2) | instskip(NEXT) | instid1(VALU_DEP_2)
	v_cndmask_b32_e64 v43, v42, v33, s2
	v_cndmask_b32_e64 v42, v44, v32, s2
	v_add_co_u32 v36, s2, v36, 1
	s_delay_alu instid0(VALU_DEP_1) | instskip(SKIP_1) | instid1(VALU_DEP_3)
	v_add_co_ci_u32_e64 v37, s2, 0, v37, s2
	s_waitcnt lgkmcnt(0)
	v_fma_f64 v[34:35], v[42:43], v[40:41], v[34:35]
	s_delay_alu instid0(VALU_DEP_3) | instskip(NEXT) | instid1(VALU_DEP_1)
	v_add_nc_u32_e32 v40, -1, v36
	v_cmp_lt_u32_e64 s2, 2, v40
	s_delay_alu instid0(VALU_DEP_1) | instskip(NEXT) | instid1(SALU_CYCLE_1)
	s_or_b32 s5, s2, s5
	s_and_not1_b32 exec_lo, exec_lo, s5
	s_cbranch_execnz .LBB15_29
; %bb.30:
	s_or_b32 exec_lo, exec_lo, s5
	v_mov_b32_e32 v10, 0
	ds_load_b64 v[10:11], v10 offset:32
	s_waitcnt lgkmcnt(0)
	v_mul_f64 v[10:11], v[34:35], v[10:11]
.LBB15_31:
	s_or_b32 exec_lo, exec_lo, s4
	s_delay_alu instid0(SALU_CYCLE_1)
	s_mov_b32 s4, exec_lo
	s_barrier
	buffer_gl0_inv
	ds_store_b64 v38, v[12:13]
	s_waitcnt lgkmcnt(0)
	s_barrier
	buffer_gl0_inv
	v_cmpx_gt_u32_e32 5, v0
	s_cbranch_execz .LBB15_35
; %bb.32:
	v_dual_mov_b32 v34, 0 :: v_dual_mov_b32 v37, v1
	v_lshl_add_u32 v39, v0, 3, 0x80
	v_dual_mov_b32 v35, 0 :: v_dual_mov_b32 v36, v0
	s_mov_b32 s5, 0
.LBB15_33:                              ; =>This Inner Loop Header: Depth=1
	s_delay_alu instid0(VALU_DEP_1) | instskip(SKIP_1) | instid1(VALU_DEP_2)
	v_cmp_eq_u32_e64 s2, 1, v36
	v_cmp_eq_u32_e64 s3, 2, v36
	v_cndmask_b32_e64 v40, v3, v5, s2
	v_cndmask_b32_e64 v41, v2, v4, s2
	v_cmp_eq_u32_e64 s2, 3, v36
	s_delay_alu instid0(VALU_DEP_3) | instskip(NEXT) | instid1(VALU_DEP_3)
	v_cndmask_b32_e64 v40, v40, v7, s3
	v_cndmask_b32_e64 v41, v41, v6, s3
	v_cmp_eq_u32_e64 s3, 4, v36
	s_delay_alu instid0(VALU_DEP_3) | instskip(NEXT) | instid1(VALU_DEP_3)
	;; [unrolled: 4-line block ×10, first 2 shown]
	v_cndmask_b32_e64 v42, v40, v25, s2
	v_cndmask_b32_e64 v43, v41, v24, s2
	ds_load_b64 v[40:41], v39
	v_cmp_eq_u32_e64 s2, 13, v36
	v_add_nc_u32_e32 v39, 8, v39
	v_cndmask_b32_e64 v42, v42, v27, s3
	v_cndmask_b32_e64 v43, v43, v26, s3
	v_cmp_eq_u32_e64 s3, 14, v36
	s_delay_alu instid0(VALU_DEP_3) | instskip(NEXT) | instid1(VALU_DEP_3)
	v_cndmask_b32_e64 v42, v42, v29, s2
	v_cndmask_b32_e64 v43, v43, v28, s2
	v_cmp_eq_u32_e64 s2, 15, v36
	s_delay_alu instid0(VALU_DEP_3) | instskip(NEXT) | instid1(VALU_DEP_3)
	v_cndmask_b32_e64 v42, v42, v31, s3
	v_cndmask_b32_e64 v44, v43, v30, s3
	s_delay_alu instid0(VALU_DEP_2) | instskip(NEXT) | instid1(VALU_DEP_2)
	v_cndmask_b32_e64 v43, v42, v33, s2
	v_cndmask_b32_e64 v42, v44, v32, s2
	v_add_co_u32 v36, s2, v36, 1
	s_delay_alu instid0(VALU_DEP_1) | instskip(SKIP_1) | instid1(VALU_DEP_3)
	v_add_co_ci_u32_e64 v37, s2, 0, v37, s2
	s_waitcnt lgkmcnt(0)
	v_fma_f64 v[34:35], v[42:43], v[40:41], v[34:35]
	s_delay_alu instid0(VALU_DEP_3) | instskip(NEXT) | instid1(VALU_DEP_1)
	v_add_nc_u32_e32 v40, -1, v36
	v_cmp_lt_u32_e64 s2, 3, v40
	s_delay_alu instid0(VALU_DEP_1) | instskip(NEXT) | instid1(SALU_CYCLE_1)
	s_or_b32 s5, s2, s5
	s_and_not1_b32 exec_lo, exec_lo, s5
	s_cbranch_execnz .LBB15_33
; %bb.34:
	s_or_b32 exec_lo, exec_lo, s5
	v_mov_b32_e32 v12, 0
	ds_load_b64 v[12:13], v12 offset:40
	s_waitcnt lgkmcnt(0)
	v_mul_f64 v[12:13], v[34:35], v[12:13]
.LBB15_35:
	s_or_b32 exec_lo, exec_lo, s4
	v_cmp_gt_u32_e64 s2, 6, v0
	s_barrier
	buffer_gl0_inv
	ds_store_b64 v38, v[14:15]
	s_waitcnt lgkmcnt(0)
	s_barrier
	buffer_gl0_inv
	s_and_saveexec_b32 s5, s2
	s_cbranch_execz .LBB15_39
; %bb.36:
	v_dual_mov_b32 v34, 0 :: v_dual_mov_b32 v37, v1
	v_lshl_add_u32 v39, v0, 3, 0x80
	v_dual_mov_b32 v35, 0 :: v_dual_mov_b32 v36, v0
	s_mov_b32 s6, 0
.LBB15_37:                              ; =>This Inner Loop Header: Depth=1
	s_delay_alu instid0(VALU_DEP_1) | instskip(SKIP_1) | instid1(VALU_DEP_2)
	v_cmp_eq_u32_e64 s3, 1, v36
	v_cmp_eq_u32_e64 s4, 2, v36
	v_cndmask_b32_e64 v40, v3, v5, s3
	v_cndmask_b32_e64 v41, v2, v4, s3
	v_cmp_eq_u32_e64 s3, 3, v36
	s_delay_alu instid0(VALU_DEP_3) | instskip(NEXT) | instid1(VALU_DEP_3)
	v_cndmask_b32_e64 v40, v40, v7, s4
	v_cndmask_b32_e64 v41, v41, v6, s4
	v_cmp_eq_u32_e64 s4, 4, v36
	s_delay_alu instid0(VALU_DEP_3) | instskip(NEXT) | instid1(VALU_DEP_3)
	;; [unrolled: 4-line block ×10, first 2 shown]
	v_cndmask_b32_e64 v42, v40, v25, s3
	v_cndmask_b32_e64 v43, v41, v24, s3
	ds_load_b64 v[40:41], v39
	v_cmp_eq_u32_e64 s3, 13, v36
	v_add_nc_u32_e32 v39, 8, v39
	v_cndmask_b32_e64 v42, v42, v27, s4
	v_cndmask_b32_e64 v43, v43, v26, s4
	v_cmp_eq_u32_e64 s4, 14, v36
	s_delay_alu instid0(VALU_DEP_3) | instskip(NEXT) | instid1(VALU_DEP_3)
	v_cndmask_b32_e64 v42, v42, v29, s3
	v_cndmask_b32_e64 v43, v43, v28, s3
	v_cmp_eq_u32_e64 s3, 15, v36
	s_delay_alu instid0(VALU_DEP_3) | instskip(NEXT) | instid1(VALU_DEP_3)
	v_cndmask_b32_e64 v42, v42, v31, s4
	v_cndmask_b32_e64 v44, v43, v30, s4
	s_delay_alu instid0(VALU_DEP_2) | instskip(NEXT) | instid1(VALU_DEP_2)
	v_cndmask_b32_e64 v43, v42, v33, s3
	v_cndmask_b32_e64 v42, v44, v32, s3
	v_add_co_u32 v36, s3, v36, 1
	s_delay_alu instid0(VALU_DEP_1) | instskip(SKIP_1) | instid1(VALU_DEP_3)
	v_add_co_ci_u32_e64 v37, s3, 0, v37, s3
	s_waitcnt lgkmcnt(0)
	v_fma_f64 v[34:35], v[42:43], v[40:41], v[34:35]
	s_delay_alu instid0(VALU_DEP_3) | instskip(NEXT) | instid1(VALU_DEP_1)
	v_add_nc_u32_e32 v40, -1, v36
	v_cmp_lt_u32_e64 s3, 4, v40
	s_delay_alu instid0(VALU_DEP_1) | instskip(NEXT) | instid1(SALU_CYCLE_1)
	s_or_b32 s6, s3, s6
	s_and_not1_b32 exec_lo, exec_lo, s6
	s_cbranch_execnz .LBB15_37
; %bb.38:
	s_or_b32 exec_lo, exec_lo, s6
	v_mov_b32_e32 v14, 0
	ds_load_b64 v[14:15], v14 offset:48
	s_waitcnt lgkmcnt(0)
	v_mul_f64 v[14:15], v[34:35], v[14:15]
.LBB15_39:
	s_or_b32 exec_lo, exec_lo, s5
	s_delay_alu instid0(SALU_CYCLE_1)
	s_mov_b32 s5, exec_lo
	s_barrier
	buffer_gl0_inv
	ds_store_b64 v38, v[16:17]
	s_waitcnt lgkmcnt(0)
	s_barrier
	buffer_gl0_inv
	v_cmpx_gt_u32_e32 7, v0
	s_cbranch_execz .LBB15_43
; %bb.40:
	v_dual_mov_b32 v34, 0 :: v_dual_mov_b32 v37, v1
	v_lshl_add_u32 v39, v0, 3, 0x80
	v_dual_mov_b32 v35, 0 :: v_dual_mov_b32 v36, v0
	s_mov_b32 s6, 0
.LBB15_41:                              ; =>This Inner Loop Header: Depth=1
	s_delay_alu instid0(VALU_DEP_1) | instskip(SKIP_1) | instid1(VALU_DEP_2)
	v_cmp_eq_u32_e64 s3, 1, v36
	v_cmp_eq_u32_e64 s4, 2, v36
	v_cndmask_b32_e64 v40, v3, v5, s3
	v_cndmask_b32_e64 v41, v2, v4, s3
	v_cmp_eq_u32_e64 s3, 3, v36
	s_delay_alu instid0(VALU_DEP_3) | instskip(NEXT) | instid1(VALU_DEP_3)
	v_cndmask_b32_e64 v40, v40, v7, s4
	v_cndmask_b32_e64 v41, v41, v6, s4
	v_cmp_eq_u32_e64 s4, 4, v36
	s_delay_alu instid0(VALU_DEP_3) | instskip(NEXT) | instid1(VALU_DEP_3)
	;; [unrolled: 4-line block ×10, first 2 shown]
	v_cndmask_b32_e64 v42, v40, v25, s3
	v_cndmask_b32_e64 v43, v41, v24, s3
	ds_load_b64 v[40:41], v39
	v_cmp_eq_u32_e64 s3, 13, v36
	v_add_nc_u32_e32 v39, 8, v39
	v_cndmask_b32_e64 v42, v42, v27, s4
	v_cndmask_b32_e64 v43, v43, v26, s4
	v_cmp_eq_u32_e64 s4, 14, v36
	s_delay_alu instid0(VALU_DEP_3) | instskip(NEXT) | instid1(VALU_DEP_3)
	v_cndmask_b32_e64 v42, v42, v29, s3
	v_cndmask_b32_e64 v43, v43, v28, s3
	v_cmp_eq_u32_e64 s3, 15, v36
	s_delay_alu instid0(VALU_DEP_3) | instskip(NEXT) | instid1(VALU_DEP_3)
	v_cndmask_b32_e64 v42, v42, v31, s4
	v_cndmask_b32_e64 v44, v43, v30, s4
	s_delay_alu instid0(VALU_DEP_2) | instskip(NEXT) | instid1(VALU_DEP_2)
	v_cndmask_b32_e64 v43, v42, v33, s3
	v_cndmask_b32_e64 v42, v44, v32, s3
	v_add_co_u32 v36, s3, v36, 1
	s_delay_alu instid0(VALU_DEP_1) | instskip(SKIP_1) | instid1(VALU_DEP_3)
	v_add_co_ci_u32_e64 v37, s3, 0, v37, s3
	s_waitcnt lgkmcnt(0)
	v_fma_f64 v[34:35], v[42:43], v[40:41], v[34:35]
	s_delay_alu instid0(VALU_DEP_3) | instskip(NEXT) | instid1(VALU_DEP_1)
	v_add_nc_u32_e32 v40, -1, v36
	v_cmp_lt_u32_e64 s3, 5, v40
	s_delay_alu instid0(VALU_DEP_1) | instskip(NEXT) | instid1(SALU_CYCLE_1)
	s_or_b32 s6, s3, s6
	s_and_not1_b32 exec_lo, exec_lo, s6
	s_cbranch_execnz .LBB15_41
; %bb.42:
	s_or_b32 exec_lo, exec_lo, s6
	v_mov_b32_e32 v16, 0
	ds_load_b64 v[16:17], v16 offset:56
	s_waitcnt lgkmcnt(0)
	v_mul_f64 v[16:17], v[34:35], v[16:17]
.LBB15_43:
	s_or_b32 exec_lo, exec_lo, s5
	s_delay_alu instid0(SALU_CYCLE_1)
	s_mov_b32 s4, exec_lo
	s_barrier
	buffer_gl0_inv
	ds_store_b64 v38, v[18:19]
	s_waitcnt lgkmcnt(0)
	s_barrier
	buffer_gl0_inv
	v_cmpx_gt_u32_e32 8, v0
	s_cbranch_execz .LBB15_59
; %bb.44:
	v_cmp_eq_u32_e64 s3, 1, v0
	s_mov_b32 s5, exec_lo
	s_delay_alu instid0(VALU_DEP_1) | instskip(SKIP_2) | instid1(VALU_DEP_1)
	v_cndmask_b32_e64 v34, v3, v5, s3
	v_cndmask_b32_e64 v35, v2, v4, s3
	v_cmp_eq_u32_e64 s3, 2, v0
	v_cndmask_b32_e64 v34, v34, v7, s3
	s_delay_alu instid0(VALU_DEP_3) | instskip(SKIP_1) | instid1(VALU_DEP_1)
	v_cndmask_b32_e64 v35, v35, v6, s3
	v_cmp_eq_u32_e64 s3, 3, v0
	v_cndmask_b32_e64 v34, v34, v9, s3
	s_delay_alu instid0(VALU_DEP_3) | instskip(SKIP_1) | instid1(VALU_DEP_1)
	;; [unrolled: 4-line block ×10, first 2 shown]
	v_cndmask_b32_e64 v35, v35, v24, s3
	v_cmp_eq_u32_e64 s3, 12, v0
	v_cndmask_b32_e64 v36, v34, v27, s3
	s_delay_alu instid0(VALU_DEP_3)
	v_cndmask_b32_e64 v37, v35, v26, s3
	v_cmp_eq_u32_e64 s3, 13, v0
	ds_load_b64 v[34:35], v38
	v_cndmask_b32_e64 v36, v36, v29, s3
	v_cndmask_b32_e64 v37, v37, v28, s3
	v_cmp_eq_u32_e64 s3, 14, v0
	s_delay_alu instid0(VALU_DEP_1) | instskip(NEXT) | instid1(VALU_DEP_3)
	v_cndmask_b32_e64 v36, v36, v31, s3
	v_cndmask_b32_e64 v39, v37, v30, s3
	v_cmp_eq_u32_e64 s3, 15, v0
	s_delay_alu instid0(VALU_DEP_1) | instskip(NEXT) | instid1(VALU_DEP_3)
	v_cndmask_b32_e64 v37, v36, v33, s3
	v_cndmask_b32_e64 v36, v39, v32, s3
	s_waitcnt lgkmcnt(0)
	s_delay_alu instid0(VALU_DEP_1)
	v_fma_f64 v[34:35], v[36:37], v[34:35], 0
	v_cmpx_ne_u32_e32 7, v0
	s_cbranch_execz .LBB15_58
; %bb.45:
	v_add_nc_u32_e32 v39, 1, v0
	s_delay_alu instid0(VALU_DEP_1) | instskip(NEXT) | instid1(VALU_DEP_1)
	v_cmp_eq_u32_e64 s3, 1, v39
	v_cndmask_b32_e64 v36, v3, v5, s3
	v_cndmask_b32_e64 v37, v2, v4, s3
	v_cmp_eq_u32_e64 s3, 2, v39
	s_delay_alu instid0(VALU_DEP_1) | instskip(NEXT) | instid1(VALU_DEP_3)
	v_cndmask_b32_e64 v36, v36, v7, s3
	v_cndmask_b32_e64 v37, v37, v6, s3
	v_cmp_eq_u32_e64 s3, 3, v39
	s_delay_alu instid0(VALU_DEP_1) | instskip(NEXT) | instid1(VALU_DEP_3)
	;; [unrolled: 4-line block ×11, first 2 shown]
	v_cndmask_b32_e64 v40, v36, v27, s3
	v_cndmask_b32_e64 v41, v37, v26, s3
	v_cmp_eq_u32_e64 s3, 13, v39
	ds_load_b64 v[36:37], v38 offset:8
	v_cndmask_b32_e64 v40, v40, v29, s3
	v_cndmask_b32_e64 v41, v41, v28, s3
	v_cmp_eq_u32_e64 s3, 14, v39
	s_delay_alu instid0(VALU_DEP_1) | instskip(NEXT) | instid1(VALU_DEP_3)
	v_cndmask_b32_e64 v40, v40, v31, s3
	v_cndmask_b32_e64 v41, v41, v30, s3
	v_cmp_eq_u32_e64 s3, 15, v39
	s_delay_alu instid0(VALU_DEP_1) | instskip(NEXT) | instid1(VALU_DEP_3)
	v_cndmask_b32_e64 v40, v40, v33, s3
	v_cndmask_b32_e64 v39, v41, v32, s3
	s_waitcnt lgkmcnt(0)
	s_delay_alu instid0(VALU_DEP_1)
	v_fma_f64 v[34:35], v[39:40], v[36:37], v[34:35]
	s_and_saveexec_b32 s3, s2
	s_cbranch_execz .LBB15_57
; %bb.46:
	v_add_nc_u32_e32 v39, 2, v0
	s_mov_b32 s6, exec_lo
	s_delay_alu instid0(VALU_DEP_1) | instskip(NEXT) | instid1(VALU_DEP_1)
	v_cmp_eq_u32_e64 s2, 1, v39
	v_cndmask_b32_e64 v36, v3, v5, s2
	v_cndmask_b32_e64 v37, v2, v4, s2
	v_cmp_eq_u32_e64 s2, 2, v39
	s_delay_alu instid0(VALU_DEP_1) | instskip(NEXT) | instid1(VALU_DEP_3)
	v_cndmask_b32_e64 v36, v36, v7, s2
	v_cndmask_b32_e64 v37, v37, v6, s2
	v_cmp_eq_u32_e64 s2, 3, v39
	s_delay_alu instid0(VALU_DEP_1) | instskip(NEXT) | instid1(VALU_DEP_3)
	;; [unrolled: 4-line block ×11, first 2 shown]
	v_cndmask_b32_e64 v40, v36, v27, s2
	v_cndmask_b32_e64 v41, v37, v26, s2
	v_cmp_eq_u32_e64 s2, 13, v39
	ds_load_b64 v[36:37], v38 offset:16
	v_cndmask_b32_e64 v40, v40, v29, s2
	v_cndmask_b32_e64 v41, v41, v28, s2
	v_cmp_eq_u32_e64 s2, 14, v39
	s_delay_alu instid0(VALU_DEP_1) | instskip(NEXT) | instid1(VALU_DEP_3)
	v_cndmask_b32_e64 v40, v40, v31, s2
	v_cndmask_b32_e64 v41, v41, v30, s2
	v_cmp_eq_u32_e64 s2, 15, v39
	s_delay_alu instid0(VALU_DEP_1) | instskip(NEXT) | instid1(VALU_DEP_3)
	v_cndmask_b32_e64 v40, v40, v33, s2
	v_cndmask_b32_e64 v39, v41, v32, s2
	s_waitcnt lgkmcnt(0)
	s_delay_alu instid0(VALU_DEP_1)
	v_fma_f64 v[34:35], v[39:40], v[36:37], v[34:35]
	v_cmpx_ne_u32_e32 5, v0
	s_cbranch_execz .LBB15_56
; %bb.47:
	v_add_nc_u32_e32 v39, 3, v0
	s_delay_alu instid0(VALU_DEP_1) | instskip(NEXT) | instid1(VALU_DEP_1)
	v_cmp_eq_u32_e64 s2, 1, v39
	v_cndmask_b32_e64 v36, v3, v5, s2
	v_cndmask_b32_e64 v37, v2, v4, s2
	v_cmp_eq_u32_e64 s2, 2, v39
	s_delay_alu instid0(VALU_DEP_1) | instskip(NEXT) | instid1(VALU_DEP_3)
	v_cndmask_b32_e64 v36, v36, v7, s2
	v_cndmask_b32_e64 v37, v37, v6, s2
	v_cmp_eq_u32_e64 s2, 3, v39
	s_delay_alu instid0(VALU_DEP_1) | instskip(NEXT) | instid1(VALU_DEP_3)
	;; [unrolled: 4-line block ×11, first 2 shown]
	v_cndmask_b32_e64 v40, v36, v27, s2
	v_cndmask_b32_e64 v41, v37, v26, s2
	v_cmp_eq_u32_e64 s2, 13, v39
	ds_load_b64 v[36:37], v38 offset:24
	v_cndmask_b32_e64 v40, v40, v29, s2
	v_cndmask_b32_e64 v41, v41, v28, s2
	v_cmp_eq_u32_e64 s2, 14, v39
	s_delay_alu instid0(VALU_DEP_1) | instskip(NEXT) | instid1(VALU_DEP_3)
	v_cndmask_b32_e64 v40, v40, v31, s2
	v_cndmask_b32_e64 v41, v41, v30, s2
	v_cmp_eq_u32_e64 s2, 15, v39
	s_delay_alu instid0(VALU_DEP_1) | instskip(NEXT) | instid1(VALU_DEP_3)
	v_cndmask_b32_e64 v40, v40, v33, s2
	v_cndmask_b32_e64 v39, v41, v32, s2
	s_waitcnt lgkmcnt(0)
	s_delay_alu instid0(VALU_DEP_1)
	v_fma_f64 v[34:35], v[39:40], v[36:37], v[34:35]
	s_and_saveexec_b32 s2, s1
	s_cbranch_execz .LBB15_55
; %bb.48:
	v_or_b32_e32 v39, 4, v0
	s_mov_b32 s7, exec_lo
	s_delay_alu instid0(VALU_DEP_1) | instskip(NEXT) | instid1(VALU_DEP_1)
	v_cmp_eq_u32_e64 s1, 1, v39
	v_cndmask_b32_e64 v36, v3, v5, s1
	v_cndmask_b32_e64 v37, v2, v4, s1
	v_cmp_eq_u32_e64 s1, 2, v39
	s_delay_alu instid0(VALU_DEP_1) | instskip(NEXT) | instid1(VALU_DEP_3)
	v_cndmask_b32_e64 v36, v36, v7, s1
	v_cndmask_b32_e64 v37, v37, v6, s1
	v_cmp_eq_u32_e64 s1, 3, v39
	s_delay_alu instid0(VALU_DEP_1) | instskip(NEXT) | instid1(VALU_DEP_3)
	;; [unrolled: 4-line block ×11, first 2 shown]
	v_cndmask_b32_e64 v40, v36, v27, s1
	v_cndmask_b32_e64 v41, v37, v26, s1
	v_cmp_eq_u32_e64 s1, 13, v39
	ds_load_b64 v[36:37], v38 offset:32
	v_cndmask_b32_e64 v40, v40, v29, s1
	v_cndmask_b32_e64 v41, v41, v28, s1
	v_cmp_eq_u32_e64 s1, 14, v39
	s_delay_alu instid0(VALU_DEP_1) | instskip(NEXT) | instid1(VALU_DEP_3)
	v_cndmask_b32_e64 v40, v40, v31, s1
	v_cndmask_b32_e64 v41, v41, v30, s1
	v_cmp_eq_u32_e64 s1, 15, v39
	s_delay_alu instid0(VALU_DEP_1) | instskip(NEXT) | instid1(VALU_DEP_3)
	v_cndmask_b32_e64 v40, v40, v33, s1
	v_cndmask_b32_e64 v39, v41, v32, s1
	s_waitcnt lgkmcnt(0)
	s_delay_alu instid0(VALU_DEP_1)
	v_fma_f64 v[34:35], v[39:40], v[36:37], v[34:35]
	v_cmpx_ne_u32_e32 3, v0
	s_cbranch_execz .LBB15_54
; %bb.49:
	v_add_nc_u32_e32 v39, 5, v0
	s_delay_alu instid0(VALU_DEP_1) | instskip(NEXT) | instid1(VALU_DEP_1)
	v_cmp_eq_u32_e64 s1, 1, v39
	v_cndmask_b32_e64 v36, v3, v5, s1
	v_cndmask_b32_e64 v37, v2, v4, s1
	v_cmp_eq_u32_e64 s1, 2, v39
	s_delay_alu instid0(VALU_DEP_1) | instskip(NEXT) | instid1(VALU_DEP_3)
	v_cndmask_b32_e64 v36, v36, v7, s1
	v_cndmask_b32_e64 v37, v37, v6, s1
	v_cmp_eq_u32_e64 s1, 3, v39
	s_delay_alu instid0(VALU_DEP_1) | instskip(NEXT) | instid1(VALU_DEP_3)
	;; [unrolled: 4-line block ×11, first 2 shown]
	v_cndmask_b32_e64 v40, v36, v27, s1
	v_cndmask_b32_e64 v41, v37, v26, s1
	v_cmp_eq_u32_e64 s1, 13, v39
	ds_load_b64 v[36:37], v38 offset:40
	v_cndmask_b32_e64 v40, v40, v29, s1
	v_cndmask_b32_e64 v41, v41, v28, s1
	v_cmp_eq_u32_e64 s1, 14, v39
	s_delay_alu instid0(VALU_DEP_1) | instskip(NEXT) | instid1(VALU_DEP_3)
	v_cndmask_b32_e64 v40, v40, v31, s1
	v_cndmask_b32_e64 v41, v41, v30, s1
	v_cmp_eq_u32_e64 s1, 15, v39
	s_delay_alu instid0(VALU_DEP_1) | instskip(NEXT) | instid1(VALU_DEP_3)
	v_cndmask_b32_e64 v40, v40, v33, s1
	v_cndmask_b32_e64 v39, v41, v32, s1
	s_waitcnt lgkmcnt(0)
	s_delay_alu instid0(VALU_DEP_1)
	v_fma_f64 v[34:35], v[39:40], v[36:37], v[34:35]
	s_and_saveexec_b32 s1, vcc_lo
	s_cbranch_execz .LBB15_53
; %bb.50:
	v_or_b32_e32 v36, 6, v0
	s_delay_alu instid0(VALU_DEP_1) | instskip(SKIP_3) | instid1(VALU_DEP_3)
	v_cmp_eq_u32_e32 vcc_lo, 1, v36
	v_cndmask_b32_e32 v37, v3, v5, vcc_lo
	v_cndmask_b32_e32 v39, v2, v4, vcc_lo
	v_cmp_eq_u32_e32 vcc_lo, 2, v36
	v_cndmask_b32_e32 v37, v37, v7, vcc_lo
	s_delay_alu instid0(VALU_DEP_3) | instskip(SKIP_1) | instid1(VALU_DEP_3)
	v_cndmask_b32_e32 v39, v39, v6, vcc_lo
	v_cmp_eq_u32_e32 vcc_lo, 3, v36
	v_cndmask_b32_e32 v37, v37, v9, vcc_lo
	s_delay_alu instid0(VALU_DEP_3) | instskip(SKIP_1) | instid1(VALU_DEP_3)
	;; [unrolled: 4-line block ×5, first 2 shown]
	v_cndmask_b32_e32 v39, v39, v14, vcc_lo
	v_cmp_eq_u32_e32 vcc_lo, 7, v36
	v_cndmask_b32_e32 v37, v37, v17, vcc_lo
	s_delay_alu instid0(VALU_DEP_3) | instskip(SKIP_1) | instid1(VALU_DEP_2)
	v_cndmask_b32_e32 v39, v39, v16, vcc_lo
	v_cmp_eq_u32_e32 vcc_lo, 8, v36
	v_dual_cndmask_b32 v19, v37, v19 :: v_dual_cndmask_b32 v18, v39, v18
	v_cmp_eq_u32_e32 vcc_lo, 9, v36
	s_delay_alu instid0(VALU_DEP_2) | instskip(SKIP_1) | instid1(VALU_DEP_2)
	v_dual_cndmask_b32 v19, v19, v21 :: v_dual_cndmask_b32 v18, v18, v20
	v_cmp_eq_u32_e32 vcc_lo, 10, v36
	v_dual_cndmask_b32 v19, v19, v23 :: v_dual_cndmask_b32 v18, v18, v22
	v_cmp_eq_u32_e32 vcc_lo, 11, v36
	s_delay_alu instid0(VALU_DEP_2) | instskip(SKIP_1) | instid1(VALU_DEP_2)
	v_dual_cndmask_b32 v19, v19, v25 :: v_dual_cndmask_b32 v18, v18, v24
	v_cmp_eq_u32_e32 vcc_lo, 12, v36
	v_cndmask_b32_e32 v37, v19, v27, vcc_lo
	s_delay_alu instid0(VALU_DEP_3)
	v_cndmask_b32_e32 v39, v18, v26, vcc_lo
	v_cmp_eq_u32_e32 vcc_lo, 13, v36
	ds_load_b64 v[18:19], v38 offset:48
	v_cndmask_b32_e32 v37, v37, v29, vcc_lo
	v_cndmask_b32_e32 v39, v39, v28, vcc_lo
	v_cmp_eq_u32_e32 vcc_lo, 14, v36
	s_delay_alu instid0(VALU_DEP_3) | instskip(NEXT) | instid1(VALU_DEP_3)
	v_cndmask_b32_e32 v37, v37, v31, vcc_lo
	v_cndmask_b32_e32 v39, v39, v30, vcc_lo
	v_cmp_eq_u32_e32 vcc_lo, 15, v36
	s_delay_alu instid0(VALU_DEP_2) | instskip(SKIP_1) | instid1(VALU_DEP_1)
	v_dual_cndmask_b32 v36, v39, v32 :: v_dual_cndmask_b32 v37, v37, v33
	s_waitcnt lgkmcnt(0)
	v_fma_f64 v[34:35], v[36:37], v[18:19], v[34:35]
	s_and_saveexec_b32 s8, s0
	s_cbranch_execz .LBB15_52
; %bb.51:
	ds_load_b64 v[18:19], v38 offset:56
	s_waitcnt lgkmcnt(0)
	v_fma_f64 v[34:35], v[16:17], v[18:19], v[34:35]
.LBB15_52:
	s_or_b32 exec_lo, exec_lo, s8
.LBB15_53:
	s_delay_alu instid0(SALU_CYCLE_1)
	s_or_b32 exec_lo, exec_lo, s1
.LBB15_54:
	s_delay_alu instid0(SALU_CYCLE_1)
	s_or_b32 exec_lo, exec_lo, s7
.LBB15_55:
	s_delay_alu instid0(SALU_CYCLE_1)
	s_or_b32 exec_lo, exec_lo, s2
.LBB15_56:
	s_delay_alu instid0(SALU_CYCLE_1)
	s_or_b32 exec_lo, exec_lo, s6
.LBB15_57:
	s_delay_alu instid0(SALU_CYCLE_1)
	s_or_b32 exec_lo, exec_lo, s3
.LBB15_58:
	s_delay_alu instid0(SALU_CYCLE_1)
	s_or_b32 exec_lo, exec_lo, s5
	v_mov_b32_e32 v18, 0
	ds_load_b64 v[18:19], v18 offset:64
	s_waitcnt lgkmcnt(0)
	v_mul_f64 v[18:19], v[34:35], v[18:19]
.LBB15_59:
	s_or_b32 exec_lo, exec_lo, s4
	s_delay_alu instid0(SALU_CYCLE_1)
	s_mov_b32 s1, exec_lo
	s_barrier
	buffer_gl0_inv
	ds_store_b64 v38, v[20:21]
	s_waitcnt lgkmcnt(0)
	s_barrier
	buffer_gl0_inv
	v_cmpx_gt_u32_e32 9, v0
	s_cbranch_execz .LBB15_63
; %bb.60:
	v_dual_mov_b32 v34, 0 :: v_dual_mov_b32 v37, v1
	v_lshl_add_u32 v39, v0, 3, 0x80
	v_dual_mov_b32 v35, 0 :: v_dual_mov_b32 v36, v0
	s_mov_b32 s2, 0
.LBB15_61:                              ; =>This Inner Loop Header: Depth=1
	s_delay_alu instid0(VALU_DEP_1) | instskip(SKIP_3) | instid1(VALU_DEP_2)
	v_cmp_eq_u32_e32 vcc_lo, 1, v36
	v_cmp_eq_u32_e64 s0, 2, v36
	v_dual_cndmask_b32 v40, v3, v5 :: v_dual_cndmask_b32 v41, v2, v4
	v_cmp_eq_u32_e32 vcc_lo, 3, v36
	v_cndmask_b32_e64 v40, v40, v7, s0
	s_delay_alu instid0(VALU_DEP_3) | instskip(SKIP_1) | instid1(VALU_DEP_2)
	v_cndmask_b32_e64 v41, v41, v6, s0
	v_cmp_eq_u32_e64 s0, 4, v36
	v_dual_cndmask_b32 v40, v40, v9 :: v_dual_cndmask_b32 v41, v41, v8
	v_cmp_eq_u32_e32 vcc_lo, 5, v36
	s_delay_alu instid0(VALU_DEP_2) | instskip(NEXT) | instid1(VALU_DEP_3)
	v_cndmask_b32_e64 v40, v40, v11, s0
	v_cndmask_b32_e64 v41, v41, v10, s0
	v_cmp_eq_u32_e64 s0, 6, v36
	s_delay_alu instid0(VALU_DEP_2) | instskip(SKIP_1) | instid1(VALU_DEP_2)
	v_dual_cndmask_b32 v40, v40, v13 :: v_dual_cndmask_b32 v41, v41, v12
	v_cmp_eq_u32_e32 vcc_lo, 7, v36
	v_cndmask_b32_e64 v40, v40, v15, s0
	s_delay_alu instid0(VALU_DEP_3) | instskip(SKIP_1) | instid1(VALU_DEP_2)
	v_cndmask_b32_e64 v41, v41, v14, s0
	v_cmp_eq_u32_e64 s0, 8, v36
	v_dual_cndmask_b32 v40, v40, v17 :: v_dual_cndmask_b32 v41, v41, v16
	v_cmp_eq_u32_e32 vcc_lo, 9, v36
	s_delay_alu instid0(VALU_DEP_2) | instskip(NEXT) | instid1(VALU_DEP_3)
	v_cndmask_b32_e64 v40, v40, v19, s0
	v_cndmask_b32_e64 v41, v41, v18, s0
	v_cmp_eq_u32_e64 s0, 10, v36
	s_delay_alu instid0(VALU_DEP_2) | instskip(SKIP_1) | instid1(VALU_DEP_2)
	v_dual_cndmask_b32 v40, v40, v21 :: v_dual_cndmask_b32 v41, v41, v20
	v_cmp_eq_u32_e32 vcc_lo, 11, v36
	v_cndmask_b32_e64 v40, v40, v23, s0
	s_delay_alu instid0(VALU_DEP_3) | instskip(SKIP_1) | instid1(VALU_DEP_2)
	v_cndmask_b32_e64 v41, v41, v22, s0
	v_cmp_eq_u32_e64 s0, 12, v36
	v_dual_cndmask_b32 v42, v40, v25 :: v_dual_cndmask_b32 v43, v41, v24
	ds_load_b64 v[40:41], v39
	v_cmp_eq_u32_e32 vcc_lo, 13, v36
	v_add_nc_u32_e32 v39, 8, v39
	v_cndmask_b32_e64 v42, v42, v27, s0
	v_cndmask_b32_e64 v43, v43, v26, s0
	v_cmp_eq_u32_e64 s0, 14, v36
	s_delay_alu instid0(VALU_DEP_2) | instskip(SKIP_1) | instid1(VALU_DEP_2)
	v_dual_cndmask_b32 v42, v42, v29 :: v_dual_cndmask_b32 v43, v43, v28
	v_cmp_eq_u32_e32 vcc_lo, 15, v36
	v_cndmask_b32_e64 v42, v42, v31, s0
	s_delay_alu instid0(VALU_DEP_3) | instskip(NEXT) | instid1(VALU_DEP_1)
	v_cndmask_b32_e64 v44, v43, v30, s0
	v_dual_cndmask_b32 v43, v42, v33 :: v_dual_cndmask_b32 v42, v44, v32
	v_add_co_u32 v36, vcc_lo, v36, 1
	v_add_co_ci_u32_e32 v37, vcc_lo, 0, v37, vcc_lo
	s_waitcnt lgkmcnt(0)
	s_delay_alu instid0(VALU_DEP_3) | instskip(NEXT) | instid1(VALU_DEP_3)
	v_fma_f64 v[34:35], v[42:43], v[40:41], v[34:35]
	v_add_nc_u32_e32 v40, -1, v36
	s_delay_alu instid0(VALU_DEP_1) | instskip(SKIP_1) | instid1(SALU_CYCLE_1)
	v_cmp_lt_u32_e32 vcc_lo, 7, v40
	s_or_b32 s2, vcc_lo, s2
	s_and_not1_b32 exec_lo, exec_lo, s2
	s_cbranch_execnz .LBB15_61
; %bb.62:
	s_or_b32 exec_lo, exec_lo, s2
	v_mov_b32_e32 v20, 0
	ds_load_b64 v[20:21], v20 offset:72
	s_waitcnt lgkmcnt(0)
	v_mul_f64 v[20:21], v[34:35], v[20:21]
.LBB15_63:
	s_or_b32 exec_lo, exec_lo, s1
	s_delay_alu instid0(SALU_CYCLE_1)
	s_mov_b32 s1, exec_lo
	s_barrier
	buffer_gl0_inv
	ds_store_b64 v38, v[22:23]
	s_waitcnt lgkmcnt(0)
	s_barrier
	buffer_gl0_inv
	v_cmpx_gt_u32_e32 10, v0
	s_cbranch_execz .LBB15_67
; %bb.64:
	v_dual_mov_b32 v34, 0 :: v_dual_mov_b32 v37, v1
	v_lshl_add_u32 v39, v0, 3, 0x80
	v_dual_mov_b32 v35, 0 :: v_dual_mov_b32 v36, v0
	s_mov_b32 s2, 0
.LBB15_65:                              ; =>This Inner Loop Header: Depth=1
	s_delay_alu instid0(VALU_DEP_1) | instskip(SKIP_3) | instid1(VALU_DEP_2)
	v_cmp_eq_u32_e32 vcc_lo, 1, v36
	v_cmp_eq_u32_e64 s0, 2, v36
	v_dual_cndmask_b32 v40, v3, v5 :: v_dual_cndmask_b32 v41, v2, v4
	v_cmp_eq_u32_e32 vcc_lo, 3, v36
	v_cndmask_b32_e64 v40, v40, v7, s0
	s_delay_alu instid0(VALU_DEP_3) | instskip(SKIP_1) | instid1(VALU_DEP_2)
	v_cndmask_b32_e64 v41, v41, v6, s0
	v_cmp_eq_u32_e64 s0, 4, v36
	v_dual_cndmask_b32 v40, v40, v9 :: v_dual_cndmask_b32 v41, v41, v8
	v_cmp_eq_u32_e32 vcc_lo, 5, v36
	s_delay_alu instid0(VALU_DEP_2) | instskip(NEXT) | instid1(VALU_DEP_3)
	v_cndmask_b32_e64 v40, v40, v11, s0
	v_cndmask_b32_e64 v41, v41, v10, s0
	v_cmp_eq_u32_e64 s0, 6, v36
	s_delay_alu instid0(VALU_DEP_2) | instskip(SKIP_1) | instid1(VALU_DEP_2)
	v_dual_cndmask_b32 v40, v40, v13 :: v_dual_cndmask_b32 v41, v41, v12
	v_cmp_eq_u32_e32 vcc_lo, 7, v36
	v_cndmask_b32_e64 v40, v40, v15, s0
	s_delay_alu instid0(VALU_DEP_3) | instskip(SKIP_1) | instid1(VALU_DEP_2)
	v_cndmask_b32_e64 v41, v41, v14, s0
	v_cmp_eq_u32_e64 s0, 8, v36
	v_dual_cndmask_b32 v40, v40, v17 :: v_dual_cndmask_b32 v41, v41, v16
	v_cmp_eq_u32_e32 vcc_lo, 9, v36
	s_delay_alu instid0(VALU_DEP_2) | instskip(NEXT) | instid1(VALU_DEP_3)
	v_cndmask_b32_e64 v40, v40, v19, s0
	v_cndmask_b32_e64 v41, v41, v18, s0
	v_cmp_eq_u32_e64 s0, 10, v36
	s_delay_alu instid0(VALU_DEP_2) | instskip(SKIP_1) | instid1(VALU_DEP_2)
	v_dual_cndmask_b32 v40, v40, v21 :: v_dual_cndmask_b32 v41, v41, v20
	v_cmp_eq_u32_e32 vcc_lo, 11, v36
	v_cndmask_b32_e64 v40, v40, v23, s0
	s_delay_alu instid0(VALU_DEP_3) | instskip(SKIP_1) | instid1(VALU_DEP_2)
	v_cndmask_b32_e64 v41, v41, v22, s0
	v_cmp_eq_u32_e64 s0, 12, v36
	v_dual_cndmask_b32 v42, v40, v25 :: v_dual_cndmask_b32 v43, v41, v24
	ds_load_b64 v[40:41], v39
	v_cmp_eq_u32_e32 vcc_lo, 13, v36
	v_add_nc_u32_e32 v39, 8, v39
	v_cndmask_b32_e64 v42, v42, v27, s0
	v_cndmask_b32_e64 v43, v43, v26, s0
	v_cmp_eq_u32_e64 s0, 14, v36
	s_delay_alu instid0(VALU_DEP_2) | instskip(SKIP_1) | instid1(VALU_DEP_2)
	v_dual_cndmask_b32 v42, v42, v29 :: v_dual_cndmask_b32 v43, v43, v28
	v_cmp_eq_u32_e32 vcc_lo, 15, v36
	v_cndmask_b32_e64 v42, v42, v31, s0
	s_delay_alu instid0(VALU_DEP_3) | instskip(NEXT) | instid1(VALU_DEP_1)
	v_cndmask_b32_e64 v44, v43, v30, s0
	v_dual_cndmask_b32 v43, v42, v33 :: v_dual_cndmask_b32 v42, v44, v32
	v_add_co_u32 v36, vcc_lo, v36, 1
	v_add_co_ci_u32_e32 v37, vcc_lo, 0, v37, vcc_lo
	s_waitcnt lgkmcnt(0)
	s_delay_alu instid0(VALU_DEP_3) | instskip(NEXT) | instid1(VALU_DEP_3)
	v_fma_f64 v[34:35], v[42:43], v[40:41], v[34:35]
	v_add_nc_u32_e32 v40, -1, v36
	s_delay_alu instid0(VALU_DEP_1) | instskip(SKIP_1) | instid1(SALU_CYCLE_1)
	v_cmp_lt_u32_e32 vcc_lo, 8, v40
	s_or_b32 s2, vcc_lo, s2
	s_and_not1_b32 exec_lo, exec_lo, s2
	s_cbranch_execnz .LBB15_65
; %bb.66:
	s_or_b32 exec_lo, exec_lo, s2
	v_mov_b32_e32 v22, 0
	ds_load_b64 v[22:23], v22 offset:80
	s_waitcnt lgkmcnt(0)
	v_mul_f64 v[22:23], v[34:35], v[22:23]
.LBB15_67:
	s_or_b32 exec_lo, exec_lo, s1
	s_delay_alu instid0(SALU_CYCLE_1)
	s_mov_b32 s1, exec_lo
	s_barrier
	buffer_gl0_inv
	ds_store_b64 v38, v[24:25]
	s_waitcnt lgkmcnt(0)
	s_barrier
	buffer_gl0_inv
	v_cmpx_gt_u32_e32 11, v0
	s_cbranch_execz .LBB15_71
; %bb.68:
	v_dual_mov_b32 v34, 0 :: v_dual_mov_b32 v37, v1
	v_lshl_add_u32 v39, v0, 3, 0x80
	v_dual_mov_b32 v35, 0 :: v_dual_mov_b32 v36, v0
	s_mov_b32 s2, 0
.LBB15_69:                              ; =>This Inner Loop Header: Depth=1
	s_delay_alu instid0(VALU_DEP_1) | instskip(SKIP_3) | instid1(VALU_DEP_2)
	v_cmp_eq_u32_e32 vcc_lo, 1, v36
	v_cmp_eq_u32_e64 s0, 2, v36
	v_dual_cndmask_b32 v40, v3, v5 :: v_dual_cndmask_b32 v41, v2, v4
	v_cmp_eq_u32_e32 vcc_lo, 3, v36
	v_cndmask_b32_e64 v40, v40, v7, s0
	s_delay_alu instid0(VALU_DEP_3) | instskip(SKIP_1) | instid1(VALU_DEP_2)
	v_cndmask_b32_e64 v41, v41, v6, s0
	v_cmp_eq_u32_e64 s0, 4, v36
	v_dual_cndmask_b32 v40, v40, v9 :: v_dual_cndmask_b32 v41, v41, v8
	v_cmp_eq_u32_e32 vcc_lo, 5, v36
	s_delay_alu instid0(VALU_DEP_2) | instskip(NEXT) | instid1(VALU_DEP_3)
	v_cndmask_b32_e64 v40, v40, v11, s0
	v_cndmask_b32_e64 v41, v41, v10, s0
	v_cmp_eq_u32_e64 s0, 6, v36
	s_delay_alu instid0(VALU_DEP_2) | instskip(SKIP_1) | instid1(VALU_DEP_2)
	v_dual_cndmask_b32 v40, v40, v13 :: v_dual_cndmask_b32 v41, v41, v12
	v_cmp_eq_u32_e32 vcc_lo, 7, v36
	v_cndmask_b32_e64 v40, v40, v15, s0
	s_delay_alu instid0(VALU_DEP_3) | instskip(SKIP_1) | instid1(VALU_DEP_2)
	v_cndmask_b32_e64 v41, v41, v14, s0
	v_cmp_eq_u32_e64 s0, 8, v36
	v_dual_cndmask_b32 v40, v40, v17 :: v_dual_cndmask_b32 v41, v41, v16
	v_cmp_eq_u32_e32 vcc_lo, 9, v36
	s_delay_alu instid0(VALU_DEP_2) | instskip(NEXT) | instid1(VALU_DEP_3)
	v_cndmask_b32_e64 v40, v40, v19, s0
	v_cndmask_b32_e64 v41, v41, v18, s0
	v_cmp_eq_u32_e64 s0, 10, v36
	s_delay_alu instid0(VALU_DEP_2) | instskip(SKIP_1) | instid1(VALU_DEP_2)
	v_dual_cndmask_b32 v40, v40, v21 :: v_dual_cndmask_b32 v41, v41, v20
	v_cmp_eq_u32_e32 vcc_lo, 11, v36
	v_cndmask_b32_e64 v40, v40, v23, s0
	s_delay_alu instid0(VALU_DEP_3) | instskip(SKIP_1) | instid1(VALU_DEP_2)
	v_cndmask_b32_e64 v41, v41, v22, s0
	v_cmp_eq_u32_e64 s0, 12, v36
	v_dual_cndmask_b32 v42, v40, v25 :: v_dual_cndmask_b32 v43, v41, v24
	ds_load_b64 v[40:41], v39
	v_cmp_eq_u32_e32 vcc_lo, 13, v36
	v_add_nc_u32_e32 v39, 8, v39
	v_cndmask_b32_e64 v42, v42, v27, s0
	v_cndmask_b32_e64 v43, v43, v26, s0
	v_cmp_eq_u32_e64 s0, 14, v36
	s_delay_alu instid0(VALU_DEP_2) | instskip(SKIP_1) | instid1(VALU_DEP_2)
	v_dual_cndmask_b32 v42, v42, v29 :: v_dual_cndmask_b32 v43, v43, v28
	v_cmp_eq_u32_e32 vcc_lo, 15, v36
	v_cndmask_b32_e64 v42, v42, v31, s0
	s_delay_alu instid0(VALU_DEP_3) | instskip(NEXT) | instid1(VALU_DEP_1)
	v_cndmask_b32_e64 v44, v43, v30, s0
	v_dual_cndmask_b32 v43, v42, v33 :: v_dual_cndmask_b32 v42, v44, v32
	v_add_co_u32 v36, vcc_lo, v36, 1
	v_add_co_ci_u32_e32 v37, vcc_lo, 0, v37, vcc_lo
	s_waitcnt lgkmcnt(0)
	s_delay_alu instid0(VALU_DEP_3) | instskip(NEXT) | instid1(VALU_DEP_3)
	v_fma_f64 v[34:35], v[42:43], v[40:41], v[34:35]
	v_add_nc_u32_e32 v40, -1, v36
	s_delay_alu instid0(VALU_DEP_1) | instskip(SKIP_1) | instid1(SALU_CYCLE_1)
	v_cmp_lt_u32_e32 vcc_lo, 9, v40
	s_or_b32 s2, vcc_lo, s2
	s_and_not1_b32 exec_lo, exec_lo, s2
	s_cbranch_execnz .LBB15_69
; %bb.70:
	s_or_b32 exec_lo, exec_lo, s2
	v_mov_b32_e32 v24, 0
	ds_load_b64 v[24:25], v24 offset:88
	s_waitcnt lgkmcnt(0)
	v_mul_f64 v[24:25], v[34:35], v[24:25]
.LBB15_71:
	s_or_b32 exec_lo, exec_lo, s1
	s_delay_alu instid0(SALU_CYCLE_1)
	s_mov_b32 s1, exec_lo
	s_barrier
	buffer_gl0_inv
	ds_store_b64 v38, v[26:27]
	s_waitcnt lgkmcnt(0)
	s_barrier
	buffer_gl0_inv
	v_cmpx_gt_u32_e32 12, v0
	s_cbranch_execz .LBB15_75
; %bb.72:
	v_dual_mov_b32 v34, 0 :: v_dual_mov_b32 v37, v1
	v_lshl_add_u32 v39, v0, 3, 0x80
	v_dual_mov_b32 v35, 0 :: v_dual_mov_b32 v36, v0
	s_mov_b32 s2, 0
.LBB15_73:                              ; =>This Inner Loop Header: Depth=1
	s_delay_alu instid0(VALU_DEP_1) | instskip(SKIP_3) | instid1(VALU_DEP_2)
	v_cmp_eq_u32_e32 vcc_lo, 1, v36
	v_cmp_eq_u32_e64 s0, 2, v36
	v_dual_cndmask_b32 v40, v3, v5 :: v_dual_cndmask_b32 v41, v2, v4
	v_cmp_eq_u32_e32 vcc_lo, 3, v36
	v_cndmask_b32_e64 v40, v40, v7, s0
	s_delay_alu instid0(VALU_DEP_3) | instskip(SKIP_1) | instid1(VALU_DEP_2)
	v_cndmask_b32_e64 v41, v41, v6, s0
	v_cmp_eq_u32_e64 s0, 4, v36
	v_dual_cndmask_b32 v40, v40, v9 :: v_dual_cndmask_b32 v41, v41, v8
	v_cmp_eq_u32_e32 vcc_lo, 5, v36
	s_delay_alu instid0(VALU_DEP_2) | instskip(NEXT) | instid1(VALU_DEP_3)
	v_cndmask_b32_e64 v40, v40, v11, s0
	v_cndmask_b32_e64 v41, v41, v10, s0
	v_cmp_eq_u32_e64 s0, 6, v36
	s_delay_alu instid0(VALU_DEP_2) | instskip(SKIP_1) | instid1(VALU_DEP_2)
	v_dual_cndmask_b32 v40, v40, v13 :: v_dual_cndmask_b32 v41, v41, v12
	v_cmp_eq_u32_e32 vcc_lo, 7, v36
	v_cndmask_b32_e64 v40, v40, v15, s0
	s_delay_alu instid0(VALU_DEP_3) | instskip(SKIP_1) | instid1(VALU_DEP_2)
	v_cndmask_b32_e64 v41, v41, v14, s0
	v_cmp_eq_u32_e64 s0, 8, v36
	v_dual_cndmask_b32 v40, v40, v17 :: v_dual_cndmask_b32 v41, v41, v16
	v_cmp_eq_u32_e32 vcc_lo, 9, v36
	s_delay_alu instid0(VALU_DEP_2) | instskip(NEXT) | instid1(VALU_DEP_3)
	v_cndmask_b32_e64 v40, v40, v19, s0
	v_cndmask_b32_e64 v41, v41, v18, s0
	v_cmp_eq_u32_e64 s0, 10, v36
	s_delay_alu instid0(VALU_DEP_2) | instskip(SKIP_1) | instid1(VALU_DEP_2)
	v_dual_cndmask_b32 v40, v40, v21 :: v_dual_cndmask_b32 v41, v41, v20
	v_cmp_eq_u32_e32 vcc_lo, 11, v36
	v_cndmask_b32_e64 v40, v40, v23, s0
	s_delay_alu instid0(VALU_DEP_3) | instskip(SKIP_1) | instid1(VALU_DEP_2)
	v_cndmask_b32_e64 v41, v41, v22, s0
	v_cmp_eq_u32_e64 s0, 12, v36
	v_dual_cndmask_b32 v42, v40, v25 :: v_dual_cndmask_b32 v43, v41, v24
	ds_load_b64 v[40:41], v39
	v_cmp_eq_u32_e32 vcc_lo, 13, v36
	v_add_nc_u32_e32 v39, 8, v39
	v_cndmask_b32_e64 v42, v42, v27, s0
	v_cndmask_b32_e64 v43, v43, v26, s0
	v_cmp_eq_u32_e64 s0, 14, v36
	s_delay_alu instid0(VALU_DEP_2) | instskip(SKIP_1) | instid1(VALU_DEP_2)
	v_dual_cndmask_b32 v42, v42, v29 :: v_dual_cndmask_b32 v43, v43, v28
	v_cmp_eq_u32_e32 vcc_lo, 15, v36
	v_cndmask_b32_e64 v42, v42, v31, s0
	s_delay_alu instid0(VALU_DEP_3) | instskip(NEXT) | instid1(VALU_DEP_1)
	v_cndmask_b32_e64 v44, v43, v30, s0
	v_dual_cndmask_b32 v43, v42, v33 :: v_dual_cndmask_b32 v42, v44, v32
	v_add_co_u32 v36, vcc_lo, v36, 1
	v_add_co_ci_u32_e32 v37, vcc_lo, 0, v37, vcc_lo
	s_waitcnt lgkmcnt(0)
	s_delay_alu instid0(VALU_DEP_3) | instskip(NEXT) | instid1(VALU_DEP_3)
	v_fma_f64 v[34:35], v[42:43], v[40:41], v[34:35]
	v_add_nc_u32_e32 v40, -1, v36
	s_delay_alu instid0(VALU_DEP_1) | instskip(SKIP_1) | instid1(SALU_CYCLE_1)
	v_cmp_lt_u32_e32 vcc_lo, 10, v40
	s_or_b32 s2, vcc_lo, s2
	s_and_not1_b32 exec_lo, exec_lo, s2
	s_cbranch_execnz .LBB15_73
; %bb.74:
	s_or_b32 exec_lo, exec_lo, s2
	v_mov_b32_e32 v26, 0
	ds_load_b64 v[26:27], v26 offset:96
	s_waitcnt lgkmcnt(0)
	v_mul_f64 v[26:27], v[34:35], v[26:27]
.LBB15_75:
	s_or_b32 exec_lo, exec_lo, s1
	s_delay_alu instid0(SALU_CYCLE_1)
	s_mov_b32 s1, exec_lo
	s_barrier
	buffer_gl0_inv
	ds_store_b64 v38, v[28:29]
	s_waitcnt lgkmcnt(0)
	s_barrier
	buffer_gl0_inv
	v_cmpx_gt_u32_e32 13, v0
	s_cbranch_execz .LBB15_79
; %bb.76:
	v_dual_mov_b32 v34, 0 :: v_dual_mov_b32 v37, v1
	v_lshl_add_u32 v39, v0, 3, 0x80
	v_dual_mov_b32 v35, 0 :: v_dual_mov_b32 v36, v0
	s_mov_b32 s2, 0
.LBB15_77:                              ; =>This Inner Loop Header: Depth=1
	s_delay_alu instid0(VALU_DEP_1) | instskip(SKIP_3) | instid1(VALU_DEP_2)
	v_cmp_eq_u32_e32 vcc_lo, 1, v36
	v_cmp_eq_u32_e64 s0, 2, v36
	v_dual_cndmask_b32 v40, v3, v5 :: v_dual_cndmask_b32 v41, v2, v4
	v_cmp_eq_u32_e32 vcc_lo, 3, v36
	v_cndmask_b32_e64 v40, v40, v7, s0
	s_delay_alu instid0(VALU_DEP_3) | instskip(SKIP_1) | instid1(VALU_DEP_2)
	v_cndmask_b32_e64 v41, v41, v6, s0
	v_cmp_eq_u32_e64 s0, 4, v36
	v_dual_cndmask_b32 v40, v40, v9 :: v_dual_cndmask_b32 v41, v41, v8
	v_cmp_eq_u32_e32 vcc_lo, 5, v36
	s_delay_alu instid0(VALU_DEP_2) | instskip(NEXT) | instid1(VALU_DEP_3)
	v_cndmask_b32_e64 v40, v40, v11, s0
	v_cndmask_b32_e64 v41, v41, v10, s0
	v_cmp_eq_u32_e64 s0, 6, v36
	s_delay_alu instid0(VALU_DEP_2) | instskip(SKIP_1) | instid1(VALU_DEP_2)
	v_dual_cndmask_b32 v40, v40, v13 :: v_dual_cndmask_b32 v41, v41, v12
	v_cmp_eq_u32_e32 vcc_lo, 7, v36
	v_cndmask_b32_e64 v40, v40, v15, s0
	s_delay_alu instid0(VALU_DEP_3) | instskip(SKIP_1) | instid1(VALU_DEP_2)
	v_cndmask_b32_e64 v41, v41, v14, s0
	v_cmp_eq_u32_e64 s0, 8, v36
	v_dual_cndmask_b32 v40, v40, v17 :: v_dual_cndmask_b32 v41, v41, v16
	v_cmp_eq_u32_e32 vcc_lo, 9, v36
	s_delay_alu instid0(VALU_DEP_2) | instskip(NEXT) | instid1(VALU_DEP_3)
	v_cndmask_b32_e64 v40, v40, v19, s0
	v_cndmask_b32_e64 v41, v41, v18, s0
	v_cmp_eq_u32_e64 s0, 10, v36
	s_delay_alu instid0(VALU_DEP_2) | instskip(SKIP_1) | instid1(VALU_DEP_2)
	v_dual_cndmask_b32 v40, v40, v21 :: v_dual_cndmask_b32 v41, v41, v20
	v_cmp_eq_u32_e32 vcc_lo, 11, v36
	v_cndmask_b32_e64 v40, v40, v23, s0
	s_delay_alu instid0(VALU_DEP_3) | instskip(SKIP_1) | instid1(VALU_DEP_2)
	v_cndmask_b32_e64 v41, v41, v22, s0
	v_cmp_eq_u32_e64 s0, 12, v36
	v_dual_cndmask_b32 v42, v40, v25 :: v_dual_cndmask_b32 v43, v41, v24
	ds_load_b64 v[40:41], v39
	v_cmp_eq_u32_e32 vcc_lo, 13, v36
	v_add_nc_u32_e32 v39, 8, v39
	v_cndmask_b32_e64 v42, v42, v27, s0
	v_cndmask_b32_e64 v43, v43, v26, s0
	v_cmp_eq_u32_e64 s0, 14, v36
	s_delay_alu instid0(VALU_DEP_2) | instskip(SKIP_1) | instid1(VALU_DEP_2)
	v_dual_cndmask_b32 v42, v42, v29 :: v_dual_cndmask_b32 v43, v43, v28
	v_cmp_eq_u32_e32 vcc_lo, 15, v36
	v_cndmask_b32_e64 v42, v42, v31, s0
	s_delay_alu instid0(VALU_DEP_3) | instskip(NEXT) | instid1(VALU_DEP_1)
	v_cndmask_b32_e64 v44, v43, v30, s0
	v_dual_cndmask_b32 v43, v42, v33 :: v_dual_cndmask_b32 v42, v44, v32
	v_add_co_u32 v36, vcc_lo, v36, 1
	v_add_co_ci_u32_e32 v37, vcc_lo, 0, v37, vcc_lo
	s_waitcnt lgkmcnt(0)
	s_delay_alu instid0(VALU_DEP_3) | instskip(NEXT) | instid1(VALU_DEP_3)
	v_fma_f64 v[34:35], v[42:43], v[40:41], v[34:35]
	v_add_nc_u32_e32 v40, -1, v36
	s_delay_alu instid0(VALU_DEP_1) | instskip(SKIP_1) | instid1(SALU_CYCLE_1)
	v_cmp_lt_u32_e32 vcc_lo, 11, v40
	s_or_b32 s2, vcc_lo, s2
	s_and_not1_b32 exec_lo, exec_lo, s2
	s_cbranch_execnz .LBB15_77
; %bb.78:
	s_or_b32 exec_lo, exec_lo, s2
	v_mov_b32_e32 v28, 0
	ds_load_b64 v[28:29], v28 offset:104
	s_waitcnt lgkmcnt(0)
	v_mul_f64 v[28:29], v[34:35], v[28:29]
.LBB15_79:
	s_or_b32 exec_lo, exec_lo, s1
	s_delay_alu instid0(SALU_CYCLE_1)
	s_mov_b32 s1, exec_lo
	s_barrier
	buffer_gl0_inv
	ds_store_b64 v38, v[30:31]
	s_waitcnt lgkmcnt(0)
	s_barrier
	buffer_gl0_inv
	v_cmpx_gt_u32_e32 14, v0
	s_cbranch_execz .LBB15_83
; %bb.80:
	v_dual_mov_b32 v34, 0 :: v_dual_mov_b32 v37, v1
	v_lshl_add_u32 v39, v0, 3, 0x80
	v_dual_mov_b32 v35, 0 :: v_dual_mov_b32 v36, v0
	s_mov_b32 s2, 0
.LBB15_81:                              ; =>This Inner Loop Header: Depth=1
	s_delay_alu instid0(VALU_DEP_1) | instskip(SKIP_3) | instid1(VALU_DEP_2)
	v_cmp_eq_u32_e32 vcc_lo, 1, v36
	v_cmp_eq_u32_e64 s0, 2, v36
	v_dual_cndmask_b32 v40, v3, v5 :: v_dual_cndmask_b32 v41, v2, v4
	v_cmp_eq_u32_e32 vcc_lo, 3, v36
	v_cndmask_b32_e64 v40, v40, v7, s0
	s_delay_alu instid0(VALU_DEP_3) | instskip(SKIP_1) | instid1(VALU_DEP_2)
	v_cndmask_b32_e64 v41, v41, v6, s0
	v_cmp_eq_u32_e64 s0, 4, v36
	v_dual_cndmask_b32 v40, v40, v9 :: v_dual_cndmask_b32 v41, v41, v8
	v_cmp_eq_u32_e32 vcc_lo, 5, v36
	s_delay_alu instid0(VALU_DEP_2) | instskip(NEXT) | instid1(VALU_DEP_3)
	v_cndmask_b32_e64 v40, v40, v11, s0
	v_cndmask_b32_e64 v41, v41, v10, s0
	v_cmp_eq_u32_e64 s0, 6, v36
	s_delay_alu instid0(VALU_DEP_2) | instskip(SKIP_1) | instid1(VALU_DEP_2)
	v_dual_cndmask_b32 v40, v40, v13 :: v_dual_cndmask_b32 v41, v41, v12
	v_cmp_eq_u32_e32 vcc_lo, 7, v36
	v_cndmask_b32_e64 v40, v40, v15, s0
	s_delay_alu instid0(VALU_DEP_3) | instskip(SKIP_1) | instid1(VALU_DEP_2)
	v_cndmask_b32_e64 v41, v41, v14, s0
	v_cmp_eq_u32_e64 s0, 8, v36
	v_dual_cndmask_b32 v40, v40, v17 :: v_dual_cndmask_b32 v41, v41, v16
	v_cmp_eq_u32_e32 vcc_lo, 9, v36
	s_delay_alu instid0(VALU_DEP_2) | instskip(NEXT) | instid1(VALU_DEP_3)
	v_cndmask_b32_e64 v40, v40, v19, s0
	v_cndmask_b32_e64 v41, v41, v18, s0
	v_cmp_eq_u32_e64 s0, 10, v36
	s_delay_alu instid0(VALU_DEP_2) | instskip(SKIP_1) | instid1(VALU_DEP_2)
	v_dual_cndmask_b32 v40, v40, v21 :: v_dual_cndmask_b32 v41, v41, v20
	v_cmp_eq_u32_e32 vcc_lo, 11, v36
	v_cndmask_b32_e64 v40, v40, v23, s0
	s_delay_alu instid0(VALU_DEP_3) | instskip(SKIP_1) | instid1(VALU_DEP_2)
	v_cndmask_b32_e64 v41, v41, v22, s0
	v_cmp_eq_u32_e64 s0, 12, v36
	v_dual_cndmask_b32 v42, v40, v25 :: v_dual_cndmask_b32 v43, v41, v24
	ds_load_b64 v[40:41], v39
	v_cmp_eq_u32_e32 vcc_lo, 13, v36
	v_add_nc_u32_e32 v39, 8, v39
	v_cndmask_b32_e64 v42, v42, v27, s0
	v_cndmask_b32_e64 v43, v43, v26, s0
	v_cmp_eq_u32_e64 s0, 14, v36
	s_delay_alu instid0(VALU_DEP_2) | instskip(SKIP_1) | instid1(VALU_DEP_2)
	v_dual_cndmask_b32 v42, v42, v29 :: v_dual_cndmask_b32 v43, v43, v28
	v_cmp_eq_u32_e32 vcc_lo, 15, v36
	v_cndmask_b32_e64 v42, v42, v31, s0
	s_delay_alu instid0(VALU_DEP_3) | instskip(NEXT) | instid1(VALU_DEP_1)
	v_cndmask_b32_e64 v44, v43, v30, s0
	v_dual_cndmask_b32 v43, v42, v33 :: v_dual_cndmask_b32 v42, v44, v32
	v_add_co_u32 v36, vcc_lo, v36, 1
	v_add_co_ci_u32_e32 v37, vcc_lo, 0, v37, vcc_lo
	s_waitcnt lgkmcnt(0)
	s_delay_alu instid0(VALU_DEP_3) | instskip(NEXT) | instid1(VALU_DEP_3)
	v_fma_f64 v[34:35], v[42:43], v[40:41], v[34:35]
	v_add_nc_u32_e32 v40, -1, v36
	s_delay_alu instid0(VALU_DEP_1) | instskip(SKIP_1) | instid1(SALU_CYCLE_1)
	v_cmp_lt_u32_e32 vcc_lo, 12, v40
	s_or_b32 s2, vcc_lo, s2
	s_and_not1_b32 exec_lo, exec_lo, s2
	s_cbranch_execnz .LBB15_81
; %bb.82:
	s_or_b32 exec_lo, exec_lo, s2
	v_mov_b32_e32 v30, 0
	ds_load_b64 v[30:31], v30 offset:112
	s_waitcnt lgkmcnt(0)
	v_mul_f64 v[30:31], v[34:35], v[30:31]
.LBB15_83:
	s_or_b32 exec_lo, exec_lo, s1
	s_delay_alu instid0(SALU_CYCLE_1)
	s_mov_b32 s1, exec_lo
	s_barrier
	buffer_gl0_inv
	ds_store_b64 v38, v[32:33]
	s_waitcnt lgkmcnt(0)
	s_barrier
	buffer_gl0_inv
	v_cmpx_ne_u32_e32 15, v0
	s_cbranch_execz .LBB15_87
; %bb.84:
	v_dual_mov_b32 v34, 0 :: v_dual_mov_b32 v37, v1
	v_lshl_add_u32 v38, v0, 3, 0x80
	v_dual_mov_b32 v35, 0 :: v_dual_mov_b32 v36, v0
	s_mov_b32 s2, 0
.LBB15_85:                              ; =>This Inner Loop Header: Depth=1
	s_delay_alu instid0(VALU_DEP_1) | instskip(SKIP_4) | instid1(VALU_DEP_3)
	v_cmp_eq_u32_e32 vcc_lo, 1, v36
	v_cmp_eq_u32_e64 s0, 2, v36
	v_cndmask_b32_e32 v1, v3, v5, vcc_lo
	v_cndmask_b32_e32 v39, v2, v4, vcc_lo
	v_cmp_eq_u32_e32 vcc_lo, 3, v36
	v_cndmask_b32_e64 v1, v1, v7, s0
	s_delay_alu instid0(VALU_DEP_3) | instskip(SKIP_1) | instid1(VALU_DEP_3)
	v_cndmask_b32_e64 v39, v39, v6, s0
	v_cmp_eq_u32_e64 s0, 4, v36
	v_cndmask_b32_e32 v1, v1, v9, vcc_lo
	s_delay_alu instid0(VALU_DEP_3) | instskip(SKIP_1) | instid1(VALU_DEP_3)
	v_cndmask_b32_e32 v39, v39, v8, vcc_lo
	v_cmp_eq_u32_e32 vcc_lo, 5, v36
	v_cndmask_b32_e64 v1, v1, v11, s0
	s_delay_alu instid0(VALU_DEP_3) | instskip(SKIP_1) | instid1(VALU_DEP_3)
	v_cndmask_b32_e64 v39, v39, v10, s0
	v_cmp_eq_u32_e64 s0, 6, v36
	v_cndmask_b32_e32 v1, v1, v13, vcc_lo
	s_delay_alu instid0(VALU_DEP_3) | instskip(SKIP_1) | instid1(VALU_DEP_3)
	;; [unrolled: 8-line block ×4, first 2 shown]
	v_cndmask_b32_e32 v39, v39, v20, vcc_lo
	v_cmp_eq_u32_e32 vcc_lo, 11, v36
	v_cndmask_b32_e64 v1, v1, v23, s0
	s_delay_alu instid0(VALU_DEP_3) | instskip(SKIP_1) | instid1(VALU_DEP_3)
	v_cndmask_b32_e64 v39, v39, v22, s0
	v_cmp_eq_u32_e64 s0, 12, v36
	v_cndmask_b32_e32 v1, v1, v25, vcc_lo
	s_delay_alu instid0(VALU_DEP_3)
	v_cndmask_b32_e32 v41, v39, v24, vcc_lo
	ds_load_b64 v[39:40], v38
	v_cmp_eq_u32_e32 vcc_lo, 13, v36
	v_add_nc_u32_e32 v38, 8, v38
	v_cndmask_b32_e64 v1, v1, v27, s0
	v_cndmask_b32_e64 v41, v41, v26, s0
	v_cmp_eq_u32_e64 s0, 14, v36
	s_delay_alu instid0(VALU_DEP_3) | instskip(NEXT) | instid1(VALU_DEP_3)
	v_cndmask_b32_e32 v1, v1, v29, vcc_lo
	v_cndmask_b32_e32 v41, v41, v28, vcc_lo
	v_cmp_eq_u32_e32 vcc_lo, 15, v36
	s_delay_alu instid0(VALU_DEP_3) | instskip(NEXT) | instid1(VALU_DEP_3)
	v_cndmask_b32_e64 v1, v1, v31, s0
	v_cndmask_b32_e64 v41, v41, v30, s0
	s_delay_alu instid0(VALU_DEP_2) | instskip(NEXT) | instid1(VALU_DEP_2)
	v_cndmask_b32_e32 v42, v1, v33, vcc_lo
	v_cndmask_b32_e32 v41, v41, v32, vcc_lo
	v_add_co_u32 v36, vcc_lo, v36, 1
	v_add_co_ci_u32_e32 v37, vcc_lo, 0, v37, vcc_lo
	s_waitcnt lgkmcnt(0)
	s_delay_alu instid0(VALU_DEP_3) | instskip(NEXT) | instid1(VALU_DEP_3)
	v_fma_f64 v[34:35], v[41:42], v[39:40], v[34:35]
	v_add_nc_u32_e32 v1, -1, v36
	s_delay_alu instid0(VALU_DEP_1) | instskip(SKIP_1) | instid1(SALU_CYCLE_1)
	v_cmp_lt_u32_e32 vcc_lo, 13, v1
	s_or_b32 s2, vcc_lo, s2
	s_and_not1_b32 exec_lo, exec_lo, s2
	s_cbranch_execnz .LBB15_85
; %bb.86:
	s_or_b32 exec_lo, exec_lo, s2
	v_mov_b32_e32 v1, 0
	ds_load_b64 v[32:33], v1 offset:120
	s_waitcnt lgkmcnt(0)
	v_mul_f64 v[32:33], v[34:35], v[32:33]
.LBB15_87:
	s_or_b32 exec_lo, exec_lo, s1
	s_barrier
	buffer_gl0_inv
	s_cbranch_execnz .LBB15_15
	s_branch .LBB15_16
.LBB15_88:
	v_lshl_add_u32 v1, v0, 3, 0x80
	s_mov_b32 s0, exec_lo
	v_cmpx_eq_u32_e32 15, v0
	s_cbranch_execz .LBB15_90
; %bb.89:
	s_mov_b32 s1, 0
	v_mov_b32_e32 v63, v33
	v_mov_b32_e32 v60, v30
	v_dual_mov_b32 v60, s1 :: v_dual_mov_b32 v59, v29
	v_dual_mov_b32 v62, v32 :: v_dual_mov_b32 v61, v31
	;; [unrolled: 1-line block ×16, first 2 shown]
	ds_store_b64 v1, v[30:31]
	v_mov_b32_e32 v2, v32
	v_dual_mov_b32 v3, v33 :: v_dual_mov_b32 v4, v34
	v_dual_mov_b32 v5, v35 :: v_dual_mov_b32 v6, v36
	;; [unrolled: 1-line block ×15, first 2 shown]
	v_mov_b32_e32 v33, v63
.LBB15_90:
	s_or_b32 exec_lo, exec_lo, s0
	v_mov_b32_e32 v62, 0
	s_waitcnt lgkmcnt(0)
	s_waitcnt_vscnt null, 0x0
	s_barrier
	buffer_gl0_inv
	s_mov_b32 s0, exec_lo
	ds_load_b64 v[34:35], v62 offset:248
	s_waitcnt lgkmcnt(0)
	v_fma_f64 v[34:35], v[32:33], v[34:35], 0
	s_delay_alu instid0(VALU_DEP_1)
	v_add_f64 v[30:31], v[30:31], -v[34:35]
	v_cmpx_lt_u32_e32 13, v0
	s_cbranch_execz .LBB15_92
; %bb.91:
	s_mov_b32 s1, 0
	v_mov_b32_e32 v61, v33
	v_mov_b32_e32 v56, v28
	v_dual_mov_b32 v56, s1 :: v_dual_mov_b32 v55, v27
	v_dual_mov_b32 v58, v30 :: v_dual_mov_b32 v57, v29
	;; [unrolled: 1-line block ×15, first 2 shown]
	v_mov_b32_e32 v31, v3
	v_mov_b32_e32 v30, v2
	ds_store_b64 v1, v[28:29]
	v_mov_b32_e32 v2, v30
	v_dual_mov_b32 v3, v31 :: v_dual_mov_b32 v4, v32
	v_dual_mov_b32 v5, v33 :: v_dual_mov_b32 v6, v34
	;; [unrolled: 1-line block ×14, first 2 shown]
	v_mov_b32_e32 v31, v59
	v_mov_b32_e32 v32, v60
	v_mov_b32_e32 v33, v61
.LBB15_92:
	s_or_b32 exec_lo, exec_lo, s0
	s_waitcnt lgkmcnt(0)
	s_barrier
	buffer_gl0_inv
	ds_load_b128 v[34:37], v62 offset:240
	s_mov_b32 s0, exec_lo
	s_waitcnt lgkmcnt(0)
	v_fma_f64 v[34:35], v[30:31], v[34:35], 0
	s_delay_alu instid0(VALU_DEP_1) | instskip(NEXT) | instid1(VALU_DEP_1)
	v_fma_f64 v[34:35], v[32:33], v[36:37], v[34:35]
	v_add_f64 v[28:29], v[28:29], -v[34:35]
	v_cmpx_lt_u32_e32 12, v0
	s_cbranch_execz .LBB15_94
; %bb.93:
	s_mov_b32 s1, 0
	v_mov_b32_e32 v59, v33
	v_mov_b32_e32 v52, v26
	v_dual_mov_b32 v52, s1 :: v_dual_mov_b32 v51, v25
	v_dual_mov_b32 v54, v28 :: v_dual_mov_b32 v53, v27
	;; [unrolled: 1-line block ×14, first 2 shown]
	v_mov_b32_e32 v31, v5
	v_mov_b32_e32 v30, v4
	v_mov_b32_e32 v29, v3
	v_mov_b32_e32 v28, v2
	ds_store_b64 v1, v[26:27]
	v_mov_b32_e32 v2, v28
	v_dual_mov_b32 v3, v29 :: v_dual_mov_b32 v4, v30
	v_dual_mov_b32 v5, v31 :: v_dual_mov_b32 v6, v32
	;; [unrolled: 1-line block ×13, first 2 shown]
	v_mov_b32_e32 v29, v55
	v_mov_b32_e32 v30, v56
	;; [unrolled: 1-line block ×5, first 2 shown]
.LBB15_94:
	s_or_b32 exec_lo, exec_lo, s0
	v_mov_b32_e32 v58, 0
	s_waitcnt lgkmcnt(0)
	s_barrier
	buffer_gl0_inv
	s_mov_b32 s0, exec_lo
	ds_load_2addr_b64 v[34:37], v58 offset0:29 offset1:30
	ds_load_b64 v[38:39], v58 offset:248
	s_waitcnt lgkmcnt(1)
	v_fma_f64 v[34:35], v[28:29], v[34:35], 0
	s_delay_alu instid0(VALU_DEP_1) | instskip(SKIP_1) | instid1(VALU_DEP_1)
	v_fma_f64 v[34:35], v[30:31], v[36:37], v[34:35]
	s_waitcnt lgkmcnt(0)
	v_fma_f64 v[34:35], v[32:33], v[38:39], v[34:35]
	s_delay_alu instid0(VALU_DEP_1)
	v_add_f64 v[26:27], v[26:27], -v[34:35]
	v_cmpx_lt_u32_e32 11, v0
	s_cbranch_execz .LBB15_96
; %bb.95:
	s_mov_b32 s1, 0
	v_mov_b32_e32 v57, v33
	v_mov_b32_e32 v48, v24
	v_dual_mov_b32 v48, s1 :: v_dual_mov_b32 v47, v23
	v_dual_mov_b32 v50, v26 :: v_dual_mov_b32 v49, v25
	;; [unrolled: 1-line block ×13, first 2 shown]
	v_mov_b32_e32 v31, v7
	v_mov_b32_e32 v30, v6
	;; [unrolled: 1-line block ×6, first 2 shown]
	ds_store_b64 v1, v[24:25]
	v_mov_b32_e32 v2, v26
	v_dual_mov_b32 v3, v27 :: v_dual_mov_b32 v4, v28
	v_dual_mov_b32 v5, v29 :: v_dual_mov_b32 v6, v30
	v_dual_mov_b32 v7, v31 :: v_dual_mov_b32 v8, v32
	v_dual_mov_b32 v9, v33 :: v_dual_mov_b32 v10, v34
	v_dual_mov_b32 v11, v35 :: v_dual_mov_b32 v12, v36
	v_dual_mov_b32 v13, v37 :: v_dual_mov_b32 v14, v38
	v_dual_mov_b32 v15, v39 :: v_dual_mov_b32 v16, v40
	v_dual_mov_b32 v17, v41 :: v_dual_mov_b32 v18, v42
	v_dual_mov_b32 v19, v43 :: v_dual_mov_b32 v20, v44
	v_dual_mov_b32 v21, v45 :: v_dual_mov_b32 v22, v46
	v_dual_mov_b32 v23, v47 :: v_dual_mov_b32 v24, v48
	v_dual_mov_b32 v25, v49 :: v_dual_mov_b32 v26, v50
	v_mov_b32_e32 v27, v51
	v_mov_b32_e32 v28, v52
	;; [unrolled: 1-line block ×7, first 2 shown]
.LBB15_96:
	s_or_b32 exec_lo, exec_lo, s0
	s_waitcnt lgkmcnt(0)
	s_barrier
	buffer_gl0_inv
	ds_load_b128 v[34:37], v58 offset:224
	ds_load_b128 v[38:41], v58 offset:240
	s_mov_b32 s0, exec_lo
	s_waitcnt lgkmcnt(1)
	v_fma_f64 v[34:35], v[26:27], v[34:35], 0
	s_delay_alu instid0(VALU_DEP_1) | instskip(SKIP_1) | instid1(VALU_DEP_1)
	v_fma_f64 v[34:35], v[28:29], v[36:37], v[34:35]
	s_waitcnt lgkmcnt(0)
	v_fma_f64 v[34:35], v[30:31], v[38:39], v[34:35]
	s_delay_alu instid0(VALU_DEP_1) | instskip(NEXT) | instid1(VALU_DEP_1)
	v_fma_f64 v[34:35], v[32:33], v[40:41], v[34:35]
	v_add_f64 v[24:25], v[24:25], -v[34:35]
	v_cmpx_lt_u32_e32 10, v0
	s_cbranch_execz .LBB15_98
; %bb.97:
	s_mov_b32 s1, 0
	v_mov_b32_e32 v55, v33
	v_mov_b32_e32 v44, v22
	v_dual_mov_b32 v44, s1 :: v_dual_mov_b32 v43, v21
	v_dual_mov_b32 v46, v24 :: v_dual_mov_b32 v45, v23
	;; [unrolled: 1-line block ×12, first 2 shown]
	v_mov_b32_e32 v31, v9
	v_mov_b32_e32 v30, v8
	;; [unrolled: 1-line block ×8, first 2 shown]
	ds_store_b64 v1, v[22:23]
	v_mov_b32_e32 v2, v24
	v_dual_mov_b32 v3, v25 :: v_dual_mov_b32 v4, v26
	v_dual_mov_b32 v5, v27 :: v_dual_mov_b32 v6, v28
	;; [unrolled: 1-line block ×11, first 2 shown]
	v_mov_b32_e32 v25, v47
	v_mov_b32_e32 v26, v48
	;; [unrolled: 1-line block ×9, first 2 shown]
.LBB15_98:
	s_or_b32 exec_lo, exec_lo, s0
	v_mov_b32_e32 v54, 0
	s_waitcnt lgkmcnt(0)
	s_barrier
	buffer_gl0_inv
	s_mov_b32 s0, exec_lo
	ds_load_2addr_b64 v[34:37], v54 offset0:27 offset1:28
	ds_load_2addr_b64 v[38:41], v54 offset0:29 offset1:30
	s_waitcnt lgkmcnt(1)
	v_fma_f64 v[34:35], v[24:25], v[34:35], 0
	s_delay_alu instid0(VALU_DEP_1) | instskip(SKIP_3) | instid1(VALU_DEP_1)
	v_fma_f64 v[34:35], v[26:27], v[36:37], v[34:35]
	ds_load_b64 v[36:37], v54 offset:248
	s_waitcnt lgkmcnt(1)
	v_fma_f64 v[34:35], v[28:29], v[38:39], v[34:35]
	v_fma_f64 v[34:35], v[30:31], v[40:41], v[34:35]
	s_waitcnt lgkmcnt(0)
	s_delay_alu instid0(VALU_DEP_1) | instskip(NEXT) | instid1(VALU_DEP_1)
	v_fma_f64 v[34:35], v[32:33], v[36:37], v[34:35]
	v_add_f64 v[22:23], v[22:23], -v[34:35]
	v_cmpx_lt_u32_e32 9, v0
	s_cbranch_execz .LBB15_100
; %bb.99:
	s_mov_b32 s1, 0
	v_mov_b32_e32 v53, v33
	v_mov_b32_e32 v40, v20
	v_dual_mov_b32 v40, s1 :: v_dual_mov_b32 v39, v19
	v_dual_mov_b32 v42, v22 :: v_dual_mov_b32 v41, v21
	;; [unrolled: 1-line block ×11, first 2 shown]
	v_mov_b32_e32 v31, v11
	v_mov_b32_e32 v30, v10
	v_mov_b32_e32 v29, v9
	v_mov_b32_e32 v28, v8
	v_mov_b32_e32 v27, v7
	v_mov_b32_e32 v26, v6
	v_mov_b32_e32 v25, v5
	v_mov_b32_e32 v24, v4
	v_mov_b32_e32 v23, v3
	v_mov_b32_e32 v22, v2
	ds_store_b64 v1, v[20:21]
	v_mov_b32_e32 v2, v22
	v_dual_mov_b32 v3, v23 :: v_dual_mov_b32 v4, v24
	v_dual_mov_b32 v5, v25 :: v_dual_mov_b32 v6, v26
	;; [unrolled: 1-line block ×10, first 2 shown]
	v_mov_b32_e32 v23, v43
	v_mov_b32_e32 v24, v44
	;; [unrolled: 1-line block ×11, first 2 shown]
.LBB15_100:
	s_or_b32 exec_lo, exec_lo, s0
	s_waitcnt lgkmcnt(0)
	s_barrier
	buffer_gl0_inv
	ds_load_b128 v[34:37], v54 offset:208
	ds_load_b128 v[38:41], v54 offset:224
	s_mov_b32 s0, exec_lo
	s_waitcnt lgkmcnt(1)
	v_fma_f64 v[34:35], v[22:23], v[34:35], 0
	s_delay_alu instid0(VALU_DEP_1) | instskip(SKIP_1) | instid1(VALU_DEP_1)
	v_fma_f64 v[34:35], v[24:25], v[36:37], v[34:35]
	s_waitcnt lgkmcnt(0)
	v_fma_f64 v[34:35], v[26:27], v[38:39], v[34:35]
	s_delay_alu instid0(VALU_DEP_1) | instskip(SKIP_3) | instid1(VALU_DEP_1)
	v_fma_f64 v[38:39], v[28:29], v[40:41], v[34:35]
	ds_load_b128 v[34:37], v54 offset:240
	s_waitcnt lgkmcnt(0)
	v_fma_f64 v[34:35], v[30:31], v[34:35], v[38:39]
	v_fma_f64 v[34:35], v[32:33], v[36:37], v[34:35]
	s_delay_alu instid0(VALU_DEP_1)
	v_add_f64 v[20:21], v[20:21], -v[34:35]
	v_cmpx_lt_u32_e32 8, v0
	s_cbranch_execz .LBB15_102
; %bb.101:
	s_mov_b32 s1, 0
	v_mov_b32_e32 v51, v33
	v_mov_b32_e32 v36, v18
	v_dual_mov_b32 v36, s1 :: v_dual_mov_b32 v35, v17
	v_dual_mov_b32 v38, v20 :: v_dual_mov_b32 v37, v19
	;; [unrolled: 1-line block ×10, first 2 shown]
	v_mov_b32_e32 v31, v13
	v_mov_b32_e32 v30, v12
	;; [unrolled: 1-line block ×12, first 2 shown]
	ds_store_b64 v1, v[18:19]
	v_mov_b32_e32 v2, v20
	v_dual_mov_b32 v3, v21 :: v_dual_mov_b32 v4, v22
	v_dual_mov_b32 v5, v23 :: v_dual_mov_b32 v6, v24
	;; [unrolled: 1-line block ×9, first 2 shown]
	v_mov_b32_e32 v21, v39
	v_mov_b32_e32 v22, v40
	;; [unrolled: 1-line block ×13, first 2 shown]
.LBB15_102:
	s_or_b32 exec_lo, exec_lo, s0
	v_mov_b32_e32 v50, 0
	s_waitcnt lgkmcnt(0)
	s_barrier
	buffer_gl0_inv
	s_mov_b32 s0, exec_lo
	ds_load_2addr_b64 v[34:37], v50 offset0:25 offset1:26
	ds_load_2addr_b64 v[38:41], v50 offset0:27 offset1:28
	s_waitcnt lgkmcnt(1)
	v_fma_f64 v[34:35], v[20:21], v[34:35], 0
	s_delay_alu instid0(VALU_DEP_1) | instskip(SKIP_1) | instid1(VALU_DEP_1)
	v_fma_f64 v[34:35], v[22:23], v[36:37], v[34:35]
	s_waitcnt lgkmcnt(0)
	v_fma_f64 v[34:35], v[24:25], v[38:39], v[34:35]
	s_delay_alu instid0(VALU_DEP_1) | instskip(SKIP_4) | instid1(VALU_DEP_1)
	v_fma_f64 v[38:39], v[26:27], v[40:41], v[34:35]
	ds_load_2addr_b64 v[34:37], v50 offset0:29 offset1:30
	ds_load_b64 v[40:41], v50 offset:248
	s_waitcnt lgkmcnt(1)
	v_fma_f64 v[34:35], v[28:29], v[34:35], v[38:39]
	v_fma_f64 v[34:35], v[30:31], v[36:37], v[34:35]
	s_waitcnt lgkmcnt(0)
	s_delay_alu instid0(VALU_DEP_1) | instskip(NEXT) | instid1(VALU_DEP_1)
	v_fma_f64 v[34:35], v[32:33], v[40:41], v[34:35]
	v_add_f64 v[18:19], v[18:19], -v[34:35]
	v_cmpx_lt_u32_e32 7, v0
	s_cbranch_execz .LBB15_104
; %bb.103:
	s_mov_b32 s1, 0
	v_mov_b32_e32 v49, v33
	v_dual_mov_b32 v48, v32 :: v_dual_mov_b32 v47, v31
	v_dual_mov_b32 v46, v30 :: v_dual_mov_b32 v45, v29
	v_dual_mov_b32 v44, v28 :: v_dual_mov_b32 v43, v27
	v_dual_mov_b32 v42, v26 :: v_dual_mov_b32 v41, v25
	v_dual_mov_b32 v40, v24 :: v_dual_mov_b32 v39, v23
	v_dual_mov_b32 v38, v22 :: v_dual_mov_b32 v37, v21
	v_dual_mov_b32 v36, v20 :: v_dual_mov_b32 v35, v19
	v_dual_mov_b32 v34, v18 :: v_dual_mov_b32 v33, v17
	v_mov_b32_e32 v32, v16
	v_mov_b32_e32 v31, v15
	v_mov_b32_e32 v30, v14
	v_mov_b32_e32 v29, v13
	v_mov_b32_e32 v28, v12
	v_mov_b32_e32 v27, v11
	v_mov_b32_e32 v26, v10
	v_mov_b32_e32 v25, v9
	v_mov_b32_e32 v24, v8
	v_mov_b32_e32 v23, v7
	v_mov_b32_e32 v22, v6
	v_mov_b32_e32 v21, v5
	v_mov_b32_e32 v20, v4
	v_mov_b32_e32 v19, v3
	v_dual_mov_b32 v18, v2 :: v_dual_mov_b32 v33, s1
	v_mov_b32_e32 v32, s1
	ds_store_b64 v1, v[16:17]
	v_mov_b32_e32 v2, v18
	v_dual_mov_b32 v3, v19 :: v_dual_mov_b32 v4, v20
	v_dual_mov_b32 v5, v21 :: v_dual_mov_b32 v6, v22
	;; [unrolled: 1-line block ×8, first 2 shown]
	v_mov_b32_e32 v19, v35
	v_mov_b32_e32 v20, v36
	;; [unrolled: 1-line block ×15, first 2 shown]
.LBB15_104:
	s_or_b32 exec_lo, exec_lo, s0
	s_waitcnt lgkmcnt(0)
	s_barrier
	buffer_gl0_inv
	ds_load_b128 v[34:37], v50 offset:192
	ds_load_b128 v[38:41], v50 offset:208
	s_mov_b32 s0, exec_lo
	s_waitcnt lgkmcnt(1)
	v_fma_f64 v[34:35], v[18:19], v[34:35], 0
	s_delay_alu instid0(VALU_DEP_1) | instskip(SKIP_1) | instid1(VALU_DEP_1)
	v_fma_f64 v[34:35], v[20:21], v[36:37], v[34:35]
	s_waitcnt lgkmcnt(0)
	v_fma_f64 v[34:35], v[22:23], v[38:39], v[34:35]
	s_delay_alu instid0(VALU_DEP_1) | instskip(SKIP_4) | instid1(VALU_DEP_1)
	v_fma_f64 v[42:43], v[24:25], v[40:41], v[34:35]
	ds_load_b128 v[34:37], v50 offset:224
	ds_load_b128 v[38:41], v50 offset:240
	s_waitcnt lgkmcnt(1)
	v_fma_f64 v[34:35], v[26:27], v[34:35], v[42:43]
	v_fma_f64 v[34:35], v[28:29], v[36:37], v[34:35]
	s_waitcnt lgkmcnt(0)
	s_delay_alu instid0(VALU_DEP_1) | instskip(NEXT) | instid1(VALU_DEP_1)
	v_fma_f64 v[34:35], v[30:31], v[38:39], v[34:35]
	v_fma_f64 v[34:35], v[32:33], v[40:41], v[34:35]
	s_delay_alu instid0(VALU_DEP_1)
	v_add_f64 v[16:17], v[16:17], -v[34:35]
	v_cmpx_lt_u32_e32 6, v0
	s_cbranch_execz .LBB15_106
; %bb.105:
	s_mov_b32 s1, 0
	v_mov_b32_e32 v47, v33
	v_dual_mov_b32 v46, v32 :: v_dual_mov_b32 v45, v31
	v_dual_mov_b32 v44, v30 :: v_dual_mov_b32 v43, v29
	;; [unrolled: 1-line block ×7, first 2 shown]
	v_mov_b32_e32 v32, v18
	v_mov_b32_e32 v31, v17
	;; [unrolled: 1-line block ×16, first 2 shown]
	v_dual_mov_b32 v16, v2 :: v_dual_mov_b32 v29, s1
	v_mov_b32_e32 v28, s1
	ds_store_b64 v1, v[14:15]
	v_mov_b32_e32 v2, v16
	v_dual_mov_b32 v3, v17 :: v_dual_mov_b32 v4, v18
	v_dual_mov_b32 v5, v19 :: v_dual_mov_b32 v6, v20
	;; [unrolled: 1-line block ×7, first 2 shown]
	v_mov_b32_e32 v17, v31
	v_mov_b32_e32 v18, v32
	;; [unrolled: 1-line block ×17, first 2 shown]
.LBB15_106:
	s_or_b32 exec_lo, exec_lo, s0
	v_mov_b32_e32 v46, 0
	s_waitcnt lgkmcnt(0)
	s_barrier
	buffer_gl0_inv
	s_mov_b32 s0, exec_lo
	ds_load_2addr_b64 v[34:37], v46 offset0:23 offset1:24
	ds_load_2addr_b64 v[38:41], v46 offset0:25 offset1:26
	s_waitcnt lgkmcnt(1)
	v_fma_f64 v[34:35], v[16:17], v[34:35], 0
	s_delay_alu instid0(VALU_DEP_1) | instskip(SKIP_1) | instid1(VALU_DEP_1)
	v_fma_f64 v[34:35], v[18:19], v[36:37], v[34:35]
	s_waitcnt lgkmcnt(0)
	v_fma_f64 v[34:35], v[20:21], v[38:39], v[34:35]
	s_delay_alu instid0(VALU_DEP_1) | instskip(SKIP_4) | instid1(VALU_DEP_1)
	v_fma_f64 v[42:43], v[22:23], v[40:41], v[34:35]
	ds_load_2addr_b64 v[34:37], v46 offset0:27 offset1:28
	ds_load_2addr_b64 v[38:41], v46 offset0:29 offset1:30
	s_waitcnt lgkmcnt(1)
	v_fma_f64 v[34:35], v[24:25], v[34:35], v[42:43]
	v_fma_f64 v[34:35], v[26:27], v[36:37], v[34:35]
	ds_load_b64 v[36:37], v46 offset:248
	s_waitcnt lgkmcnt(1)
	v_fma_f64 v[34:35], v[28:29], v[38:39], v[34:35]
	s_delay_alu instid0(VALU_DEP_1) | instskip(SKIP_1) | instid1(VALU_DEP_1)
	v_fma_f64 v[34:35], v[30:31], v[40:41], v[34:35]
	s_waitcnt lgkmcnt(0)
	v_fma_f64 v[34:35], v[32:33], v[36:37], v[34:35]
	s_delay_alu instid0(VALU_DEP_1)
	v_add_f64 v[14:15], v[14:15], -v[34:35]
	v_cmpx_lt_u32_e32 5, v0
	s_cbranch_execz .LBB15_108
; %bb.107:
	s_mov_b32 s1, 0
	v_mov_b32_e32 v45, v33
	v_dual_mov_b32 v44, v32 :: v_dual_mov_b32 v43, v31
	v_dual_mov_b32 v42, v30 :: v_dual_mov_b32 v41, v29
	;; [unrolled: 1-line block ×6, first 2 shown]
	v_mov_b32_e32 v32, v20
	v_mov_b32_e32 v31, v19
	;; [unrolled: 1-line block ×18, first 2 shown]
	v_dual_mov_b32 v14, v2 :: v_dual_mov_b32 v25, s1
	v_mov_b32_e32 v24, s1
	ds_store_b64 v1, v[12:13]
	v_mov_b32_e32 v2, v14
	v_dual_mov_b32 v3, v15 :: v_dual_mov_b32 v4, v16
	v_dual_mov_b32 v5, v17 :: v_dual_mov_b32 v6, v18
	;; [unrolled: 1-line block ×6, first 2 shown]
	v_mov_b32_e32 v15, v27
	v_mov_b32_e32 v16, v28
	;; [unrolled: 1-line block ×19, first 2 shown]
.LBB15_108:
	s_or_b32 exec_lo, exec_lo, s0
	s_waitcnt lgkmcnt(0)
	s_barrier
	buffer_gl0_inv
	ds_load_b128 v[34:37], v46 offset:176
	ds_load_b128 v[38:41], v46 offset:192
	s_mov_b32 s0, exec_lo
	s_waitcnt lgkmcnt(1)
	v_fma_f64 v[34:35], v[14:15], v[34:35], 0
	s_delay_alu instid0(VALU_DEP_1) | instskip(SKIP_1) | instid1(VALU_DEP_1)
	v_fma_f64 v[34:35], v[16:17], v[36:37], v[34:35]
	s_waitcnt lgkmcnt(0)
	v_fma_f64 v[34:35], v[18:19], v[38:39], v[34:35]
	s_delay_alu instid0(VALU_DEP_1) | instskip(SKIP_4) | instid1(VALU_DEP_1)
	v_fma_f64 v[42:43], v[20:21], v[40:41], v[34:35]
	ds_load_b128 v[34:37], v46 offset:208
	ds_load_b128 v[38:41], v46 offset:224
	s_waitcnt lgkmcnt(1)
	v_fma_f64 v[34:35], v[22:23], v[34:35], v[42:43]
	v_fma_f64 v[34:35], v[24:25], v[36:37], v[34:35]
	s_waitcnt lgkmcnt(0)
	s_delay_alu instid0(VALU_DEP_1) | instskip(NEXT) | instid1(VALU_DEP_1)
	v_fma_f64 v[34:35], v[26:27], v[38:39], v[34:35]
	v_fma_f64 v[38:39], v[28:29], v[40:41], v[34:35]
	ds_load_b128 v[34:37], v46 offset:240
	s_waitcnt lgkmcnt(0)
	v_fma_f64 v[34:35], v[30:31], v[34:35], v[38:39]
	s_delay_alu instid0(VALU_DEP_1) | instskip(NEXT) | instid1(VALU_DEP_1)
	v_fma_f64 v[34:35], v[32:33], v[36:37], v[34:35]
	v_add_f64 v[12:13], v[12:13], -v[34:35]
	v_cmpx_lt_u32_e32 4, v0
	s_cbranch_execz .LBB15_110
; %bb.109:
	s_mov_b32 s1, 0
	v_mov_b32_e32 v43, v33
	v_dual_mov_b32 v42, v32 :: v_dual_mov_b32 v41, v31
	v_dual_mov_b32 v40, v30 :: v_dual_mov_b32 v39, v29
	;; [unrolled: 1-line block ×5, first 2 shown]
	v_mov_b32_e32 v32, v22
	v_mov_b32_e32 v31, v21
	;; [unrolled: 1-line block ×20, first 2 shown]
	v_dual_mov_b32 v12, v2 :: v_dual_mov_b32 v21, s1
	v_mov_b32_e32 v20, s1
	ds_store_b64 v1, v[10:11]
	v_mov_b32_e32 v2, v12
	v_dual_mov_b32 v3, v13 :: v_dual_mov_b32 v4, v14
	v_dual_mov_b32 v5, v15 :: v_dual_mov_b32 v6, v16
	;; [unrolled: 1-line block ×5, first 2 shown]
	v_mov_b32_e32 v13, v23
	v_mov_b32_e32 v14, v24
	;; [unrolled: 1-line block ×21, first 2 shown]
.LBB15_110:
	s_or_b32 exec_lo, exec_lo, s0
	v_mov_b32_e32 v42, 0
	s_waitcnt lgkmcnt(0)
	s_barrier
	buffer_gl0_inv
	s_mov_b32 s0, exec_lo
	ds_load_2addr_b64 v[34:37], v42 offset0:21 offset1:22
	ds_load_2addr_b64 v[38:41], v42 offset0:23 offset1:24
	s_waitcnt lgkmcnt(1)
	v_fma_f64 v[34:35], v[12:13], v[34:35], 0
	s_delay_alu instid0(VALU_DEP_1) | instskip(SKIP_1) | instid1(VALU_DEP_1)
	v_fma_f64 v[34:35], v[14:15], v[36:37], v[34:35]
	s_waitcnt lgkmcnt(0)
	v_fma_f64 v[34:35], v[16:17], v[38:39], v[34:35]
	s_delay_alu instid0(VALU_DEP_1) | instskip(SKIP_4) | instid1(VALU_DEP_1)
	v_fma_f64 v[43:44], v[18:19], v[40:41], v[34:35]
	ds_load_2addr_b64 v[34:37], v42 offset0:25 offset1:26
	ds_load_2addr_b64 v[38:41], v42 offset0:27 offset1:28
	s_waitcnt lgkmcnt(1)
	v_fma_f64 v[34:35], v[20:21], v[34:35], v[43:44]
	v_fma_f64 v[34:35], v[22:23], v[36:37], v[34:35]
	s_waitcnt lgkmcnt(0)
	s_delay_alu instid0(VALU_DEP_1) | instskip(NEXT) | instid1(VALU_DEP_1)
	v_fma_f64 v[34:35], v[24:25], v[38:39], v[34:35]
	v_fma_f64 v[38:39], v[26:27], v[40:41], v[34:35]
	ds_load_2addr_b64 v[34:37], v42 offset0:29 offset1:30
	ds_load_b64 v[40:41], v42 offset:248
	s_waitcnt lgkmcnt(1)
	v_fma_f64 v[34:35], v[28:29], v[34:35], v[38:39]
	s_delay_alu instid0(VALU_DEP_1) | instskip(SKIP_1) | instid1(VALU_DEP_1)
	v_fma_f64 v[34:35], v[30:31], v[36:37], v[34:35]
	s_waitcnt lgkmcnt(0)
	v_fma_f64 v[34:35], v[32:33], v[40:41], v[34:35]
	s_delay_alu instid0(VALU_DEP_1)
	v_add_f64 v[10:11], v[10:11], -v[34:35]
	v_cmpx_lt_u32_e32 3, v0
	s_cbranch_execz .LBB15_112
; %bb.111:
	s_mov_b32 s1, 0
	v_mov_b32_e32 v41, v33
	v_dual_mov_b32 v40, v32 :: v_dual_mov_b32 v39, v31
	v_dual_mov_b32 v38, v30 :: v_dual_mov_b32 v37, v29
	;; [unrolled: 1-line block ×4, first 2 shown]
	v_mov_b32_e32 v32, v24
	v_mov_b32_e32 v31, v23
	;; [unrolled: 1-line block ×22, first 2 shown]
	v_dual_mov_b32 v10, v2 :: v_dual_mov_b32 v17, s1
	v_mov_b32_e32 v16, s1
	ds_store_b64 v1, v[8:9]
	v_mov_b32_e32 v2, v10
	v_dual_mov_b32 v3, v11 :: v_dual_mov_b32 v4, v12
	v_dual_mov_b32 v5, v13 :: v_dual_mov_b32 v6, v14
	;; [unrolled: 1-line block ×4, first 2 shown]
	v_mov_b32_e32 v11, v19
	v_mov_b32_e32 v12, v20
	;; [unrolled: 1-line block ×23, first 2 shown]
.LBB15_112:
	s_or_b32 exec_lo, exec_lo, s0
	s_waitcnt lgkmcnt(0)
	s_barrier
	buffer_gl0_inv
	ds_load_b128 v[34:37], v42 offset:160
	ds_load_b128 v[38:41], v42 offset:176
	s_mov_b32 s0, exec_lo
	s_waitcnt lgkmcnt(1)
	v_fma_f64 v[34:35], v[10:11], v[34:35], 0
	s_delay_alu instid0(VALU_DEP_1) | instskip(SKIP_1) | instid1(VALU_DEP_1)
	v_fma_f64 v[34:35], v[12:13], v[36:37], v[34:35]
	s_waitcnt lgkmcnt(0)
	v_fma_f64 v[34:35], v[14:15], v[38:39], v[34:35]
	s_delay_alu instid0(VALU_DEP_1) | instskip(SKIP_4) | instid1(VALU_DEP_1)
	v_fma_f64 v[43:44], v[16:17], v[40:41], v[34:35]
	ds_load_b128 v[34:37], v42 offset:192
	ds_load_b128 v[38:41], v42 offset:208
	s_waitcnt lgkmcnt(1)
	v_fma_f64 v[34:35], v[18:19], v[34:35], v[43:44]
	v_fma_f64 v[34:35], v[20:21], v[36:37], v[34:35]
	s_waitcnt lgkmcnt(0)
	s_delay_alu instid0(VALU_DEP_1) | instskip(NEXT) | instid1(VALU_DEP_1)
	v_fma_f64 v[34:35], v[22:23], v[38:39], v[34:35]
	v_fma_f64 v[43:44], v[24:25], v[40:41], v[34:35]
	ds_load_b128 v[34:37], v42 offset:224
	ds_load_b128 v[38:41], v42 offset:240
	s_waitcnt lgkmcnt(1)
	v_fma_f64 v[34:35], v[26:27], v[34:35], v[43:44]
	s_delay_alu instid0(VALU_DEP_1) | instskip(SKIP_1) | instid1(VALU_DEP_1)
	v_fma_f64 v[34:35], v[28:29], v[36:37], v[34:35]
	s_waitcnt lgkmcnt(0)
	v_fma_f64 v[34:35], v[30:31], v[38:39], v[34:35]
	s_delay_alu instid0(VALU_DEP_1) | instskip(NEXT) | instid1(VALU_DEP_1)
	v_fma_f64 v[34:35], v[32:33], v[40:41], v[34:35]
	v_add_f64 v[8:9], v[8:9], -v[34:35]
	v_cmpx_lt_u32_e32 2, v0
	s_cbranch_execz .LBB15_114
; %bb.113:
	s_mov_b32 s1, 0
	v_mov_b32_e32 v39, v33
	v_dual_mov_b32 v38, v32 :: v_dual_mov_b32 v37, v31
	v_dual_mov_b32 v36, v30 :: v_dual_mov_b32 v35, v29
	;; [unrolled: 1-line block ×3, first 2 shown]
	v_mov_b32_e32 v32, v26
	v_mov_b32_e32 v31, v25
	;; [unrolled: 1-line block ×24, first 2 shown]
	v_dual_mov_b32 v8, v2 :: v_dual_mov_b32 v13, s1
	v_mov_b32_e32 v12, s1
	ds_store_b64 v1, v[6:7]
	v_mov_b32_e32 v2, v8
	v_dual_mov_b32 v3, v9 :: v_dual_mov_b32 v4, v10
	v_dual_mov_b32 v5, v11 :: v_dual_mov_b32 v6, v12
	;; [unrolled: 1-line block ×3, first 2 shown]
	v_mov_b32_e32 v9, v15
	v_mov_b32_e32 v10, v16
	;; [unrolled: 1-line block ×25, first 2 shown]
.LBB15_114:
	s_or_b32 exec_lo, exec_lo, s0
	v_mov_b32_e32 v38, 0
	s_waitcnt lgkmcnt(0)
	s_barrier
	buffer_gl0_inv
	s_mov_b32 s0, exec_lo
	ds_load_2addr_b64 v[34:37], v38 offset0:19 offset1:20
	ds_load_2addr_b64 v[39:42], v38 offset0:21 offset1:22
	s_waitcnt lgkmcnt(1)
	v_fma_f64 v[34:35], v[8:9], v[34:35], 0
	s_delay_alu instid0(VALU_DEP_1) | instskip(SKIP_1) | instid1(VALU_DEP_1)
	v_fma_f64 v[34:35], v[10:11], v[36:37], v[34:35]
	s_waitcnt lgkmcnt(0)
	v_fma_f64 v[34:35], v[12:13], v[39:40], v[34:35]
	s_delay_alu instid0(VALU_DEP_1) | instskip(SKIP_4) | instid1(VALU_DEP_1)
	v_fma_f64 v[43:44], v[14:15], v[41:42], v[34:35]
	ds_load_2addr_b64 v[34:37], v38 offset0:23 offset1:24
	ds_load_2addr_b64 v[39:42], v38 offset0:25 offset1:26
	s_waitcnt lgkmcnt(1)
	v_fma_f64 v[34:35], v[16:17], v[34:35], v[43:44]
	v_fma_f64 v[34:35], v[18:19], v[36:37], v[34:35]
	s_waitcnt lgkmcnt(0)
	s_delay_alu instid0(VALU_DEP_1) | instskip(NEXT) | instid1(VALU_DEP_1)
	v_fma_f64 v[34:35], v[20:21], v[39:40], v[34:35]
	v_fma_f64 v[43:44], v[22:23], v[41:42], v[34:35]
	ds_load_2addr_b64 v[34:37], v38 offset0:27 offset1:28
	ds_load_2addr_b64 v[39:42], v38 offset0:29 offset1:30
	s_waitcnt lgkmcnt(1)
	v_fma_f64 v[34:35], v[24:25], v[34:35], v[43:44]
	s_delay_alu instid0(VALU_DEP_1) | instskip(SKIP_3) | instid1(VALU_DEP_1)
	v_fma_f64 v[34:35], v[26:27], v[36:37], v[34:35]
	ds_load_b64 v[36:37], v38 offset:248
	s_waitcnt lgkmcnt(1)
	v_fma_f64 v[34:35], v[28:29], v[39:40], v[34:35]
	v_fma_f64 v[34:35], v[30:31], v[41:42], v[34:35]
	s_waitcnt lgkmcnt(0)
	s_delay_alu instid0(VALU_DEP_1) | instskip(NEXT) | instid1(VALU_DEP_1)
	v_fma_f64 v[34:35], v[32:33], v[36:37], v[34:35]
	v_add_f64 v[6:7], v[6:7], -v[34:35]
	v_cmpx_lt_u32_e32 1, v0
	s_cbranch_execz .LBB15_116
; %bb.115:
	s_mov_b32 s1, 0
	v_mov_b32_e32 v37, v33
	v_dual_mov_b32 v36, v32 :: v_dual_mov_b32 v35, v31
	v_dual_mov_b32 v34, v30 :: v_dual_mov_b32 v33, v29
	v_mov_b32_e32 v32, v28
	v_mov_b32_e32 v31, v27
	;; [unrolled: 1-line block ×26, first 2 shown]
	v_dual_mov_b32 v6, v2 :: v_dual_mov_b32 v9, s1
	v_mov_b32_e32 v8, s1
	ds_store_b64 v1, v[4:5]
	v_mov_b32_e32 v2, v6
	v_dual_mov_b32 v3, v7 :: v_dual_mov_b32 v4, v8
	v_dual_mov_b32 v5, v9 :: v_dual_mov_b32 v6, v10
	v_mov_b32_e32 v7, v11
	v_mov_b32_e32 v8, v12
	;; [unrolled: 1-line block ×27, first 2 shown]
.LBB15_116:
	s_or_b32 exec_lo, exec_lo, s0
	s_waitcnt lgkmcnt(0)
	s_barrier
	buffer_gl0_inv
	ds_load_b128 v[34:37], v38 offset:144
	ds_load_b128 v[39:42], v38 offset:160
	s_mov_b32 s1, 0
	s_mov_b32 s0, exec_lo
	s_waitcnt lgkmcnt(1)
	v_fma_f64 v[34:35], v[6:7], v[34:35], 0
	s_delay_alu instid0(VALU_DEP_1) | instskip(SKIP_1) | instid1(VALU_DEP_1)
	v_fma_f64 v[34:35], v[8:9], v[36:37], v[34:35]
	s_waitcnt lgkmcnt(0)
	v_fma_f64 v[34:35], v[10:11], v[39:40], v[34:35]
	s_delay_alu instid0(VALU_DEP_1) | instskip(SKIP_4) | instid1(VALU_DEP_1)
	v_fma_f64 v[43:44], v[12:13], v[41:42], v[34:35]
	ds_load_b128 v[34:37], v38 offset:176
	ds_load_b128 v[39:42], v38 offset:192
	s_waitcnt lgkmcnt(1)
	v_fma_f64 v[34:35], v[14:15], v[34:35], v[43:44]
	v_fma_f64 v[34:35], v[16:17], v[36:37], v[34:35]
	s_waitcnt lgkmcnt(0)
	s_delay_alu instid0(VALU_DEP_1) | instskip(NEXT) | instid1(VALU_DEP_1)
	v_fma_f64 v[34:35], v[18:19], v[39:40], v[34:35]
	v_fma_f64 v[43:44], v[20:21], v[41:42], v[34:35]
	ds_load_b128 v[34:37], v38 offset:208
	ds_load_b128 v[39:42], v38 offset:224
	s_waitcnt lgkmcnt(1)
	v_fma_f64 v[34:35], v[22:23], v[34:35], v[43:44]
	s_delay_alu instid0(VALU_DEP_1) | instskip(SKIP_1) | instid1(VALU_DEP_1)
	v_fma_f64 v[34:35], v[24:25], v[36:37], v[34:35]
	s_waitcnt lgkmcnt(0)
	v_fma_f64 v[34:35], v[26:27], v[39:40], v[34:35]
	s_delay_alu instid0(VALU_DEP_1) | instskip(SKIP_3) | instid1(VALU_DEP_1)
	v_fma_f64 v[39:40], v[28:29], v[41:42], v[34:35]
	ds_load_b128 v[34:37], v38 offset:240
	s_waitcnt lgkmcnt(0)
	v_fma_f64 v[34:35], v[30:31], v[34:35], v[39:40]
	v_fma_f64 v[34:35], v[32:33], v[36:37], v[34:35]
	s_delay_alu instid0(VALU_DEP_1)
	v_add_f64 v[4:5], v[4:5], -v[34:35]
	v_cmpx_ne_u32_e32 0, v0
	s_cbranch_execz .LBB15_118
; %bb.117:
	v_mov_b32_e32 v35, v33
	v_dual_mov_b32 v34, v32 :: v_dual_mov_b32 v33, v31
	v_mov_b32_e32 v32, v30
	v_mov_b32_e32 v31, v29
	;; [unrolled: 1-line block ×28, first 2 shown]
	v_dual_mov_b32 v4, v2 :: v_dual_mov_b32 v5, s1
	v_mov_b32_e32 v4, s1
	ds_store_b64 v1, v[2:3]
	v_mov_b32_e32 v2, v4
	v_dual_mov_b32 v3, v5 :: v_dual_mov_b32 v4, v6
	v_mov_b32_e32 v5, v7
	v_mov_b32_e32 v6, v8
	;; [unrolled: 1-line block ×29, first 2 shown]
.LBB15_118:
	s_or_b32 exec_lo, exec_lo, s0
	v_mov_b32_e32 v42, 0
	s_waitcnt lgkmcnt(0)
	s_barrier
	buffer_gl0_inv
	s_and_b32 vcc_lo, exec_lo, s15
	ds_load_2addr_b64 v[34:37], v42 offset0:17 offset1:18
	ds_load_2addr_b64 v[38:41], v42 offset0:19 offset1:20
	s_waitcnt lgkmcnt(1)
	v_fma_f64 v[0:1], v[4:5], v[34:35], 0
	s_delay_alu instid0(VALU_DEP_1) | instskip(SKIP_1) | instid1(VALU_DEP_1)
	v_fma_f64 v[0:1], v[6:7], v[36:37], v[0:1]
	s_waitcnt lgkmcnt(0)
	v_fma_f64 v[0:1], v[8:9], v[38:39], v[0:1]
	s_delay_alu instid0(VALU_DEP_1) | instskip(SKIP_4) | instid1(VALU_DEP_1)
	v_fma_f64 v[0:1], v[10:11], v[40:41], v[0:1]
	ds_load_2addr_b64 v[34:37], v42 offset0:21 offset1:22
	ds_load_2addr_b64 v[38:41], v42 offset0:23 offset1:24
	s_waitcnt lgkmcnt(1)
	v_fma_f64 v[0:1], v[12:13], v[34:35], v[0:1]
	v_fma_f64 v[0:1], v[14:15], v[36:37], v[0:1]
	s_waitcnt lgkmcnt(0)
	s_delay_alu instid0(VALU_DEP_1) | instskip(NEXT) | instid1(VALU_DEP_1)
	v_fma_f64 v[0:1], v[16:17], v[38:39], v[0:1]
	v_fma_f64 v[0:1], v[18:19], v[40:41], v[0:1]
	ds_load_2addr_b64 v[34:37], v42 offset0:25 offset1:26
	ds_load_2addr_b64 v[38:41], v42 offset0:27 offset1:28
	s_waitcnt lgkmcnt(1)
	v_fma_f64 v[0:1], v[20:21], v[34:35], v[0:1]
	s_delay_alu instid0(VALU_DEP_1) | instskip(SKIP_1) | instid1(VALU_DEP_1)
	v_fma_f64 v[0:1], v[22:23], v[36:37], v[0:1]
	s_waitcnt lgkmcnt(0)
	v_fma_f64 v[0:1], v[24:25], v[38:39], v[0:1]
	ds_load_2addr_b64 v[34:37], v42 offset0:29 offset1:30
	ds_load_b64 v[38:39], v42 offset:248
	v_fma_f64 v[0:1], v[26:27], v[40:41], v[0:1]
	s_waitcnt lgkmcnt(1)
	s_delay_alu instid0(VALU_DEP_1) | instskip(NEXT) | instid1(VALU_DEP_1)
	v_fma_f64 v[0:1], v[28:29], v[34:35], v[0:1]
	v_fma_f64 v[0:1], v[30:31], v[36:37], v[0:1]
	s_waitcnt lgkmcnt(0)
	s_delay_alu instid0(VALU_DEP_1) | instskip(NEXT) | instid1(VALU_DEP_1)
	v_fma_f64 v[0:1], v[32:33], v[38:39], v[0:1]
	v_add_f64 v[2:3], v[2:3], -v[0:1]
	s_cbranch_vccz .LBB15_150
; %bb.119:
	v_dual_mov_b32 v0, s20 :: v_dual_mov_b32 v1, s21
	s_mov_b32 s8, exec_lo
	flat_load_b32 v0, v[0:1] offset:56
	s_waitcnt vmcnt(0) lgkmcnt(0)
	v_add_nc_u32_e32 v0, -1, v0
	s_delay_alu instid0(VALU_DEP_1)
	v_cmpx_ne_u32_e32 14, v0
	s_cbranch_execz .LBB15_121
; %bb.120:
	v_cmp_eq_u32_e32 vcc_lo, 1, v0
	v_cmp_eq_u32_e64 s0, 2, v0
	v_cmp_eq_u32_e64 s1, 3, v0
	;; [unrolled: 1-line block ×4, first 2 shown]
	v_dual_cndmask_b32 v1, v2, v4 :: v_dual_cndmask_b32 v34, v3, v5
	v_cmp_eq_u32_e64 s4, 6, v0
	v_cmp_eq_u32_e64 s5, 7, v0
	;; [unrolled: 1-line block ×3, first 2 shown]
	s_delay_alu instid0(VALU_DEP_4)
	v_cndmask_b32_e64 v1, v1, v6, s0
	v_cndmask_b32_e64 v34, v34, v7, s0
	v_cmp_eq_u32_e64 s7, 8, v0
	v_cndmask_b32_e64 v38, v7, v31, s0
	v_cndmask_b32_e64 v37, v6, v30, s0
	;; [unrolled: 1-line block ×4, first 2 shown]
	v_cndmask_b32_e32 v36, v5, v31, vcc_lo
	v_cndmask_b32_e64 v40, v9, v31, s1
	v_cndmask_b32_e64 v39, v8, v30, s1
	;; [unrolled: 1-line block ×5, first 2 shown]
	v_cmp_eq_u32_e64 s0, 10, v0
	v_cndmask_b32_e64 v41, v10, v30, s2
	v_cndmask_b32_e64 v1, v1, v12, s3
	;; [unrolled: 1-line block ×5, first 2 shown]
	v_cmp_eq_u32_e64 s1, 11, v0
	v_cndmask_b32_e64 v1, v1, v14, s4
	v_cndmask_b32_e64 v35, v34, v15, s4
	;; [unrolled: 1-line block ×3, first 2 shown]
	v_cmp_eq_u32_e64 s2, 12, v0
	v_cmp_eq_u32_e64 s3, 13, v0
	v_cndmask_b32_e64 v1, v1, v16, s5
	v_cndmask_b32_e64 v3, v35, v17, s5
	v_cndmask_b32_e32 v35, v4, v30, vcc_lo
	v_cmp_eq_u32_e32 vcc_lo, 9, v0
	v_cndmask_b32_e64 v46, v15, v31, s4
	v_cndmask_b32_e64 v1, v1, v18, s7
	;; [unrolled: 1-line block ×7, first 2 shown]
	v_dual_cndmask_b32 v3, v3, v21 :: v_dual_cndmask_b32 v52, v21, v31
	v_cndmask_b32_e64 v49, v18, v30, s7
	v_cndmask_b32_e32 v51, v20, v30, vcc_lo
	v_cndmask_b32_e64 v54, v23, v31, s0
	v_cndmask_b32_e64 v53, v22, v30, s0
	;; [unrolled: 1-line block ×8, first 2 shown]
	v_cndmask_b32_e32 v1, v1, v20, vcc_lo
	v_cndmask_b32_e64 v3, v3, v23, s0
	v_cmp_eq_u32_e32 vcc_lo, 14, v0
	s_delay_alu instid0(VALU_DEP_3) | instskip(NEXT) | instid1(VALU_DEP_3)
	v_cndmask_b32_e64 v1, v1, v22, s0
	v_cndmask_b32_e64 v3, v3, v25, s1
	v_cmp_eq_u32_e64 s0, 15, v0
	s_delay_alu instid0(VALU_DEP_3) | instskip(NEXT) | instid1(VALU_DEP_3)
	v_cndmask_b32_e64 v1, v1, v24, s1
	v_cndmask_b32_e64 v3, v3, v27, s2
	s_delay_alu instid0(VALU_DEP_3) | instskip(SKIP_1) | instid1(VALU_DEP_4)
	v_cndmask_b32_e64 v64, v33, v31, s0
	v_cndmask_b32_e64 v63, v32, v30, s0
	;; [unrolled: 1-line block ×3, first 2 shown]
	s_delay_alu instid0(VALU_DEP_4) | instskip(NEXT) | instid1(VALU_DEP_2)
	v_cndmask_b32_e64 v3, v3, v29, s3
	v_cndmask_b32_e64 v1, v1, v28, s3
	s_delay_alu instid0(VALU_DEP_1) | instskip(NEXT) | instid1(VALU_DEP_1)
	v_cndmask_b32_e32 v1, v1, v30, vcc_lo
	v_cndmask_b32_e64 v0, v1, v32, s0
	s_delay_alu instid0(VALU_DEP_1) | instskip(SKIP_1) | instid1(VALU_DEP_1)
	v_cndmask_b32_e32 v61, v0, v30, vcc_lo
	v_cndmask_b32_e32 v3, v3, v31, vcc_lo
	v_cndmask_b32_e64 v1, v3, v33, s0
	v_cndmask_b32_e64 v33, v2, v30, s6
	s_delay_alu instid0(VALU_DEP_2) | instskip(NEXT) | instid1(VALU_DEP_2)
	v_cndmask_b32_e32 v62, v1, v31, vcc_lo
	v_mov_b32_e32 v2, v33
	v_dual_mov_b32 v6, v37 :: v_dual_mov_b32 v3, v34
	v_mov_b32_e32 v10, v41
	v_dual_mov_b32 v4, v35 :: v_dual_mov_b32 v5, v36
	v_dual_mov_b32 v12, v43 :: v_dual_mov_b32 v7, v38
	v_mov_b32_e32 v14, v45
	v_dual_mov_b32 v8, v39 :: v_dual_mov_b32 v9, v40
	v_dual_mov_b32 v16, v47 :: v_dual_mov_b32 v11, v42
	;; [unrolled: 1-line block ×10, first 2 shown]
	v_mov_b32_e32 v29, v60
	v_mov_b32_e32 v31, v62
	;; [unrolled: 1-line block ×3, first 2 shown]
.LBB15_121:
	s_or_b32 exec_lo, exec_lo, s8
	v_dual_mov_b32 v0, s20 :: v_dual_mov_b32 v1, s21
	s_mov_b32 s8, exec_lo
	flat_load_b32 v0, v[0:1] offset:52
	s_waitcnt vmcnt(0) lgkmcnt(0)
	v_add_nc_u32_e32 v0, -1, v0
	s_delay_alu instid0(VALU_DEP_1)
	v_cmpx_ne_u32_e32 13, v0
	s_cbranch_execz .LBB15_123
; %bb.122:
	v_cmp_eq_u32_e32 vcc_lo, 1, v0
	v_cmp_eq_u32_e64 s0, 2, v0
	v_cmp_eq_u32_e64 s1, 3, v0
	;; [unrolled: 1-line block ×4, first 2 shown]
	v_dual_cndmask_b32 v1, v2, v4 :: v_dual_cndmask_b32 v34, v3, v5
	v_cmp_eq_u32_e64 s4, 6, v0
	v_cmp_eq_u32_e64 s5, 7, v0
	;; [unrolled: 1-line block ×3, first 2 shown]
	s_delay_alu instid0(VALU_DEP_4)
	v_cndmask_b32_e64 v1, v1, v6, s0
	v_cndmask_b32_e64 v34, v34, v7, s0
	v_cmp_eq_u32_e64 s7, 8, v0
	v_cndmask_b32_e64 v38, v7, v29, s0
	v_cndmask_b32_e64 v37, v6, v28, s0
	;; [unrolled: 1-line block ×4, first 2 shown]
	v_cndmask_b32_e32 v36, v5, v29, vcc_lo
	v_cndmask_b32_e64 v40, v9, v29, s1
	v_cndmask_b32_e64 v39, v8, v28, s1
	;; [unrolled: 1-line block ×5, first 2 shown]
	v_cmp_eq_u32_e64 s0, 10, v0
	v_cndmask_b32_e64 v41, v10, v28, s2
	v_cndmask_b32_e64 v1, v1, v12, s3
	;; [unrolled: 1-line block ×3, first 2 shown]
	v_cmp_eq_u32_e64 s1, 11, v0
	v_cmp_eq_u32_e64 s2, 12, v0
	v_cndmask_b32_e64 v44, v13, v29, s3
	v_cndmask_b32_e64 v1, v1, v14, s4
	;; [unrolled: 1-line block ×8, first 2 shown]
	v_cndmask_b32_e32 v35, v4, v28, vcc_lo
	v_cmp_eq_u32_e32 vcc_lo, 9, v0
	v_cndmask_b32_e64 v45, v14, v28, s4
	v_cndmask_b32_e64 v1, v1, v18, s7
	;; [unrolled: 1-line block ×6, first 2 shown]
	v_cndmask_b32_e32 v1, v1, v20, vcc_lo
	v_cndmask_b32_e64 v49, v18, v28, s7
	v_dual_cndmask_b32 v52, v21, v29 :: v_dual_cndmask_b32 v51, v20, v28
	v_cndmask_b32_e64 v54, v23, v29, s0
	v_cndmask_b32_e64 v53, v22, v28, s0
	;; [unrolled: 1-line block ×6, first 2 shown]
	v_cndmask_b32_e32 v3, v3, v21, vcc_lo
	v_cmp_eq_u32_e32 vcc_lo, 14, v0
	v_cmp_eq_u32_e64 s3, 13, v0
	s_delay_alu instid0(VALU_DEP_3)
	v_cndmask_b32_e64 v3, v3, v23, s0
	v_cndmask_b32_e32 v62, v31, v29, vcc_lo
	v_cndmask_b32_e64 v1, v1, v22, s0
	v_cmp_eq_u32_e64 s0, 15, v0
	v_cndmask_b32_e32 v61, v30, v28, vcc_lo
	v_cndmask_b32_e64 v3, v3, v25, s1
	s_delay_alu instid0(VALU_DEP_4) | instskip(NEXT) | instid1(VALU_DEP_4)
	v_cndmask_b32_e64 v1, v1, v24, s1
	v_cndmask_b32_e64 v64, v33, v29, s0
	;; [unrolled: 1-line block ×3, first 2 shown]
	s_delay_alu instid0(VALU_DEP_4) | instskip(NEXT) | instid1(VALU_DEP_4)
	v_cndmask_b32_e64 v3, v3, v27, s2
	v_cndmask_b32_e64 v1, v1, v26, s2
	s_delay_alu instid0(VALU_DEP_2) | instskip(NEXT) | instid1(VALU_DEP_2)
	v_cndmask_b32_e64 v3, v3, v29, s3
	v_cndmask_b32_e64 v1, v1, v28, s3
	s_delay_alu instid0(VALU_DEP_1) | instskip(NEXT) | instid1(VALU_DEP_1)
	v_cndmask_b32_e32 v1, v1, v30, vcc_lo
	v_cndmask_b32_e64 v0, v1, v32, s0
	s_delay_alu instid0(VALU_DEP_1) | instskip(SKIP_1) | instid1(VALU_DEP_1)
	v_cndmask_b32_e64 v59, v0, v28, s3
	v_cndmask_b32_e32 v3, v3, v31, vcc_lo
	v_cndmask_b32_e64 v1, v3, v33, s0
	v_cndmask_b32_e64 v33, v2, v28, s6
	s_delay_alu instid0(VALU_DEP_2) | instskip(NEXT) | instid1(VALU_DEP_2)
	v_cndmask_b32_e64 v60, v1, v29, s3
	v_mov_b32_e32 v2, v33
	v_dual_mov_b32 v10, v41 :: v_dual_mov_b32 v3, v34
	v_mov_b32_e32 v8, v39
	v_dual_mov_b32 v4, v35 :: v_dual_mov_b32 v5, v36
	;; [unrolled: 2-line block ×3, first 2 shown]
	v_dual_mov_b32 v14, v45 :: v_dual_mov_b32 v9, v40
	v_dual_mov_b32 v16, v47 :: v_dual_mov_b32 v11, v42
	;; [unrolled: 1-line block ×10, first 2 shown]
	v_mov_b32_e32 v29, v60
	v_mov_b32_e32 v31, v62
	v_mov_b32_e32 v33, v64
.LBB15_123:
	s_or_b32 exec_lo, exec_lo, s8
	v_dual_mov_b32 v0, s20 :: v_dual_mov_b32 v1, s21
	s_mov_b32 s8, exec_lo
	flat_load_b32 v0, v[0:1] offset:48
	s_waitcnt vmcnt(0) lgkmcnt(0)
	v_add_nc_u32_e32 v0, -1, v0
	s_delay_alu instid0(VALU_DEP_1)
	v_cmpx_ne_u32_e32 12, v0
	s_cbranch_execz .LBB15_125
; %bb.124:
	v_cmp_eq_u32_e32 vcc_lo, 1, v0
	v_cmp_eq_u32_e64 s0, 2, v0
	v_cmp_eq_u32_e64 s1, 3, v0
	;; [unrolled: 1-line block ×4, first 2 shown]
	v_dual_cndmask_b32 v1, v2, v4 :: v_dual_cndmask_b32 v34, v3, v5
	v_cmp_eq_u32_e64 s4, 6, v0
	v_cmp_eq_u32_e64 s5, 7, v0
	;; [unrolled: 1-line block ×3, first 2 shown]
	s_delay_alu instid0(VALU_DEP_4)
	v_cndmask_b32_e64 v1, v1, v6, s0
	v_cndmask_b32_e64 v34, v34, v7, s0
	v_cmp_eq_u32_e64 s7, 8, v0
	v_cndmask_b32_e32 v36, v5, v27, vcc_lo
	v_cndmask_b32_e64 v38, v7, v27, s0
	v_cndmask_b32_e64 v1, v1, v8, s1
	v_cndmask_b32_e64 v34, v34, v9, s1
	v_cndmask_b32_e64 v37, v6, v26, s0
	v_cmp_eq_u32_e64 s0, 10, v0
	v_cndmask_b32_e64 v40, v9, v27, s1
	v_cndmask_b32_e64 v1, v1, v10, s2
	v_cndmask_b32_e64 v34, v34, v11, s2
	v_cndmask_b32_e64 v39, v8, v26, s1
	v_cmp_eq_u32_e64 s1, 11, v0
	;; [unrolled: 5-line block ×3, first 2 shown]
	v_cndmask_b32_e64 v44, v13, v27, s3
	v_cndmask_b32_e64 v1, v1, v14, s4
	;; [unrolled: 1-line block ×5, first 2 shown]
	v_cmp_eq_u32_e64 s3, 13, v0
	v_cndmask_b32_e64 v1, v1, v16, s5
	v_cndmask_b32_e64 v3, v35, v17, s5
	v_cndmask_b32_e32 v35, v4, v26, vcc_lo
	v_cmp_eq_u32_e32 vcc_lo, 9, v0
	v_cndmask_b32_e64 v54, v23, v27, s0
	v_cndmask_b32_e64 v1, v1, v18, s7
	;; [unrolled: 1-line block ×4, first 2 shown]
	v_cndmask_b32_e32 v51, v20, v26, vcc_lo
	v_cndmask_b32_e64 v46, v15, v27, s4
	v_cndmask_b32_e32 v1, v1, v20, vcc_lo
	v_dual_cndmask_b32 v3, v3, v21 :: v_dual_cndmask_b32 v52, v21, v27
	v_cmp_eq_u32_e32 vcc_lo, 14, v0
	v_cndmask_b32_e64 v45, v14, v26, s4
	v_cndmask_b32_e64 v48, v17, v27, s5
	s_delay_alu instid0(VALU_DEP_4)
	v_cndmask_b32_e64 v3, v3, v23, s0
	v_cndmask_b32_e64 v47, v16, v26, s5
	v_cndmask_b32_e32 v62, v31, v27, vcc_lo
	v_cndmask_b32_e64 v1, v1, v22, s0
	v_cmp_eq_u32_e64 s0, 15, v0
	v_cndmask_b32_e64 v3, v3, v25, s1
	v_cndmask_b32_e64 v50, v19, v27, s7
	;; [unrolled: 1-line block ×10, first 2 shown]
	v_cndmask_b32_e32 v61, v30, v26, vcc_lo
	v_cndmask_b32_e64 v64, v33, v27, s0
	v_cndmask_b32_e64 v63, v32, v26, s0
	;; [unrolled: 1-line block ×4, first 2 shown]
	s_delay_alu instid0(VALU_DEP_2) | instskip(NEXT) | instid1(VALU_DEP_1)
	v_cndmask_b32_e32 v1, v1, v30, vcc_lo
	v_cndmask_b32_e64 v0, v1, v32, s0
	s_delay_alu instid0(VALU_DEP_1) | instskip(NEXT) | instid1(VALU_DEP_4)
	v_cndmask_b32_e64 v57, v0, v26, s2
	v_cndmask_b32_e32 v3, v3, v31, vcc_lo
	s_delay_alu instid0(VALU_DEP_1) | instskip(SKIP_1) | instid1(VALU_DEP_2)
	v_cndmask_b32_e64 v1, v3, v33, s0
	v_cndmask_b32_e64 v33, v2, v26, s6
	;; [unrolled: 1-line block ×3, first 2 shown]
	s_delay_alu instid0(VALU_DEP_2)
	v_mov_b32_e32 v2, v33
	v_dual_mov_b32 v6, v37 :: v_dual_mov_b32 v3, v34
	v_mov_b32_e32 v8, v39
	v_dual_mov_b32 v4, v35 :: v_dual_mov_b32 v5, v36
	v_dual_mov_b32 v10, v41 :: v_dual_mov_b32 v7, v38
	;; [unrolled: 1-line block ×13, first 2 shown]
	v_mov_b32_e32 v31, v62
	v_mov_b32_e32 v33, v64
.LBB15_125:
	s_or_b32 exec_lo, exec_lo, s8
	v_dual_mov_b32 v0, s20 :: v_dual_mov_b32 v1, s21
	s_mov_b32 s8, exec_lo
	flat_load_b32 v0, v[0:1] offset:44
	s_waitcnt vmcnt(0) lgkmcnt(0)
	v_add_nc_u32_e32 v0, -1, v0
	s_delay_alu instid0(VALU_DEP_1)
	v_cmpx_ne_u32_e32 11, v0
	s_cbranch_execz .LBB15_127
; %bb.126:
	v_cmp_eq_u32_e32 vcc_lo, 1, v0
	v_cmp_eq_u32_e64 s0, 2, v0
	v_cmp_eq_u32_e64 s1, 3, v0
	;; [unrolled: 1-line block ×4, first 2 shown]
	v_dual_cndmask_b32 v1, v2, v4 :: v_dual_cndmask_b32 v34, v3, v5
	v_cmp_eq_u32_e64 s4, 6, v0
	v_cmp_eq_u32_e64 s5, 7, v0
	;; [unrolled: 1-line block ×3, first 2 shown]
	s_delay_alu instid0(VALU_DEP_4)
	v_cndmask_b32_e64 v1, v1, v6, s0
	v_cndmask_b32_e64 v34, v34, v7, s0
	v_cmp_eq_u32_e64 s7, 8, v0
	v_cndmask_b32_e64 v38, v7, v25, s0
	v_cndmask_b32_e64 v37, v6, v24, s0
	;; [unrolled: 1-line block ×4, first 2 shown]
	v_cndmask_b32_e32 v36, v5, v25, vcc_lo
	v_cndmask_b32_e64 v42, v11, v25, s2
	v_cmp_eq_u32_e64 s0, 10, v0
	v_cndmask_b32_e64 v1, v1, v10, s2
	v_cndmask_b32_e64 v34, v34, v11, s2
	;; [unrolled: 1-line block ×7, first 2 shown]
	v_cmp_eq_u32_e64 s2, 12, v0
	v_cmp_eq_u32_e64 s3, 13, v0
	v_cndmask_b32_e64 v40, v9, v25, s1
	v_cndmask_b32_e64 v1, v1, v14, s4
	;; [unrolled: 1-line block ×8, first 2 shown]
	v_cndmask_b32_e32 v35, v4, v24, vcc_lo
	v_cmp_eq_u32_e32 vcc_lo, 9, v0
	v_cndmask_b32_e64 v45, v14, v24, s4
	v_cndmask_b32_e64 v1, v1, v18, s7
	;; [unrolled: 1-line block ×6, first 2 shown]
	v_cndmask_b32_e32 v1, v1, v20, vcc_lo
	v_cndmask_b32_e64 v49, v18, v24, s7
	v_dual_cndmask_b32 v52, v21, v25 :: v_dual_cndmask_b32 v51, v20, v24
	v_cndmask_b32_e64 v54, v23, v25, s0
	v_cndmask_b32_e64 v53, v22, v24, s0
	;; [unrolled: 1-line block ×6, first 2 shown]
	v_cndmask_b32_e32 v3, v3, v21, vcc_lo
	v_cmp_eq_u32_e32 vcc_lo, 14, v0
	v_cmp_eq_u32_e64 s1, 11, v0
	s_delay_alu instid0(VALU_DEP_3)
	v_cndmask_b32_e64 v3, v3, v23, s0
	v_cndmask_b32_e32 v62, v31, v25, vcc_lo
	v_cndmask_b32_e64 v1, v1, v22, s0
	v_cmp_eq_u32_e64 s0, 15, v0
	v_cndmask_b32_e32 v61, v30, v24, vcc_lo
	v_cndmask_b32_e64 v3, v3, v25, s1
	s_delay_alu instid0(VALU_DEP_4) | instskip(NEXT) | instid1(VALU_DEP_4)
	v_cndmask_b32_e64 v1, v1, v24, s1
	v_cndmask_b32_e64 v64, v33, v25, s0
	;; [unrolled: 1-line block ×3, first 2 shown]
	s_delay_alu instid0(VALU_DEP_4) | instskip(NEXT) | instid1(VALU_DEP_4)
	v_cndmask_b32_e64 v3, v3, v27, s2
	v_cndmask_b32_e64 v1, v1, v26, s2
	s_delay_alu instid0(VALU_DEP_2) | instskip(NEXT) | instid1(VALU_DEP_2)
	v_cndmask_b32_e64 v3, v3, v29, s3
	v_cndmask_b32_e64 v1, v1, v28, s3
	s_delay_alu instid0(VALU_DEP_1) | instskip(NEXT) | instid1(VALU_DEP_1)
	v_cndmask_b32_e32 v1, v1, v30, vcc_lo
	v_cndmask_b32_e64 v0, v1, v32, s0
	s_delay_alu instid0(VALU_DEP_1) | instskip(SKIP_1) | instid1(VALU_DEP_1)
	v_cndmask_b32_e64 v55, v0, v24, s1
	v_cndmask_b32_e32 v3, v3, v31, vcc_lo
	v_cndmask_b32_e64 v1, v3, v33, s0
	v_cndmask_b32_e64 v33, v2, v24, s6
	s_delay_alu instid0(VALU_DEP_2) | instskip(NEXT) | instid1(VALU_DEP_2)
	v_cndmask_b32_e64 v56, v1, v25, s1
	v_mov_b32_e32 v2, v33
	v_dual_mov_b32 v10, v41 :: v_dual_mov_b32 v3, v34
	v_mov_b32_e32 v8, v39
	v_dual_mov_b32 v4, v35 :: v_dual_mov_b32 v5, v36
	v_mov_b32_e32 v12, v43
	v_dual_mov_b32 v6, v37 :: v_dual_mov_b32 v7, v38
	v_dual_mov_b32 v14, v45 :: v_dual_mov_b32 v9, v40
	v_dual_mov_b32 v16, v47 :: v_dual_mov_b32 v11, v42
	;; [unrolled: 1-line block ×10, first 2 shown]
	v_mov_b32_e32 v29, v60
	v_mov_b32_e32 v31, v62
	;; [unrolled: 1-line block ×3, first 2 shown]
.LBB15_127:
	s_or_b32 exec_lo, exec_lo, s8
	v_dual_mov_b32 v0, s20 :: v_dual_mov_b32 v1, s21
	s_mov_b32 s8, exec_lo
	flat_load_b32 v0, v[0:1] offset:40
	s_waitcnt vmcnt(0) lgkmcnt(0)
	v_add_nc_u32_e32 v0, -1, v0
	s_delay_alu instid0(VALU_DEP_1)
	v_cmpx_ne_u32_e32 10, v0
	s_cbranch_execz .LBB15_129
; %bb.128:
	v_cmp_eq_u32_e32 vcc_lo, 1, v0
	v_cmp_eq_u32_e64 s0, 2, v0
	v_cmp_eq_u32_e64 s1, 3, v0
	;; [unrolled: 1-line block ×4, first 2 shown]
	v_dual_cndmask_b32 v1, v2, v4 :: v_dual_cndmask_b32 v34, v3, v5
	v_cmp_eq_u32_e64 s4, 6, v0
	v_cmp_eq_u32_e64 s5, 7, v0
	;; [unrolled: 1-line block ×3, first 2 shown]
	s_delay_alu instid0(VALU_DEP_4)
	v_cndmask_b32_e64 v1, v1, v6, s0
	v_cndmask_b32_e64 v34, v34, v7, s0
	v_cmp_eq_u32_e64 s7, 8, v0
	v_cndmask_b32_e32 v36, v5, v23, vcc_lo
	v_cndmask_b32_e64 v38, v7, v23, s0
	v_cndmask_b32_e64 v1, v1, v8, s1
	v_cndmask_b32_e64 v34, v34, v9, s1
	v_cndmask_b32_e64 v37, v6, v22, s0
	v_cmp_eq_u32_e64 s0, 10, v0
	v_cndmask_b32_e64 v40, v9, v23, s1
	v_cndmask_b32_e64 v1, v1, v10, s2
	v_cndmask_b32_e64 v34, v34, v11, s2
	v_cndmask_b32_e64 v39, v8, v22, s1
	v_cmp_eq_u32_e64 s1, 11, v0
	;; [unrolled: 5-line block ×3, first 2 shown]
	v_cndmask_b32_e64 v44, v13, v23, s3
	v_cndmask_b32_e64 v1, v1, v14, s4
	;; [unrolled: 1-line block ×5, first 2 shown]
	v_cmp_eq_u32_e64 s3, 13, v0
	v_cndmask_b32_e64 v1, v1, v16, s5
	v_cndmask_b32_e64 v3, v35, v17, s5
	v_cndmask_b32_e32 v35, v4, v22, vcc_lo
	v_cmp_eq_u32_e32 vcc_lo, 9, v0
	v_cndmask_b32_e64 v56, v25, v23, s1
	v_cndmask_b32_e64 v1, v1, v18, s7
	;; [unrolled: 1-line block ×4, first 2 shown]
	v_cndmask_b32_e32 v51, v20, v22, vcc_lo
	v_cndmask_b32_e64 v46, v15, v23, s4
	v_cndmask_b32_e32 v1, v1, v20, vcc_lo
	v_dual_cndmask_b32 v3, v3, v21 :: v_dual_cndmask_b32 v52, v21, v23
	v_cmp_eq_u32_e32 vcc_lo, 14, v0
	v_cndmask_b32_e64 v45, v14, v22, s4
	v_cndmask_b32_e64 v48, v17, v23, s5
	s_delay_alu instid0(VALU_DEP_4)
	v_cndmask_b32_e64 v3, v3, v23, s0
	v_cndmask_b32_e64 v47, v16, v22, s5
	v_cndmask_b32_e32 v62, v31, v23, vcc_lo
	v_cndmask_b32_e64 v1, v1, v22, s0
	v_cndmask_b32_e64 v50, v19, v23, s7
	;; [unrolled: 1-line block ×6, first 2 shown]
	v_cmp_eq_u32_e64 s1, 15, v0
	v_cndmask_b32_e64 v3, v3, v27, s2
	v_cndmask_b32_e64 v57, v26, v22, s2
	;; [unrolled: 1-line block ×5, first 2 shown]
	v_cndmask_b32_e32 v61, v30, v22, vcc_lo
	v_cndmask_b32_e64 v64, v33, v23, s1
	v_cndmask_b32_e64 v63, v32, v22, s1
	;; [unrolled: 1-line block ×4, first 2 shown]
	s_delay_alu instid0(VALU_DEP_2) | instskip(NEXT) | instid1(VALU_DEP_1)
	v_cndmask_b32_e32 v1, v1, v30, vcc_lo
	v_cndmask_b32_e64 v0, v1, v32, s1
	s_delay_alu instid0(VALU_DEP_1) | instskip(NEXT) | instid1(VALU_DEP_4)
	v_cndmask_b32_e64 v53, v0, v22, s0
	v_cndmask_b32_e32 v3, v3, v31, vcc_lo
	s_delay_alu instid0(VALU_DEP_1) | instskip(SKIP_1) | instid1(VALU_DEP_2)
	v_cndmask_b32_e64 v1, v3, v33, s1
	v_cndmask_b32_e64 v33, v2, v22, s6
	;; [unrolled: 1-line block ×3, first 2 shown]
	s_delay_alu instid0(VALU_DEP_2)
	v_mov_b32_e32 v2, v33
	v_dual_mov_b32 v6, v37 :: v_dual_mov_b32 v3, v34
	v_mov_b32_e32 v8, v39
	v_dual_mov_b32 v4, v35 :: v_dual_mov_b32 v5, v36
	v_dual_mov_b32 v10, v41 :: v_dual_mov_b32 v7, v38
	;; [unrolled: 1-line block ×13, first 2 shown]
	v_mov_b32_e32 v31, v62
	v_mov_b32_e32 v33, v64
.LBB15_129:
	s_or_b32 exec_lo, exec_lo, s8
	v_dual_mov_b32 v0, s20 :: v_dual_mov_b32 v1, s21
	s_mov_b32 s8, exec_lo
	flat_load_b32 v0, v[0:1] offset:36
	s_waitcnt vmcnt(0) lgkmcnt(0)
	v_add_nc_u32_e32 v0, -1, v0
	s_delay_alu instid0(VALU_DEP_1)
	v_cmpx_ne_u32_e32 9, v0
	s_cbranch_execz .LBB15_131
; %bb.130:
	v_cmp_eq_u32_e32 vcc_lo, 1, v0
	v_cmp_eq_u32_e64 s0, 2, v0
	v_cmp_eq_u32_e64 s1, 3, v0
	;; [unrolled: 1-line block ×4, first 2 shown]
	v_dual_cndmask_b32 v1, v2, v4 :: v_dual_cndmask_b32 v34, v3, v5
	v_cmp_eq_u32_e64 s4, 6, v0
	v_cmp_eq_u32_e64 s5, 7, v0
	;; [unrolled: 1-line block ×3, first 2 shown]
	s_delay_alu instid0(VALU_DEP_4)
	v_cndmask_b32_e64 v1, v1, v6, s0
	v_cndmask_b32_e64 v34, v34, v7, s0
	v_cmp_eq_u32_e64 s7, 8, v0
	v_cndmask_b32_e64 v38, v7, v21, s0
	v_cndmask_b32_e64 v37, v6, v20, s0
	;; [unrolled: 1-line block ×4, first 2 shown]
	v_cndmask_b32_e32 v36, v5, v21, vcc_lo
	v_cndmask_b32_e64 v40, v9, v21, s1
	v_cndmask_b32_e64 v39, v8, v20, s1
	;; [unrolled: 1-line block ×5, first 2 shown]
	v_cmp_eq_u32_e64 s0, 10, v0
	v_cndmask_b32_e64 v41, v10, v20, s2
	v_cndmask_b32_e64 v1, v1, v12, s3
	;; [unrolled: 1-line block ×5, first 2 shown]
	v_cmp_eq_u32_e64 s1, 11, v0
	v_cndmask_b32_e64 v1, v1, v14, s4
	v_cndmask_b32_e64 v35, v34, v15, s4
	;; [unrolled: 1-line block ×3, first 2 shown]
	v_cmp_eq_u32_e64 s2, 12, v0
	v_cmp_eq_u32_e64 s3, 13, v0
	v_cndmask_b32_e64 v1, v1, v16, s5
	v_cndmask_b32_e64 v3, v35, v17, s5
	v_cndmask_b32_e32 v35, v4, v20, vcc_lo
	v_cmp_eq_u32_e32 vcc_lo, 9, v0
	v_cndmask_b32_e64 v46, v15, v21, s4
	v_cndmask_b32_e64 v1, v1, v18, s7
	;; [unrolled: 1-line block ×16, first 2 shown]
	v_cndmask_b32_e32 v1, v1, v20, vcc_lo
	v_cndmask_b32_e32 v3, v3, v21, vcc_lo
	s_delay_alu instid0(VALU_DEP_2) | instskip(NEXT) | instid1(VALU_DEP_2)
	v_cndmask_b32_e64 v1, v1, v22, s0
	v_cndmask_b32_e64 v3, v3, v23, s0
	v_cmp_eq_u32_e64 s0, 14, v0
	s_delay_alu instid0(VALU_DEP_3) | instskip(NEXT) | instid1(VALU_DEP_3)
	v_cndmask_b32_e64 v1, v1, v24, s1
	v_cndmask_b32_e64 v3, v3, v25, s1
	v_cmp_eq_u32_e64 s1, 15, v0
	s_delay_alu instid0(VALU_DEP_4)
	v_cndmask_b32_e64 v62, v31, v21, s0
	v_cndmask_b32_e64 v61, v30, v20, s0
	;; [unrolled: 1-line block ×6, first 2 shown]
	s_delay_alu instid0(VALU_DEP_4) | instskip(NEXT) | instid1(VALU_DEP_4)
	v_cndmask_b32_e64 v1, v1, v28, s3
	v_cndmask_b32_e64 v3, v3, v29, s3
	s_delay_alu instid0(VALU_DEP_2) | instskip(NEXT) | instid1(VALU_DEP_2)
	v_cndmask_b32_e64 v1, v1, v30, s0
	v_cndmask_b32_e64 v3, v3, v31, s0
	s_delay_alu instid0(VALU_DEP_2) | instskip(NEXT) | instid1(VALU_DEP_2)
	v_cndmask_b32_e64 v0, v1, v32, s1
	v_cndmask_b32_e64 v1, v3, v33, s1
	;; [unrolled: 1-line block ×3, first 2 shown]
	s_delay_alu instid0(VALU_DEP_2) | instskip(NEXT) | instid1(VALU_DEP_2)
	v_dual_cndmask_b32 v51, v0, v20 :: v_dual_cndmask_b32 v52, v1, v21
	v_mov_b32_e32 v2, v33
	v_dual_mov_b32 v3, v34 :: v_dual_mov_b32 v8, v39
	v_dual_mov_b32 v4, v35 :: v_dual_mov_b32 v5, v36
	v_mov_b32_e32 v10, v41
	v_dual_mov_b32 v6, v37 :: v_dual_mov_b32 v7, v38
	v_dual_mov_b32 v12, v43 :: v_dual_mov_b32 v9, v40
	v_dual_mov_b32 v14, v45 :: v_dual_mov_b32 v11, v42
	v_dual_mov_b32 v16, v47 :: v_dual_mov_b32 v13, v44
	v_dual_mov_b32 v18, v49 :: v_dual_mov_b32 v15, v46
	v_dual_mov_b32 v20, v51 :: v_dual_mov_b32 v17, v48
	v_dual_mov_b32 v22, v53 :: v_dual_mov_b32 v19, v50
	v_dual_mov_b32 v24, v55 :: v_dual_mov_b32 v21, v52
	v_dual_mov_b32 v26, v57 :: v_dual_mov_b32 v23, v54
	v_dual_mov_b32 v28, v59 :: v_dual_mov_b32 v25, v56
	v_dual_mov_b32 v30, v61 :: v_dual_mov_b32 v27, v58
	v_dual_mov_b32 v32, v63 :: v_dual_mov_b32 v29, v60
	v_mov_b32_e32 v31, v62
	v_mov_b32_e32 v33, v64
.LBB15_131:
	s_or_b32 exec_lo, exec_lo, s8
	v_dual_mov_b32 v0, s20 :: v_dual_mov_b32 v1, s21
	s_mov_b32 s8, exec_lo
	flat_load_b32 v0, v[0:1] offset:32
	s_waitcnt vmcnt(0) lgkmcnt(0)
	v_add_nc_u32_e32 v0, -1, v0
	s_delay_alu instid0(VALU_DEP_1)
	v_cmpx_ne_u32_e32 8, v0
	s_cbranch_execz .LBB15_133
; %bb.132:
	v_cmp_eq_u32_e32 vcc_lo, 1, v0
	v_cmp_eq_u32_e64 s0, 2, v0
	v_cmp_eq_u32_e64 s1, 3, v0
	;; [unrolled: 1-line block ×4, first 2 shown]
	v_dual_cndmask_b32 v1, v2, v4 :: v_dual_cndmask_b32 v34, v3, v5
	v_cmp_eq_u32_e64 s4, 6, v0
	v_cmp_eq_u32_e64 s5, 7, v0
	;; [unrolled: 1-line block ×3, first 2 shown]
	s_delay_alu instid0(VALU_DEP_4)
	v_cndmask_b32_e64 v1, v1, v6, s0
	v_cndmask_b32_e64 v34, v34, v7, s0
	v_cmp_eq_u32_e64 s7, 8, v0
	v_cndmask_b32_e64 v38, v7, v19, s0
	v_cndmask_b32_e64 v37, v6, v18, s0
	;; [unrolled: 1-line block ×4, first 2 shown]
	v_cndmask_b32_e32 v36, v5, v19, vcc_lo
	v_cndmask_b32_e64 v40, v9, v19, s1
	v_cndmask_b32_e64 v39, v8, v18, s1
	;; [unrolled: 1-line block ×5, first 2 shown]
	v_cmp_eq_u32_e64 s0, 10, v0
	v_cndmask_b32_e64 v41, v10, v18, s2
	v_cndmask_b32_e64 v1, v1, v12, s3
	;; [unrolled: 1-line block ×3, first 2 shown]
	v_cmp_eq_u32_e64 s1, 11, v0
	v_cmp_eq_u32_e64 s2, 12, v0
	v_cndmask_b32_e64 v44, v13, v19, s3
	v_cndmask_b32_e64 v1, v1, v14, s4
	;; [unrolled: 1-line block ×8, first 2 shown]
	v_cndmask_b32_e32 v35, v4, v18, vcc_lo
	v_cmp_eq_u32_e32 vcc_lo, 9, v0
	v_cndmask_b32_e64 v45, v14, v18, s4
	v_cndmask_b32_e64 v1, v1, v18, s7
	;; [unrolled: 1-line block ×5, first 2 shown]
	v_dual_cndmask_b32 v51, v20, v18 :: v_dual_cndmask_b32 v52, v21, v19
	s_delay_alu instid0(VALU_DEP_4)
	v_cndmask_b32_e32 v3, v3, v21, vcc_lo
	v_cndmask_b32_e64 v54, v23, v19, s0
	v_cndmask_b32_e64 v53, v22, v18, s0
	;; [unrolled: 1-line block ×6, first 2 shown]
	v_cndmask_b32_e32 v1, v1, v20, vcc_lo
	v_cndmask_b32_e64 v3, v3, v23, s0
	v_cmp_eq_u32_e32 vcc_lo, 13, v0
	s_delay_alu instid0(VALU_DEP_3) | instskip(NEXT) | instid1(VALU_DEP_3)
	v_cndmask_b32_e64 v1, v1, v22, s0
	v_cndmask_b32_e64 v3, v3, v25, s1
	v_cmp_eq_u32_e64 s0, 14, v0
	v_dual_cndmask_b32 v60, v29, v19 :: v_dual_cndmask_b32 v59, v28, v18
	s_delay_alu instid0(VALU_DEP_4) | instskip(SKIP_1) | instid1(VALU_DEP_4)
	v_cndmask_b32_e64 v1, v1, v24, s1
	v_cmp_eq_u32_e64 s1, 15, v0
	v_cndmask_b32_e64 v62, v31, v19, s0
	v_cndmask_b32_e64 v61, v30, v18, s0
	;; [unrolled: 1-line block ×6, first 2 shown]
	s_delay_alu instid0(VALU_DEP_3) | instskip(NEXT) | instid1(VALU_DEP_1)
	v_cndmask_b32_e32 v1, v1, v28, vcc_lo
	v_cndmask_b32_e64 v1, v1, v30, s0
	s_delay_alu instid0(VALU_DEP_1) | instskip(NEXT) | instid1(VALU_DEP_1)
	v_cndmask_b32_e64 v0, v1, v32, s1
	v_cndmask_b32_e64 v49, v0, v18, s7
	v_cndmask_b32_e32 v3, v3, v29, vcc_lo
	s_delay_alu instid0(VALU_DEP_1) | instskip(NEXT) | instid1(VALU_DEP_1)
	v_cndmask_b32_e64 v3, v3, v31, s0
	v_cndmask_b32_e64 v1, v3, v33, s1
	;; [unrolled: 1-line block ×3, first 2 shown]
	s_delay_alu instid0(VALU_DEP_2) | instskip(NEXT) | instid1(VALU_DEP_2)
	v_cndmask_b32_e64 v50, v1, v19, s7
	v_mov_b32_e32 v2, v33
	v_dual_mov_b32 v6, v37 :: v_dual_mov_b32 v3, v34
	v_mov_b32_e32 v10, v41
	v_dual_mov_b32 v4, v35 :: v_dual_mov_b32 v5, v36
	v_dual_mov_b32 v12, v43 :: v_dual_mov_b32 v7, v38
	v_mov_b32_e32 v14, v45
	v_dual_mov_b32 v8, v39 :: v_dual_mov_b32 v9, v40
	v_dual_mov_b32 v16, v47 :: v_dual_mov_b32 v11, v42
	;; [unrolled: 1-line block ×10, first 2 shown]
	v_mov_b32_e32 v29, v60
	v_mov_b32_e32 v31, v62
	;; [unrolled: 1-line block ×3, first 2 shown]
.LBB15_133:
	s_or_b32 exec_lo, exec_lo, s8
	v_dual_mov_b32 v0, s20 :: v_dual_mov_b32 v1, s21
	s_mov_b32 s8, exec_lo
	flat_load_b32 v0, v[0:1] offset:28
	s_waitcnt vmcnt(0) lgkmcnt(0)
	v_add_nc_u32_e32 v0, -1, v0
	s_delay_alu instid0(VALU_DEP_1)
	v_cmpx_ne_u32_e32 7, v0
	s_cbranch_execz .LBB15_135
; %bb.134:
	v_cmp_eq_u32_e32 vcc_lo, 1, v0
	v_cmp_eq_u32_e64 s0, 2, v0
	v_cmp_eq_u32_e64 s1, 3, v0
	;; [unrolled: 1-line block ×4, first 2 shown]
	v_dual_cndmask_b32 v1, v2, v4 :: v_dual_cndmask_b32 v34, v3, v5
	v_cmp_eq_u32_e64 s4, 6, v0
	v_cmp_eq_u32_e64 s5, 7, v0
	;; [unrolled: 1-line block ×3, first 2 shown]
	s_delay_alu instid0(VALU_DEP_4)
	v_cndmask_b32_e64 v1, v1, v6, s0
	v_cndmask_b32_e64 v34, v34, v7, s0
	v_cmp_eq_u32_e64 s7, 8, v0
	v_cndmask_b32_e64 v38, v7, v17, s0
	v_cndmask_b32_e64 v37, v6, v16, s0
	;; [unrolled: 1-line block ×4, first 2 shown]
	v_cndmask_b32_e32 v36, v5, v17, vcc_lo
	v_cndmask_b32_e64 v40, v9, v17, s1
	v_cndmask_b32_e64 v39, v8, v16, s1
	;; [unrolled: 1-line block ×5, first 2 shown]
	v_cmp_eq_u32_e64 s0, 10, v0
	v_cndmask_b32_e64 v41, v10, v16, s2
	v_cndmask_b32_e64 v1, v1, v12, s3
	;; [unrolled: 1-line block ×3, first 2 shown]
	v_cmp_eq_u32_e64 s1, 11, v0
	v_cmp_eq_u32_e64 s2, 12, v0
	v_cndmask_b32_e64 v44, v13, v17, s3
	v_cndmask_b32_e64 v1, v1, v14, s4
	;; [unrolled: 1-line block ×8, first 2 shown]
	v_cndmask_b32_e32 v35, v4, v16, vcc_lo
	v_cmp_eq_u32_e32 vcc_lo, 9, v0
	v_cndmask_b32_e64 v45, v14, v16, s4
	v_cndmask_b32_e64 v1, v1, v18, s7
	;; [unrolled: 1-line block ×5, first 2 shown]
	v_dual_cndmask_b32 v52, v21, v17 :: v_dual_cndmask_b32 v51, v20, v16
	v_cndmask_b32_e64 v54, v23, v17, s0
	v_cndmask_b32_e64 v53, v22, v16, s0
	;; [unrolled: 1-line block ×6, first 2 shown]
	v_cndmask_b32_e32 v1, v1, v20, vcc_lo
	v_cndmask_b32_e32 v3, v3, v21, vcc_lo
	v_cmp_eq_u32_e32 vcc_lo, 13, v0
	s_delay_alu instid0(VALU_DEP_3) | instskip(NEXT) | instid1(VALU_DEP_3)
	v_cndmask_b32_e64 v1, v1, v22, s0
	v_cndmask_b32_e64 v3, v3, v23, s0
	v_cmp_eq_u32_e64 s0, 14, v0
	v_dual_cndmask_b32 v60, v29, v17 :: v_dual_cndmask_b32 v59, v28, v16
	s_delay_alu instid0(VALU_DEP_4) | instskip(NEXT) | instid1(VALU_DEP_4)
	v_cndmask_b32_e64 v1, v1, v24, s1
	v_cndmask_b32_e64 v3, v3, v25, s1
	v_cmp_eq_u32_e64 s1, 15, v0
	v_cndmask_b32_e64 v62, v31, v17, s0
	v_cndmask_b32_e64 v61, v30, v16, s0
	;; [unrolled: 1-line block ×6, first 2 shown]
	s_delay_alu instid0(VALU_DEP_4) | instskip(NEXT) | instid1(VALU_DEP_1)
	v_cndmask_b32_e32 v1, v1, v28, vcc_lo
	v_cndmask_b32_e64 v1, v1, v30, s0
	s_delay_alu instid0(VALU_DEP_1) | instskip(NEXT) | instid1(VALU_DEP_1)
	v_cndmask_b32_e64 v0, v1, v32, s1
	v_cndmask_b32_e64 v47, v0, v16, s5
	v_cndmask_b32_e32 v3, v3, v29, vcc_lo
	s_delay_alu instid0(VALU_DEP_1) | instskip(NEXT) | instid1(VALU_DEP_1)
	v_cndmask_b32_e64 v3, v3, v31, s0
	v_cndmask_b32_e64 v1, v3, v33, s1
	;; [unrolled: 1-line block ×3, first 2 shown]
	s_delay_alu instid0(VALU_DEP_2) | instskip(NEXT) | instid1(VALU_DEP_2)
	v_cndmask_b32_e64 v48, v1, v17, s5
	v_mov_b32_e32 v2, v33
	v_dual_mov_b32 v10, v41 :: v_dual_mov_b32 v3, v34
	v_mov_b32_e32 v12, v43
	v_dual_mov_b32 v4, v35 :: v_dual_mov_b32 v5, v36
	;; [unrolled: 2-line block ×4, first 2 shown]
	v_dual_mov_b32 v18, v49 :: v_dual_mov_b32 v11, v42
	v_dual_mov_b32 v20, v51 :: v_dual_mov_b32 v13, v44
	;; [unrolled: 1-line block ×8, first 2 shown]
	v_mov_b32_e32 v27, v58
	v_mov_b32_e32 v29, v60
	;; [unrolled: 1-line block ×4, first 2 shown]
.LBB15_135:
	s_or_b32 exec_lo, exec_lo, s8
	v_dual_mov_b32 v0, s20 :: v_dual_mov_b32 v1, s21
	s_mov_b32 s8, exec_lo
	flat_load_b32 v0, v[0:1] offset:24
	s_waitcnt vmcnt(0) lgkmcnt(0)
	v_add_nc_u32_e32 v0, -1, v0
	s_delay_alu instid0(VALU_DEP_1)
	v_cmpx_ne_u32_e32 6, v0
	s_cbranch_execz .LBB15_137
; %bb.136:
	v_cmp_eq_u32_e32 vcc_lo, 1, v0
	v_cmp_eq_u32_e64 s0, 2, v0
	v_cmp_eq_u32_e64 s1, 3, v0
	;; [unrolled: 1-line block ×4, first 2 shown]
	v_dual_cndmask_b32 v1, v2, v4 :: v_dual_cndmask_b32 v34, v3, v5
	v_cmp_eq_u32_e64 s4, 6, v0
	v_cmp_eq_u32_e64 s5, 7, v0
	;; [unrolled: 1-line block ×3, first 2 shown]
	s_delay_alu instid0(VALU_DEP_4)
	v_cndmask_b32_e64 v1, v1, v6, s0
	v_cndmask_b32_e64 v34, v34, v7, s0
	v_cmp_eq_u32_e64 s7, 8, v0
	v_cndmask_b32_e64 v38, v7, v15, s0
	v_cndmask_b32_e64 v37, v6, v14, s0
	;; [unrolled: 1-line block ×4, first 2 shown]
	v_cndmask_b32_e32 v36, v5, v15, vcc_lo
	v_cndmask_b32_e64 v40, v9, v15, s1
	v_cndmask_b32_e64 v39, v8, v14, s1
	;; [unrolled: 1-line block ×5, first 2 shown]
	v_cmp_eq_u32_e64 s0, 10, v0
	v_cndmask_b32_e64 v41, v10, v14, s2
	v_cndmask_b32_e64 v1, v1, v12, s3
	;; [unrolled: 1-line block ×3, first 2 shown]
	v_cmp_eq_u32_e64 s1, 11, v0
	v_cmp_eq_u32_e64 s2, 12, v0
	v_cndmask_b32_e64 v44, v13, v15, s3
	v_cndmask_b32_e64 v1, v1, v14, s4
	;; [unrolled: 1-line block ×8, first 2 shown]
	v_cndmask_b32_e32 v35, v4, v14, vcc_lo
	v_cmp_eq_u32_e32 vcc_lo, 9, v0
	v_cndmask_b32_e64 v47, v16, v14, s5
	v_cndmask_b32_e64 v1, v1, v18, s7
	;; [unrolled: 1-line block ×5, first 2 shown]
	v_dual_cndmask_b32 v51, v20, v14 :: v_dual_cndmask_b32 v52, v21, v15
	s_delay_alu instid0(VALU_DEP_4)
	v_cndmask_b32_e32 v3, v3, v21, vcc_lo
	v_cndmask_b32_e64 v54, v23, v15, s0
	v_cndmask_b32_e64 v53, v22, v14, s0
	;; [unrolled: 1-line block ×6, first 2 shown]
	v_cndmask_b32_e32 v1, v1, v20, vcc_lo
	v_cndmask_b32_e64 v3, v3, v23, s0
	v_cmp_eq_u32_e32 vcc_lo, 13, v0
	s_delay_alu instid0(VALU_DEP_3) | instskip(NEXT) | instid1(VALU_DEP_3)
	v_cndmask_b32_e64 v1, v1, v22, s0
	v_cndmask_b32_e64 v3, v3, v25, s1
	v_cmp_eq_u32_e64 s0, 14, v0
	v_dual_cndmask_b32 v60, v29, v15 :: v_dual_cndmask_b32 v59, v28, v14
	s_delay_alu instid0(VALU_DEP_4) | instskip(SKIP_1) | instid1(VALU_DEP_4)
	v_cndmask_b32_e64 v1, v1, v24, s1
	v_cmp_eq_u32_e64 s1, 15, v0
	v_cndmask_b32_e64 v62, v31, v15, s0
	v_cndmask_b32_e64 v61, v30, v14, s0
	;; [unrolled: 1-line block ×6, first 2 shown]
	s_delay_alu instid0(VALU_DEP_3) | instskip(NEXT) | instid1(VALU_DEP_1)
	v_cndmask_b32_e32 v1, v1, v28, vcc_lo
	v_cndmask_b32_e64 v1, v1, v30, s0
	s_delay_alu instid0(VALU_DEP_1) | instskip(NEXT) | instid1(VALU_DEP_1)
	v_cndmask_b32_e64 v0, v1, v32, s1
	v_cndmask_b32_e64 v45, v0, v14, s4
	v_cndmask_b32_e32 v3, v3, v29, vcc_lo
	s_delay_alu instid0(VALU_DEP_1) | instskip(NEXT) | instid1(VALU_DEP_1)
	v_cndmask_b32_e64 v3, v3, v31, s0
	v_cndmask_b32_e64 v1, v3, v33, s1
	v_cndmask_b32_e64 v33, v2, v14, s6
	s_delay_alu instid0(VALU_DEP_2) | instskip(NEXT) | instid1(VALU_DEP_2)
	v_cndmask_b32_e64 v46, v1, v15, s4
	v_mov_b32_e32 v2, v33
	v_dual_mov_b32 v6, v37 :: v_dual_mov_b32 v3, v34
	v_mov_b32_e32 v10, v41
	v_dual_mov_b32 v4, v35 :: v_dual_mov_b32 v5, v36
	v_dual_mov_b32 v12, v43 :: v_dual_mov_b32 v7, v38
	v_mov_b32_e32 v14, v45
	v_dual_mov_b32 v8, v39 :: v_dual_mov_b32 v9, v40
	v_dual_mov_b32 v16, v47 :: v_dual_mov_b32 v11, v42
	;; [unrolled: 1-line block ×10, first 2 shown]
	v_mov_b32_e32 v29, v60
	v_mov_b32_e32 v31, v62
	;; [unrolled: 1-line block ×3, first 2 shown]
.LBB15_137:
	s_or_b32 exec_lo, exec_lo, s8
	v_dual_mov_b32 v0, s20 :: v_dual_mov_b32 v1, s21
	s_mov_b32 s8, exec_lo
	flat_load_b32 v0, v[0:1] offset:20
	s_waitcnt vmcnt(0) lgkmcnt(0)
	v_add_nc_u32_e32 v0, -1, v0
	s_delay_alu instid0(VALU_DEP_1)
	v_cmpx_ne_u32_e32 5, v0
	s_cbranch_execz .LBB15_139
; %bb.138:
	v_cmp_eq_u32_e32 vcc_lo, 1, v0
	v_cmp_eq_u32_e64 s0, 2, v0
	v_cmp_eq_u32_e64 s1, 3, v0
	;; [unrolled: 1-line block ×4, first 2 shown]
	v_dual_cndmask_b32 v1, v2, v4 :: v_dual_cndmask_b32 v34, v3, v5
	v_cmp_eq_u32_e64 s4, 6, v0
	v_cmp_eq_u32_e64 s5, 7, v0
	;; [unrolled: 1-line block ×3, first 2 shown]
	s_delay_alu instid0(VALU_DEP_4)
	v_cndmask_b32_e64 v1, v1, v6, s0
	v_cndmask_b32_e64 v34, v34, v7, s0
	v_cmp_eq_u32_e64 s7, 8, v0
	v_cndmask_b32_e64 v38, v7, v13, s0
	v_cndmask_b32_e64 v37, v6, v12, s0
	;; [unrolled: 1-line block ×4, first 2 shown]
	v_cndmask_b32_e32 v36, v5, v13, vcc_lo
	v_cndmask_b32_e64 v40, v9, v13, s1
	v_cndmask_b32_e64 v39, v8, v12, s1
	;; [unrolled: 1-line block ×5, first 2 shown]
	v_cmp_eq_u32_e64 s0, 10, v0
	v_cndmask_b32_e64 v41, v10, v12, s2
	v_cndmask_b32_e64 v1, v1, v12, s3
	;; [unrolled: 1-line block ×3, first 2 shown]
	v_cmp_eq_u32_e64 s1, 11, v0
	v_cmp_eq_u32_e64 s2, 12, v0
	v_cndmask_b32_e64 v46, v15, v13, s4
	v_cndmask_b32_e64 v1, v1, v14, s4
	;; [unrolled: 1-line block ×8, first 2 shown]
	v_cndmask_b32_e32 v35, v4, v12, vcc_lo
	v_cmp_eq_u32_e32 vcc_lo, 9, v0
	v_cndmask_b32_e64 v47, v16, v12, s5
	v_cndmask_b32_e64 v1, v1, v18, s7
	;; [unrolled: 1-line block ×5, first 2 shown]
	v_dual_cndmask_b32 v52, v21, v13 :: v_dual_cndmask_b32 v51, v20, v12
	v_cndmask_b32_e64 v54, v23, v13, s0
	v_cndmask_b32_e64 v53, v22, v12, s0
	;; [unrolled: 1-line block ×6, first 2 shown]
	v_cndmask_b32_e32 v1, v1, v20, vcc_lo
	v_cndmask_b32_e32 v3, v3, v21, vcc_lo
	v_cmp_eq_u32_e32 vcc_lo, 13, v0
	s_delay_alu instid0(VALU_DEP_3) | instskip(NEXT) | instid1(VALU_DEP_3)
	v_cndmask_b32_e64 v1, v1, v22, s0
	v_cndmask_b32_e64 v3, v3, v23, s0
	v_cmp_eq_u32_e64 s0, 14, v0
	v_dual_cndmask_b32 v60, v29, v13 :: v_dual_cndmask_b32 v59, v28, v12
	s_delay_alu instid0(VALU_DEP_4) | instskip(NEXT) | instid1(VALU_DEP_4)
	v_cndmask_b32_e64 v1, v1, v24, s1
	v_cndmask_b32_e64 v3, v3, v25, s1
	v_cmp_eq_u32_e64 s1, 15, v0
	v_cndmask_b32_e64 v62, v31, v13, s0
	v_cndmask_b32_e64 v61, v30, v12, s0
	;; [unrolled: 1-line block ×6, first 2 shown]
	s_delay_alu instid0(VALU_DEP_4) | instskip(NEXT) | instid1(VALU_DEP_1)
	v_cndmask_b32_e32 v1, v1, v28, vcc_lo
	v_cndmask_b32_e64 v1, v1, v30, s0
	s_delay_alu instid0(VALU_DEP_1) | instskip(NEXT) | instid1(VALU_DEP_1)
	v_cndmask_b32_e64 v0, v1, v32, s1
	v_cndmask_b32_e64 v43, v0, v12, s3
	v_cndmask_b32_e32 v3, v3, v29, vcc_lo
	s_delay_alu instid0(VALU_DEP_1) | instskip(NEXT) | instid1(VALU_DEP_1)
	v_cndmask_b32_e64 v3, v3, v31, s0
	v_cndmask_b32_e64 v1, v3, v33, s1
	;; [unrolled: 1-line block ×3, first 2 shown]
	s_delay_alu instid0(VALU_DEP_2) | instskip(NEXT) | instid1(VALU_DEP_2)
	v_cndmask_b32_e64 v44, v1, v13, s3
	v_mov_b32_e32 v2, v33
	v_dual_mov_b32 v10, v41 :: v_dual_mov_b32 v3, v34
	v_mov_b32_e32 v12, v43
	v_dual_mov_b32 v4, v35 :: v_dual_mov_b32 v5, v36
	;; [unrolled: 2-line block ×4, first 2 shown]
	v_dual_mov_b32 v18, v49 :: v_dual_mov_b32 v11, v42
	v_dual_mov_b32 v20, v51 :: v_dual_mov_b32 v13, v44
	;; [unrolled: 1-line block ×8, first 2 shown]
	v_mov_b32_e32 v27, v58
	v_mov_b32_e32 v29, v60
	;; [unrolled: 1-line block ×4, first 2 shown]
.LBB15_139:
	s_or_b32 exec_lo, exec_lo, s8
	v_dual_mov_b32 v0, s20 :: v_dual_mov_b32 v1, s21
	s_mov_b32 s8, exec_lo
	flat_load_b32 v0, v[0:1] offset:16
	s_waitcnt vmcnt(0) lgkmcnt(0)
	v_add_nc_u32_e32 v0, -1, v0
	s_delay_alu instid0(VALU_DEP_1)
	v_cmpx_ne_u32_e32 4, v0
	s_cbranch_execz .LBB15_141
; %bb.140:
	v_cmp_eq_u32_e32 vcc_lo, 1, v0
	v_cmp_eq_u32_e64 s0, 2, v0
	v_cmp_eq_u32_e64 s1, 3, v0
	;; [unrolled: 1-line block ×4, first 2 shown]
	v_dual_cndmask_b32 v1, v2, v4 :: v_dual_cndmask_b32 v34, v3, v5
	v_cmp_eq_u32_e64 s4, 6, v0
	v_cmp_eq_u32_e64 s5, 7, v0
	;; [unrolled: 1-line block ×3, first 2 shown]
	s_delay_alu instid0(VALU_DEP_4)
	v_cndmask_b32_e64 v1, v1, v6, s0
	v_cndmask_b32_e64 v34, v34, v7, s0
	v_cmp_eq_u32_e64 s7, 8, v0
	v_cndmask_b32_e64 v38, v7, v11, s0
	v_cndmask_b32_e64 v37, v6, v10, s0
	;; [unrolled: 1-line block ×4, first 2 shown]
	v_cndmask_b32_e32 v36, v5, v11, vcc_lo
	v_cndmask_b32_e64 v40, v9, v11, s1
	v_cndmask_b32_e64 v39, v8, v10, s1
	;; [unrolled: 1-line block ×5, first 2 shown]
	v_cmp_eq_u32_e64 s0, 10, v0
	v_cndmask_b32_e64 v43, v12, v10, s3
	v_cndmask_b32_e64 v1, v1, v12, s3
	;; [unrolled: 1-line block ×3, first 2 shown]
	v_cmp_eq_u32_e64 s1, 11, v0
	v_cmp_eq_u32_e64 s3, 12, v0
	v_cndmask_b32_e64 v46, v15, v11, s4
	v_cndmask_b32_e64 v1, v1, v14, s4
	;; [unrolled: 1-line block ×8, first 2 shown]
	v_cndmask_b32_e32 v35, v4, v10, vcc_lo
	v_cmp_eq_u32_e32 vcc_lo, 9, v0
	v_cndmask_b32_e64 v47, v16, v10, s5
	v_cndmask_b32_e64 v1, v1, v18, s7
	;; [unrolled: 1-line block ×5, first 2 shown]
	v_dual_cndmask_b32 v51, v20, v10 :: v_dual_cndmask_b32 v52, v21, v11
	s_delay_alu instid0(VALU_DEP_4)
	v_cndmask_b32_e32 v3, v3, v21, vcc_lo
	v_cndmask_b32_e64 v54, v23, v11, s0
	v_cndmask_b32_e64 v53, v22, v10, s0
	;; [unrolled: 1-line block ×6, first 2 shown]
	v_cndmask_b32_e32 v1, v1, v20, vcc_lo
	v_cndmask_b32_e64 v3, v3, v23, s0
	v_cmp_eq_u32_e32 vcc_lo, 13, v0
	s_delay_alu instid0(VALU_DEP_3) | instskip(NEXT) | instid1(VALU_DEP_3)
	v_cndmask_b32_e64 v1, v1, v22, s0
	v_cndmask_b32_e64 v3, v3, v25, s1
	v_cmp_eq_u32_e64 s0, 14, v0
	v_dual_cndmask_b32 v60, v29, v11 :: v_dual_cndmask_b32 v59, v28, v10
	s_delay_alu instid0(VALU_DEP_4) | instskip(SKIP_1) | instid1(VALU_DEP_4)
	v_cndmask_b32_e64 v1, v1, v24, s1
	v_cmp_eq_u32_e64 s1, 15, v0
	v_cndmask_b32_e64 v62, v31, v11, s0
	v_cndmask_b32_e64 v61, v30, v10, s0
	;; [unrolled: 1-line block ×6, first 2 shown]
	s_delay_alu instid0(VALU_DEP_3) | instskip(NEXT) | instid1(VALU_DEP_1)
	v_cndmask_b32_e32 v1, v1, v28, vcc_lo
	v_cndmask_b32_e64 v1, v1, v30, s0
	s_delay_alu instid0(VALU_DEP_1) | instskip(NEXT) | instid1(VALU_DEP_1)
	v_cndmask_b32_e64 v0, v1, v32, s1
	v_cndmask_b32_e64 v41, v0, v10, s2
	v_cndmask_b32_e32 v3, v3, v29, vcc_lo
	s_delay_alu instid0(VALU_DEP_1) | instskip(NEXT) | instid1(VALU_DEP_1)
	v_cndmask_b32_e64 v3, v3, v31, s0
	v_cndmask_b32_e64 v1, v3, v33, s1
	;; [unrolled: 1-line block ×3, first 2 shown]
	s_delay_alu instid0(VALU_DEP_2) | instskip(NEXT) | instid1(VALU_DEP_2)
	v_cndmask_b32_e64 v42, v1, v11, s2
	v_mov_b32_e32 v2, v33
	v_dual_mov_b32 v6, v37 :: v_dual_mov_b32 v3, v34
	v_mov_b32_e32 v10, v41
	v_dual_mov_b32 v4, v35 :: v_dual_mov_b32 v5, v36
	v_dual_mov_b32 v12, v43 :: v_dual_mov_b32 v7, v38
	v_mov_b32_e32 v14, v45
	v_dual_mov_b32 v8, v39 :: v_dual_mov_b32 v9, v40
	v_dual_mov_b32 v16, v47 :: v_dual_mov_b32 v11, v42
	;; [unrolled: 1-line block ×10, first 2 shown]
	v_mov_b32_e32 v29, v60
	v_mov_b32_e32 v31, v62
	;; [unrolled: 1-line block ×3, first 2 shown]
.LBB15_141:
	s_or_b32 exec_lo, exec_lo, s8
	v_dual_mov_b32 v0, s20 :: v_dual_mov_b32 v1, s21
	s_mov_b32 s8, exec_lo
	flat_load_b32 v0, v[0:1] offset:12
	s_waitcnt vmcnt(0) lgkmcnt(0)
	v_add_nc_u32_e32 v0, -1, v0
	s_delay_alu instid0(VALU_DEP_1)
	v_cmpx_ne_u32_e32 3, v0
	s_cbranch_execz .LBB15_143
; %bb.142:
	v_cmp_eq_u32_e32 vcc_lo, 1, v0
	v_cmp_eq_u32_e64 s0, 2, v0
	v_cmp_eq_u32_e64 s1, 3, v0
	;; [unrolled: 1-line block ×4, first 2 shown]
	v_dual_cndmask_b32 v1, v2, v4 :: v_dual_cndmask_b32 v34, v3, v5
	v_cmp_eq_u32_e64 s4, 6, v0
	v_cmp_eq_u32_e64 s5, 7, v0
	;; [unrolled: 1-line block ×3, first 2 shown]
	s_delay_alu instid0(VALU_DEP_4)
	v_cndmask_b32_e64 v1, v1, v6, s0
	v_cndmask_b32_e64 v34, v34, v7, s0
	v_cmp_eq_u32_e64 s7, 8, v0
	v_cndmask_b32_e64 v38, v7, v9, s0
	v_cndmask_b32_e64 v37, v6, v8, s0
	;; [unrolled: 1-line block ×4, first 2 shown]
	v_cndmask_b32_e32 v36, v5, v9, vcc_lo
	v_cndmask_b32_e64 v42, v11, v9, s2
	v_cndmask_b32_e64 v41, v10, v8, s2
	;; [unrolled: 1-line block ×5, first 2 shown]
	v_cmp_eq_u32_e64 s0, 10, v0
	v_cndmask_b32_e64 v43, v12, v8, s3
	v_cndmask_b32_e64 v1, v1, v12, s3
	v_cndmask_b32_e64 v34, v34, v13, s3
	v_cmp_eq_u32_e64 s2, 11, v0
	v_cmp_eq_u32_e64 s3, 12, v0
	v_cndmask_b32_e64 v46, v15, v9, s4
	v_cndmask_b32_e64 v1, v1, v14, s4
	;; [unrolled: 1-line block ×8, first 2 shown]
	v_cndmask_b32_e32 v35, v4, v8, vcc_lo
	v_cmp_eq_u32_e32 vcc_lo, 9, v0
	v_cndmask_b32_e64 v47, v16, v8, s5
	v_cndmask_b32_e64 v1, v1, v18, s7
	;; [unrolled: 1-line block ×5, first 2 shown]
	v_dual_cndmask_b32 v52, v21, v9 :: v_dual_cndmask_b32 v51, v20, v8
	v_cndmask_b32_e64 v54, v23, v9, s0
	v_cndmask_b32_e64 v53, v22, v8, s0
	;; [unrolled: 1-line block ×6, first 2 shown]
	v_cndmask_b32_e32 v1, v1, v20, vcc_lo
	v_cndmask_b32_e32 v3, v3, v21, vcc_lo
	v_cmp_eq_u32_e32 vcc_lo, 13, v0
	s_delay_alu instid0(VALU_DEP_3) | instskip(NEXT) | instid1(VALU_DEP_3)
	v_cndmask_b32_e64 v1, v1, v22, s0
	v_cndmask_b32_e64 v3, v3, v23, s0
	v_cmp_eq_u32_e64 s0, 14, v0
	v_dual_cndmask_b32 v60, v29, v9 :: v_dual_cndmask_b32 v59, v28, v8
	s_delay_alu instid0(VALU_DEP_4) | instskip(NEXT) | instid1(VALU_DEP_4)
	v_cndmask_b32_e64 v1, v1, v24, s2
	v_cndmask_b32_e64 v3, v3, v25, s2
	v_cmp_eq_u32_e64 s2, 15, v0
	v_cndmask_b32_e64 v62, v31, v9, s0
	v_cndmask_b32_e64 v61, v30, v8, s0
	;; [unrolled: 1-line block ×6, first 2 shown]
	s_delay_alu instid0(VALU_DEP_4) | instskip(NEXT) | instid1(VALU_DEP_1)
	v_cndmask_b32_e32 v1, v1, v28, vcc_lo
	v_cndmask_b32_e64 v1, v1, v30, s0
	s_delay_alu instid0(VALU_DEP_1) | instskip(NEXT) | instid1(VALU_DEP_1)
	v_cndmask_b32_e64 v0, v1, v32, s2
	v_cndmask_b32_e64 v39, v0, v8, s1
	v_cndmask_b32_e32 v3, v3, v29, vcc_lo
	s_delay_alu instid0(VALU_DEP_1) | instskip(NEXT) | instid1(VALU_DEP_1)
	v_cndmask_b32_e64 v3, v3, v31, s0
	v_cndmask_b32_e64 v1, v3, v33, s2
	;; [unrolled: 1-line block ×3, first 2 shown]
	s_delay_alu instid0(VALU_DEP_2) | instskip(NEXT) | instid1(VALU_DEP_2)
	v_cndmask_b32_e64 v40, v1, v9, s1
	v_mov_b32_e32 v2, v33
	v_dual_mov_b32 v10, v41 :: v_dual_mov_b32 v3, v34
	v_mov_b32_e32 v12, v43
	v_dual_mov_b32 v4, v35 :: v_dual_mov_b32 v5, v36
	;; [unrolled: 2-line block ×4, first 2 shown]
	v_dual_mov_b32 v18, v49 :: v_dual_mov_b32 v11, v42
	v_dual_mov_b32 v20, v51 :: v_dual_mov_b32 v13, v44
	;; [unrolled: 1-line block ×8, first 2 shown]
	v_mov_b32_e32 v27, v58
	v_mov_b32_e32 v29, v60
	;; [unrolled: 1-line block ×4, first 2 shown]
.LBB15_143:
	s_or_b32 exec_lo, exec_lo, s8
	v_dual_mov_b32 v0, s20 :: v_dual_mov_b32 v1, s21
	s_mov_b32 s8, exec_lo
	flat_load_b32 v0, v[0:1] offset:8
	s_waitcnt vmcnt(0) lgkmcnt(0)
	v_add_nc_u32_e32 v0, -1, v0
	s_delay_alu instid0(VALU_DEP_1)
	v_cmpx_ne_u32_e32 2, v0
	s_cbranch_execz .LBB15_145
; %bb.144:
	v_cmp_eq_u32_e32 vcc_lo, 1, v0
	v_cmp_eq_u32_e64 s0, 2, v0
	v_cmp_eq_u32_e64 s1, 3, v0
	;; [unrolled: 1-line block ×4, first 2 shown]
	v_dual_cndmask_b32 v1, v2, v4 :: v_dual_cndmask_b32 v34, v3, v5
	v_cmp_eq_u32_e64 s4, 6, v0
	v_cmp_eq_u32_e64 s5, 7, v0
	;; [unrolled: 1-line block ×3, first 2 shown]
	s_delay_alu instid0(VALU_DEP_4)
	v_cndmask_b32_e64 v1, v1, v6, s0
	v_cndmask_b32_e64 v34, v34, v7, s0
	v_cmp_eq_u32_e64 s7, 8, v0
	v_cndmask_b32_e32 v36, v5, v7, vcc_lo
	v_cndmask_b32_e64 v40, v9, v7, s1
	v_cndmask_b32_e64 v1, v1, v8, s1
	;; [unrolled: 1-line block ×9, first 2 shown]
	v_cmp_eq_u32_e64 s1, 10, v0
	v_cndmask_b32_e64 v43, v12, v6, s3
	v_cndmask_b32_e64 v1, v1, v12, s3
	;; [unrolled: 1-line block ×3, first 2 shown]
	v_cmp_eq_u32_e64 s2, 11, v0
	v_cmp_eq_u32_e64 s3, 12, v0
	v_cndmask_b32_e64 v46, v15, v7, s4
	v_cndmask_b32_e64 v1, v1, v14, s4
	;; [unrolled: 1-line block ×8, first 2 shown]
	v_cndmask_b32_e32 v35, v4, v6, vcc_lo
	v_cmp_eq_u32_e32 vcc_lo, 9, v0
	v_cndmask_b32_e64 v47, v16, v6, s5
	v_cndmask_b32_e64 v1, v1, v18, s7
	;; [unrolled: 1-line block ×5, first 2 shown]
	v_dual_cndmask_b32 v51, v20, v6 :: v_dual_cndmask_b32 v52, v21, v7
	s_delay_alu instid0(VALU_DEP_4)
	v_cndmask_b32_e32 v3, v3, v21, vcc_lo
	v_cndmask_b32_e64 v54, v23, v7, s1
	v_cndmask_b32_e64 v53, v22, v6, s1
	;; [unrolled: 1-line block ×6, first 2 shown]
	v_cndmask_b32_e32 v1, v1, v20, vcc_lo
	v_cndmask_b32_e64 v3, v3, v23, s1
	v_cmp_eq_u32_e32 vcc_lo, 13, v0
	s_delay_alu instid0(VALU_DEP_3) | instskip(NEXT) | instid1(VALU_DEP_3)
	v_cndmask_b32_e64 v1, v1, v22, s1
	v_cndmask_b32_e64 v3, v3, v25, s2
	v_cmp_eq_u32_e64 s1, 14, v0
	v_dual_cndmask_b32 v60, v29, v7 :: v_dual_cndmask_b32 v59, v28, v6
	s_delay_alu instid0(VALU_DEP_4) | instskip(SKIP_1) | instid1(VALU_DEP_4)
	v_cndmask_b32_e64 v1, v1, v24, s2
	v_cmp_eq_u32_e64 s2, 15, v0
	v_cndmask_b32_e64 v62, v31, v7, s1
	v_cndmask_b32_e64 v61, v30, v6, s1
	;; [unrolled: 1-line block ×6, first 2 shown]
	s_delay_alu instid0(VALU_DEP_3) | instskip(NEXT) | instid1(VALU_DEP_1)
	v_cndmask_b32_e32 v1, v1, v28, vcc_lo
	v_cndmask_b32_e64 v1, v1, v30, s1
	s_delay_alu instid0(VALU_DEP_1) | instskip(NEXT) | instid1(VALU_DEP_1)
	v_cndmask_b32_e64 v0, v1, v32, s2
	v_cndmask_b32_e64 v37, v0, v6, s0
	v_cndmask_b32_e32 v3, v3, v29, vcc_lo
	s_delay_alu instid0(VALU_DEP_1) | instskip(NEXT) | instid1(VALU_DEP_1)
	v_cndmask_b32_e64 v3, v3, v31, s1
	v_cndmask_b32_e64 v1, v3, v33, s2
	;; [unrolled: 1-line block ×3, first 2 shown]
	s_delay_alu instid0(VALU_DEP_2) | instskip(NEXT) | instid1(VALU_DEP_2)
	v_cndmask_b32_e64 v38, v1, v7, s0
	v_mov_b32_e32 v2, v33
	v_dual_mov_b32 v6, v37 :: v_dual_mov_b32 v3, v34
	v_mov_b32_e32 v10, v41
	v_dual_mov_b32 v4, v35 :: v_dual_mov_b32 v5, v36
	v_dual_mov_b32 v12, v43 :: v_dual_mov_b32 v7, v38
	v_mov_b32_e32 v14, v45
	v_dual_mov_b32 v8, v39 :: v_dual_mov_b32 v9, v40
	v_dual_mov_b32 v16, v47 :: v_dual_mov_b32 v11, v42
	;; [unrolled: 1-line block ×10, first 2 shown]
	v_mov_b32_e32 v29, v60
	v_mov_b32_e32 v31, v62
	;; [unrolled: 1-line block ×3, first 2 shown]
.LBB15_145:
	s_or_b32 exec_lo, exec_lo, s8
	v_dual_mov_b32 v0, s20 :: v_dual_mov_b32 v1, s21
	s_mov_b32 s8, exec_lo
	flat_load_b32 v0, v[0:1] offset:4
	s_waitcnt vmcnt(0) lgkmcnt(0)
	v_add_nc_u32_e32 v0, -1, v0
	s_delay_alu instid0(VALU_DEP_1)
	v_cmpx_ne_u32_e32 1, v0
	s_cbranch_execz .LBB15_147
; %bb.146:
	v_cmp_eq_u32_e32 vcc_lo, 1, v0
	v_cmp_eq_u32_e64 s0, 2, v0
	v_cmp_eq_u32_e64 s1, 3, v0
	;; [unrolled: 1-line block ×4, first 2 shown]
	v_dual_cndmask_b32 v1, v2, v4 :: v_dual_cndmask_b32 v34, v3, v5
	v_cmp_eq_u32_e64 s4, 6, v0
	v_cmp_eq_u32_e64 s5, 7, v0
	;; [unrolled: 1-line block ×3, first 2 shown]
	s_delay_alu instid0(VALU_DEP_4)
	v_cndmask_b32_e64 v1, v1, v6, s0
	v_cndmask_b32_e64 v34, v34, v7, s0
	v_cmp_eq_u32_e64 s7, 8, v0
	v_cndmask_b32_e64 v38, v7, v5, s0
	v_cndmask_b32_e64 v37, v6, v4, s0
	v_cndmask_b32_e64 v1, v1, v8, s1
	v_cndmask_b32_e64 v34, v34, v9, s1
	v_cmp_eq_u32_e64 s0, 9, v0
	v_cndmask_b32_e64 v40, v9, v5, s1
	v_cndmask_b32_e64 v39, v8, v4, s1
	;; [unrolled: 5-line block ×4, first 2 shown]
	v_cndmask_b32_e64 v1, v1, v14, s4
	v_cndmask_b32_e64 v35, v34, v15, s4
	;; [unrolled: 1-line block ×3, first 2 shown]
	v_cmp_eq_u32_e64 s3, 12, v0
	v_cndmask_b32_e64 v52, v21, v5, s0
	v_cndmask_b32_e64 v1, v1, v16, s5
	v_cndmask_b32_e64 v3, v35, v17, s5
	v_cndmask_b32_e64 v51, v20, v4, s0
	v_cndmask_b32_e64 v54, v23, v5, s1
	v_cndmask_b32_e64 v53, v22, v4, s1
	v_cndmask_b32_e64 v1, v1, v18, s7
	v_cndmask_b32_e64 v3, v3, v19, s7
	v_cndmask_b32_e64 v56, v25, v5, s2
	v_cndmask_b32_e64 v55, v24, v4, s2
	v_cndmask_b32_e64 v46, v15, v5, s4
	v_cndmask_b32_e64 v1, v1, v20, s0
	v_cndmask_b32_e64 v3, v3, v21, s0
	v_cmp_eq_u32_e64 s0, 13, v0
	v_cndmask_b32_e64 v45, v14, v4, s4
	v_cndmask_b32_e64 v48, v17, v5, s5
	v_cndmask_b32_e64 v1, v1, v22, s1
	v_cndmask_b32_e64 v3, v3, v23, s1
	v_cmp_eq_u32_e64 s1, 14, v0
	v_cndmask_b32_e64 v47, v16, v4, s5
	v_cndmask_b32_e64 v50, v19, v5, s7
	v_cndmask_b32_e64 v1, v1, v24, s2
	v_cndmask_b32_e64 v3, v3, v25, s2
	;; [unrolled: 5-line block ×3, first 2 shown]
	v_cndmask_b32_e64 v64, v33, v5, s2
	v_cndmask_b32_e64 v57, v26, v4, s3
	;; [unrolled: 1-line block ×11, first 2 shown]
	s_delay_alu instid0(VALU_DEP_3) | instskip(NEXT) | instid1(VALU_DEP_3)
	v_cndmask_b32_e64 v0, v1, v32, s2
	v_cndmask_b32_e64 v1, v3, v33, s2
	;; [unrolled: 1-line block ×3, first 2 shown]
	s_delay_alu instid0(VALU_DEP_2) | instskip(NEXT) | instid1(VALU_DEP_2)
	v_dual_cndmask_b32 v35, v0, v4 :: v_dual_cndmask_b32 v36, v1, v5
	v_mov_b32_e32 v2, v33
	v_mov_b32_e32 v3, v34
	v_dual_mov_b32 v7, v38 :: v_dual_mov_b32 v8, v39
	s_delay_alu instid0(VALU_DEP_4)
	v_dual_mov_b32 v4, v35 :: v_dual_mov_b32 v5, v36
	v_dual_mov_b32 v6, v37 :: v_dual_mov_b32 v9, v40
	;; [unrolled: 1-line block ×14, first 2 shown]
.LBB15_147:
	s_or_b32 exec_lo, exec_lo, s8
	v_dual_mov_b32 v0, s20 :: v_dual_mov_b32 v1, s21
	s_mov_b32 s6, exec_lo
	flat_load_b32 v0, v[0:1]
	s_waitcnt vmcnt(0) lgkmcnt(0)
	v_add_nc_u32_e32 v0, -1, v0
	s_delay_alu instid0(VALU_DEP_1)
	v_cmpx_ne_u32_e32 0, v0
	s_cbranch_execz .LBB15_149
; %bb.148:
	v_cmp_eq_u32_e32 vcc_lo, 1, v0
	v_cmp_eq_u32_e64 s0, 2, v0
	v_cmp_eq_u32_e64 s1, 3, v0
	;; [unrolled: 1-line block ×4, first 2 shown]
	v_dual_cndmask_b32 v1, v2, v4 :: v_dual_cndmask_b32 v34, v3, v5
	v_cmp_eq_u32_e64 s4, 6, v0
	v_cmp_eq_u32_e64 s5, 7, v0
	v_cndmask_b32_e64 v36, v7, v3, s0
	s_delay_alu instid0(VALU_DEP_4)
	v_cndmask_b32_e64 v1, v1, v6, s0
	v_cndmask_b32_e64 v34, v34, v7, s0
	v_cndmask_b32_e64 v35, v6, v2, s0
	v_cmp_eq_u32_e64 s0, 8, v0
	v_cndmask_b32_e64 v38, v9, v3, s1
	v_cndmask_b32_e64 v1, v1, v8, s1
	v_cndmask_b32_e64 v34, v34, v9, s1
	v_cndmask_b32_e64 v37, v8, v2, s1
	v_cmp_eq_u32_e64 s1, 9, v0
	v_cndmask_b32_e64 v40, v11, v3, s2
	;; [unrolled: 5-line block ×5, first 2 shown]
	v_cndmask_b32_e64 v1, v1, v16, s5
	v_cndmask_b32_e64 v6, v34, v17, s5
	v_cndmask_b32_e32 v34, v5, v3, vcc_lo
	v_cndmask_b32_e64 v47, v18, v2, s0
	v_cndmask_b32_e64 v50, v21, v3, s1
	v_cndmask_b32_e64 v1, v1, v18, s0
	v_cndmask_b32_e64 v5, v6, v19, s0
	v_cmp_eq_u32_e64 s0, 13, v0
	v_cndmask_b32_e64 v49, v20, v2, s1
	v_cndmask_b32_e64 v52, v23, v3, s2
	v_cndmask_b32_e64 v1, v1, v20, s1
	v_cndmask_b32_e64 v5, v5, v21, s1
	v_cmp_eq_u32_e64 s1, 14, v0
	;; [unrolled: 5-line block ×3, first 2 shown]
	v_cndmask_b32_e64 v57, v28, v2, s0
	v_cndmask_b32_e64 v60, v31, v3, s1
	;; [unrolled: 1-line block ×14, first 2 shown]
	v_cmp_eq_u32_e64 s0, 0, v0
	v_cndmask_b32_e64 v59, v30, v2, s1
	v_cndmask_b32_e64 v62, v33, v3, s2
	;; [unrolled: 1-line block ×5, first 2 shown]
	s_delay_alu instid0(VALU_DEP_3) | instskip(NEXT) | instid1(VALU_DEP_3)
	v_cndmask_b32_e64 v1, v1, v32, s2
	v_cndmask_b32_e64 v5, v5, v33, s2
	v_cndmask_b32_e32 v33, v4, v2, vcc_lo
	s_delay_alu instid0(VALU_DEP_3) | instskip(NEXT) | instid1(VALU_DEP_3)
	v_cndmask_b32_e64 v31, v1, v2, s0
	v_cndmask_b32_e64 v32, v5, v3, s0
	s_delay_alu instid0(VALU_DEP_2) | instskip(NEXT) | instid1(VALU_DEP_2)
	v_mov_b32_e32 v2, v31
	v_dual_mov_b32 v3, v32 :: v_dual_mov_b32 v4, v33
	v_dual_mov_b32 v5, v34 :: v_dual_mov_b32 v6, v35
	;; [unrolled: 1-line block ×14, first 2 shown]
	v_mov_b32_e32 v31, v60
	v_mov_b32_e32 v32, v61
	v_mov_b32_e32 v33, v62
.LBB15_149:
	s_or_b32 exec_lo, exec_lo, s6
.LBB15_150:
	s_clause 0xf
	global_store_b64 v[65:66], v[2:3], off
	global_store_b64 v[67:68], v[4:5], off
	;; [unrolled: 1-line block ×16, first 2 shown]
	s_nop 0
	s_sendmsg sendmsg(MSG_DEALLOC_VGPRS)
	s_endpgm
	.section	.rodata,"a",@progbits
	.p2align	6, 0x0
	.amdhsa_kernel _ZN9rocsolver6v33100L18getri_kernel_smallILi16EdPdEEvT1_iilPiilS4_bb
		.amdhsa_group_segment_fixed_size 264
		.amdhsa_private_segment_fixed_size 0
		.amdhsa_kernarg_size 60
		.amdhsa_user_sgpr_count 15
		.amdhsa_user_sgpr_dispatch_ptr 0
		.amdhsa_user_sgpr_queue_ptr 0
		.amdhsa_user_sgpr_kernarg_segment_ptr 1
		.amdhsa_user_sgpr_dispatch_id 0
		.amdhsa_user_sgpr_private_segment_size 0
		.amdhsa_wavefront_size32 1
		.amdhsa_uses_dynamic_stack 0
		.amdhsa_enable_private_segment 0
		.amdhsa_system_sgpr_workgroup_id_x 1
		.amdhsa_system_sgpr_workgroup_id_y 0
		.amdhsa_system_sgpr_workgroup_id_z 0
		.amdhsa_system_sgpr_workgroup_info 0
		.amdhsa_system_vgpr_workitem_id 0
		.amdhsa_next_free_vgpr 97
		.amdhsa_next_free_sgpr 24
		.amdhsa_reserve_vcc 1
		.amdhsa_float_round_mode_32 0
		.amdhsa_float_round_mode_16_64 0
		.amdhsa_float_denorm_mode_32 3
		.amdhsa_float_denorm_mode_16_64 3
		.amdhsa_dx10_clamp 1
		.amdhsa_ieee_mode 1
		.amdhsa_fp16_overflow 0
		.amdhsa_workgroup_processor_mode 1
		.amdhsa_memory_ordered 1
		.amdhsa_forward_progress 0
		.amdhsa_shared_vgpr_count 0
		.amdhsa_exception_fp_ieee_invalid_op 0
		.amdhsa_exception_fp_denorm_src 0
		.amdhsa_exception_fp_ieee_div_zero 0
		.amdhsa_exception_fp_ieee_overflow 0
		.amdhsa_exception_fp_ieee_underflow 0
		.amdhsa_exception_fp_ieee_inexact 0
		.amdhsa_exception_int_div_zero 0
	.end_amdhsa_kernel
	.section	.text._ZN9rocsolver6v33100L18getri_kernel_smallILi16EdPdEEvT1_iilPiilS4_bb,"axG",@progbits,_ZN9rocsolver6v33100L18getri_kernel_smallILi16EdPdEEvT1_iilPiilS4_bb,comdat
.Lfunc_end15:
	.size	_ZN9rocsolver6v33100L18getri_kernel_smallILi16EdPdEEvT1_iilPiilS4_bb, .Lfunc_end15-_ZN9rocsolver6v33100L18getri_kernel_smallILi16EdPdEEvT1_iilPiilS4_bb
                                        ; -- End function
	.section	.AMDGPU.csdata,"",@progbits
; Kernel info:
; codeLenInByte = 30544
; NumSgprs: 26
; NumVgprs: 97
; ScratchSize: 0
; MemoryBound: 0
; FloatMode: 240
; IeeeMode: 1
; LDSByteSize: 264 bytes/workgroup (compile time only)
; SGPRBlocks: 3
; VGPRBlocks: 12
; NumSGPRsForWavesPerEU: 26
; NumVGPRsForWavesPerEU: 97
; Occupancy: 12
; WaveLimiterHint : 0
; COMPUTE_PGM_RSRC2:SCRATCH_EN: 0
; COMPUTE_PGM_RSRC2:USER_SGPR: 15
; COMPUTE_PGM_RSRC2:TRAP_HANDLER: 0
; COMPUTE_PGM_RSRC2:TGID_X_EN: 1
; COMPUTE_PGM_RSRC2:TGID_Y_EN: 0
; COMPUTE_PGM_RSRC2:TGID_Z_EN: 0
; COMPUTE_PGM_RSRC2:TIDIG_COMP_CNT: 0
	.section	.text._ZN9rocsolver6v33100L18getri_kernel_smallILi17EdPdEEvT1_iilPiilS4_bb,"axG",@progbits,_ZN9rocsolver6v33100L18getri_kernel_smallILi17EdPdEEvT1_iilPiilS4_bb,comdat
	.globl	_ZN9rocsolver6v33100L18getri_kernel_smallILi17EdPdEEvT1_iilPiilS4_bb ; -- Begin function _ZN9rocsolver6v33100L18getri_kernel_smallILi17EdPdEEvT1_iilPiilS4_bb
	.p2align	8
	.type	_ZN9rocsolver6v33100L18getri_kernel_smallILi17EdPdEEvT1_iilPiilS4_bb,@function
_ZN9rocsolver6v33100L18getri_kernel_smallILi17EdPdEEvT1_iilPiilS4_bb: ; @_ZN9rocsolver6v33100L18getri_kernel_smallILi17EdPdEEvT1_iilPiilS4_bb
; %bb.0:
	s_mov_b32 s2, exec_lo
	v_cmpx_gt_u32_e32 17, v0
	s_cbranch_execz .LBB16_78
; %bb.1:
	s_clause 0x2
	s_load_b32 s17, s[0:1], 0x38
	s_load_b128 s[8:11], s[0:1], 0x10
	s_load_b128 s[4:7], s[0:1], 0x28
	s_mov_b32 s14, s15
                                        ; implicit-def: $sgpr12_sgpr13
	s_waitcnt lgkmcnt(0)
	s_bitcmp1_b32 s17, 8
	s_cselect_b32 s16, -1, 0
	s_bfe_u32 s2, s17, 0x10008
	s_ashr_i32 s15, s15, 31
	s_cmp_eq_u32 s2, 0
	s_cbranch_scc1 .LBB16_3
; %bb.2:
	s_load_b32 s2, s[0:1], 0x20
	s_mul_i32 s3, s14, s5
	s_mul_hi_u32 s5, s14, s4
	s_mul_i32 s12, s15, s4
	s_add_i32 s3, s5, s3
	s_mul_i32 s4, s14, s4
	s_add_i32 s5, s3, s12
	s_delay_alu instid0(SALU_CYCLE_1)
	s_lshl_b64 s[4:5], s[4:5], 2
	s_waitcnt lgkmcnt(0)
	s_ashr_i32 s3, s2, 31
	s_add_u32 s4, s10, s4
	s_addc_u32 s5, s11, s5
	s_lshl_b64 s[2:3], s[2:3], 2
	s_delay_alu instid0(SALU_CYCLE_1)
	s_add_u32 s12, s4, s2
	s_addc_u32 s13, s5, s3
.LBB16_3:
	s_load_b128 s[0:3], s[0:1], 0x0
	s_mul_i32 s4, s14, s9
	s_mul_hi_u32 s5, s14, s8
	s_mul_i32 s9, s15, s8
	s_add_i32 s5, s5, s4
	s_mul_i32 s4, s14, s8
	s_add_i32 s5, s5, s9
	v_lshlrev_b32_e32 v3, 3, v0
	s_lshl_b64 s[4:5], s[4:5], 3
	s_waitcnt lgkmcnt(0)
	v_add3_u32 v1, s3, s3, v0
	s_ashr_i32 s9, s2, 31
	s_mov_b32 s8, s2
	s_add_u32 s2, s0, s4
	s_addc_u32 s5, s1, s5
	v_add_nc_u32_e32 v8, s3, v1
	s_lshl_b64 s[0:1], s[8:9], 3
	v_ashrrev_i32_e32 v2, 31, v1
	s_add_u32 s0, s2, s0
	s_addc_u32 s1, s5, s1
	v_add_nc_u32_e32 v10, s3, v8
	v_add_co_u32 v4, s2, s0, v3
	s_mov_b32 s4, s3
	s_ashr_i32 s5, s3, 31
	v_add_co_ci_u32_e64 v5, null, s1, 0, s2
	v_lshlrev_b64 v[1:2], 3, v[1:2]
	v_ashrrev_i32_e32 v9, 31, v8
	s_lshl_b64 s[4:5], s[4:5], 3
	v_add_nc_u32_e32 v14, s3, v10
	v_add_co_u32 v6, vcc_lo, v4, s4
	v_ashrrev_i32_e32 v11, 31, v10
	v_add_co_ci_u32_e32 v7, vcc_lo, s5, v5, vcc_lo
	v_lshlrev_b64 v[12:13], 3, v[8:9]
	v_add_co_u32 v8, vcc_lo, s0, v1
	v_add_nc_u32_e32 v16, s3, v14
	v_add_co_ci_u32_e32 v9, vcc_lo, s1, v2, vcc_lo
	v_lshlrev_b64 v[1:2], 3, v[10:11]
	v_add_co_u32 v10, vcc_lo, s0, v12
	v_ashrrev_i32_e32 v15, 31, v14
	v_add_nc_u32_e32 v18, s3, v16
	v_add_co_ci_u32_e32 v11, vcc_lo, s1, v13, vcc_lo
	v_add_co_u32 v12, vcc_lo, s0, v1
	v_add_co_ci_u32_e32 v13, vcc_lo, s1, v2, vcc_lo
	v_lshlrev_b64 v[1:2], 3, v[14:15]
	v_ashrrev_i32_e32 v17, 31, v16
	v_add_nc_u32_e32 v20, s3, v18
	v_ashrrev_i32_e32 v19, 31, v18
	s_clause 0x4
	global_load_b64 v[38:39], v3, s[0:1]
	global_load_b64 v[40:41], v[6:7], off
	global_load_b64 v[42:43], v[8:9], off
	global_load_b64 v[44:45], v[10:11], off
	global_load_b64 v[46:47], v[12:13], off
	v_lshlrev_b64 v[16:17], 3, v[16:17]
	v_add_co_u32 v14, vcc_lo, s0, v1
	v_ashrrev_i32_e32 v21, 31, v20
	v_add_co_ci_u32_e32 v15, vcc_lo, s1, v2, vcc_lo
	v_lshlrev_b64 v[1:2], 3, v[18:19]
	v_add_nc_u32_e32 v23, s3, v20
	v_add_co_u32 v16, vcc_lo, s0, v16
	v_lshlrev_b64 v[21:22], 3, v[20:21]
	v_add_co_ci_u32_e32 v17, vcc_lo, s1, v17, vcc_lo
	v_add_co_u32 v18, vcc_lo, s0, v1
	v_ashrrev_i32_e32 v24, 31, v23
	v_add_nc_u32_e32 v1, s3, v23
	v_add_co_ci_u32_e32 v19, vcc_lo, s1, v2, vcc_lo
	v_add_co_u32 v20, vcc_lo, s0, v21
	v_add_co_ci_u32_e32 v21, vcc_lo, s1, v22, vcc_lo
	v_lshlrev_b64 v[22:23], 3, v[23:24]
	v_add_nc_u32_e32 v24, s3, v1
	v_ashrrev_i32_e32 v2, 31, v1
	s_clause 0x3
	global_load_b64 v[48:49], v[14:15], off
	global_load_b64 v[50:51], v[16:17], off
	;; [unrolled: 1-line block ×4, first 2 shown]
	s_bitcmp0_b32 s17, 0
	v_add_nc_u32_e32 v26, s3, v24
	v_lshlrev_b64 v[1:2], 3, v[1:2]
	v_ashrrev_i32_e32 v25, 31, v24
	v_add_co_u32 v22, vcc_lo, s0, v22
	s_delay_alu instid0(VALU_DEP_4) | instskip(SKIP_1) | instid1(VALU_DEP_4)
	v_ashrrev_i32_e32 v27, 31, v26
	v_add_co_ci_u32_e32 v23, vcc_lo, s1, v23, vcc_lo
	v_lshlrev_b64 v[28:29], 3, v[24:25]
	v_add_co_u32 v24, vcc_lo, s0, v1
	v_add_nc_u32_e32 v30, s3, v26
	v_add_co_ci_u32_e32 v25, vcc_lo, s1, v2, vcc_lo
	v_lshlrev_b64 v[1:2], 3, v[26:27]
	v_add_co_u32 v26, vcc_lo, s0, v28
	s_delay_alu instid0(VALU_DEP_4)
	v_ashrrev_i32_e32 v31, 31, v30
	v_add_nc_u32_e32 v32, s3, v30
	v_add_co_ci_u32_e32 v27, vcc_lo, s1, v29, vcc_lo
	v_add_co_u32 v28, vcc_lo, s0, v1
	v_add_co_ci_u32_e32 v29, vcc_lo, s1, v2, vcc_lo
	v_lshlrev_b64 v[1:2], 3, v[30:31]
	v_add_nc_u32_e32 v30, s3, v32
	v_ashrrev_i32_e32 v33, 31, v32
	s_clause 0x3
	global_load_b64 v[56:57], v[22:23], off
	global_load_b64 v[58:59], v[24:25], off
	;; [unrolled: 1-line block ×4, first 2 shown]
	v_add_nc_u32_e32 v64, s3, v30
	v_lshlrev_b64 v[34:35], 3, v[32:33]
	v_ashrrev_i32_e32 v31, 31, v30
	v_add_co_u32 v32, vcc_lo, s0, v1
	s_delay_alu instid0(VALU_DEP_4) | instskip(SKIP_1) | instid1(VALU_DEP_4)
	v_ashrrev_i32_e32 v65, 31, v64
	v_add_co_ci_u32_e32 v33, vcc_lo, s1, v2, vcc_lo
	v_lshlrev_b64 v[1:2], 3, v[30:31]
	v_add_co_u32 v36, vcc_lo, s0, v34
	v_add_co_ci_u32_e32 v37, vcc_lo, s1, v35, vcc_lo
	v_lshlrev_b64 v[34:35], 3, v[64:65]
	s_delay_alu instid0(VALU_DEP_4) | instskip(SKIP_1) | instid1(VALU_DEP_3)
	v_add_co_u32 v30, vcc_lo, s0, v1
	v_add_co_ci_u32_e32 v31, vcc_lo, s1, v2, vcc_lo
	v_add_co_u32 v34, vcc_lo, s0, v34
	s_delay_alu instid0(VALU_DEP_4)
	v_add_co_ci_u32_e32 v35, vcc_lo, s1, v35, vcc_lo
	s_clause 0x3
	global_load_b64 v[64:65], v[32:33], off
	global_load_b64 v[66:67], v[36:37], off
	global_load_b64 v[68:69], v[30:31], off
	global_load_b64 v[1:2], v[34:35], off
	s_mov_b32 s1, -1
	s_waitcnt vmcnt(15)
	scratch_store_b128 off, v[38:41], off
	s_waitcnt vmcnt(13)
	scratch_store_b128 off, v[42:45], off offset:16
	s_waitcnt vmcnt(11)
	scratch_store_b128 off, v[46:49], off offset:32
	;; [unrolled: 2-line block ×7, first 2 shown]
	s_waitcnt vmcnt(0)
	scratch_store_b64 off, v[1:2], off offset:128
	s_cbranch_scc1 .LBB16_76
; %bb.4:
	v_cmp_eq_u32_e64 s0, 0, v0
	s_delay_alu instid0(VALU_DEP_1)
	s_and_saveexec_b32 s1, s0
	s_cbranch_execz .LBB16_6
; %bb.5:
	v_mov_b32_e32 v1, 0
	ds_store_b32 v1, v1 offset:136
.LBB16_6:
	s_or_b32 exec_lo, exec_lo, s1
	s_waitcnt lgkmcnt(0)
	s_waitcnt_vscnt null, 0x0
	s_barrier
	buffer_gl0_inv
	scratch_load_b64 v[1:2], v3, off
	s_mov_b32 s2, exec_lo
	s_waitcnt vmcnt(0)
	v_cmpx_eq_f64_e32 0, v[1:2]
	s_cbranch_execz .LBB16_10
; %bb.7:
	v_mov_b32_e32 v1, 0
	s_mov_b32 s3, 0
	ds_load_b32 v2, v1 offset:136
	s_waitcnt lgkmcnt(0)
	v_readfirstlane_b32 s1, v2
	v_add_nc_u32_e32 v2, 1, v0
	s_delay_alu instid0(VALU_DEP_2) | instskip(NEXT) | instid1(VALU_DEP_1)
	s_cmp_eq_u32 s1, 0
	v_cmp_gt_i32_e32 vcc_lo, s1, v2
	s_cselect_b32 s4, -1, 0
	s_delay_alu instid0(SALU_CYCLE_1) | instskip(NEXT) | instid1(SALU_CYCLE_1)
	s_or_b32 s4, s4, vcc_lo
	s_and_b32 exec_lo, exec_lo, s4
	s_cbranch_execz .LBB16_10
; %bb.8:
	v_mov_b32_e32 v38, s1
.LBB16_9:                               ; =>This Inner Loop Header: Depth=1
	ds_cmpstore_rtn_b32 v38, v1, v2, v38 offset:136
	s_waitcnt lgkmcnt(0)
	v_cmp_ne_u32_e32 vcc_lo, 0, v38
	v_cmp_le_i32_e64 s1, v38, v2
	s_delay_alu instid0(VALU_DEP_1) | instskip(NEXT) | instid1(SALU_CYCLE_1)
	s_and_b32 s1, vcc_lo, s1
	s_and_b32 s1, exec_lo, s1
	s_delay_alu instid0(SALU_CYCLE_1) | instskip(NEXT) | instid1(SALU_CYCLE_1)
	s_or_b32 s3, s1, s3
	s_and_not1_b32 exec_lo, exec_lo, s3
	s_cbranch_execnz .LBB16_9
.LBB16_10:
	s_or_b32 exec_lo, exec_lo, s2
	v_mov_b32_e32 v1, 0
	s_barrier
	buffer_gl0_inv
	ds_load_b32 v2, v1 offset:136
	s_and_saveexec_b32 s1, s0
	s_cbranch_execz .LBB16_12
; %bb.11:
	s_lshl_b64 s[2:3], s[14:15], 2
	s_delay_alu instid0(SALU_CYCLE_1)
	s_add_u32 s2, s6, s2
	s_addc_u32 s3, s7, s3
	s_waitcnt lgkmcnt(0)
	global_store_b32 v1, v2, s[2:3]
.LBB16_12:
	s_or_b32 exec_lo, exec_lo, s1
	s_waitcnt lgkmcnt(0)
	v_cmp_ne_u32_e32 vcc_lo, 0, v2
	s_mov_b32 s1, 0
	s_cbranch_vccnz .LBB16_76
; %bb.13:
	v_add_nc_u32_e32 v38, 0, v3
	scratch_load_b64 v[1:2], v38, off
	s_waitcnt vmcnt(0)
	v_div_scale_f64 v[39:40], null, v[1:2], v[1:2], 1.0
	v_div_scale_f64 v[45:46], vcc_lo, 1.0, v[1:2], 1.0
	s_delay_alu instid0(VALU_DEP_2) | instskip(SKIP_2) | instid1(VALU_DEP_1)
	v_rcp_f64_e32 v[41:42], v[39:40]
	s_waitcnt_depctr 0xfff
	v_fma_f64 v[43:44], -v[39:40], v[41:42], 1.0
	v_fma_f64 v[41:42], v[41:42], v[43:44], v[41:42]
	s_delay_alu instid0(VALU_DEP_1) | instskip(NEXT) | instid1(VALU_DEP_1)
	v_fma_f64 v[43:44], -v[39:40], v[41:42], 1.0
	v_fma_f64 v[41:42], v[41:42], v[43:44], v[41:42]
	s_delay_alu instid0(VALU_DEP_1) | instskip(NEXT) | instid1(VALU_DEP_1)
	v_mul_f64 v[43:44], v[45:46], v[41:42]
	v_fma_f64 v[39:40], -v[39:40], v[43:44], v[45:46]
	s_delay_alu instid0(VALU_DEP_1) | instskip(NEXT) | instid1(VALU_DEP_1)
	v_div_fmas_f64 v[39:40], v[39:40], v[41:42], v[43:44]
	v_div_fixup_f64 v[1:2], v[39:40], v[1:2], 1.0
	v_add_nc_u32_e32 v39, 0x90, v3
	scratch_store_b64 v38, v[1:2], off
	scratch_load_b64 v[40:41], off, off offset:8
	v_xor_b32_e32 v2, 0x80000000, v2
	s_waitcnt vmcnt(0)
	ds_store_2addr_b64 v3, v[1:2], v[40:41] offset1:18
	s_waitcnt lgkmcnt(0)
	s_waitcnt_vscnt null, 0x0
	s_barrier
	buffer_gl0_inv
	s_and_saveexec_b32 s1, s0
	s_cbranch_execz .LBB16_15
; %bb.14:
	scratch_load_b64 v[1:2], v38, off
	ds_load_b64 v[40:41], v39
	s_waitcnt vmcnt(0) lgkmcnt(0)
	v_fma_f64 v[1:2], v[1:2], v[40:41], 0
	v_mov_b32_e32 v40, 0
	ds_load_b64 v[40:41], v40 offset:8
	s_waitcnt lgkmcnt(0)
	v_mul_f64 v[1:2], v[1:2], v[40:41]
	scratch_store_b64 off, v[1:2], off offset:8
.LBB16_15:
	s_or_b32 exec_lo, exec_lo, s1
	s_waitcnt_vscnt null, 0x0
	s_barrier
	buffer_gl0_inv
	scratch_load_b64 v[1:2], off, off offset:16
	s_mov_b32 s1, exec_lo
	s_waitcnt vmcnt(0)
	ds_store_b64 v39, v[1:2]
	s_waitcnt lgkmcnt(0)
	s_barrier
	buffer_gl0_inv
	v_cmpx_gt_u32_e32 2, v0
	s_cbranch_execz .LBB16_19
; %bb.16:
	scratch_load_b64 v[1:2], v38, off
	ds_load_b64 v[40:41], v39
	s_waitcnt vmcnt(0) lgkmcnt(0)
	v_fma_f64 v[1:2], v[1:2], v[40:41], 0
	s_and_saveexec_b32 s2, s0
	s_cbranch_execz .LBB16_18
; %bb.17:
	scratch_load_b64 v[40:41], off, off offset:8
	v_mov_b32_e32 v42, 0
	ds_load_b64 v[42:43], v42 offset:152
	s_waitcnt vmcnt(0) lgkmcnt(0)
	v_fma_f64 v[1:2], v[40:41], v[42:43], v[1:2]
.LBB16_18:
	s_or_b32 exec_lo, exec_lo, s2
	v_mov_b32_e32 v40, 0
	ds_load_b64 v[40:41], v40 offset:16
	s_waitcnt lgkmcnt(0)
	v_mul_f64 v[1:2], v[1:2], v[40:41]
	scratch_store_b64 off, v[1:2], off offset:16
.LBB16_19:
	s_or_b32 exec_lo, exec_lo, s1
	s_waitcnt_vscnt null, 0x0
	s_barrier
	buffer_gl0_inv
	scratch_load_b64 v[1:2], off, off offset:24
	v_add_nc_u32_e32 v40, -1, v0
	s_mov_b32 s0, exec_lo
	s_waitcnt vmcnt(0)
	ds_store_b64 v39, v[1:2]
	s_waitcnt lgkmcnt(0)
	s_barrier
	buffer_gl0_inv
	v_cmpx_gt_u32_e32 3, v0
	s_cbranch_execz .LBB16_23
; %bb.20:
	v_dual_mov_b32 v1, 0 :: v_dual_add_nc_u32 v42, 0x90, v3
	v_dual_mov_b32 v2, 0 :: v_dual_add_nc_u32 v41, -1, v0
	v_add_nc_u32_e32 v43, 0, v3
	s_mov_b32 s1, 0
.LBB16_21:                              ; =>This Inner Loop Header: Depth=1
	scratch_load_b64 v[44:45], v43, off
	ds_load_b64 v[46:47], v42
	v_add_nc_u32_e32 v41, 1, v41
	v_add_nc_u32_e32 v42, 8, v42
	v_add_nc_u32_e32 v43, 8, v43
	s_delay_alu instid0(VALU_DEP_3)
	v_cmp_lt_u32_e32 vcc_lo, 1, v41
	s_or_b32 s1, vcc_lo, s1
	s_waitcnt vmcnt(0) lgkmcnt(0)
	v_fma_f64 v[1:2], v[44:45], v[46:47], v[1:2]
	s_and_not1_b32 exec_lo, exec_lo, s1
	s_cbranch_execnz .LBB16_21
; %bb.22:
	s_or_b32 exec_lo, exec_lo, s1
	v_mov_b32_e32 v41, 0
	ds_load_b64 v[41:42], v41 offset:24
	s_waitcnt lgkmcnt(0)
	v_mul_f64 v[1:2], v[1:2], v[41:42]
	scratch_store_b64 off, v[1:2], off offset:24
.LBB16_23:
	s_or_b32 exec_lo, exec_lo, s0
	s_waitcnt_vscnt null, 0x0
	s_barrier
	buffer_gl0_inv
	scratch_load_b64 v[1:2], off, off offset:32
	s_mov_b32 s0, exec_lo
	s_waitcnt vmcnt(0)
	ds_store_b64 v39, v[1:2]
	s_waitcnt lgkmcnt(0)
	s_barrier
	buffer_gl0_inv
	v_cmpx_gt_u32_e32 4, v0
	s_cbranch_execz .LBB16_27
; %bb.24:
	v_dual_mov_b32 v1, 0 :: v_dual_add_nc_u32 v42, 0x90, v3
	v_dual_mov_b32 v2, 0 :: v_dual_add_nc_u32 v41, -1, v0
	v_add_nc_u32_e32 v43, 0, v3
	s_mov_b32 s1, 0
.LBB16_25:                              ; =>This Inner Loop Header: Depth=1
	scratch_load_b64 v[44:45], v43, off
	ds_load_b64 v[46:47], v42
	v_add_nc_u32_e32 v41, 1, v41
	v_add_nc_u32_e32 v42, 8, v42
	v_add_nc_u32_e32 v43, 8, v43
	s_delay_alu instid0(VALU_DEP_3)
	v_cmp_lt_u32_e32 vcc_lo, 2, v41
	s_or_b32 s1, vcc_lo, s1
	s_waitcnt vmcnt(0) lgkmcnt(0)
	v_fma_f64 v[1:2], v[44:45], v[46:47], v[1:2]
	s_and_not1_b32 exec_lo, exec_lo, s1
	s_cbranch_execnz .LBB16_25
; %bb.26:
	s_or_b32 exec_lo, exec_lo, s1
	v_mov_b32_e32 v41, 0
	ds_load_b64 v[41:42], v41 offset:32
	s_waitcnt lgkmcnt(0)
	v_mul_f64 v[1:2], v[1:2], v[41:42]
	scratch_store_b64 off, v[1:2], off offset:32
.LBB16_27:
	s_or_b32 exec_lo, exec_lo, s0
	s_waitcnt_vscnt null, 0x0
	s_barrier
	buffer_gl0_inv
	scratch_load_b64 v[1:2], off, off offset:40
	s_mov_b32 s0, exec_lo
	s_waitcnt vmcnt(0)
	ds_store_b64 v39, v[1:2]
	s_waitcnt lgkmcnt(0)
	s_barrier
	buffer_gl0_inv
	v_cmpx_gt_u32_e32 5, v0
	s_cbranch_execz .LBB16_31
; %bb.28:
	v_dual_mov_b32 v1, 0 :: v_dual_add_nc_u32 v42, 0x90, v3
	v_dual_mov_b32 v2, 0 :: v_dual_add_nc_u32 v41, -1, v0
	v_add_nc_u32_e32 v43, 0, v3
	s_mov_b32 s1, 0
.LBB16_29:                              ; =>This Inner Loop Header: Depth=1
	scratch_load_b64 v[44:45], v43, off
	ds_load_b64 v[46:47], v42
	v_add_nc_u32_e32 v41, 1, v41
	v_add_nc_u32_e32 v42, 8, v42
	v_add_nc_u32_e32 v43, 8, v43
	s_delay_alu instid0(VALU_DEP_3)
	v_cmp_lt_u32_e32 vcc_lo, 3, v41
	s_or_b32 s1, vcc_lo, s1
	s_waitcnt vmcnt(0) lgkmcnt(0)
	v_fma_f64 v[1:2], v[44:45], v[46:47], v[1:2]
	s_and_not1_b32 exec_lo, exec_lo, s1
	s_cbranch_execnz .LBB16_29
; %bb.30:
	s_or_b32 exec_lo, exec_lo, s1
	v_mov_b32_e32 v41, 0
	ds_load_b64 v[41:42], v41 offset:40
	s_waitcnt lgkmcnt(0)
	v_mul_f64 v[1:2], v[1:2], v[41:42]
	scratch_store_b64 off, v[1:2], off offset:40
.LBB16_31:
	s_or_b32 exec_lo, exec_lo, s0
	s_waitcnt_vscnt null, 0x0
	s_barrier
	buffer_gl0_inv
	scratch_load_b64 v[1:2], off, off offset:48
	s_mov_b32 s0, exec_lo
	s_waitcnt vmcnt(0)
	ds_store_b64 v39, v[1:2]
	s_waitcnt lgkmcnt(0)
	s_barrier
	buffer_gl0_inv
	v_cmpx_gt_u32_e32 6, v0
	s_cbranch_execz .LBB16_35
; %bb.32:
	v_dual_mov_b32 v1, 0 :: v_dual_add_nc_u32 v42, 0x90, v3
	v_dual_mov_b32 v2, 0 :: v_dual_add_nc_u32 v41, -1, v0
	v_add_nc_u32_e32 v43, 0, v3
	s_mov_b32 s1, 0
.LBB16_33:                              ; =>This Inner Loop Header: Depth=1
	scratch_load_b64 v[44:45], v43, off
	ds_load_b64 v[46:47], v42
	v_add_nc_u32_e32 v41, 1, v41
	v_add_nc_u32_e32 v42, 8, v42
	v_add_nc_u32_e32 v43, 8, v43
	s_delay_alu instid0(VALU_DEP_3)
	v_cmp_lt_u32_e32 vcc_lo, 4, v41
	s_or_b32 s1, vcc_lo, s1
	s_waitcnt vmcnt(0) lgkmcnt(0)
	v_fma_f64 v[1:2], v[44:45], v[46:47], v[1:2]
	s_and_not1_b32 exec_lo, exec_lo, s1
	s_cbranch_execnz .LBB16_33
; %bb.34:
	s_or_b32 exec_lo, exec_lo, s1
	v_mov_b32_e32 v41, 0
	ds_load_b64 v[41:42], v41 offset:48
	s_waitcnt lgkmcnt(0)
	v_mul_f64 v[1:2], v[1:2], v[41:42]
	scratch_store_b64 off, v[1:2], off offset:48
.LBB16_35:
	s_or_b32 exec_lo, exec_lo, s0
	s_waitcnt_vscnt null, 0x0
	s_barrier
	buffer_gl0_inv
	scratch_load_b64 v[1:2], off, off offset:56
	s_mov_b32 s0, exec_lo
	s_waitcnt vmcnt(0)
	ds_store_b64 v39, v[1:2]
	s_waitcnt lgkmcnt(0)
	s_barrier
	buffer_gl0_inv
	v_cmpx_gt_u32_e32 7, v0
	s_cbranch_execz .LBB16_39
; %bb.36:
	v_dual_mov_b32 v1, 0 :: v_dual_add_nc_u32 v42, 0x90, v3
	v_dual_mov_b32 v2, 0 :: v_dual_add_nc_u32 v41, -1, v0
	v_add_nc_u32_e32 v43, 0, v3
	s_mov_b32 s1, 0
.LBB16_37:                              ; =>This Inner Loop Header: Depth=1
	scratch_load_b64 v[44:45], v43, off
	ds_load_b64 v[46:47], v42
	v_add_nc_u32_e32 v41, 1, v41
	v_add_nc_u32_e32 v42, 8, v42
	v_add_nc_u32_e32 v43, 8, v43
	s_delay_alu instid0(VALU_DEP_3)
	v_cmp_lt_u32_e32 vcc_lo, 5, v41
	s_or_b32 s1, vcc_lo, s1
	s_waitcnt vmcnt(0) lgkmcnt(0)
	v_fma_f64 v[1:2], v[44:45], v[46:47], v[1:2]
	s_and_not1_b32 exec_lo, exec_lo, s1
	s_cbranch_execnz .LBB16_37
; %bb.38:
	s_or_b32 exec_lo, exec_lo, s1
	v_mov_b32_e32 v41, 0
	ds_load_b64 v[41:42], v41 offset:56
	s_waitcnt lgkmcnt(0)
	v_mul_f64 v[1:2], v[1:2], v[41:42]
	scratch_store_b64 off, v[1:2], off offset:56
.LBB16_39:
	s_or_b32 exec_lo, exec_lo, s0
	s_waitcnt_vscnt null, 0x0
	s_barrier
	buffer_gl0_inv
	scratch_load_b64 v[1:2], off, off offset:64
	s_mov_b32 s0, exec_lo
	s_waitcnt vmcnt(0)
	ds_store_b64 v39, v[1:2]
	s_waitcnt lgkmcnt(0)
	s_barrier
	buffer_gl0_inv
	v_cmpx_gt_u32_e32 8, v0
	s_cbranch_execz .LBB16_43
; %bb.40:
	v_dual_mov_b32 v1, 0 :: v_dual_add_nc_u32 v42, 0x90, v3
	v_dual_mov_b32 v2, 0 :: v_dual_add_nc_u32 v41, -1, v0
	v_add_nc_u32_e32 v43, 0, v3
	s_mov_b32 s1, 0
.LBB16_41:                              ; =>This Inner Loop Header: Depth=1
	scratch_load_b64 v[44:45], v43, off
	ds_load_b64 v[46:47], v42
	v_add_nc_u32_e32 v41, 1, v41
	v_add_nc_u32_e32 v42, 8, v42
	v_add_nc_u32_e32 v43, 8, v43
	s_delay_alu instid0(VALU_DEP_3)
	v_cmp_lt_u32_e32 vcc_lo, 6, v41
	s_or_b32 s1, vcc_lo, s1
	s_waitcnt vmcnt(0) lgkmcnt(0)
	v_fma_f64 v[1:2], v[44:45], v[46:47], v[1:2]
	s_and_not1_b32 exec_lo, exec_lo, s1
	s_cbranch_execnz .LBB16_41
; %bb.42:
	s_or_b32 exec_lo, exec_lo, s1
	v_mov_b32_e32 v41, 0
	ds_load_b64 v[41:42], v41 offset:64
	s_waitcnt lgkmcnt(0)
	v_mul_f64 v[1:2], v[1:2], v[41:42]
	scratch_store_b64 off, v[1:2], off offset:64
.LBB16_43:
	s_or_b32 exec_lo, exec_lo, s0
	s_waitcnt_vscnt null, 0x0
	s_barrier
	buffer_gl0_inv
	scratch_load_b64 v[1:2], off, off offset:72
	s_mov_b32 s0, exec_lo
	s_waitcnt vmcnt(0)
	ds_store_b64 v39, v[1:2]
	s_waitcnt lgkmcnt(0)
	s_barrier
	buffer_gl0_inv
	v_cmpx_gt_u32_e32 9, v0
	s_cbranch_execz .LBB16_47
; %bb.44:
	v_dual_mov_b32 v1, 0 :: v_dual_add_nc_u32 v42, 0x90, v3
	v_dual_mov_b32 v2, 0 :: v_dual_add_nc_u32 v41, -1, v0
	v_add_nc_u32_e32 v43, 0, v3
	s_mov_b32 s1, 0
.LBB16_45:                              ; =>This Inner Loop Header: Depth=1
	scratch_load_b64 v[44:45], v43, off
	ds_load_b64 v[46:47], v42
	v_add_nc_u32_e32 v41, 1, v41
	v_add_nc_u32_e32 v42, 8, v42
	v_add_nc_u32_e32 v43, 8, v43
	s_delay_alu instid0(VALU_DEP_3)
	v_cmp_lt_u32_e32 vcc_lo, 7, v41
	s_or_b32 s1, vcc_lo, s1
	s_waitcnt vmcnt(0) lgkmcnt(0)
	v_fma_f64 v[1:2], v[44:45], v[46:47], v[1:2]
	s_and_not1_b32 exec_lo, exec_lo, s1
	s_cbranch_execnz .LBB16_45
; %bb.46:
	s_or_b32 exec_lo, exec_lo, s1
	v_mov_b32_e32 v41, 0
	ds_load_b64 v[41:42], v41 offset:72
	s_waitcnt lgkmcnt(0)
	v_mul_f64 v[1:2], v[1:2], v[41:42]
	scratch_store_b64 off, v[1:2], off offset:72
.LBB16_47:
	s_or_b32 exec_lo, exec_lo, s0
	s_waitcnt_vscnt null, 0x0
	s_barrier
	buffer_gl0_inv
	scratch_load_b64 v[1:2], off, off offset:80
	s_mov_b32 s0, exec_lo
	s_waitcnt vmcnt(0)
	ds_store_b64 v39, v[1:2]
	s_waitcnt lgkmcnt(0)
	s_barrier
	buffer_gl0_inv
	v_cmpx_gt_u32_e32 10, v0
	s_cbranch_execz .LBB16_51
; %bb.48:
	v_dual_mov_b32 v1, 0 :: v_dual_add_nc_u32 v42, 0x90, v3
	v_dual_mov_b32 v2, 0 :: v_dual_add_nc_u32 v41, -1, v0
	v_add_nc_u32_e32 v43, 0, v3
	s_mov_b32 s1, 0
.LBB16_49:                              ; =>This Inner Loop Header: Depth=1
	scratch_load_b64 v[44:45], v43, off
	ds_load_b64 v[46:47], v42
	v_add_nc_u32_e32 v41, 1, v41
	v_add_nc_u32_e32 v42, 8, v42
	v_add_nc_u32_e32 v43, 8, v43
	s_delay_alu instid0(VALU_DEP_3)
	v_cmp_lt_u32_e32 vcc_lo, 8, v41
	s_or_b32 s1, vcc_lo, s1
	s_waitcnt vmcnt(0) lgkmcnt(0)
	v_fma_f64 v[1:2], v[44:45], v[46:47], v[1:2]
	s_and_not1_b32 exec_lo, exec_lo, s1
	s_cbranch_execnz .LBB16_49
; %bb.50:
	s_or_b32 exec_lo, exec_lo, s1
	v_mov_b32_e32 v41, 0
	ds_load_b64 v[41:42], v41 offset:80
	s_waitcnt lgkmcnt(0)
	v_mul_f64 v[1:2], v[1:2], v[41:42]
	scratch_store_b64 off, v[1:2], off offset:80
.LBB16_51:
	s_or_b32 exec_lo, exec_lo, s0
	s_waitcnt_vscnt null, 0x0
	s_barrier
	buffer_gl0_inv
	scratch_load_b64 v[1:2], off, off offset:88
	s_mov_b32 s0, exec_lo
	s_waitcnt vmcnt(0)
	ds_store_b64 v39, v[1:2]
	s_waitcnt lgkmcnt(0)
	s_barrier
	buffer_gl0_inv
	v_cmpx_gt_u32_e32 11, v0
	s_cbranch_execz .LBB16_55
; %bb.52:
	v_dual_mov_b32 v1, 0 :: v_dual_add_nc_u32 v42, 0x90, v3
	v_dual_mov_b32 v2, 0 :: v_dual_add_nc_u32 v41, -1, v0
	v_add_nc_u32_e32 v43, 0, v3
	s_mov_b32 s1, 0
.LBB16_53:                              ; =>This Inner Loop Header: Depth=1
	scratch_load_b64 v[44:45], v43, off
	ds_load_b64 v[46:47], v42
	v_add_nc_u32_e32 v41, 1, v41
	v_add_nc_u32_e32 v42, 8, v42
	v_add_nc_u32_e32 v43, 8, v43
	s_delay_alu instid0(VALU_DEP_3)
	v_cmp_lt_u32_e32 vcc_lo, 9, v41
	s_or_b32 s1, vcc_lo, s1
	s_waitcnt vmcnt(0) lgkmcnt(0)
	v_fma_f64 v[1:2], v[44:45], v[46:47], v[1:2]
	s_and_not1_b32 exec_lo, exec_lo, s1
	s_cbranch_execnz .LBB16_53
; %bb.54:
	s_or_b32 exec_lo, exec_lo, s1
	v_mov_b32_e32 v41, 0
	ds_load_b64 v[41:42], v41 offset:88
	s_waitcnt lgkmcnt(0)
	v_mul_f64 v[1:2], v[1:2], v[41:42]
	scratch_store_b64 off, v[1:2], off offset:88
.LBB16_55:
	s_or_b32 exec_lo, exec_lo, s0
	s_waitcnt_vscnt null, 0x0
	s_barrier
	buffer_gl0_inv
	scratch_load_b64 v[1:2], off, off offset:96
	s_mov_b32 s0, exec_lo
	s_waitcnt vmcnt(0)
	ds_store_b64 v39, v[1:2]
	s_waitcnt lgkmcnt(0)
	s_barrier
	buffer_gl0_inv
	v_cmpx_gt_u32_e32 12, v0
	s_cbranch_execz .LBB16_59
; %bb.56:
	v_dual_mov_b32 v1, 0 :: v_dual_add_nc_u32 v42, 0x90, v3
	v_dual_mov_b32 v2, 0 :: v_dual_add_nc_u32 v41, -1, v0
	v_add_nc_u32_e32 v43, 0, v3
	s_mov_b32 s1, 0
.LBB16_57:                              ; =>This Inner Loop Header: Depth=1
	scratch_load_b64 v[44:45], v43, off
	ds_load_b64 v[46:47], v42
	v_add_nc_u32_e32 v41, 1, v41
	v_add_nc_u32_e32 v42, 8, v42
	v_add_nc_u32_e32 v43, 8, v43
	s_delay_alu instid0(VALU_DEP_3)
	v_cmp_lt_u32_e32 vcc_lo, 10, v41
	s_or_b32 s1, vcc_lo, s1
	s_waitcnt vmcnt(0) lgkmcnt(0)
	v_fma_f64 v[1:2], v[44:45], v[46:47], v[1:2]
	s_and_not1_b32 exec_lo, exec_lo, s1
	s_cbranch_execnz .LBB16_57
; %bb.58:
	s_or_b32 exec_lo, exec_lo, s1
	v_mov_b32_e32 v41, 0
	ds_load_b64 v[41:42], v41 offset:96
	s_waitcnt lgkmcnt(0)
	v_mul_f64 v[1:2], v[1:2], v[41:42]
	scratch_store_b64 off, v[1:2], off offset:96
.LBB16_59:
	s_or_b32 exec_lo, exec_lo, s0
	s_waitcnt_vscnt null, 0x0
	s_barrier
	buffer_gl0_inv
	scratch_load_b64 v[1:2], off, off offset:104
	s_mov_b32 s0, exec_lo
	s_waitcnt vmcnt(0)
	ds_store_b64 v39, v[1:2]
	s_waitcnt lgkmcnt(0)
	s_barrier
	buffer_gl0_inv
	v_cmpx_gt_u32_e32 13, v0
	s_cbranch_execz .LBB16_63
; %bb.60:
	v_dual_mov_b32 v1, 0 :: v_dual_add_nc_u32 v42, 0x90, v3
	v_dual_mov_b32 v2, 0 :: v_dual_add_nc_u32 v41, -1, v0
	v_add_nc_u32_e32 v43, 0, v3
	s_mov_b32 s1, 0
.LBB16_61:                              ; =>This Inner Loop Header: Depth=1
	scratch_load_b64 v[44:45], v43, off
	ds_load_b64 v[46:47], v42
	v_add_nc_u32_e32 v41, 1, v41
	v_add_nc_u32_e32 v42, 8, v42
	v_add_nc_u32_e32 v43, 8, v43
	s_delay_alu instid0(VALU_DEP_3)
	v_cmp_lt_u32_e32 vcc_lo, 11, v41
	s_or_b32 s1, vcc_lo, s1
	s_waitcnt vmcnt(0) lgkmcnt(0)
	v_fma_f64 v[1:2], v[44:45], v[46:47], v[1:2]
	s_and_not1_b32 exec_lo, exec_lo, s1
	s_cbranch_execnz .LBB16_61
; %bb.62:
	s_or_b32 exec_lo, exec_lo, s1
	v_mov_b32_e32 v41, 0
	ds_load_b64 v[41:42], v41 offset:104
	s_waitcnt lgkmcnt(0)
	v_mul_f64 v[1:2], v[1:2], v[41:42]
	scratch_store_b64 off, v[1:2], off offset:104
.LBB16_63:
	s_or_b32 exec_lo, exec_lo, s0
	s_waitcnt_vscnt null, 0x0
	s_barrier
	buffer_gl0_inv
	scratch_load_b64 v[1:2], off, off offset:112
	s_mov_b32 s0, exec_lo
	s_waitcnt vmcnt(0)
	ds_store_b64 v39, v[1:2]
	s_waitcnt lgkmcnt(0)
	s_barrier
	buffer_gl0_inv
	v_cmpx_gt_u32_e32 14, v0
	s_cbranch_execz .LBB16_67
; %bb.64:
	v_dual_mov_b32 v1, 0 :: v_dual_add_nc_u32 v42, 0x90, v3
	v_dual_mov_b32 v2, 0 :: v_dual_add_nc_u32 v41, -1, v0
	v_add_nc_u32_e32 v43, 0, v3
	s_mov_b32 s1, 0
.LBB16_65:                              ; =>This Inner Loop Header: Depth=1
	scratch_load_b64 v[44:45], v43, off
	ds_load_b64 v[46:47], v42
	v_add_nc_u32_e32 v41, 1, v41
	v_add_nc_u32_e32 v42, 8, v42
	v_add_nc_u32_e32 v43, 8, v43
	s_delay_alu instid0(VALU_DEP_3)
	v_cmp_lt_u32_e32 vcc_lo, 12, v41
	s_or_b32 s1, vcc_lo, s1
	s_waitcnt vmcnt(0) lgkmcnt(0)
	v_fma_f64 v[1:2], v[44:45], v[46:47], v[1:2]
	s_and_not1_b32 exec_lo, exec_lo, s1
	s_cbranch_execnz .LBB16_65
; %bb.66:
	s_or_b32 exec_lo, exec_lo, s1
	v_mov_b32_e32 v41, 0
	ds_load_b64 v[41:42], v41 offset:112
	s_waitcnt lgkmcnt(0)
	v_mul_f64 v[1:2], v[1:2], v[41:42]
	scratch_store_b64 off, v[1:2], off offset:112
.LBB16_67:
	s_or_b32 exec_lo, exec_lo, s0
	s_waitcnt_vscnt null, 0x0
	s_barrier
	buffer_gl0_inv
	scratch_load_b64 v[1:2], off, off offset:120
	s_mov_b32 s0, exec_lo
	s_waitcnt vmcnt(0)
	ds_store_b64 v39, v[1:2]
	s_waitcnt lgkmcnt(0)
	s_barrier
	buffer_gl0_inv
	v_cmpx_gt_u32_e32 15, v0
	s_cbranch_execz .LBB16_71
; %bb.68:
	v_dual_mov_b32 v1, 0 :: v_dual_add_nc_u32 v42, 0x90, v3
	v_dual_mov_b32 v2, 0 :: v_dual_add_nc_u32 v41, -1, v0
	v_add_nc_u32_e32 v3, 0, v3
	s_mov_b32 s1, 0
.LBB16_69:                              ; =>This Inner Loop Header: Depth=1
	scratch_load_b64 v[43:44], v3, off
	ds_load_b64 v[45:46], v42
	v_add_nc_u32_e32 v41, 1, v41
	v_add_nc_u32_e32 v42, 8, v42
	v_add_nc_u32_e32 v3, 8, v3
	s_delay_alu instid0(VALU_DEP_3)
	v_cmp_lt_u32_e32 vcc_lo, 13, v41
	s_or_b32 s1, vcc_lo, s1
	s_waitcnt vmcnt(0) lgkmcnt(0)
	v_fma_f64 v[1:2], v[43:44], v[45:46], v[1:2]
	s_and_not1_b32 exec_lo, exec_lo, s1
	s_cbranch_execnz .LBB16_69
; %bb.70:
	s_or_b32 exec_lo, exec_lo, s1
	v_mov_b32_e32 v3, 0
	ds_load_b64 v[41:42], v3 offset:120
	s_waitcnt lgkmcnt(0)
	v_mul_f64 v[1:2], v[1:2], v[41:42]
	scratch_store_b64 off, v[1:2], off offset:120
.LBB16_71:
	s_or_b32 exec_lo, exec_lo, s0
	s_waitcnt_vscnt null, 0x0
	s_barrier
	buffer_gl0_inv
	scratch_load_b64 v[1:2], off, off offset:128
	s_mov_b32 s0, exec_lo
	s_waitcnt vmcnt(0)
	ds_store_b64 v39, v[1:2]
	s_waitcnt lgkmcnt(0)
	s_barrier
	buffer_gl0_inv
	v_cmpx_ne_u32_e32 16, v0
	s_cbranch_execz .LBB16_75
; %bb.72:
	v_mov_b32_e32 v1, 0
	v_mov_b32_e32 v2, 0
	s_mov_b32 s1, 0
.LBB16_73:                              ; =>This Inner Loop Header: Depth=1
	scratch_load_b64 v[41:42], v38, off
	ds_load_b64 v[43:44], v39
	v_add_nc_u32_e32 v40, 1, v40
	v_add_nc_u32_e32 v39, 8, v39
	;; [unrolled: 1-line block ×3, first 2 shown]
	s_delay_alu instid0(VALU_DEP_3)
	v_cmp_lt_u32_e32 vcc_lo, 14, v40
	s_or_b32 s1, vcc_lo, s1
	s_waitcnt vmcnt(0) lgkmcnt(0)
	v_fma_f64 v[1:2], v[41:42], v[43:44], v[1:2]
	s_and_not1_b32 exec_lo, exec_lo, s1
	s_cbranch_execnz .LBB16_73
; %bb.74:
	s_or_b32 exec_lo, exec_lo, s1
	v_mov_b32_e32 v3, 0
	ds_load_b64 v[38:39], v3 offset:128
	s_waitcnt lgkmcnt(0)
	v_mul_f64 v[1:2], v[1:2], v[38:39]
	scratch_store_b64 off, v[1:2], off offset:128
.LBB16_75:
	s_or_b32 exec_lo, exec_lo, s0
	s_mov_b32 s1, -1
	s_waitcnt_vscnt null, 0x0
	s_barrier
	buffer_gl0_inv
.LBB16_76:
	s_and_b32 vcc_lo, exec_lo, s1
	s_cbranch_vccz .LBB16_78
; %bb.77:
	s_lshl_b64 s[0:1], s[14:15], 2
	v_mov_b32_e32 v1, 0
	s_add_u32 s0, s6, s0
	s_addc_u32 s1, s7, s1
	global_load_b32 v1, v1, s[0:1]
	s_waitcnt vmcnt(0)
	v_cmp_ne_u32_e32 vcc_lo, 0, v1
	s_cbranch_vccz .LBB16_79
.LBB16_78:
	s_endpgm
.LBB16_79:
	v_lshl_add_u32 v3, v0, 3, 0x90
	s_mov_b32 s0, exec_lo
	v_cmpx_eq_u32_e32 16, v0
	s_cbranch_execz .LBB16_81
; %bb.80:
	scratch_load_b64 v[1:2], off, off offset:120
	v_mov_b32_e32 v38, 0
	s_delay_alu instid0(VALU_DEP_1)
	v_mov_b32_e32 v39, v38
	scratch_store_b64 off, v[38:39], off offset:120
	s_waitcnt vmcnt(0)
	ds_store_b64 v3, v[1:2]
.LBB16_81:
	s_or_b32 exec_lo, exec_lo, s0
	s_waitcnt lgkmcnt(0)
	s_waitcnt_vscnt null, 0x0
	s_barrier
	buffer_gl0_inv
	scratch_load_b128 v[38:41], off, off offset:120
	v_mov_b32_e32 v1, 0
	s_mov_b32 s0, exec_lo
	ds_load_b64 v[42:43], v1 offset:272
	s_waitcnt vmcnt(0) lgkmcnt(0)
	v_fma_f64 v[40:41], v[40:41], v[42:43], 0
	s_delay_alu instid0(VALU_DEP_1)
	v_add_f64 v[38:39], v[38:39], -v[40:41]
	scratch_store_b64 off, v[38:39], off offset:120
	v_cmpx_lt_u32_e32 14, v0
	s_cbranch_execz .LBB16_83
; %bb.82:
	scratch_load_b64 v[38:39], off, off offset:112
	v_mov_b32_e32 v2, v1
	scratch_store_b64 off, v[1:2], off offset:112
	s_waitcnt vmcnt(0)
	ds_store_b64 v3, v[38:39]
.LBB16_83:
	s_or_b32 exec_lo, exec_lo, s0
	s_waitcnt lgkmcnt(0)
	s_waitcnt_vscnt null, 0x0
	s_barrier
	buffer_gl0_inv
	s_clause 0x1
	scratch_load_b128 v[38:41], off, off offset:112
	scratch_load_b64 v[46:47], off, off offset:128
	ds_load_2addr_b64 v[42:45], v1 offset0:33 offset1:34
	s_mov_b32 s0, exec_lo
	s_waitcnt vmcnt(1) lgkmcnt(0)
	v_fma_f64 v[1:2], v[40:41], v[42:43], 0
	s_waitcnt vmcnt(0)
	s_delay_alu instid0(VALU_DEP_1) | instskip(NEXT) | instid1(VALU_DEP_1)
	v_fma_f64 v[1:2], v[46:47], v[44:45], v[1:2]
	v_add_f64 v[1:2], v[38:39], -v[1:2]
	scratch_store_b64 off, v[1:2], off offset:112
	v_cmpx_lt_u32_e32 13, v0
	s_cbranch_execz .LBB16_85
; %bb.84:
	scratch_load_b64 v[1:2], off, off offset:104
	v_mov_b32_e32 v38, 0
	s_delay_alu instid0(VALU_DEP_1)
	v_mov_b32_e32 v39, v38
	scratch_store_b64 off, v[38:39], off offset:104
	s_waitcnt vmcnt(0)
	ds_store_b64 v3, v[1:2]
.LBB16_85:
	s_or_b32 exec_lo, exec_lo, s0
	s_waitcnt lgkmcnt(0)
	s_waitcnt_vscnt null, 0x0
	s_barrier
	buffer_gl0_inv
	s_clause 0x1
	scratch_load_b128 v[38:41], off, off offset:104
	scratch_load_b128 v[42:45], off, off offset:120
	v_mov_b32_e32 v1, 0
	ds_load_b128 v[46:49], v1 offset:256
	ds_load_b64 v[50:51], v1 offset:272
	s_mov_b32 s0, exec_lo
	s_waitcnt vmcnt(1) lgkmcnt(1)
	v_fma_f64 v[40:41], v[40:41], v[46:47], 0
	s_waitcnt vmcnt(0)
	s_delay_alu instid0(VALU_DEP_1) | instskip(SKIP_1) | instid1(VALU_DEP_1)
	v_fma_f64 v[40:41], v[42:43], v[48:49], v[40:41]
	s_waitcnt lgkmcnt(0)
	v_fma_f64 v[40:41], v[44:45], v[50:51], v[40:41]
	s_delay_alu instid0(VALU_DEP_1)
	v_add_f64 v[38:39], v[38:39], -v[40:41]
	scratch_store_b64 off, v[38:39], off offset:104
	v_cmpx_lt_u32_e32 12, v0
	s_cbranch_execz .LBB16_87
; %bb.86:
	scratch_load_b64 v[38:39], off, off offset:96
	v_mov_b32_e32 v2, v1
	scratch_store_b64 off, v[1:2], off offset:96
	s_waitcnt vmcnt(0)
	ds_store_b64 v3, v[38:39]
.LBB16_87:
	s_or_b32 exec_lo, exec_lo, s0
	s_waitcnt lgkmcnt(0)
	s_waitcnt_vscnt null, 0x0
	s_barrier
	buffer_gl0_inv
	s_clause 0x2
	scratch_load_b128 v[38:41], off, off offset:96
	scratch_load_b128 v[42:45], off, off offset:112
	scratch_load_b64 v[54:55], off, off offset:128
	ds_load_2addr_b64 v[46:49], v1 offset0:31 offset1:32
	ds_load_2addr_b64 v[50:53], v1 offset0:33 offset1:34
	s_mov_b32 s0, exec_lo
	s_waitcnt vmcnt(2) lgkmcnt(1)
	v_fma_f64 v[1:2], v[40:41], v[46:47], 0
	s_waitcnt vmcnt(1)
	s_delay_alu instid0(VALU_DEP_1) | instskip(SKIP_1) | instid1(VALU_DEP_1)
	v_fma_f64 v[1:2], v[42:43], v[48:49], v[1:2]
	s_waitcnt lgkmcnt(0)
	v_fma_f64 v[1:2], v[44:45], v[50:51], v[1:2]
	s_waitcnt vmcnt(0)
	s_delay_alu instid0(VALU_DEP_1) | instskip(NEXT) | instid1(VALU_DEP_1)
	v_fma_f64 v[1:2], v[54:55], v[52:53], v[1:2]
	v_add_f64 v[1:2], v[38:39], -v[1:2]
	scratch_store_b64 off, v[1:2], off offset:96
	v_cmpx_lt_u32_e32 11, v0
	s_cbranch_execz .LBB16_89
; %bb.88:
	scratch_load_b64 v[1:2], off, off offset:88
	v_mov_b32_e32 v38, 0
	s_delay_alu instid0(VALU_DEP_1)
	v_mov_b32_e32 v39, v38
	scratch_store_b64 off, v[38:39], off offset:88
	s_waitcnt vmcnt(0)
	ds_store_b64 v3, v[1:2]
.LBB16_89:
	s_or_b32 exec_lo, exec_lo, s0
	s_waitcnt lgkmcnt(0)
	s_waitcnt_vscnt null, 0x0
	s_barrier
	buffer_gl0_inv
	s_clause 0x2
	scratch_load_b128 v[38:41], off, off offset:88
	scratch_load_b128 v[42:45], off, off offset:104
	;; [unrolled: 1-line block ×3, first 2 shown]
	v_mov_b32_e32 v1, 0
	ds_load_b128 v[50:53], v1 offset:240
	ds_load_b128 v[54:57], v1 offset:256
	s_mov_b32 s0, exec_lo
	s_waitcnt vmcnt(2) lgkmcnt(1)
	v_fma_f64 v[40:41], v[40:41], v[50:51], 0
	s_waitcnt vmcnt(1)
	s_delay_alu instid0(VALU_DEP_1) | instskip(SKIP_4) | instid1(VALU_DEP_1)
	v_fma_f64 v[40:41], v[42:43], v[52:53], v[40:41]
	ds_load_b64 v[42:43], v1 offset:272
	s_waitcnt lgkmcnt(1)
	v_fma_f64 v[40:41], v[44:45], v[54:55], v[40:41]
	s_waitcnt vmcnt(0)
	v_fma_f64 v[40:41], v[46:47], v[56:57], v[40:41]
	s_waitcnt lgkmcnt(0)
	s_delay_alu instid0(VALU_DEP_1) | instskip(NEXT) | instid1(VALU_DEP_1)
	v_fma_f64 v[40:41], v[48:49], v[42:43], v[40:41]
	v_add_f64 v[38:39], v[38:39], -v[40:41]
	scratch_store_b64 off, v[38:39], off offset:88
	v_cmpx_lt_u32_e32 10, v0
	s_cbranch_execz .LBB16_91
; %bb.90:
	scratch_load_b64 v[38:39], off, off offset:80
	v_mov_b32_e32 v2, v1
	scratch_store_b64 off, v[1:2], off offset:80
	s_waitcnt vmcnt(0)
	ds_store_b64 v3, v[38:39]
.LBB16_91:
	s_or_b32 exec_lo, exec_lo, s0
	s_waitcnt lgkmcnt(0)
	s_waitcnt_vscnt null, 0x0
	s_barrier
	buffer_gl0_inv
	s_clause 0x3
	scratch_load_b128 v[38:41], off, off offset:80
	scratch_load_b128 v[42:45], off, off offset:96
	;; [unrolled: 1-line block ×3, first 2 shown]
	scratch_load_b64 v[58:59], off, off offset:128
	ds_load_2addr_b64 v[50:53], v1 offset0:29 offset1:30
	ds_load_2addr_b64 v[54:57], v1 offset0:31 offset1:32
	s_mov_b32 s0, exec_lo
	s_waitcnt vmcnt(3) lgkmcnt(1)
	v_fma_f64 v[40:41], v[40:41], v[50:51], 0
	s_waitcnt vmcnt(2)
	s_delay_alu instid0(VALU_DEP_1) | instskip(SKIP_1) | instid1(VALU_DEP_1)
	v_fma_f64 v[40:41], v[42:43], v[52:53], v[40:41]
	s_waitcnt lgkmcnt(0)
	v_fma_f64 v[40:41], v[44:45], v[54:55], v[40:41]
	s_waitcnt vmcnt(1)
	s_delay_alu instid0(VALU_DEP_1) | instskip(SKIP_4) | instid1(VALU_DEP_1)
	v_fma_f64 v[44:45], v[46:47], v[56:57], v[40:41]
	ds_load_2addr_b64 v[40:43], v1 offset0:33 offset1:34
	s_waitcnt lgkmcnt(0)
	v_fma_f64 v[1:2], v[48:49], v[40:41], v[44:45]
	s_waitcnt vmcnt(0)
	v_fma_f64 v[1:2], v[58:59], v[42:43], v[1:2]
	s_delay_alu instid0(VALU_DEP_1)
	v_add_f64 v[1:2], v[38:39], -v[1:2]
	scratch_store_b64 off, v[1:2], off offset:80
	v_cmpx_lt_u32_e32 9, v0
	s_cbranch_execz .LBB16_93
; %bb.92:
	scratch_load_b64 v[1:2], off, off offset:72
	v_mov_b32_e32 v38, 0
	s_delay_alu instid0(VALU_DEP_1)
	v_mov_b32_e32 v39, v38
	scratch_store_b64 off, v[38:39], off offset:72
	s_waitcnt vmcnt(0)
	ds_store_b64 v3, v[1:2]
.LBB16_93:
	s_or_b32 exec_lo, exec_lo, s0
	s_waitcnt lgkmcnt(0)
	s_waitcnt_vscnt null, 0x0
	s_barrier
	buffer_gl0_inv
	s_clause 0x3
	scratch_load_b128 v[38:41], off, off offset:72
	scratch_load_b128 v[42:45], off, off offset:88
	;; [unrolled: 1-line block ×4, first 2 shown]
	v_mov_b32_e32 v1, 0
	ds_load_b128 v[54:57], v1 offset:224
	ds_load_b128 v[58:61], v1 offset:240
	s_mov_b32 s0, exec_lo
	s_waitcnt vmcnt(3) lgkmcnt(1)
	v_fma_f64 v[40:41], v[40:41], v[54:55], 0
	s_waitcnt vmcnt(2)
	s_delay_alu instid0(VALU_DEP_1) | instskip(SKIP_1) | instid1(VALU_DEP_1)
	v_fma_f64 v[40:41], v[42:43], v[56:57], v[40:41]
	s_waitcnt lgkmcnt(0)
	v_fma_f64 v[40:41], v[44:45], v[58:59], v[40:41]
	s_waitcnt vmcnt(1)
	s_delay_alu instid0(VALU_DEP_1)
	v_fma_f64 v[44:45], v[46:47], v[60:61], v[40:41]
	ds_load_b128 v[40:43], v1 offset:256
	ds_load_b64 v[46:47], v1 offset:272
	s_waitcnt lgkmcnt(1)
	v_fma_f64 v[40:41], v[48:49], v[40:41], v[44:45]
	s_waitcnt vmcnt(0)
	s_delay_alu instid0(VALU_DEP_1) | instskip(SKIP_1) | instid1(VALU_DEP_1)
	v_fma_f64 v[40:41], v[50:51], v[42:43], v[40:41]
	s_waitcnt lgkmcnt(0)
	v_fma_f64 v[40:41], v[52:53], v[46:47], v[40:41]
	s_delay_alu instid0(VALU_DEP_1)
	v_add_f64 v[38:39], v[38:39], -v[40:41]
	scratch_store_b64 off, v[38:39], off offset:72
	v_cmpx_lt_u32_e32 8, v0
	s_cbranch_execz .LBB16_95
; %bb.94:
	scratch_load_b64 v[38:39], off, off offset:64
	v_mov_b32_e32 v2, v1
	scratch_store_b64 off, v[1:2], off offset:64
	s_waitcnt vmcnt(0)
	ds_store_b64 v3, v[38:39]
.LBB16_95:
	s_or_b32 exec_lo, exec_lo, s0
	s_waitcnt lgkmcnt(0)
	s_waitcnt_vscnt null, 0x0
	s_barrier
	buffer_gl0_inv
	s_clause 0x4
	scratch_load_b128 v[38:41], off, off offset:64
	scratch_load_b128 v[42:45], off, off offset:80
	;; [unrolled: 1-line block ×4, first 2 shown]
	scratch_load_b64 v[62:63], off, off offset:128
	ds_load_2addr_b64 v[54:57], v1 offset0:27 offset1:28
	ds_load_2addr_b64 v[58:61], v1 offset0:29 offset1:30
	s_mov_b32 s0, exec_lo
	s_waitcnt vmcnt(4) lgkmcnt(1)
	v_fma_f64 v[40:41], v[40:41], v[54:55], 0
	s_waitcnt vmcnt(3)
	s_delay_alu instid0(VALU_DEP_1) | instskip(SKIP_1) | instid1(VALU_DEP_1)
	v_fma_f64 v[40:41], v[42:43], v[56:57], v[40:41]
	s_waitcnt lgkmcnt(0)
	v_fma_f64 v[40:41], v[44:45], v[58:59], v[40:41]
	s_waitcnt vmcnt(2)
	s_delay_alu instid0(VALU_DEP_1)
	v_fma_f64 v[54:55], v[46:47], v[60:61], v[40:41]
	ds_load_2addr_b64 v[40:43], v1 offset0:31 offset1:32
	ds_load_2addr_b64 v[44:47], v1 offset0:33 offset1:34
	s_waitcnt lgkmcnt(1)
	v_fma_f64 v[1:2], v[48:49], v[40:41], v[54:55]
	s_waitcnt vmcnt(1)
	s_delay_alu instid0(VALU_DEP_1) | instskip(SKIP_1) | instid1(VALU_DEP_1)
	v_fma_f64 v[1:2], v[50:51], v[42:43], v[1:2]
	s_waitcnt lgkmcnt(0)
	v_fma_f64 v[1:2], v[52:53], v[44:45], v[1:2]
	s_waitcnt vmcnt(0)
	s_delay_alu instid0(VALU_DEP_1) | instskip(NEXT) | instid1(VALU_DEP_1)
	v_fma_f64 v[1:2], v[62:63], v[46:47], v[1:2]
	v_add_f64 v[1:2], v[38:39], -v[1:2]
	scratch_store_b64 off, v[1:2], off offset:64
	v_cmpx_lt_u32_e32 7, v0
	s_cbranch_execz .LBB16_97
; %bb.96:
	scratch_load_b64 v[1:2], off, off offset:56
	v_mov_b32_e32 v38, 0
	s_delay_alu instid0(VALU_DEP_1)
	v_mov_b32_e32 v39, v38
	scratch_store_b64 off, v[38:39], off offset:56
	s_waitcnt vmcnt(0)
	ds_store_b64 v3, v[1:2]
.LBB16_97:
	s_or_b32 exec_lo, exec_lo, s0
	s_waitcnt lgkmcnt(0)
	s_waitcnt_vscnt null, 0x0
	s_barrier
	buffer_gl0_inv
	s_clause 0x4
	scratch_load_b128 v[38:41], off, off offset:56
	scratch_load_b128 v[42:45], off, off offset:72
	;; [unrolled: 1-line block ×5, first 2 shown]
	v_mov_b32_e32 v1, 0
	ds_load_b128 v[58:61], v1 offset:208
	ds_load_b128 v[62:65], v1 offset:224
	s_mov_b32 s0, exec_lo
	s_waitcnt vmcnt(4) lgkmcnt(1)
	v_fma_f64 v[40:41], v[40:41], v[58:59], 0
	s_waitcnt vmcnt(3)
	s_delay_alu instid0(VALU_DEP_1) | instskip(SKIP_1) | instid1(VALU_DEP_1)
	v_fma_f64 v[40:41], v[42:43], v[60:61], v[40:41]
	s_waitcnt lgkmcnt(0)
	v_fma_f64 v[40:41], v[44:45], v[62:63], v[40:41]
	s_waitcnt vmcnt(2)
	s_delay_alu instid0(VALU_DEP_1)
	v_fma_f64 v[58:59], v[46:47], v[64:65], v[40:41]
	ds_load_b128 v[40:43], v1 offset:240
	ds_load_b128 v[44:47], v1 offset:256
	s_waitcnt lgkmcnt(1)
	v_fma_f64 v[40:41], v[48:49], v[40:41], v[58:59]
	s_waitcnt vmcnt(1)
	s_delay_alu instid0(VALU_DEP_1) | instskip(SKIP_4) | instid1(VALU_DEP_1)
	v_fma_f64 v[40:41], v[50:51], v[42:43], v[40:41]
	ds_load_b64 v[42:43], v1 offset:272
	s_waitcnt lgkmcnt(1)
	v_fma_f64 v[40:41], v[52:53], v[44:45], v[40:41]
	s_waitcnt vmcnt(0)
	v_fma_f64 v[40:41], v[54:55], v[46:47], v[40:41]
	s_waitcnt lgkmcnt(0)
	s_delay_alu instid0(VALU_DEP_1) | instskip(NEXT) | instid1(VALU_DEP_1)
	v_fma_f64 v[40:41], v[56:57], v[42:43], v[40:41]
	v_add_f64 v[38:39], v[38:39], -v[40:41]
	scratch_store_b64 off, v[38:39], off offset:56
	v_cmpx_lt_u32_e32 6, v0
	s_cbranch_execz .LBB16_99
; %bb.98:
	scratch_load_b64 v[38:39], off, off offset:48
	v_mov_b32_e32 v2, v1
	scratch_store_b64 off, v[1:2], off offset:48
	s_waitcnt vmcnt(0)
	ds_store_b64 v3, v[38:39]
.LBB16_99:
	s_or_b32 exec_lo, exec_lo, s0
	s_waitcnt lgkmcnt(0)
	s_waitcnt_vscnt null, 0x0
	s_barrier
	buffer_gl0_inv
	s_clause 0x4
	scratch_load_b128 v[38:41], off, off offset:48
	scratch_load_b128 v[42:45], off, off offset:64
	;; [unrolled: 1-line block ×5, first 2 shown]
	ds_load_2addr_b64 v[58:61], v1 offset0:25 offset1:26
	ds_load_2addr_b64 v[62:65], v1 offset0:27 offset1:28
	s_mov_b32 s0, exec_lo
	s_waitcnt vmcnt(4) lgkmcnt(1)
	v_fma_f64 v[40:41], v[40:41], v[58:59], 0
	scratch_load_b64 v[58:59], off, off offset:128
	s_waitcnt vmcnt(4)
	v_fma_f64 v[40:41], v[42:43], v[60:61], v[40:41]
	s_waitcnt lgkmcnt(0)
	s_delay_alu instid0(VALU_DEP_1) | instskip(SKIP_1) | instid1(VALU_DEP_1)
	v_fma_f64 v[40:41], v[44:45], v[62:63], v[40:41]
	s_waitcnt vmcnt(3)
	v_fma_f64 v[60:61], v[46:47], v[64:65], v[40:41]
	ds_load_2addr_b64 v[40:43], v1 offset0:29 offset1:30
	ds_load_2addr_b64 v[44:47], v1 offset0:31 offset1:32
	s_waitcnt lgkmcnt(1)
	v_fma_f64 v[40:41], v[48:49], v[40:41], v[60:61]
	s_waitcnt vmcnt(2)
	s_delay_alu instid0(VALU_DEP_1) | instskip(SKIP_1) | instid1(VALU_DEP_1)
	v_fma_f64 v[40:41], v[50:51], v[42:43], v[40:41]
	s_waitcnt lgkmcnt(0)
	v_fma_f64 v[40:41], v[52:53], v[44:45], v[40:41]
	s_waitcnt vmcnt(1)
	s_delay_alu instid0(VALU_DEP_1) | instskip(SKIP_4) | instid1(VALU_DEP_1)
	v_fma_f64 v[44:45], v[54:55], v[46:47], v[40:41]
	ds_load_2addr_b64 v[40:43], v1 offset0:33 offset1:34
	s_waitcnt lgkmcnt(0)
	v_fma_f64 v[1:2], v[56:57], v[40:41], v[44:45]
	s_waitcnt vmcnt(0)
	v_fma_f64 v[1:2], v[58:59], v[42:43], v[1:2]
	s_delay_alu instid0(VALU_DEP_1)
	v_add_f64 v[1:2], v[38:39], -v[1:2]
	scratch_store_b64 off, v[1:2], off offset:48
	v_cmpx_lt_u32_e32 5, v0
	s_cbranch_execz .LBB16_101
; %bb.100:
	scratch_load_b64 v[1:2], off, off offset:40
	v_mov_b32_e32 v38, 0
	s_delay_alu instid0(VALU_DEP_1)
	v_mov_b32_e32 v39, v38
	scratch_store_b64 off, v[38:39], off offset:40
	s_waitcnt vmcnt(0)
	ds_store_b64 v3, v[1:2]
.LBB16_101:
	s_or_b32 exec_lo, exec_lo, s0
	s_waitcnt lgkmcnt(0)
	s_waitcnt_vscnt null, 0x0
	s_barrier
	buffer_gl0_inv
	s_clause 0x4
	scratch_load_b128 v[38:41], off, off offset:40
	scratch_load_b128 v[42:45], off, off offset:56
	;; [unrolled: 1-line block ×5, first 2 shown]
	v_mov_b32_e32 v1, 0
	ds_load_b128 v[58:61], v1 offset:192
	ds_load_b128 v[62:65], v1 offset:208
	scratch_load_b128 v[66:69], off, off offset:120
	s_mov_b32 s0, exec_lo
	s_waitcnt vmcnt(5) lgkmcnt(1)
	v_fma_f64 v[40:41], v[40:41], v[58:59], 0
	s_waitcnt vmcnt(4)
	s_delay_alu instid0(VALU_DEP_1) | instskip(SKIP_1) | instid1(VALU_DEP_1)
	v_fma_f64 v[40:41], v[42:43], v[60:61], v[40:41]
	s_waitcnt lgkmcnt(0)
	v_fma_f64 v[40:41], v[44:45], v[62:63], v[40:41]
	s_waitcnt vmcnt(3)
	s_delay_alu instid0(VALU_DEP_1)
	v_fma_f64 v[58:59], v[46:47], v[64:65], v[40:41]
	ds_load_b128 v[40:43], v1 offset:224
	ds_load_b128 v[44:47], v1 offset:240
	s_waitcnt lgkmcnt(1)
	v_fma_f64 v[40:41], v[48:49], v[40:41], v[58:59]
	s_waitcnt vmcnt(2)
	s_delay_alu instid0(VALU_DEP_1) | instskip(SKIP_1) | instid1(VALU_DEP_1)
	v_fma_f64 v[40:41], v[50:51], v[42:43], v[40:41]
	s_waitcnt lgkmcnt(0)
	v_fma_f64 v[40:41], v[52:53], v[44:45], v[40:41]
	s_waitcnt vmcnt(1)
	s_delay_alu instid0(VALU_DEP_1)
	v_fma_f64 v[44:45], v[54:55], v[46:47], v[40:41]
	ds_load_b128 v[40:43], v1 offset:256
	ds_load_b64 v[46:47], v1 offset:272
	s_waitcnt lgkmcnt(1)
	v_fma_f64 v[40:41], v[56:57], v[40:41], v[44:45]
	s_waitcnt vmcnt(0)
	s_delay_alu instid0(VALU_DEP_1) | instskip(SKIP_1) | instid1(VALU_DEP_1)
	v_fma_f64 v[40:41], v[66:67], v[42:43], v[40:41]
	s_waitcnt lgkmcnt(0)
	v_fma_f64 v[40:41], v[68:69], v[46:47], v[40:41]
	s_delay_alu instid0(VALU_DEP_1)
	v_add_f64 v[38:39], v[38:39], -v[40:41]
	scratch_store_b64 off, v[38:39], off offset:40
	v_cmpx_lt_u32_e32 4, v0
	s_cbranch_execz .LBB16_103
; %bb.102:
	scratch_load_b64 v[38:39], off, off offset:32
	v_mov_b32_e32 v2, v1
	scratch_store_b64 off, v[1:2], off offset:32
	s_waitcnt vmcnt(0)
	ds_store_b64 v3, v[38:39]
.LBB16_103:
	s_or_b32 exec_lo, exec_lo, s0
	s_waitcnt lgkmcnt(0)
	s_waitcnt_vscnt null, 0x0
	s_barrier
	buffer_gl0_inv
	s_clause 0x4
	scratch_load_b128 v[38:41], off, off offset:32
	scratch_load_b128 v[42:45], off, off offset:48
	;; [unrolled: 1-line block ×5, first 2 shown]
	ds_load_2addr_b64 v[58:61], v1 offset0:23 offset1:24
	ds_load_2addr_b64 v[62:65], v1 offset0:25 offset1:26
	scratch_load_b128 v[66:69], off, off offset:112
	s_mov_b32 s0, exec_lo
	s_waitcnt vmcnt(5) lgkmcnt(1)
	v_fma_f64 v[40:41], v[40:41], v[58:59], 0
	scratch_load_b64 v[58:59], off, off offset:128
	s_waitcnt vmcnt(5)
	v_fma_f64 v[40:41], v[42:43], v[60:61], v[40:41]
	s_waitcnt lgkmcnt(0)
	s_delay_alu instid0(VALU_DEP_1) | instskip(SKIP_1) | instid1(VALU_DEP_1)
	v_fma_f64 v[40:41], v[44:45], v[62:63], v[40:41]
	s_waitcnt vmcnt(4)
	v_fma_f64 v[60:61], v[46:47], v[64:65], v[40:41]
	ds_load_2addr_b64 v[40:43], v1 offset0:27 offset1:28
	ds_load_2addr_b64 v[44:47], v1 offset0:29 offset1:30
	s_waitcnt lgkmcnt(1)
	v_fma_f64 v[40:41], v[48:49], v[40:41], v[60:61]
	s_waitcnt vmcnt(3)
	s_delay_alu instid0(VALU_DEP_1) | instskip(SKIP_1) | instid1(VALU_DEP_1)
	v_fma_f64 v[40:41], v[50:51], v[42:43], v[40:41]
	s_waitcnt lgkmcnt(0)
	v_fma_f64 v[40:41], v[52:53], v[44:45], v[40:41]
	s_waitcnt vmcnt(2)
	s_delay_alu instid0(VALU_DEP_1)
	v_fma_f64 v[48:49], v[54:55], v[46:47], v[40:41]
	ds_load_2addr_b64 v[40:43], v1 offset0:31 offset1:32
	ds_load_2addr_b64 v[44:47], v1 offset0:33 offset1:34
	s_waitcnt lgkmcnt(1)
	v_fma_f64 v[1:2], v[56:57], v[40:41], v[48:49]
	s_waitcnt vmcnt(1)
	s_delay_alu instid0(VALU_DEP_1) | instskip(SKIP_1) | instid1(VALU_DEP_1)
	v_fma_f64 v[1:2], v[66:67], v[42:43], v[1:2]
	s_waitcnt lgkmcnt(0)
	v_fma_f64 v[1:2], v[68:69], v[44:45], v[1:2]
	s_waitcnt vmcnt(0)
	s_delay_alu instid0(VALU_DEP_1) | instskip(NEXT) | instid1(VALU_DEP_1)
	v_fma_f64 v[1:2], v[58:59], v[46:47], v[1:2]
	v_add_f64 v[1:2], v[38:39], -v[1:2]
	scratch_store_b64 off, v[1:2], off offset:32
	v_cmpx_lt_u32_e32 3, v0
	s_cbranch_execz .LBB16_105
; %bb.104:
	scratch_load_b64 v[1:2], off, off offset:24
	v_mov_b32_e32 v38, 0
	s_delay_alu instid0(VALU_DEP_1)
	v_mov_b32_e32 v39, v38
	scratch_store_b64 off, v[38:39], off offset:24
	s_waitcnt vmcnt(0)
	ds_store_b64 v3, v[1:2]
.LBB16_105:
	s_or_b32 exec_lo, exec_lo, s0
	s_waitcnt lgkmcnt(0)
	s_waitcnt_vscnt null, 0x0
	s_barrier
	buffer_gl0_inv
	s_clause 0x4
	scratch_load_b128 v[38:41], off, off offset:24
	scratch_load_b128 v[42:45], off, off offset:40
	;; [unrolled: 1-line block ×5, first 2 shown]
	v_mov_b32_e32 v1, 0
	ds_load_b128 v[58:61], v1 offset:176
	ds_load_b128 v[62:65], v1 offset:192
	scratch_load_b128 v[66:69], off, off offset:104
	s_mov_b32 s0, exec_lo
	s_waitcnt vmcnt(5) lgkmcnt(1)
	v_fma_f64 v[40:41], v[40:41], v[58:59], 0
	s_waitcnt vmcnt(4)
	s_delay_alu instid0(VALU_DEP_1) | instskip(SKIP_1) | instid1(VALU_DEP_1)
	v_fma_f64 v[40:41], v[42:43], v[60:61], v[40:41]
	s_waitcnt lgkmcnt(0)
	v_fma_f64 v[44:45], v[44:45], v[62:63], v[40:41]
	scratch_load_b128 v[40:43], off, off offset:120
	s_waitcnt vmcnt(4)
	v_fma_f64 v[62:63], v[46:47], v[64:65], v[44:45]
	ds_load_b128 v[44:47], v1 offset:208
	ds_load_b128 v[58:61], v1 offset:224
	s_waitcnt lgkmcnt(1)
	v_fma_f64 v[44:45], v[48:49], v[44:45], v[62:63]
	s_waitcnt vmcnt(3)
	s_delay_alu instid0(VALU_DEP_1) | instskip(SKIP_1) | instid1(VALU_DEP_1)
	v_fma_f64 v[44:45], v[50:51], v[46:47], v[44:45]
	s_waitcnt lgkmcnt(0)
	v_fma_f64 v[44:45], v[52:53], v[58:59], v[44:45]
	s_waitcnt vmcnt(2)
	s_delay_alu instid0(VALU_DEP_1)
	v_fma_f64 v[52:53], v[54:55], v[60:61], v[44:45]
	ds_load_b128 v[44:47], v1 offset:240
	ds_load_b128 v[48:51], v1 offset:256
	s_waitcnt lgkmcnt(1)
	v_fma_f64 v[44:45], v[56:57], v[44:45], v[52:53]
	s_waitcnt vmcnt(1)
	s_delay_alu instid0(VALU_DEP_1) | instskip(SKIP_1) | instid1(VALU_DEP_1)
	v_fma_f64 v[44:45], v[66:67], v[46:47], v[44:45]
	s_waitcnt lgkmcnt(0)
	v_fma_f64 v[44:45], v[68:69], v[48:49], v[44:45]
	s_waitcnt vmcnt(0)
	s_delay_alu instid0(VALU_DEP_1) | instskip(SKIP_3) | instid1(VALU_DEP_1)
	v_fma_f64 v[40:41], v[40:41], v[50:51], v[44:45]
	ds_load_b64 v[44:45], v1 offset:272
	s_waitcnt lgkmcnt(0)
	v_fma_f64 v[40:41], v[42:43], v[44:45], v[40:41]
	v_add_f64 v[38:39], v[38:39], -v[40:41]
	scratch_store_b64 off, v[38:39], off offset:24
	v_cmpx_lt_u32_e32 2, v0
	s_cbranch_execz .LBB16_107
; %bb.106:
	scratch_load_b64 v[38:39], off, off offset:16
	v_mov_b32_e32 v2, v1
	scratch_store_b64 off, v[1:2], off offset:16
	s_waitcnt vmcnt(0)
	ds_store_b64 v3, v[38:39]
.LBB16_107:
	s_or_b32 exec_lo, exec_lo, s0
	s_waitcnt lgkmcnt(0)
	s_waitcnt_vscnt null, 0x0
	s_barrier
	buffer_gl0_inv
	s_clause 0x4
	scratch_load_b128 v[38:41], off, off offset:16
	scratch_load_b128 v[42:45], off, off offset:32
	;; [unrolled: 1-line block ×5, first 2 shown]
	ds_load_2addr_b64 v[58:61], v1 offset0:21 offset1:22
	ds_load_2addr_b64 v[62:65], v1 offset0:23 offset1:24
	scratch_load_b128 v[66:69], off, off offset:96
	s_mov_b32 s0, exec_lo
	s_waitcnt vmcnt(5) lgkmcnt(1)
	v_fma_f64 v[40:41], v[40:41], v[58:59], 0
	s_waitcnt vmcnt(4)
	s_delay_alu instid0(VALU_DEP_1) | instskip(SKIP_1) | instid1(VALU_DEP_1)
	v_fma_f64 v[40:41], v[42:43], v[60:61], v[40:41]
	s_waitcnt lgkmcnt(0)
	v_fma_f64 v[44:45], v[44:45], v[62:63], v[40:41]
	scratch_load_b128 v[40:43], off, off offset:112
	s_waitcnt vmcnt(4)
	v_fma_f64 v[62:63], v[46:47], v[64:65], v[44:45]
	ds_load_2addr_b64 v[44:47], v1 offset0:25 offset1:26
	ds_load_2addr_b64 v[58:61], v1 offset0:27 offset1:28
	s_waitcnt lgkmcnt(1)
	v_fma_f64 v[44:45], v[48:49], v[44:45], v[62:63]
	scratch_load_b64 v[62:63], off, off offset:128
	s_waitcnt vmcnt(4)
	v_fma_f64 v[44:45], v[50:51], v[46:47], v[44:45]
	s_waitcnt lgkmcnt(0)
	s_delay_alu instid0(VALU_DEP_1) | instskip(SKIP_1) | instid1(VALU_DEP_1)
	v_fma_f64 v[44:45], v[52:53], v[58:59], v[44:45]
	s_waitcnt vmcnt(3)
	v_fma_f64 v[52:53], v[54:55], v[60:61], v[44:45]
	ds_load_2addr_b64 v[44:47], v1 offset0:29 offset1:30
	ds_load_2addr_b64 v[48:51], v1 offset0:31 offset1:32
	s_waitcnt lgkmcnt(1)
	v_fma_f64 v[44:45], v[56:57], v[44:45], v[52:53]
	s_waitcnt vmcnt(2)
	s_delay_alu instid0(VALU_DEP_1) | instskip(SKIP_1) | instid1(VALU_DEP_1)
	v_fma_f64 v[44:45], v[66:67], v[46:47], v[44:45]
	s_waitcnt lgkmcnt(0)
	v_fma_f64 v[44:45], v[68:69], v[48:49], v[44:45]
	s_waitcnt vmcnt(1)
	s_delay_alu instid0(VALU_DEP_1) | instskip(SKIP_4) | instid1(VALU_DEP_1)
	v_fma_f64 v[40:41], v[40:41], v[50:51], v[44:45]
	ds_load_2addr_b64 v[44:47], v1 offset0:33 offset1:34
	s_waitcnt lgkmcnt(0)
	v_fma_f64 v[1:2], v[42:43], v[44:45], v[40:41]
	s_waitcnt vmcnt(0)
	v_fma_f64 v[1:2], v[62:63], v[46:47], v[1:2]
	s_delay_alu instid0(VALU_DEP_1)
	v_add_f64 v[1:2], v[38:39], -v[1:2]
	scratch_store_b64 off, v[1:2], off offset:16
	v_cmpx_lt_u32_e32 1, v0
	s_cbranch_execz .LBB16_109
; %bb.108:
	scratch_load_b64 v[1:2], off, off offset:8
	v_mov_b32_e32 v38, 0
	s_delay_alu instid0(VALU_DEP_1)
	v_mov_b32_e32 v39, v38
	scratch_store_b64 off, v[38:39], off offset:8
	s_waitcnt vmcnt(0)
	ds_store_b64 v3, v[1:2]
.LBB16_109:
	s_or_b32 exec_lo, exec_lo, s0
	s_waitcnt lgkmcnt(0)
	s_waitcnt_vscnt null, 0x0
	s_barrier
	buffer_gl0_inv
	s_clause 0x4
	scratch_load_b128 v[39:42], off, off offset:8
	scratch_load_b128 v[43:46], off, off offset:24
	;; [unrolled: 1-line block ×5, first 2 shown]
	v_mov_b32_e32 v38, 0
	ds_load_b128 v[59:62], v38 offset:160
	ds_load_b128 v[63:66], v38 offset:176
	scratch_load_b128 v[67:70], off, off offset:88
	s_mov_b32 s0, exec_lo
	s_waitcnt vmcnt(5) lgkmcnt(1)
	v_fma_f64 v[1:2], v[41:42], v[59:60], 0
	s_waitcnt vmcnt(4)
	s_delay_alu instid0(VALU_DEP_1) | instskip(SKIP_4) | instid1(VALU_DEP_1)
	v_fma_f64 v[1:2], v[43:44], v[61:62], v[1:2]
	scratch_load_b128 v[41:44], off, off offset:104
	s_waitcnt lgkmcnt(0)
	v_fma_f64 v[1:2], v[45:46], v[63:64], v[1:2]
	s_waitcnt vmcnt(4)
	v_fma_f64 v[1:2], v[47:48], v[65:66], v[1:2]
	ds_load_b128 v[45:48], v38 offset:192
	ds_load_b128 v[59:62], v38 offset:208
	scratch_load_b128 v[63:66], off, off offset:120
	s_waitcnt lgkmcnt(1)
	v_fma_f64 v[1:2], v[49:50], v[45:46], v[1:2]
	s_waitcnt vmcnt(4)
	s_delay_alu instid0(VALU_DEP_1)
	v_fma_f64 v[1:2], v[51:52], v[47:48], v[1:2]
	ds_load_b128 v[45:48], v38 offset:224
	ds_load_b128 v[49:52], v38 offset:240
	s_waitcnt lgkmcnt(2)
	v_fma_f64 v[1:2], v[53:54], v[59:60], v[1:2]
	s_waitcnt vmcnt(3)
	s_delay_alu instid0(VALU_DEP_1) | instskip(SKIP_1) | instid1(VALU_DEP_1)
	v_fma_f64 v[1:2], v[55:56], v[61:62], v[1:2]
	s_waitcnt lgkmcnt(1)
	v_fma_f64 v[1:2], v[57:58], v[45:46], v[1:2]
	s_waitcnt vmcnt(2)
	s_delay_alu instid0(VALU_DEP_1) | instskip(SKIP_1) | instid1(VALU_DEP_1)
	v_fma_f64 v[1:2], v[67:68], v[47:48], v[1:2]
	s_waitcnt lgkmcnt(0)
	v_fma_f64 v[1:2], v[69:70], v[49:50], v[1:2]
	s_waitcnt vmcnt(1)
	s_delay_alu instid0(VALU_DEP_1)
	v_fma_f64 v[1:2], v[41:42], v[51:52], v[1:2]
	ds_load_b128 v[45:48], v38 offset:256
	ds_load_b64 v[41:42], v38 offset:272
	s_waitcnt lgkmcnt(1)
	v_fma_f64 v[1:2], v[43:44], v[45:46], v[1:2]
	s_waitcnt vmcnt(0)
	s_delay_alu instid0(VALU_DEP_1) | instskip(SKIP_1) | instid1(VALU_DEP_1)
	v_fma_f64 v[1:2], v[63:64], v[47:48], v[1:2]
	s_waitcnt lgkmcnt(0)
	v_fma_f64 v[1:2], v[65:66], v[41:42], v[1:2]
	s_delay_alu instid0(VALU_DEP_1)
	v_add_f64 v[1:2], v[39:40], -v[1:2]
	scratch_store_b64 off, v[1:2], off offset:8
	v_cmpx_ne_u32_e32 0, v0
	s_cbranch_execz .LBB16_111
; %bb.110:
	scratch_load_b64 v[0:1], off, off
	v_mov_b32_e32 v39, v38
	scratch_store_b64 off, v[38:39], off
	s_waitcnt vmcnt(0)
	ds_store_b64 v3, v[0:1]
.LBB16_111:
	s_or_b32 exec_lo, exec_lo, s0
	s_waitcnt lgkmcnt(0)
	s_waitcnt_vscnt null, 0x0
	s_barrier
	buffer_gl0_inv
	s_clause 0x4
	scratch_load_b128 v[39:42], off, off
	scratch_load_b128 v[0:3], off, off offset:16
	scratch_load_b128 v[43:46], off, off offset:32
	;; [unrolled: 1-line block ×4, first 2 shown]
	ds_load_2addr_b64 v[55:58], v38 offset0:19 offset1:20
	ds_load_2addr_b64 v[59:62], v38 offset0:21 offset1:22
	scratch_load_b128 v[63:66], off, off offset:80
	s_and_b32 vcc_lo, exec_lo, s16
	s_waitcnt vmcnt(5) lgkmcnt(1)
	v_fma_f64 v[41:42], v[41:42], v[55:56], 0
	s_waitcnt vmcnt(4)
	s_delay_alu instid0(VALU_DEP_1) | instskip(SKIP_4) | instid1(VALU_DEP_1)
	v_fma_f64 v[0:1], v[0:1], v[57:58], v[41:42]
	scratch_load_b128 v[55:58], off, off offset:96
	s_waitcnt lgkmcnt(0)
	v_fma_f64 v[0:1], v[2:3], v[59:60], v[0:1]
	s_waitcnt vmcnt(4)
	v_fma_f64 v[0:1], v[43:44], v[61:62], v[0:1]
	ds_load_2addr_b64 v[41:44], v38 offset0:23 offset1:24
	ds_load_2addr_b64 v[59:62], v38 offset0:25 offset1:26
	s_waitcnt lgkmcnt(1)
	v_fma_f64 v[41:42], v[45:46], v[41:42], v[0:1]
	scratch_load_b128 v[0:3], off, off offset:112
	s_waitcnt vmcnt(4)
	v_fma_f64 v[41:42], v[47:48], v[43:44], v[41:42]
	s_waitcnt lgkmcnt(0)
	s_delay_alu instid0(VALU_DEP_1)
	v_fma_f64 v[41:42], v[49:50], v[59:60], v[41:42]
	scratch_load_b64 v[49:50], off, off offset:128
	s_waitcnt vmcnt(4)
	v_fma_f64 v[51:52], v[51:52], v[61:62], v[41:42]
	ds_load_2addr_b64 v[41:44], v38 offset0:27 offset1:28
	ds_load_2addr_b64 v[45:48], v38 offset0:29 offset1:30
	s_waitcnt lgkmcnt(1)
	v_fma_f64 v[41:42], v[53:54], v[41:42], v[51:52]
	s_waitcnt vmcnt(3)
	s_delay_alu instid0(VALU_DEP_1) | instskip(SKIP_1) | instid1(VALU_DEP_1)
	v_fma_f64 v[41:42], v[63:64], v[43:44], v[41:42]
	s_waitcnt lgkmcnt(0)
	v_fma_f64 v[41:42], v[65:66], v[45:46], v[41:42]
	s_waitcnt vmcnt(2)
	s_delay_alu instid0(VALU_DEP_1)
	v_fma_f64 v[51:52], v[55:56], v[47:48], v[41:42]
	ds_load_2addr_b64 v[41:44], v38 offset0:31 offset1:32
	ds_load_2addr_b64 v[45:48], v38 offset0:33 offset1:34
	s_waitcnt lgkmcnt(1)
	v_fma_f64 v[41:42], v[57:58], v[41:42], v[51:52]
	s_waitcnt vmcnt(1)
	s_delay_alu instid0(VALU_DEP_1) | instskip(SKIP_1) | instid1(VALU_DEP_1)
	v_fma_f64 v[0:1], v[0:1], v[43:44], v[41:42]
	s_waitcnt lgkmcnt(0)
	v_fma_f64 v[0:1], v[2:3], v[45:46], v[0:1]
	s_waitcnt vmcnt(0)
	s_delay_alu instid0(VALU_DEP_1) | instskip(NEXT) | instid1(VALU_DEP_1)
	v_fma_f64 v[0:1], v[49:50], v[47:48], v[0:1]
	v_add_f64 v[0:1], v[39:40], -v[0:1]
	scratch_store_b64 off, v[0:1], off
	s_cbranch_vccz .LBB16_145
; %bb.112:
	v_dual_mov_b32 v0, s12 :: v_dual_mov_b32 v1, s13
	s_mov_b32 s0, exec_lo
	flat_load_b32 v0, v[0:1] offset:60
	s_waitcnt vmcnt(0) lgkmcnt(0)
	v_cmpx_ne_u32_e32 16, v0
	s_cbranch_execz .LBB16_114
; %bb.113:
	v_lshl_add_u32 v38, v0, 3, 0
	scratch_load_b64 v[0:1], v38, off offset:-8
	s_waitcnt vmcnt(0)
	scratch_store_b64 off, v[0:1], off offset:120
	scratch_store_b64 v38, v[2:3], off offset:-8
.LBB16_114:
	s_or_b32 exec_lo, exec_lo, s0
	v_dual_mov_b32 v0, s12 :: v_dual_mov_b32 v1, s13
	s_mov_b32 s0, exec_lo
	flat_load_b32 v0, v[0:1] offset:56
	s_waitcnt vmcnt(0) lgkmcnt(0)
	v_cmpx_ne_u32_e32 15, v0
	s_cbranch_execz .LBB16_116
; %bb.115:
	v_lshl_add_u32 v38, v0, 3, 0
	scratch_load_b64 v[0:1], v38, off offset:-8
	scratch_load_b64 v[2:3], off, off offset:112
	s_waitcnt vmcnt(1)
	scratch_store_b64 off, v[0:1], off offset:112
	s_waitcnt vmcnt(0)
	scratch_store_b64 v38, v[2:3], off offset:-8
.LBB16_116:
	s_or_b32 exec_lo, exec_lo, s0
	v_dual_mov_b32 v0, s12 :: v_dual_mov_b32 v1, s13
	s_mov_b32 s0, exec_lo
	flat_load_b32 v0, v[0:1] offset:52
	s_waitcnt vmcnt(0) lgkmcnt(0)
	v_cmpx_ne_u32_e32 14, v0
	s_cbranch_execz .LBB16_118
; %bb.117:
	v_lshl_add_u32 v38, v0, 3, 0
	scratch_load_b64 v[0:1], v38, off offset:-8
	scratch_load_b64 v[2:3], off, off offset:104
	s_waitcnt vmcnt(1)
	scratch_store_b64 off, v[0:1], off offset:104
	s_waitcnt vmcnt(0)
	scratch_store_b64 v38, v[2:3], off offset:-8
.LBB16_118:
	;; [unrolled: 16-line block ×14, first 2 shown]
	s_or_b32 exec_lo, exec_lo, s0
	v_dual_mov_b32 v0, s12 :: v_dual_mov_b32 v1, s13
	s_mov_b32 s0, exec_lo
	flat_load_b32 v2, v[0:1]
	scratch_load_b64 v[0:1], off, off
	s_waitcnt vmcnt(1) lgkmcnt(0)
	v_cmpx_ne_u32_e32 1, v2
	s_cbranch_execz .LBB16_144
; %bb.143:
	v_lshl_add_u32 v38, v2, 3, 0
	scratch_load_b64 v[2:3], v38, off offset:-8
	s_waitcnt vmcnt(0)
	scratch_store_b64 off, v[2:3], off
	scratch_store_b64 v38, v[0:1], off offset:-8
	scratch_load_b64 v[0:1], off, off
.LBB16_144:
	s_or_b32 exec_lo, exec_lo, s0
.LBB16_145:
	s_clause 0x7
	scratch_load_b128 v[38:41], off, off offset:8
	scratch_load_b128 v[42:45], off, off offset:24
	;; [unrolled: 1-line block ×8, first 2 shown]
	s_waitcnt vmcnt(8)
	global_store_b64 v[4:5], v[0:1], off
	s_waitcnt vmcnt(7)
	s_clause 0x1
	global_store_b64 v[6:7], v[38:39], off
	global_store_b64 v[8:9], v[40:41], off
	s_waitcnt vmcnt(6)
	s_clause 0x1
	global_store_b64 v[10:11], v[42:43], off
	global_store_b64 v[12:13], v[44:45], off
	s_waitcnt vmcnt(5)
	s_clause 0x1
	global_store_b64 v[14:15], v[46:47], off
	global_store_b64 v[16:17], v[48:49], off
	s_waitcnt vmcnt(4)
	s_clause 0x1
	global_store_b64 v[18:19], v[50:51], off
	global_store_b64 v[20:21], v[52:53], off
	s_waitcnt vmcnt(3)
	s_clause 0x1
	global_store_b64 v[22:23], v[54:55], off
	global_store_b64 v[24:25], v[56:57], off
	s_waitcnt vmcnt(2)
	s_clause 0x1
	global_store_b64 v[26:27], v[58:59], off
	global_store_b64 v[28:29], v[60:61], off
	s_waitcnt vmcnt(1)
	s_clause 0x1
	global_store_b64 v[32:33], v[62:63], off
	global_store_b64 v[36:37], v[64:65], off
	s_waitcnt vmcnt(0)
	s_clause 0x1
	global_store_b64 v[30:31], v[66:67], off
	global_store_b64 v[34:35], v[68:69], off
	s_endpgm
	.section	.rodata,"a",@progbits
	.p2align	6, 0x0
	.amdhsa_kernel _ZN9rocsolver6v33100L18getri_kernel_smallILi17EdPdEEvT1_iilPiilS4_bb
		.amdhsa_group_segment_fixed_size 280
		.amdhsa_private_segment_fixed_size 144
		.amdhsa_kernarg_size 60
		.amdhsa_user_sgpr_count 15
		.amdhsa_user_sgpr_dispatch_ptr 0
		.amdhsa_user_sgpr_queue_ptr 0
		.amdhsa_user_sgpr_kernarg_segment_ptr 1
		.amdhsa_user_sgpr_dispatch_id 0
		.amdhsa_user_sgpr_private_segment_size 0
		.amdhsa_wavefront_size32 1
		.amdhsa_uses_dynamic_stack 0
		.amdhsa_enable_private_segment 1
		.amdhsa_system_sgpr_workgroup_id_x 1
		.amdhsa_system_sgpr_workgroup_id_y 0
		.amdhsa_system_sgpr_workgroup_id_z 0
		.amdhsa_system_sgpr_workgroup_info 0
		.amdhsa_system_vgpr_workitem_id 0
		.amdhsa_next_free_vgpr 71
		.amdhsa_next_free_sgpr 18
		.amdhsa_reserve_vcc 1
		.amdhsa_float_round_mode_32 0
		.amdhsa_float_round_mode_16_64 0
		.amdhsa_float_denorm_mode_32 3
		.amdhsa_float_denorm_mode_16_64 3
		.amdhsa_dx10_clamp 1
		.amdhsa_ieee_mode 1
		.amdhsa_fp16_overflow 0
		.amdhsa_workgroup_processor_mode 1
		.amdhsa_memory_ordered 1
		.amdhsa_forward_progress 0
		.amdhsa_shared_vgpr_count 0
		.amdhsa_exception_fp_ieee_invalid_op 0
		.amdhsa_exception_fp_denorm_src 0
		.amdhsa_exception_fp_ieee_div_zero 0
		.amdhsa_exception_fp_ieee_overflow 0
		.amdhsa_exception_fp_ieee_underflow 0
		.amdhsa_exception_fp_ieee_inexact 0
		.amdhsa_exception_int_div_zero 0
	.end_amdhsa_kernel
	.section	.text._ZN9rocsolver6v33100L18getri_kernel_smallILi17EdPdEEvT1_iilPiilS4_bb,"axG",@progbits,_ZN9rocsolver6v33100L18getri_kernel_smallILi17EdPdEEvT1_iilPiilS4_bb,comdat
.Lfunc_end16:
	.size	_ZN9rocsolver6v33100L18getri_kernel_smallILi17EdPdEEvT1_iilPiilS4_bb, .Lfunc_end16-_ZN9rocsolver6v33100L18getri_kernel_smallILi17EdPdEEvT1_iilPiilS4_bb
                                        ; -- End function
	.section	.AMDGPU.csdata,"",@progbits
; Kernel info:
; codeLenInByte = 10652
; NumSgprs: 20
; NumVgprs: 71
; ScratchSize: 144
; MemoryBound: 0
; FloatMode: 240
; IeeeMode: 1
; LDSByteSize: 280 bytes/workgroup (compile time only)
; SGPRBlocks: 2
; VGPRBlocks: 8
; NumSGPRsForWavesPerEU: 20
; NumVGPRsForWavesPerEU: 71
; Occupancy: 16
; WaveLimiterHint : 1
; COMPUTE_PGM_RSRC2:SCRATCH_EN: 1
; COMPUTE_PGM_RSRC2:USER_SGPR: 15
; COMPUTE_PGM_RSRC2:TRAP_HANDLER: 0
; COMPUTE_PGM_RSRC2:TGID_X_EN: 1
; COMPUTE_PGM_RSRC2:TGID_Y_EN: 0
; COMPUTE_PGM_RSRC2:TGID_Z_EN: 0
; COMPUTE_PGM_RSRC2:TIDIG_COMP_CNT: 0
	.section	.text._ZN9rocsolver6v33100L18getri_kernel_smallILi18EdPdEEvT1_iilPiilS4_bb,"axG",@progbits,_ZN9rocsolver6v33100L18getri_kernel_smallILi18EdPdEEvT1_iilPiilS4_bb,comdat
	.globl	_ZN9rocsolver6v33100L18getri_kernel_smallILi18EdPdEEvT1_iilPiilS4_bb ; -- Begin function _ZN9rocsolver6v33100L18getri_kernel_smallILi18EdPdEEvT1_iilPiilS4_bb
	.p2align	8
	.type	_ZN9rocsolver6v33100L18getri_kernel_smallILi18EdPdEEvT1_iilPiilS4_bb,@function
_ZN9rocsolver6v33100L18getri_kernel_smallILi18EdPdEEvT1_iilPiilS4_bb: ; @_ZN9rocsolver6v33100L18getri_kernel_smallILi18EdPdEEvT1_iilPiilS4_bb
; %bb.0:
	s_mov_b32 s2, exec_lo
	v_cmpx_gt_u32_e32 18, v0
	s_cbranch_execz .LBB17_82
; %bb.1:
	s_clause 0x2
	s_load_b32 s17, s[0:1], 0x38
	s_load_b128 s[8:11], s[0:1], 0x10
	s_load_b128 s[4:7], s[0:1], 0x28
	s_mov_b32 s14, s15
                                        ; implicit-def: $sgpr12_sgpr13
	s_waitcnt lgkmcnt(0)
	s_bitcmp1_b32 s17, 8
	s_cselect_b32 s16, -1, 0
	s_bfe_u32 s2, s17, 0x10008
	s_ashr_i32 s15, s15, 31
	s_cmp_eq_u32 s2, 0
	s_cbranch_scc1 .LBB17_3
; %bb.2:
	s_load_b32 s2, s[0:1], 0x20
	s_mul_i32 s3, s14, s5
	s_mul_hi_u32 s5, s14, s4
	s_mul_i32 s12, s15, s4
	s_add_i32 s3, s5, s3
	s_mul_i32 s4, s14, s4
	s_add_i32 s5, s3, s12
	s_delay_alu instid0(SALU_CYCLE_1)
	s_lshl_b64 s[4:5], s[4:5], 2
	s_waitcnt lgkmcnt(0)
	s_ashr_i32 s3, s2, 31
	s_add_u32 s4, s10, s4
	s_addc_u32 s5, s11, s5
	s_lshl_b64 s[2:3], s[2:3], 2
	s_delay_alu instid0(SALU_CYCLE_1)
	s_add_u32 s12, s4, s2
	s_addc_u32 s13, s5, s3
.LBB17_3:
	s_load_b128 s[0:3], s[0:1], 0x0
	s_mul_i32 s4, s14, s9
	s_mul_hi_u32 s5, s14, s8
	s_mul_i32 s9, s15, s8
	s_add_i32 s5, s5, s4
	s_mul_i32 s4, s14, s8
	s_add_i32 s5, s5, s9
	v_lshlrev_b32_e32 v3, 3, v0
	s_lshl_b64 s[4:5], s[4:5], 3
	s_waitcnt lgkmcnt(0)
	v_add3_u32 v1, s3, s3, v0
	s_ashr_i32 s9, s2, 31
	s_mov_b32 s8, s2
	s_add_u32 s2, s0, s4
	s_addc_u32 s5, s1, s5
	v_add_nc_u32_e32 v8, s3, v1
	s_lshl_b64 s[0:1], s[8:9], 3
	v_ashrrev_i32_e32 v2, 31, v1
	s_add_u32 s0, s2, s0
	s_addc_u32 s1, s5, s1
	v_add_nc_u32_e32 v10, s3, v8
	v_add_co_u32 v4, s2, s0, v3
	s_mov_b32 s4, s3
	s_ashr_i32 s5, s3, 31
	v_add_co_ci_u32_e64 v5, null, s1, 0, s2
	v_lshlrev_b64 v[1:2], 3, v[1:2]
	v_ashrrev_i32_e32 v9, 31, v8
	s_lshl_b64 s[4:5], s[4:5], 3
	v_add_nc_u32_e32 v14, s3, v10
	v_add_co_u32 v6, vcc_lo, v4, s4
	v_ashrrev_i32_e32 v11, 31, v10
	v_add_co_ci_u32_e32 v7, vcc_lo, s5, v5, vcc_lo
	v_lshlrev_b64 v[12:13], 3, v[8:9]
	v_add_co_u32 v8, vcc_lo, s0, v1
	v_add_nc_u32_e32 v16, s3, v14
	v_add_co_ci_u32_e32 v9, vcc_lo, s1, v2, vcc_lo
	v_lshlrev_b64 v[1:2], 3, v[10:11]
	v_add_co_u32 v10, vcc_lo, s0, v12
	v_ashrrev_i32_e32 v15, 31, v14
	v_add_nc_u32_e32 v18, s3, v16
	v_add_co_ci_u32_e32 v11, vcc_lo, s1, v13, vcc_lo
	v_add_co_u32 v12, vcc_lo, s0, v1
	v_add_co_ci_u32_e32 v13, vcc_lo, s1, v2, vcc_lo
	v_lshlrev_b64 v[1:2], 3, v[14:15]
	v_ashrrev_i32_e32 v17, 31, v16
	v_add_nc_u32_e32 v20, s3, v18
	v_ashrrev_i32_e32 v19, 31, v18
	s_clause 0x4
	global_load_b64 v[40:41], v3, s[0:1]
	global_load_b64 v[42:43], v[6:7], off
	global_load_b64 v[44:45], v[8:9], off
	;; [unrolled: 1-line block ×4, first 2 shown]
	v_lshlrev_b64 v[16:17], 3, v[16:17]
	v_add_co_u32 v14, vcc_lo, s0, v1
	v_ashrrev_i32_e32 v21, 31, v20
	v_add_co_ci_u32_e32 v15, vcc_lo, s1, v2, vcc_lo
	v_lshlrev_b64 v[1:2], 3, v[18:19]
	v_add_nc_u32_e32 v23, s3, v20
	v_add_co_u32 v16, vcc_lo, s0, v16
	v_lshlrev_b64 v[21:22], 3, v[20:21]
	v_add_co_ci_u32_e32 v17, vcc_lo, s1, v17, vcc_lo
	v_add_co_u32 v18, vcc_lo, s0, v1
	v_ashrrev_i32_e32 v24, 31, v23
	v_add_nc_u32_e32 v1, s3, v23
	v_add_co_ci_u32_e32 v19, vcc_lo, s1, v2, vcc_lo
	v_add_co_u32 v20, vcc_lo, s0, v21
	v_add_co_ci_u32_e32 v21, vcc_lo, s1, v22, vcc_lo
	v_lshlrev_b64 v[22:23], 3, v[23:24]
	v_add_nc_u32_e32 v24, s3, v1
	v_ashrrev_i32_e32 v2, 31, v1
	s_clause 0x3
	global_load_b64 v[50:51], v[14:15], off
	global_load_b64 v[52:53], v[16:17], off
	;; [unrolled: 1-line block ×4, first 2 shown]
	s_bitcmp0_b32 s17, 0
	v_add_nc_u32_e32 v26, s3, v24
	v_lshlrev_b64 v[1:2], 3, v[1:2]
	v_ashrrev_i32_e32 v25, 31, v24
	v_add_co_u32 v22, vcc_lo, s0, v22
	s_delay_alu instid0(VALU_DEP_4)
	v_add_nc_u32_e32 v30, s3, v26
	v_ashrrev_i32_e32 v27, 31, v26
	v_add_co_ci_u32_e32 v23, vcc_lo, s1, v23, vcc_lo
	v_lshlrev_b64 v[28:29], 3, v[24:25]
	v_add_co_u32 v24, vcc_lo, s0, v1
	v_add_nc_u32_e32 v32, s3, v30
	v_add_co_ci_u32_e32 v25, vcc_lo, s1, v2, vcc_lo
	v_lshlrev_b64 v[1:2], 3, v[26:27]
	v_add_co_u32 v26, vcc_lo, s0, v28
	v_ashrrev_i32_e32 v31, 31, v30
	v_add_nc_u32_e32 v34, s3, v32
	v_add_co_ci_u32_e32 v27, vcc_lo, s1, v29, vcc_lo
	v_add_co_u32 v28, vcc_lo, s0, v1
	v_add_co_ci_u32_e32 v29, vcc_lo, s1, v2, vcc_lo
	v_lshlrev_b64 v[1:2], 3, v[30:31]
	v_ashrrev_i32_e32 v33, 31, v32
	v_add_nc_u32_e32 v36, s3, v34
	v_ashrrev_i32_e32 v35, 31, v34
	s_clause 0x3
	global_load_b64 v[58:59], v[22:23], off
	global_load_b64 v[60:61], v[24:25], off
	;; [unrolled: 1-line block ×4, first 2 shown]
	v_lshlrev_b64 v[32:33], 3, v[32:33]
	v_add_co_u32 v30, vcc_lo, s0, v1
	v_add_nc_u32_e32 v38, s3, v36
	v_add_co_ci_u32_e32 v31, vcc_lo, s1, v2, vcc_lo
	v_lshlrev_b64 v[1:2], 3, v[34:35]
	v_ashrrev_i32_e32 v37, 31, v36
	v_add_co_u32 v32, vcc_lo, s0, v32
	v_ashrrev_i32_e32 v39, 31, v38
	v_add_co_ci_u32_e32 v33, vcc_lo, s1, v33, vcc_lo
	s_delay_alu instid0(VALU_DEP_4) | instskip(SKIP_3) | instid1(VALU_DEP_4)
	v_lshlrev_b64 v[36:37], 3, v[36:37]
	v_add_co_u32 v34, vcc_lo, s0, v1
	v_add_co_ci_u32_e32 v35, vcc_lo, s1, v2, vcc_lo
	v_lshlrev_b64 v[1:2], 3, v[38:39]
	v_add_co_u32 v36, vcc_lo, s0, v36
	v_add_co_ci_u32_e32 v37, vcc_lo, s1, v37, vcc_lo
	s_delay_alu instid0(VALU_DEP_3) | instskip(NEXT) | instid1(VALU_DEP_4)
	v_add_co_u32 v38, vcc_lo, s0, v1
	v_add_co_ci_u32_e32 v39, vcc_lo, s1, v2, vcc_lo
	s_clause 0x4
	global_load_b64 v[66:67], v[30:31], off
	global_load_b64 v[68:69], v[32:33], off
	;; [unrolled: 1-line block ×5, first 2 shown]
	s_mov_b32 s1, -1
	s_waitcnt vmcnt(16)
	scratch_store_b128 off, v[40:43], off
	s_waitcnt vmcnt(14)
	scratch_store_b128 off, v[44:47], off offset:16
	s_waitcnt vmcnt(12)
	scratch_store_b128 off, v[48:51], off offset:32
	;; [unrolled: 2-line block ×8, first 2 shown]
	s_cbranch_scc1 .LBB17_80
; %bb.4:
	v_cmp_eq_u32_e64 s0, 0, v0
	s_delay_alu instid0(VALU_DEP_1)
	s_and_saveexec_b32 s1, s0
	s_cbranch_execz .LBB17_6
; %bb.5:
	v_mov_b32_e32 v1, 0
	ds_store_b32 v1, v1 offset:288
.LBB17_6:
	s_or_b32 exec_lo, exec_lo, s1
	s_waitcnt lgkmcnt(0)
	s_waitcnt_vscnt null, 0x0
	s_barrier
	buffer_gl0_inv
	scratch_load_b64 v[1:2], v3, off
	s_mov_b32 s2, exec_lo
	s_waitcnt vmcnt(0)
	v_cmpx_eq_f64_e32 0, v[1:2]
	s_cbranch_execz .LBB17_10
; %bb.7:
	v_mov_b32_e32 v1, 0
	s_mov_b32 s3, 0
	ds_load_b32 v2, v1 offset:288
	s_waitcnt lgkmcnt(0)
	v_readfirstlane_b32 s1, v2
	v_add_nc_u32_e32 v2, 1, v0
	s_delay_alu instid0(VALU_DEP_2) | instskip(NEXT) | instid1(VALU_DEP_1)
	s_cmp_eq_u32 s1, 0
	v_cmp_gt_i32_e32 vcc_lo, s1, v2
	s_cselect_b32 s4, -1, 0
	s_delay_alu instid0(SALU_CYCLE_1) | instskip(NEXT) | instid1(SALU_CYCLE_1)
	s_or_b32 s4, s4, vcc_lo
	s_and_b32 exec_lo, exec_lo, s4
	s_cbranch_execz .LBB17_10
; %bb.8:
	v_mov_b32_e32 v40, s1
.LBB17_9:                               ; =>This Inner Loop Header: Depth=1
	ds_cmpstore_rtn_b32 v40, v1, v2, v40 offset:288
	s_waitcnt lgkmcnt(0)
	v_cmp_ne_u32_e32 vcc_lo, 0, v40
	v_cmp_le_i32_e64 s1, v40, v2
	s_delay_alu instid0(VALU_DEP_1) | instskip(NEXT) | instid1(SALU_CYCLE_1)
	s_and_b32 s1, vcc_lo, s1
	s_and_b32 s1, exec_lo, s1
	s_delay_alu instid0(SALU_CYCLE_1) | instskip(NEXT) | instid1(SALU_CYCLE_1)
	s_or_b32 s3, s1, s3
	s_and_not1_b32 exec_lo, exec_lo, s3
	s_cbranch_execnz .LBB17_9
.LBB17_10:
	s_or_b32 exec_lo, exec_lo, s2
	v_mov_b32_e32 v1, 0
	s_barrier
	buffer_gl0_inv
	ds_load_b32 v2, v1 offset:288
	s_and_saveexec_b32 s1, s0
	s_cbranch_execz .LBB17_12
; %bb.11:
	s_lshl_b64 s[2:3], s[14:15], 2
	s_delay_alu instid0(SALU_CYCLE_1)
	s_add_u32 s2, s6, s2
	s_addc_u32 s3, s7, s3
	s_waitcnt lgkmcnt(0)
	global_store_b32 v1, v2, s[2:3]
.LBB17_12:
	s_or_b32 exec_lo, exec_lo, s1
	s_waitcnt lgkmcnt(0)
	v_cmp_ne_u32_e32 vcc_lo, 0, v2
	s_mov_b32 s1, 0
	s_cbranch_vccnz .LBB17_80
; %bb.13:
	v_add_nc_u32_e32 v40, 0, v3
	scratch_load_b64 v[1:2], v40, off
	s_waitcnt vmcnt(0)
	v_div_scale_f64 v[41:42], null, v[1:2], v[1:2], 1.0
	v_div_scale_f64 v[47:48], vcc_lo, 1.0, v[1:2], 1.0
	s_delay_alu instid0(VALU_DEP_2) | instskip(SKIP_2) | instid1(VALU_DEP_1)
	v_rcp_f64_e32 v[43:44], v[41:42]
	s_waitcnt_depctr 0xfff
	v_fma_f64 v[45:46], -v[41:42], v[43:44], 1.0
	v_fma_f64 v[43:44], v[43:44], v[45:46], v[43:44]
	s_delay_alu instid0(VALU_DEP_1) | instskip(NEXT) | instid1(VALU_DEP_1)
	v_fma_f64 v[45:46], -v[41:42], v[43:44], 1.0
	v_fma_f64 v[43:44], v[43:44], v[45:46], v[43:44]
	s_delay_alu instid0(VALU_DEP_1) | instskip(NEXT) | instid1(VALU_DEP_1)
	v_mul_f64 v[45:46], v[47:48], v[43:44]
	v_fma_f64 v[41:42], -v[41:42], v[45:46], v[47:48]
	s_delay_alu instid0(VALU_DEP_1) | instskip(NEXT) | instid1(VALU_DEP_1)
	v_div_fmas_f64 v[41:42], v[41:42], v[43:44], v[45:46]
	v_div_fixup_f64 v[1:2], v[41:42], v[1:2], 1.0
	v_add_nc_u32_e32 v41, 0x90, v3
	scratch_store_b64 v40, v[1:2], off
	scratch_load_b64 v[42:43], off, off offset:8
	v_xor_b32_e32 v2, 0x80000000, v2
	s_waitcnt vmcnt(0)
	ds_store_2addr_b64 v3, v[1:2], v[42:43] offset1:18
	s_waitcnt lgkmcnt(0)
	s_waitcnt_vscnt null, 0x0
	s_barrier
	buffer_gl0_inv
	s_and_saveexec_b32 s1, s0
	s_cbranch_execz .LBB17_15
; %bb.14:
	scratch_load_b64 v[1:2], v40, off
	ds_load_b64 v[42:43], v41
	s_waitcnt vmcnt(0) lgkmcnt(0)
	v_fma_f64 v[1:2], v[1:2], v[42:43], 0
	v_mov_b32_e32 v42, 0
	ds_load_b64 v[42:43], v42 offset:8
	s_waitcnt lgkmcnt(0)
	v_mul_f64 v[1:2], v[1:2], v[42:43]
	scratch_store_b64 off, v[1:2], off offset:8
.LBB17_15:
	s_or_b32 exec_lo, exec_lo, s1
	s_waitcnt_vscnt null, 0x0
	s_barrier
	buffer_gl0_inv
	scratch_load_b64 v[1:2], off, off offset:16
	s_mov_b32 s1, exec_lo
	s_waitcnt vmcnt(0)
	ds_store_b64 v41, v[1:2]
	s_waitcnt lgkmcnt(0)
	s_barrier
	buffer_gl0_inv
	v_cmpx_gt_u32_e32 2, v0
	s_cbranch_execz .LBB17_19
; %bb.16:
	scratch_load_b64 v[1:2], v40, off
	ds_load_b64 v[42:43], v41
	s_waitcnt vmcnt(0) lgkmcnt(0)
	v_fma_f64 v[1:2], v[1:2], v[42:43], 0
	s_and_saveexec_b32 s2, s0
	s_cbranch_execz .LBB17_18
; %bb.17:
	scratch_load_b64 v[42:43], off, off offset:8
	v_mov_b32_e32 v44, 0
	ds_load_b64 v[44:45], v44 offset:152
	s_waitcnt vmcnt(0) lgkmcnt(0)
	v_fma_f64 v[1:2], v[42:43], v[44:45], v[1:2]
.LBB17_18:
	s_or_b32 exec_lo, exec_lo, s2
	v_mov_b32_e32 v42, 0
	ds_load_b64 v[42:43], v42 offset:16
	s_waitcnt lgkmcnt(0)
	v_mul_f64 v[1:2], v[1:2], v[42:43]
	scratch_store_b64 off, v[1:2], off offset:16
.LBB17_19:
	s_or_b32 exec_lo, exec_lo, s1
	s_waitcnt_vscnt null, 0x0
	s_barrier
	buffer_gl0_inv
	scratch_load_b64 v[1:2], off, off offset:24
	v_add_nc_u32_e32 v42, -1, v0
	s_mov_b32 s0, exec_lo
	s_waitcnt vmcnt(0)
	ds_store_b64 v41, v[1:2]
	s_waitcnt lgkmcnt(0)
	s_barrier
	buffer_gl0_inv
	v_cmpx_gt_u32_e32 3, v0
	s_cbranch_execz .LBB17_23
; %bb.20:
	v_dual_mov_b32 v1, 0 :: v_dual_add_nc_u32 v44, 0x90, v3
	v_dual_mov_b32 v2, 0 :: v_dual_add_nc_u32 v43, -1, v0
	v_add_nc_u32_e32 v45, 0, v3
	s_mov_b32 s1, 0
.LBB17_21:                              ; =>This Inner Loop Header: Depth=1
	scratch_load_b64 v[46:47], v45, off
	ds_load_b64 v[48:49], v44
	v_add_nc_u32_e32 v43, 1, v43
	v_add_nc_u32_e32 v44, 8, v44
	v_add_nc_u32_e32 v45, 8, v45
	s_delay_alu instid0(VALU_DEP_3)
	v_cmp_lt_u32_e32 vcc_lo, 1, v43
	s_or_b32 s1, vcc_lo, s1
	s_waitcnt vmcnt(0) lgkmcnt(0)
	v_fma_f64 v[1:2], v[46:47], v[48:49], v[1:2]
	s_and_not1_b32 exec_lo, exec_lo, s1
	s_cbranch_execnz .LBB17_21
; %bb.22:
	s_or_b32 exec_lo, exec_lo, s1
	v_mov_b32_e32 v43, 0
	ds_load_b64 v[43:44], v43 offset:24
	s_waitcnt lgkmcnt(0)
	v_mul_f64 v[1:2], v[1:2], v[43:44]
	scratch_store_b64 off, v[1:2], off offset:24
.LBB17_23:
	s_or_b32 exec_lo, exec_lo, s0
	s_waitcnt_vscnt null, 0x0
	s_barrier
	buffer_gl0_inv
	scratch_load_b64 v[1:2], off, off offset:32
	s_mov_b32 s0, exec_lo
	s_waitcnt vmcnt(0)
	ds_store_b64 v41, v[1:2]
	s_waitcnt lgkmcnt(0)
	s_barrier
	buffer_gl0_inv
	v_cmpx_gt_u32_e32 4, v0
	s_cbranch_execz .LBB17_27
; %bb.24:
	v_dual_mov_b32 v1, 0 :: v_dual_add_nc_u32 v44, 0x90, v3
	v_dual_mov_b32 v2, 0 :: v_dual_add_nc_u32 v43, -1, v0
	v_add_nc_u32_e32 v45, 0, v3
	s_mov_b32 s1, 0
.LBB17_25:                              ; =>This Inner Loop Header: Depth=1
	scratch_load_b64 v[46:47], v45, off
	ds_load_b64 v[48:49], v44
	v_add_nc_u32_e32 v43, 1, v43
	v_add_nc_u32_e32 v44, 8, v44
	v_add_nc_u32_e32 v45, 8, v45
	s_delay_alu instid0(VALU_DEP_3)
	v_cmp_lt_u32_e32 vcc_lo, 2, v43
	s_or_b32 s1, vcc_lo, s1
	s_waitcnt vmcnt(0) lgkmcnt(0)
	v_fma_f64 v[1:2], v[46:47], v[48:49], v[1:2]
	s_and_not1_b32 exec_lo, exec_lo, s1
	s_cbranch_execnz .LBB17_25
; %bb.26:
	s_or_b32 exec_lo, exec_lo, s1
	v_mov_b32_e32 v43, 0
	ds_load_b64 v[43:44], v43 offset:32
	s_waitcnt lgkmcnt(0)
	v_mul_f64 v[1:2], v[1:2], v[43:44]
	scratch_store_b64 off, v[1:2], off offset:32
.LBB17_27:
	s_or_b32 exec_lo, exec_lo, s0
	s_waitcnt_vscnt null, 0x0
	s_barrier
	buffer_gl0_inv
	scratch_load_b64 v[1:2], off, off offset:40
	;; [unrolled: 39-line block ×14, first 2 shown]
	s_mov_b32 s0, exec_lo
	s_waitcnt vmcnt(0)
	ds_store_b64 v41, v[1:2]
	s_waitcnt lgkmcnt(0)
	s_barrier
	buffer_gl0_inv
	v_cmpx_ne_u32_e32 17, v0
	s_cbranch_execz .LBB17_79
; %bb.76:
	v_mov_b32_e32 v1, 0
	v_mov_b32_e32 v2, 0
	s_mov_b32 s1, 0
.LBB17_77:                              ; =>This Inner Loop Header: Depth=1
	scratch_load_b64 v[43:44], v40, off
	ds_load_b64 v[45:46], v41
	v_add_nc_u32_e32 v42, 1, v42
	v_add_nc_u32_e32 v41, 8, v41
	;; [unrolled: 1-line block ×3, first 2 shown]
	s_delay_alu instid0(VALU_DEP_3)
	v_cmp_lt_u32_e32 vcc_lo, 15, v42
	s_or_b32 s1, vcc_lo, s1
	s_waitcnt vmcnt(0) lgkmcnt(0)
	v_fma_f64 v[1:2], v[43:44], v[45:46], v[1:2]
	s_and_not1_b32 exec_lo, exec_lo, s1
	s_cbranch_execnz .LBB17_77
; %bb.78:
	s_or_b32 exec_lo, exec_lo, s1
	v_mov_b32_e32 v3, 0
	ds_load_b64 v[40:41], v3 offset:136
	s_waitcnt lgkmcnt(0)
	v_mul_f64 v[1:2], v[1:2], v[40:41]
	scratch_store_b64 off, v[1:2], off offset:136
.LBB17_79:
	s_or_b32 exec_lo, exec_lo, s0
	s_mov_b32 s1, -1
	s_waitcnt_vscnt null, 0x0
	s_barrier
	buffer_gl0_inv
.LBB17_80:
	s_and_b32 vcc_lo, exec_lo, s1
	s_cbranch_vccz .LBB17_82
; %bb.81:
	s_lshl_b64 s[0:1], s[14:15], 2
	v_mov_b32_e32 v1, 0
	s_add_u32 s0, s6, s0
	s_addc_u32 s1, s7, s1
	global_load_b32 v1, v1, s[0:1]
	s_waitcnt vmcnt(0)
	v_cmp_ne_u32_e32 vcc_lo, 0, v1
	s_cbranch_vccz .LBB17_83
.LBB17_82:
	s_endpgm
.LBB17_83:
	v_lshl_add_u32 v3, v0, 3, 0x90
	s_mov_b32 s0, exec_lo
	v_cmpx_eq_u32_e32 17, v0
	s_cbranch_execz .LBB17_85
; %bb.84:
	scratch_load_b64 v[1:2], off, off offset:128
	v_mov_b32_e32 v40, 0
	s_delay_alu instid0(VALU_DEP_1)
	v_mov_b32_e32 v41, v40
	scratch_store_b64 off, v[40:41], off offset:128
	s_waitcnt vmcnt(0)
	ds_store_b64 v3, v[1:2]
.LBB17_85:
	s_or_b32 exec_lo, exec_lo, s0
	s_waitcnt lgkmcnt(0)
	s_waitcnt_vscnt null, 0x0
	s_barrier
	buffer_gl0_inv
	scratch_load_b128 v[40:43], off, off offset:128
	v_mov_b32_e32 v1, 0
	s_mov_b32 s0, exec_lo
	ds_load_b64 v[44:45], v1 offset:280
	s_waitcnt vmcnt(0) lgkmcnt(0)
	v_fma_f64 v[42:43], v[42:43], v[44:45], 0
	s_delay_alu instid0(VALU_DEP_1)
	v_add_f64 v[40:41], v[40:41], -v[42:43]
	scratch_store_b64 off, v[40:41], off offset:128
	v_cmpx_lt_u32_e32 15, v0
	s_cbranch_execz .LBB17_87
; %bb.86:
	scratch_load_b64 v[40:41], off, off offset:120
	v_mov_b32_e32 v2, v1
	scratch_store_b64 off, v[1:2], off offset:120
	s_waitcnt vmcnt(0)
	ds_store_b64 v3, v[40:41]
.LBB17_87:
	s_or_b32 exec_lo, exec_lo, s0
	s_waitcnt lgkmcnt(0)
	s_waitcnt_vscnt null, 0x0
	s_barrier
	buffer_gl0_inv
	s_clause 0x1
	scratch_load_b128 v[40:43], off, off offset:120
	scratch_load_b64 v[48:49], off, off offset:136
	ds_load_b128 v[44:47], v1 offset:272
	s_mov_b32 s0, exec_lo
	s_waitcnt vmcnt(1) lgkmcnt(0)
	v_fma_f64 v[1:2], v[42:43], v[44:45], 0
	s_waitcnt vmcnt(0)
	s_delay_alu instid0(VALU_DEP_1) | instskip(NEXT) | instid1(VALU_DEP_1)
	v_fma_f64 v[1:2], v[48:49], v[46:47], v[1:2]
	v_add_f64 v[1:2], v[40:41], -v[1:2]
	scratch_store_b64 off, v[1:2], off offset:120
	v_cmpx_lt_u32_e32 14, v0
	s_cbranch_execz .LBB17_89
; %bb.88:
	scratch_load_b64 v[1:2], off, off offset:112
	v_mov_b32_e32 v40, 0
	s_delay_alu instid0(VALU_DEP_1)
	v_mov_b32_e32 v41, v40
	scratch_store_b64 off, v[40:41], off offset:112
	s_waitcnt vmcnt(0)
	ds_store_b64 v3, v[1:2]
.LBB17_89:
	s_or_b32 exec_lo, exec_lo, s0
	s_waitcnt lgkmcnt(0)
	s_waitcnt_vscnt null, 0x0
	s_barrier
	buffer_gl0_inv
	s_clause 0x1
	scratch_load_b128 v[40:43], off, off offset:112
	scratch_load_b128 v[44:47], off, off offset:128
	v_mov_b32_e32 v1, 0
	ds_load_2addr_b64 v[48:51], v1 offset0:33 offset1:34
	ds_load_b64 v[52:53], v1 offset:280
	s_mov_b32 s0, exec_lo
	s_waitcnt vmcnt(1) lgkmcnt(1)
	v_fma_f64 v[42:43], v[42:43], v[48:49], 0
	s_waitcnt vmcnt(0)
	s_delay_alu instid0(VALU_DEP_1) | instskip(SKIP_1) | instid1(VALU_DEP_1)
	v_fma_f64 v[42:43], v[44:45], v[50:51], v[42:43]
	s_waitcnt lgkmcnt(0)
	v_fma_f64 v[42:43], v[46:47], v[52:53], v[42:43]
	s_delay_alu instid0(VALU_DEP_1)
	v_add_f64 v[40:41], v[40:41], -v[42:43]
	scratch_store_b64 off, v[40:41], off offset:112
	v_cmpx_lt_u32_e32 13, v0
	s_cbranch_execz .LBB17_91
; %bb.90:
	scratch_load_b64 v[40:41], off, off offset:104
	v_mov_b32_e32 v2, v1
	scratch_store_b64 off, v[1:2], off offset:104
	s_waitcnt vmcnt(0)
	ds_store_b64 v3, v[40:41]
.LBB17_91:
	s_or_b32 exec_lo, exec_lo, s0
	s_waitcnt lgkmcnt(0)
	s_waitcnt_vscnt null, 0x0
	s_barrier
	buffer_gl0_inv
	s_clause 0x2
	scratch_load_b128 v[40:43], off, off offset:104
	scratch_load_b128 v[44:47], off, off offset:120
	scratch_load_b64 v[56:57], off, off offset:136
	ds_load_b128 v[48:51], v1 offset:256
	ds_load_b128 v[52:55], v1 offset:272
	s_mov_b32 s0, exec_lo
	s_waitcnt vmcnt(2) lgkmcnt(1)
	v_fma_f64 v[1:2], v[42:43], v[48:49], 0
	s_waitcnt vmcnt(1)
	s_delay_alu instid0(VALU_DEP_1) | instskip(SKIP_1) | instid1(VALU_DEP_1)
	v_fma_f64 v[1:2], v[44:45], v[50:51], v[1:2]
	s_waitcnt lgkmcnt(0)
	v_fma_f64 v[1:2], v[46:47], v[52:53], v[1:2]
	s_waitcnt vmcnt(0)
	s_delay_alu instid0(VALU_DEP_1) | instskip(NEXT) | instid1(VALU_DEP_1)
	v_fma_f64 v[1:2], v[56:57], v[54:55], v[1:2]
	v_add_f64 v[1:2], v[40:41], -v[1:2]
	scratch_store_b64 off, v[1:2], off offset:104
	v_cmpx_lt_u32_e32 12, v0
	s_cbranch_execz .LBB17_93
; %bb.92:
	scratch_load_b64 v[1:2], off, off offset:96
	v_mov_b32_e32 v40, 0
	s_delay_alu instid0(VALU_DEP_1)
	v_mov_b32_e32 v41, v40
	scratch_store_b64 off, v[40:41], off offset:96
	s_waitcnt vmcnt(0)
	ds_store_b64 v3, v[1:2]
.LBB17_93:
	s_or_b32 exec_lo, exec_lo, s0
	s_waitcnt lgkmcnt(0)
	s_waitcnt_vscnt null, 0x0
	s_barrier
	buffer_gl0_inv
	s_clause 0x2
	scratch_load_b128 v[40:43], off, off offset:96
	scratch_load_b128 v[44:47], off, off offset:112
	;; [unrolled: 1-line block ×3, first 2 shown]
	v_mov_b32_e32 v1, 0
	ds_load_2addr_b64 v[52:55], v1 offset0:31 offset1:32
	ds_load_2addr_b64 v[56:59], v1 offset0:33 offset1:34
	s_mov_b32 s0, exec_lo
	s_waitcnt vmcnt(2) lgkmcnt(1)
	v_fma_f64 v[42:43], v[42:43], v[52:53], 0
	s_waitcnt vmcnt(1)
	s_delay_alu instid0(VALU_DEP_1) | instskip(SKIP_4) | instid1(VALU_DEP_1)
	v_fma_f64 v[42:43], v[44:45], v[54:55], v[42:43]
	ds_load_b64 v[44:45], v1 offset:280
	s_waitcnt lgkmcnt(1)
	v_fma_f64 v[42:43], v[46:47], v[56:57], v[42:43]
	s_waitcnt vmcnt(0)
	v_fma_f64 v[42:43], v[48:49], v[58:59], v[42:43]
	s_waitcnt lgkmcnt(0)
	s_delay_alu instid0(VALU_DEP_1) | instskip(NEXT) | instid1(VALU_DEP_1)
	v_fma_f64 v[42:43], v[50:51], v[44:45], v[42:43]
	v_add_f64 v[40:41], v[40:41], -v[42:43]
	scratch_store_b64 off, v[40:41], off offset:96
	v_cmpx_lt_u32_e32 11, v0
	s_cbranch_execz .LBB17_95
; %bb.94:
	scratch_load_b64 v[40:41], off, off offset:88
	v_mov_b32_e32 v2, v1
	scratch_store_b64 off, v[1:2], off offset:88
	s_waitcnt vmcnt(0)
	ds_store_b64 v3, v[40:41]
.LBB17_95:
	s_or_b32 exec_lo, exec_lo, s0
	s_waitcnt lgkmcnt(0)
	s_waitcnt_vscnt null, 0x0
	s_barrier
	buffer_gl0_inv
	s_clause 0x3
	scratch_load_b128 v[40:43], off, off offset:88
	scratch_load_b128 v[44:47], off, off offset:104
	;; [unrolled: 1-line block ×3, first 2 shown]
	scratch_load_b64 v[60:61], off, off offset:136
	ds_load_b128 v[52:55], v1 offset:240
	ds_load_b128 v[56:59], v1 offset:256
	s_mov_b32 s0, exec_lo
	s_waitcnt vmcnt(3) lgkmcnt(1)
	v_fma_f64 v[42:43], v[42:43], v[52:53], 0
	s_waitcnt vmcnt(2)
	s_delay_alu instid0(VALU_DEP_1) | instskip(SKIP_1) | instid1(VALU_DEP_1)
	v_fma_f64 v[42:43], v[44:45], v[54:55], v[42:43]
	s_waitcnt lgkmcnt(0)
	v_fma_f64 v[42:43], v[46:47], v[56:57], v[42:43]
	s_waitcnt vmcnt(1)
	s_delay_alu instid0(VALU_DEP_1) | instskip(SKIP_4) | instid1(VALU_DEP_1)
	v_fma_f64 v[46:47], v[48:49], v[58:59], v[42:43]
	ds_load_b128 v[42:45], v1 offset:272
	s_waitcnt lgkmcnt(0)
	v_fma_f64 v[1:2], v[50:51], v[42:43], v[46:47]
	s_waitcnt vmcnt(0)
	v_fma_f64 v[1:2], v[60:61], v[44:45], v[1:2]
	s_delay_alu instid0(VALU_DEP_1)
	v_add_f64 v[1:2], v[40:41], -v[1:2]
	scratch_store_b64 off, v[1:2], off offset:88
	v_cmpx_lt_u32_e32 10, v0
	s_cbranch_execz .LBB17_97
; %bb.96:
	scratch_load_b64 v[1:2], off, off offset:80
	v_mov_b32_e32 v40, 0
	s_delay_alu instid0(VALU_DEP_1)
	v_mov_b32_e32 v41, v40
	scratch_store_b64 off, v[40:41], off offset:80
	s_waitcnt vmcnt(0)
	ds_store_b64 v3, v[1:2]
.LBB17_97:
	s_or_b32 exec_lo, exec_lo, s0
	s_waitcnt lgkmcnt(0)
	s_waitcnt_vscnt null, 0x0
	s_barrier
	buffer_gl0_inv
	s_clause 0x3
	scratch_load_b128 v[40:43], off, off offset:80
	scratch_load_b128 v[44:47], off, off offset:96
	;; [unrolled: 1-line block ×4, first 2 shown]
	v_mov_b32_e32 v1, 0
	ds_load_2addr_b64 v[56:59], v1 offset0:29 offset1:30
	ds_load_2addr_b64 v[60:63], v1 offset0:31 offset1:32
	s_mov_b32 s0, exec_lo
	s_waitcnt vmcnt(3) lgkmcnt(1)
	v_fma_f64 v[42:43], v[42:43], v[56:57], 0
	s_waitcnt vmcnt(2)
	s_delay_alu instid0(VALU_DEP_1) | instskip(SKIP_1) | instid1(VALU_DEP_1)
	v_fma_f64 v[42:43], v[44:45], v[58:59], v[42:43]
	s_waitcnt lgkmcnt(0)
	v_fma_f64 v[42:43], v[46:47], v[60:61], v[42:43]
	s_waitcnt vmcnt(1)
	s_delay_alu instid0(VALU_DEP_1)
	v_fma_f64 v[46:47], v[48:49], v[62:63], v[42:43]
	ds_load_2addr_b64 v[42:45], v1 offset0:33 offset1:34
	ds_load_b64 v[48:49], v1 offset:280
	s_waitcnt lgkmcnt(1)
	v_fma_f64 v[42:43], v[50:51], v[42:43], v[46:47]
	s_waitcnt vmcnt(0)
	s_delay_alu instid0(VALU_DEP_1) | instskip(SKIP_1) | instid1(VALU_DEP_1)
	v_fma_f64 v[42:43], v[52:53], v[44:45], v[42:43]
	s_waitcnt lgkmcnt(0)
	v_fma_f64 v[42:43], v[54:55], v[48:49], v[42:43]
	s_delay_alu instid0(VALU_DEP_1)
	v_add_f64 v[40:41], v[40:41], -v[42:43]
	scratch_store_b64 off, v[40:41], off offset:80
	v_cmpx_lt_u32_e32 9, v0
	s_cbranch_execz .LBB17_99
; %bb.98:
	scratch_load_b64 v[40:41], off, off offset:72
	v_mov_b32_e32 v2, v1
	scratch_store_b64 off, v[1:2], off offset:72
	s_waitcnt vmcnt(0)
	ds_store_b64 v3, v[40:41]
.LBB17_99:
	s_or_b32 exec_lo, exec_lo, s0
	s_waitcnt lgkmcnt(0)
	s_waitcnt_vscnt null, 0x0
	s_barrier
	buffer_gl0_inv
	s_clause 0x4
	scratch_load_b128 v[40:43], off, off offset:72
	scratch_load_b128 v[44:47], off, off offset:88
	;; [unrolled: 1-line block ×4, first 2 shown]
	scratch_load_b64 v[64:65], off, off offset:136
	ds_load_b128 v[56:59], v1 offset:224
	ds_load_b128 v[60:63], v1 offset:240
	s_mov_b32 s0, exec_lo
	s_waitcnt vmcnt(4) lgkmcnt(1)
	v_fma_f64 v[42:43], v[42:43], v[56:57], 0
	s_waitcnt vmcnt(3)
	s_delay_alu instid0(VALU_DEP_1) | instskip(SKIP_1) | instid1(VALU_DEP_1)
	v_fma_f64 v[42:43], v[44:45], v[58:59], v[42:43]
	s_waitcnt lgkmcnt(0)
	v_fma_f64 v[42:43], v[46:47], v[60:61], v[42:43]
	s_waitcnt vmcnt(2)
	s_delay_alu instid0(VALU_DEP_1)
	v_fma_f64 v[56:57], v[48:49], v[62:63], v[42:43]
	ds_load_b128 v[42:45], v1 offset:256
	ds_load_b128 v[46:49], v1 offset:272
	s_waitcnt lgkmcnt(1)
	v_fma_f64 v[1:2], v[50:51], v[42:43], v[56:57]
	s_waitcnt vmcnt(1)
	s_delay_alu instid0(VALU_DEP_1) | instskip(SKIP_1) | instid1(VALU_DEP_1)
	v_fma_f64 v[1:2], v[52:53], v[44:45], v[1:2]
	s_waitcnt lgkmcnt(0)
	v_fma_f64 v[1:2], v[54:55], v[46:47], v[1:2]
	s_waitcnt vmcnt(0)
	s_delay_alu instid0(VALU_DEP_1) | instskip(NEXT) | instid1(VALU_DEP_1)
	v_fma_f64 v[1:2], v[64:65], v[48:49], v[1:2]
	v_add_f64 v[1:2], v[40:41], -v[1:2]
	scratch_store_b64 off, v[1:2], off offset:72
	v_cmpx_lt_u32_e32 8, v0
	s_cbranch_execz .LBB17_101
; %bb.100:
	scratch_load_b64 v[1:2], off, off offset:64
	v_mov_b32_e32 v40, 0
	s_delay_alu instid0(VALU_DEP_1)
	v_mov_b32_e32 v41, v40
	scratch_store_b64 off, v[40:41], off offset:64
	s_waitcnt vmcnt(0)
	ds_store_b64 v3, v[1:2]
.LBB17_101:
	s_or_b32 exec_lo, exec_lo, s0
	s_waitcnt lgkmcnt(0)
	s_waitcnt_vscnt null, 0x0
	s_barrier
	buffer_gl0_inv
	s_clause 0x4
	scratch_load_b128 v[40:43], off, off offset:64
	scratch_load_b128 v[44:47], off, off offset:80
	;; [unrolled: 1-line block ×5, first 2 shown]
	v_mov_b32_e32 v1, 0
	ds_load_2addr_b64 v[60:63], v1 offset0:27 offset1:28
	ds_load_2addr_b64 v[64:67], v1 offset0:29 offset1:30
	s_mov_b32 s0, exec_lo
	s_waitcnt vmcnt(4) lgkmcnt(1)
	v_fma_f64 v[42:43], v[42:43], v[60:61], 0
	s_waitcnt vmcnt(3)
	s_delay_alu instid0(VALU_DEP_1) | instskip(SKIP_1) | instid1(VALU_DEP_1)
	v_fma_f64 v[42:43], v[44:45], v[62:63], v[42:43]
	s_waitcnt lgkmcnt(0)
	v_fma_f64 v[42:43], v[46:47], v[64:65], v[42:43]
	s_waitcnt vmcnt(2)
	s_delay_alu instid0(VALU_DEP_1)
	v_fma_f64 v[60:61], v[48:49], v[66:67], v[42:43]
	ds_load_2addr_b64 v[42:45], v1 offset0:31 offset1:32
	ds_load_2addr_b64 v[46:49], v1 offset0:33 offset1:34
	s_waitcnt lgkmcnt(1)
	v_fma_f64 v[42:43], v[50:51], v[42:43], v[60:61]
	s_waitcnt vmcnt(1)
	s_delay_alu instid0(VALU_DEP_1) | instskip(SKIP_4) | instid1(VALU_DEP_1)
	v_fma_f64 v[42:43], v[52:53], v[44:45], v[42:43]
	ds_load_b64 v[44:45], v1 offset:280
	s_waitcnt lgkmcnt(1)
	v_fma_f64 v[42:43], v[54:55], v[46:47], v[42:43]
	s_waitcnt vmcnt(0)
	v_fma_f64 v[42:43], v[56:57], v[48:49], v[42:43]
	s_waitcnt lgkmcnt(0)
	s_delay_alu instid0(VALU_DEP_1) | instskip(NEXT) | instid1(VALU_DEP_1)
	v_fma_f64 v[42:43], v[58:59], v[44:45], v[42:43]
	v_add_f64 v[40:41], v[40:41], -v[42:43]
	scratch_store_b64 off, v[40:41], off offset:64
	v_cmpx_lt_u32_e32 7, v0
	s_cbranch_execz .LBB17_103
; %bb.102:
	scratch_load_b64 v[40:41], off, off offset:56
	v_mov_b32_e32 v2, v1
	scratch_store_b64 off, v[1:2], off offset:56
	s_waitcnt vmcnt(0)
	ds_store_b64 v3, v[40:41]
.LBB17_103:
	s_or_b32 exec_lo, exec_lo, s0
	s_waitcnt lgkmcnt(0)
	s_waitcnt_vscnt null, 0x0
	s_barrier
	buffer_gl0_inv
	s_clause 0x4
	scratch_load_b128 v[40:43], off, off offset:56
	scratch_load_b128 v[44:47], off, off offset:72
	;; [unrolled: 1-line block ×5, first 2 shown]
	ds_load_b128 v[60:63], v1 offset:208
	ds_load_b128 v[64:67], v1 offset:224
	s_mov_b32 s0, exec_lo
	s_waitcnt vmcnt(4) lgkmcnt(1)
	v_fma_f64 v[42:43], v[42:43], v[60:61], 0
	scratch_load_b64 v[60:61], off, off offset:136
	s_waitcnt vmcnt(4)
	v_fma_f64 v[42:43], v[44:45], v[62:63], v[42:43]
	s_waitcnt lgkmcnt(0)
	s_delay_alu instid0(VALU_DEP_1) | instskip(SKIP_1) | instid1(VALU_DEP_1)
	v_fma_f64 v[42:43], v[46:47], v[64:65], v[42:43]
	s_waitcnt vmcnt(3)
	v_fma_f64 v[62:63], v[48:49], v[66:67], v[42:43]
	ds_load_b128 v[42:45], v1 offset:240
	ds_load_b128 v[46:49], v1 offset:256
	s_waitcnt lgkmcnt(1)
	v_fma_f64 v[42:43], v[50:51], v[42:43], v[62:63]
	s_waitcnt vmcnt(2)
	s_delay_alu instid0(VALU_DEP_1) | instskip(SKIP_1) | instid1(VALU_DEP_1)
	v_fma_f64 v[42:43], v[52:53], v[44:45], v[42:43]
	s_waitcnt lgkmcnt(0)
	v_fma_f64 v[42:43], v[54:55], v[46:47], v[42:43]
	s_waitcnt vmcnt(1)
	s_delay_alu instid0(VALU_DEP_1) | instskip(SKIP_4) | instid1(VALU_DEP_1)
	v_fma_f64 v[46:47], v[56:57], v[48:49], v[42:43]
	ds_load_b128 v[42:45], v1 offset:272
	s_waitcnt lgkmcnt(0)
	v_fma_f64 v[1:2], v[58:59], v[42:43], v[46:47]
	s_waitcnt vmcnt(0)
	v_fma_f64 v[1:2], v[60:61], v[44:45], v[1:2]
	s_delay_alu instid0(VALU_DEP_1)
	v_add_f64 v[1:2], v[40:41], -v[1:2]
	scratch_store_b64 off, v[1:2], off offset:56
	v_cmpx_lt_u32_e32 6, v0
	s_cbranch_execz .LBB17_105
; %bb.104:
	scratch_load_b64 v[1:2], off, off offset:48
	v_mov_b32_e32 v40, 0
	s_delay_alu instid0(VALU_DEP_1)
	v_mov_b32_e32 v41, v40
	scratch_store_b64 off, v[40:41], off offset:48
	s_waitcnt vmcnt(0)
	ds_store_b64 v3, v[1:2]
.LBB17_105:
	s_or_b32 exec_lo, exec_lo, s0
	s_waitcnt lgkmcnt(0)
	s_waitcnt_vscnt null, 0x0
	s_barrier
	buffer_gl0_inv
	s_clause 0x4
	scratch_load_b128 v[40:43], off, off offset:48
	scratch_load_b128 v[44:47], off, off offset:64
	scratch_load_b128 v[48:51], off, off offset:80
	scratch_load_b128 v[52:55], off, off offset:96
	scratch_load_b128 v[56:59], off, off offset:112
	v_mov_b32_e32 v1, 0
	ds_load_2addr_b64 v[60:63], v1 offset0:25 offset1:26
	ds_load_2addr_b64 v[64:67], v1 offset0:27 offset1:28
	scratch_load_b128 v[68:71], off, off offset:128
	s_mov_b32 s0, exec_lo
	s_waitcnt vmcnt(5) lgkmcnt(1)
	v_fma_f64 v[42:43], v[42:43], v[60:61], 0
	s_waitcnt vmcnt(4)
	s_delay_alu instid0(VALU_DEP_1) | instskip(SKIP_1) | instid1(VALU_DEP_1)
	v_fma_f64 v[42:43], v[44:45], v[62:63], v[42:43]
	s_waitcnt lgkmcnt(0)
	v_fma_f64 v[42:43], v[46:47], v[64:65], v[42:43]
	s_waitcnt vmcnt(3)
	s_delay_alu instid0(VALU_DEP_1)
	v_fma_f64 v[60:61], v[48:49], v[66:67], v[42:43]
	ds_load_2addr_b64 v[42:45], v1 offset0:29 offset1:30
	ds_load_2addr_b64 v[46:49], v1 offset0:31 offset1:32
	s_waitcnt lgkmcnt(1)
	v_fma_f64 v[42:43], v[50:51], v[42:43], v[60:61]
	s_waitcnt vmcnt(2)
	s_delay_alu instid0(VALU_DEP_1) | instskip(SKIP_1) | instid1(VALU_DEP_1)
	v_fma_f64 v[42:43], v[52:53], v[44:45], v[42:43]
	s_waitcnt lgkmcnt(0)
	v_fma_f64 v[42:43], v[54:55], v[46:47], v[42:43]
	s_waitcnt vmcnt(1)
	s_delay_alu instid0(VALU_DEP_1)
	v_fma_f64 v[46:47], v[56:57], v[48:49], v[42:43]
	ds_load_2addr_b64 v[42:45], v1 offset0:33 offset1:34
	ds_load_b64 v[48:49], v1 offset:280
	s_waitcnt lgkmcnt(1)
	v_fma_f64 v[42:43], v[58:59], v[42:43], v[46:47]
	s_waitcnt vmcnt(0)
	s_delay_alu instid0(VALU_DEP_1) | instskip(SKIP_1) | instid1(VALU_DEP_1)
	v_fma_f64 v[42:43], v[68:69], v[44:45], v[42:43]
	s_waitcnt lgkmcnt(0)
	v_fma_f64 v[42:43], v[70:71], v[48:49], v[42:43]
	s_delay_alu instid0(VALU_DEP_1)
	v_add_f64 v[40:41], v[40:41], -v[42:43]
	scratch_store_b64 off, v[40:41], off offset:48
	v_cmpx_lt_u32_e32 5, v0
	s_cbranch_execz .LBB17_107
; %bb.106:
	scratch_load_b64 v[40:41], off, off offset:40
	v_mov_b32_e32 v2, v1
	scratch_store_b64 off, v[1:2], off offset:40
	s_waitcnt vmcnt(0)
	ds_store_b64 v3, v[40:41]
.LBB17_107:
	s_or_b32 exec_lo, exec_lo, s0
	s_waitcnt lgkmcnt(0)
	s_waitcnt_vscnt null, 0x0
	s_barrier
	buffer_gl0_inv
	s_clause 0x4
	scratch_load_b128 v[40:43], off, off offset:40
	scratch_load_b128 v[44:47], off, off offset:56
	;; [unrolled: 1-line block ×5, first 2 shown]
	ds_load_b128 v[60:63], v1 offset:192
	ds_load_b128 v[64:67], v1 offset:208
	scratch_load_b128 v[68:71], off, off offset:120
	s_mov_b32 s0, exec_lo
	s_waitcnt vmcnt(5) lgkmcnt(1)
	v_fma_f64 v[42:43], v[42:43], v[60:61], 0
	scratch_load_b64 v[60:61], off, off offset:136
	s_waitcnt vmcnt(5)
	v_fma_f64 v[42:43], v[44:45], v[62:63], v[42:43]
	s_waitcnt lgkmcnt(0)
	s_delay_alu instid0(VALU_DEP_1) | instskip(SKIP_1) | instid1(VALU_DEP_1)
	v_fma_f64 v[42:43], v[46:47], v[64:65], v[42:43]
	s_waitcnt vmcnt(4)
	v_fma_f64 v[62:63], v[48:49], v[66:67], v[42:43]
	ds_load_b128 v[42:45], v1 offset:224
	ds_load_b128 v[46:49], v1 offset:240
	s_waitcnt lgkmcnt(1)
	v_fma_f64 v[42:43], v[50:51], v[42:43], v[62:63]
	s_waitcnt vmcnt(3)
	s_delay_alu instid0(VALU_DEP_1) | instskip(SKIP_1) | instid1(VALU_DEP_1)
	v_fma_f64 v[42:43], v[52:53], v[44:45], v[42:43]
	s_waitcnt lgkmcnt(0)
	v_fma_f64 v[42:43], v[54:55], v[46:47], v[42:43]
	s_waitcnt vmcnt(2)
	s_delay_alu instid0(VALU_DEP_1)
	v_fma_f64 v[50:51], v[56:57], v[48:49], v[42:43]
	ds_load_b128 v[42:45], v1 offset:256
	ds_load_b128 v[46:49], v1 offset:272
	s_waitcnt lgkmcnt(1)
	v_fma_f64 v[1:2], v[58:59], v[42:43], v[50:51]
	s_waitcnt vmcnt(1)
	s_delay_alu instid0(VALU_DEP_1) | instskip(SKIP_1) | instid1(VALU_DEP_1)
	v_fma_f64 v[1:2], v[68:69], v[44:45], v[1:2]
	s_waitcnt lgkmcnt(0)
	v_fma_f64 v[1:2], v[70:71], v[46:47], v[1:2]
	s_waitcnt vmcnt(0)
	s_delay_alu instid0(VALU_DEP_1) | instskip(NEXT) | instid1(VALU_DEP_1)
	v_fma_f64 v[1:2], v[60:61], v[48:49], v[1:2]
	v_add_f64 v[1:2], v[40:41], -v[1:2]
	scratch_store_b64 off, v[1:2], off offset:40
	v_cmpx_lt_u32_e32 4, v0
	s_cbranch_execz .LBB17_109
; %bb.108:
	scratch_load_b64 v[1:2], off, off offset:32
	v_mov_b32_e32 v40, 0
	s_delay_alu instid0(VALU_DEP_1)
	v_mov_b32_e32 v41, v40
	scratch_store_b64 off, v[40:41], off offset:32
	s_waitcnt vmcnt(0)
	ds_store_b64 v3, v[1:2]
.LBB17_109:
	s_or_b32 exec_lo, exec_lo, s0
	s_waitcnt lgkmcnt(0)
	s_waitcnt_vscnt null, 0x0
	s_barrier
	buffer_gl0_inv
	s_clause 0x4
	scratch_load_b128 v[40:43], off, off offset:32
	scratch_load_b128 v[44:47], off, off offset:48
	;; [unrolled: 1-line block ×5, first 2 shown]
	v_mov_b32_e32 v1, 0
	ds_load_2addr_b64 v[60:63], v1 offset0:23 offset1:24
	ds_load_2addr_b64 v[64:67], v1 offset0:25 offset1:26
	scratch_load_b128 v[68:71], off, off offset:112
	s_mov_b32 s0, exec_lo
	s_waitcnt vmcnt(5) lgkmcnt(1)
	v_fma_f64 v[42:43], v[42:43], v[60:61], 0
	s_waitcnt vmcnt(4)
	s_delay_alu instid0(VALU_DEP_1) | instskip(SKIP_1) | instid1(VALU_DEP_1)
	v_fma_f64 v[42:43], v[44:45], v[62:63], v[42:43]
	s_waitcnt lgkmcnt(0)
	v_fma_f64 v[46:47], v[46:47], v[64:65], v[42:43]
	scratch_load_b128 v[42:45], off, off offset:128
	s_waitcnt vmcnt(4)
	v_fma_f64 v[64:65], v[48:49], v[66:67], v[46:47]
	ds_load_2addr_b64 v[46:49], v1 offset0:27 offset1:28
	ds_load_2addr_b64 v[60:63], v1 offset0:29 offset1:30
	s_waitcnt lgkmcnt(1)
	v_fma_f64 v[46:47], v[50:51], v[46:47], v[64:65]
	s_waitcnt vmcnt(3)
	s_delay_alu instid0(VALU_DEP_1) | instskip(SKIP_1) | instid1(VALU_DEP_1)
	v_fma_f64 v[46:47], v[52:53], v[48:49], v[46:47]
	s_waitcnt lgkmcnt(0)
	v_fma_f64 v[46:47], v[54:55], v[60:61], v[46:47]
	s_waitcnt vmcnt(2)
	s_delay_alu instid0(VALU_DEP_1)
	v_fma_f64 v[54:55], v[56:57], v[62:63], v[46:47]
	ds_load_2addr_b64 v[46:49], v1 offset0:31 offset1:32
	ds_load_2addr_b64 v[50:53], v1 offset0:33 offset1:34
	s_waitcnt lgkmcnt(1)
	v_fma_f64 v[46:47], v[58:59], v[46:47], v[54:55]
	s_waitcnt vmcnt(1)
	s_delay_alu instid0(VALU_DEP_1) | instskip(SKIP_1) | instid1(VALU_DEP_1)
	v_fma_f64 v[46:47], v[68:69], v[48:49], v[46:47]
	s_waitcnt lgkmcnt(0)
	v_fma_f64 v[46:47], v[70:71], v[50:51], v[46:47]
	s_waitcnt vmcnt(0)
	s_delay_alu instid0(VALU_DEP_1) | instskip(SKIP_3) | instid1(VALU_DEP_1)
	v_fma_f64 v[42:43], v[42:43], v[52:53], v[46:47]
	ds_load_b64 v[46:47], v1 offset:280
	s_waitcnt lgkmcnt(0)
	v_fma_f64 v[42:43], v[44:45], v[46:47], v[42:43]
	v_add_f64 v[40:41], v[40:41], -v[42:43]
	scratch_store_b64 off, v[40:41], off offset:32
	v_cmpx_lt_u32_e32 3, v0
	s_cbranch_execz .LBB17_111
; %bb.110:
	scratch_load_b64 v[40:41], off, off offset:24
	v_mov_b32_e32 v2, v1
	scratch_store_b64 off, v[1:2], off offset:24
	s_waitcnt vmcnt(0)
	ds_store_b64 v3, v[40:41]
.LBB17_111:
	s_or_b32 exec_lo, exec_lo, s0
	s_waitcnt lgkmcnt(0)
	s_waitcnt_vscnt null, 0x0
	s_barrier
	buffer_gl0_inv
	s_clause 0x4
	scratch_load_b128 v[40:43], off, off offset:24
	scratch_load_b128 v[44:47], off, off offset:40
	;; [unrolled: 1-line block ×5, first 2 shown]
	ds_load_b128 v[60:63], v1 offset:176
	ds_load_b128 v[64:67], v1 offset:192
	scratch_load_b128 v[68:71], off, off offset:104
	s_mov_b32 s0, exec_lo
	s_waitcnt vmcnt(5) lgkmcnt(1)
	v_fma_f64 v[42:43], v[42:43], v[60:61], 0
	s_waitcnt vmcnt(4)
	s_delay_alu instid0(VALU_DEP_1) | instskip(SKIP_1) | instid1(VALU_DEP_1)
	v_fma_f64 v[42:43], v[44:45], v[62:63], v[42:43]
	s_waitcnt lgkmcnt(0)
	v_fma_f64 v[46:47], v[46:47], v[64:65], v[42:43]
	scratch_load_b128 v[42:45], off, off offset:120
	s_waitcnt vmcnt(4)
	v_fma_f64 v[64:65], v[48:49], v[66:67], v[46:47]
	ds_load_b128 v[46:49], v1 offset:208
	ds_load_b128 v[60:63], v1 offset:224
	s_waitcnt lgkmcnt(1)
	v_fma_f64 v[46:47], v[50:51], v[46:47], v[64:65]
	scratch_load_b64 v[64:65], off, off offset:136
	s_waitcnt vmcnt(4)
	v_fma_f64 v[46:47], v[52:53], v[48:49], v[46:47]
	s_waitcnt lgkmcnt(0)
	s_delay_alu instid0(VALU_DEP_1) | instskip(SKIP_1) | instid1(VALU_DEP_1)
	v_fma_f64 v[46:47], v[54:55], v[60:61], v[46:47]
	s_waitcnt vmcnt(3)
	v_fma_f64 v[54:55], v[56:57], v[62:63], v[46:47]
	ds_load_b128 v[46:49], v1 offset:240
	ds_load_b128 v[50:53], v1 offset:256
	s_waitcnt lgkmcnt(1)
	v_fma_f64 v[46:47], v[58:59], v[46:47], v[54:55]
	s_waitcnt vmcnt(2)
	s_delay_alu instid0(VALU_DEP_1) | instskip(SKIP_1) | instid1(VALU_DEP_1)
	v_fma_f64 v[46:47], v[68:69], v[48:49], v[46:47]
	s_waitcnt lgkmcnt(0)
	v_fma_f64 v[46:47], v[70:71], v[50:51], v[46:47]
	s_waitcnt vmcnt(1)
	s_delay_alu instid0(VALU_DEP_1) | instskip(SKIP_4) | instid1(VALU_DEP_1)
	v_fma_f64 v[42:43], v[42:43], v[52:53], v[46:47]
	ds_load_b128 v[46:49], v1 offset:272
	s_waitcnt lgkmcnt(0)
	v_fma_f64 v[1:2], v[44:45], v[46:47], v[42:43]
	s_waitcnt vmcnt(0)
	v_fma_f64 v[1:2], v[64:65], v[48:49], v[1:2]
	s_delay_alu instid0(VALU_DEP_1)
	v_add_f64 v[1:2], v[40:41], -v[1:2]
	scratch_store_b64 off, v[1:2], off offset:24
	v_cmpx_lt_u32_e32 2, v0
	s_cbranch_execz .LBB17_113
; %bb.112:
	scratch_load_b64 v[1:2], off, off offset:16
	v_mov_b32_e32 v40, 0
	s_delay_alu instid0(VALU_DEP_1)
	v_mov_b32_e32 v41, v40
	scratch_store_b64 off, v[40:41], off offset:16
	s_waitcnt vmcnt(0)
	ds_store_b64 v3, v[1:2]
.LBB17_113:
	s_or_b32 exec_lo, exec_lo, s0
	s_waitcnt lgkmcnt(0)
	s_waitcnt_vscnt null, 0x0
	s_barrier
	buffer_gl0_inv
	s_clause 0x4
	scratch_load_b128 v[40:43], off, off offset:16
	scratch_load_b128 v[44:47], off, off offset:32
	;; [unrolled: 1-line block ×5, first 2 shown]
	v_mov_b32_e32 v1, 0
	ds_load_2addr_b64 v[60:63], v1 offset0:21 offset1:22
	ds_load_2addr_b64 v[64:67], v1 offset0:23 offset1:24
	scratch_load_b128 v[68:71], off, off offset:96
	s_mov_b32 s0, exec_lo
	s_waitcnt vmcnt(5) lgkmcnt(1)
	v_fma_f64 v[42:43], v[42:43], v[60:61], 0
	s_waitcnt vmcnt(4)
	s_delay_alu instid0(VALU_DEP_1) | instskip(SKIP_1) | instid1(VALU_DEP_1)
	v_fma_f64 v[42:43], v[44:45], v[62:63], v[42:43]
	s_waitcnt lgkmcnt(0)
	v_fma_f64 v[46:47], v[46:47], v[64:65], v[42:43]
	scratch_load_b128 v[42:45], off, off offset:112
	s_waitcnt vmcnt(4)
	v_fma_f64 v[64:65], v[48:49], v[66:67], v[46:47]
	ds_load_2addr_b64 v[46:49], v1 offset0:25 offset1:26
	ds_load_2addr_b64 v[60:63], v1 offset0:27 offset1:28
	s_waitcnt lgkmcnt(1)
	v_fma_f64 v[46:47], v[50:51], v[46:47], v[64:65]
	scratch_load_b128 v[64:67], off, off offset:128
	s_waitcnt vmcnt(4)
	v_fma_f64 v[46:47], v[52:53], v[48:49], v[46:47]
	s_waitcnt lgkmcnt(0)
	s_delay_alu instid0(VALU_DEP_1) | instskip(SKIP_1) | instid1(VALU_DEP_1)
	v_fma_f64 v[46:47], v[54:55], v[60:61], v[46:47]
	s_waitcnt vmcnt(3)
	v_fma_f64 v[54:55], v[56:57], v[62:63], v[46:47]
	ds_load_2addr_b64 v[46:49], v1 offset0:29 offset1:30
	ds_load_2addr_b64 v[50:53], v1 offset0:31 offset1:32
	s_waitcnt lgkmcnt(1)
	v_fma_f64 v[46:47], v[58:59], v[46:47], v[54:55]
	s_waitcnt vmcnt(2)
	s_delay_alu instid0(VALU_DEP_1) | instskip(SKIP_1) | instid1(VALU_DEP_1)
	v_fma_f64 v[46:47], v[68:69], v[48:49], v[46:47]
	s_waitcnt lgkmcnt(0)
	v_fma_f64 v[46:47], v[70:71], v[50:51], v[46:47]
	s_waitcnt vmcnt(1)
	s_delay_alu instid0(VALU_DEP_1)
	v_fma_f64 v[42:43], v[42:43], v[52:53], v[46:47]
	ds_load_2addr_b64 v[46:49], v1 offset0:33 offset1:34
	ds_load_b64 v[50:51], v1 offset:280
	s_waitcnt lgkmcnt(1)
	v_fma_f64 v[42:43], v[44:45], v[46:47], v[42:43]
	s_waitcnt vmcnt(0)
	s_delay_alu instid0(VALU_DEP_1) | instskip(SKIP_1) | instid1(VALU_DEP_1)
	v_fma_f64 v[42:43], v[64:65], v[48:49], v[42:43]
	s_waitcnt lgkmcnt(0)
	v_fma_f64 v[42:43], v[66:67], v[50:51], v[42:43]
	s_delay_alu instid0(VALU_DEP_1)
	v_add_f64 v[40:41], v[40:41], -v[42:43]
	scratch_store_b64 off, v[40:41], off offset:16
	v_cmpx_lt_u32_e32 1, v0
	s_cbranch_execz .LBB17_115
; %bb.114:
	scratch_load_b64 v[40:41], off, off offset:8
	v_mov_b32_e32 v2, v1
	scratch_store_b64 off, v[1:2], off offset:8
	s_waitcnt vmcnt(0)
	ds_store_b64 v3, v[40:41]
.LBB17_115:
	s_or_b32 exec_lo, exec_lo, s0
	s_waitcnt lgkmcnt(0)
	s_waitcnt_vscnt null, 0x0
	s_barrier
	buffer_gl0_inv
	s_clause 0x4
	scratch_load_b128 v[40:43], off, off offset:8
	scratch_load_b128 v[44:47], off, off offset:24
	;; [unrolled: 1-line block ×5, first 2 shown]
	ds_load_b128 v[60:63], v1 offset:160
	ds_load_b128 v[64:67], v1 offset:176
	scratch_load_b128 v[68:71], off, off offset:88
	s_mov_b32 s0, exec_lo
	s_waitcnt vmcnt(5) lgkmcnt(1)
	v_fma_f64 v[42:43], v[42:43], v[60:61], 0
	s_waitcnt vmcnt(4)
	s_delay_alu instid0(VALU_DEP_1) | instskip(SKIP_1) | instid1(VALU_DEP_1)
	v_fma_f64 v[42:43], v[44:45], v[62:63], v[42:43]
	s_waitcnt lgkmcnt(0)
	v_fma_f64 v[46:47], v[46:47], v[64:65], v[42:43]
	scratch_load_b128 v[42:45], off, off offset:104
	s_waitcnt vmcnt(4)
	v_fma_f64 v[64:65], v[48:49], v[66:67], v[46:47]
	ds_load_b128 v[46:49], v1 offset:192
	ds_load_b128 v[60:63], v1 offset:208
	s_waitcnt lgkmcnt(1)
	v_fma_f64 v[46:47], v[50:51], v[46:47], v[64:65]
	scratch_load_b128 v[64:67], off, off offset:120
	s_waitcnt vmcnt(4)
	v_fma_f64 v[46:47], v[52:53], v[48:49], v[46:47]
	s_waitcnt lgkmcnt(0)
	s_delay_alu instid0(VALU_DEP_1)
	v_fma_f64 v[46:47], v[54:55], v[60:61], v[46:47]
	scratch_load_b64 v[54:55], off, off offset:136
	s_waitcnt vmcnt(4)
	v_fma_f64 v[56:57], v[56:57], v[62:63], v[46:47]
	ds_load_b128 v[46:49], v1 offset:224
	ds_load_b128 v[50:53], v1 offset:240
	s_waitcnt lgkmcnt(1)
	v_fma_f64 v[46:47], v[58:59], v[46:47], v[56:57]
	s_waitcnt vmcnt(3)
	s_delay_alu instid0(VALU_DEP_1) | instskip(SKIP_1) | instid1(VALU_DEP_1)
	v_fma_f64 v[46:47], v[68:69], v[48:49], v[46:47]
	s_waitcnt lgkmcnt(0)
	v_fma_f64 v[46:47], v[70:71], v[50:51], v[46:47]
	s_waitcnt vmcnt(2)
	s_delay_alu instid0(VALU_DEP_1)
	v_fma_f64 v[42:43], v[42:43], v[52:53], v[46:47]
	ds_load_b128 v[46:49], v1 offset:256
	ds_load_b128 v[50:53], v1 offset:272
	s_waitcnt lgkmcnt(1)
	v_fma_f64 v[1:2], v[44:45], v[46:47], v[42:43]
	s_waitcnt vmcnt(1)
	s_delay_alu instid0(VALU_DEP_1) | instskip(SKIP_1) | instid1(VALU_DEP_1)
	v_fma_f64 v[1:2], v[64:65], v[48:49], v[1:2]
	s_waitcnt lgkmcnt(0)
	v_fma_f64 v[1:2], v[66:67], v[50:51], v[1:2]
	s_waitcnt vmcnt(0)
	s_delay_alu instid0(VALU_DEP_1) | instskip(NEXT) | instid1(VALU_DEP_1)
	v_fma_f64 v[1:2], v[54:55], v[52:53], v[1:2]
	v_add_f64 v[1:2], v[40:41], -v[1:2]
	scratch_store_b64 off, v[1:2], off offset:8
	v_cmpx_ne_u32_e32 0, v0
	s_cbranch_execz .LBB17_117
; %bb.116:
	scratch_load_b64 v[0:1], off, off
	v_mov_b32_e32 v40, 0
	s_delay_alu instid0(VALU_DEP_1)
	v_mov_b32_e32 v41, v40
	scratch_store_b64 off, v[40:41], off
	s_waitcnt vmcnt(0)
	ds_store_b64 v3, v[0:1]
.LBB17_117:
	s_or_b32 exec_lo, exec_lo, s0
	s_waitcnt lgkmcnt(0)
	s_waitcnt_vscnt null, 0x0
	s_barrier
	buffer_gl0_inv
	s_clause 0x4
	scratch_load_b128 v[40:43], off, off
	scratch_load_b128 v[0:3], off, off offset:16
	scratch_load_b128 v[44:47], off, off offset:32
	;; [unrolled: 1-line block ×4, first 2 shown]
	v_mov_b32_e32 v68, 0
	ds_load_2addr_b64 v[56:59], v68 offset0:19 offset1:20
	ds_load_2addr_b64 v[60:63], v68 offset0:21 offset1:22
	scratch_load_b128 v[64:67], off, off offset:80
	s_and_b32 vcc_lo, exec_lo, s16
	s_waitcnt vmcnt(5) lgkmcnt(1)
	v_fma_f64 v[42:43], v[42:43], v[56:57], 0
	s_waitcnt vmcnt(4)
	s_delay_alu instid0(VALU_DEP_1) | instskip(SKIP_4) | instid1(VALU_DEP_1)
	v_fma_f64 v[0:1], v[0:1], v[58:59], v[42:43]
	scratch_load_b128 v[56:59], off, off offset:96
	s_waitcnt lgkmcnt(0)
	v_fma_f64 v[0:1], v[2:3], v[60:61], v[0:1]
	s_waitcnt vmcnt(4)
	v_fma_f64 v[60:61], v[44:45], v[62:63], v[0:1]
	ds_load_2addr_b64 v[0:3], v68 offset0:23 offset1:24
	ds_load_2addr_b64 v[42:45], v68 offset0:25 offset1:26
	s_waitcnt lgkmcnt(1)
	v_fma_f64 v[0:1], v[46:47], v[0:1], v[60:61]
	scratch_load_b128 v[60:63], off, off offset:112
	s_waitcnt vmcnt(4)
	v_fma_f64 v[0:1], v[48:49], v[2:3], v[0:1]
	s_waitcnt lgkmcnt(0)
	s_delay_alu instid0(VALU_DEP_1)
	v_fma_f64 v[42:43], v[50:51], v[42:43], v[0:1]
	scratch_load_b128 v[0:3], off, off offset:128
	s_waitcnt vmcnt(4)
	v_fma_f64 v[50:51], v[52:53], v[44:45], v[42:43]
	ds_load_2addr_b64 v[42:45], v68 offset0:27 offset1:28
	ds_load_2addr_b64 v[46:49], v68 offset0:29 offset1:30
	s_waitcnt lgkmcnt(1)
	v_fma_f64 v[42:43], v[54:55], v[42:43], v[50:51]
	s_waitcnt vmcnt(3)
	s_delay_alu instid0(VALU_DEP_1) | instskip(SKIP_1) | instid1(VALU_DEP_1)
	v_fma_f64 v[42:43], v[64:65], v[44:45], v[42:43]
	s_waitcnt lgkmcnt(0)
	v_fma_f64 v[42:43], v[66:67], v[46:47], v[42:43]
	s_waitcnt vmcnt(2)
	s_delay_alu instid0(VALU_DEP_1)
	v_fma_f64 v[50:51], v[56:57], v[48:49], v[42:43]
	ds_load_2addr_b64 v[42:45], v68 offset0:31 offset1:32
	ds_load_2addr_b64 v[46:49], v68 offset0:33 offset1:34
	s_waitcnt lgkmcnt(1)
	v_fma_f64 v[42:43], v[58:59], v[42:43], v[50:51]
	s_waitcnt vmcnt(1)
	s_delay_alu instid0(VALU_DEP_1) | instskip(SKIP_4) | instid1(VALU_DEP_1)
	v_fma_f64 v[42:43], v[60:61], v[44:45], v[42:43]
	ds_load_b64 v[44:45], v68 offset:280
	s_waitcnt lgkmcnt(1)
	v_fma_f64 v[42:43], v[62:63], v[46:47], v[42:43]
	s_waitcnt vmcnt(0)
	v_fma_f64 v[42:43], v[0:1], v[48:49], v[42:43]
	s_waitcnt lgkmcnt(0)
	s_delay_alu instid0(VALU_DEP_1) | instskip(NEXT) | instid1(VALU_DEP_1)
	v_fma_f64 v[2:3], v[2:3], v[44:45], v[42:43]
	v_add_f64 v[2:3], v[40:41], -v[2:3]
	scratch_store_b64 off, v[2:3], off
	s_cbranch_vccz .LBB17_153
; %bb.118:
	v_dual_mov_b32 v2, s12 :: v_dual_mov_b32 v3, s13
	s_mov_b32 s0, exec_lo
	flat_load_b32 v2, v[2:3] offset:64
	s_waitcnt vmcnt(0) lgkmcnt(0)
	v_cmpx_ne_u32_e32 17, v2
	s_cbranch_execz .LBB17_120
; %bb.119:
	v_lshl_add_u32 v40, v2, 3, 0
	scratch_load_b64 v[2:3], v40, off offset:-8
	s_waitcnt vmcnt(0)
	scratch_store_b64 off, v[2:3], off offset:128
	scratch_store_b64 v40, v[0:1], off offset:-8
.LBB17_120:
	s_or_b32 exec_lo, exec_lo, s0
	v_dual_mov_b32 v0, s12 :: v_dual_mov_b32 v1, s13
	s_mov_b32 s0, exec_lo
	flat_load_b32 v0, v[0:1] offset:60
	s_waitcnt vmcnt(0) lgkmcnt(0)
	v_cmpx_ne_u32_e32 16, v0
	s_cbranch_execz .LBB17_122
; %bb.121:
	v_lshl_add_u32 v40, v0, 3, 0
	scratch_load_b64 v[0:1], v40, off offset:-8
	scratch_load_b64 v[2:3], off, off offset:120
	s_waitcnt vmcnt(1)
	scratch_store_b64 off, v[0:1], off offset:120
	s_waitcnt vmcnt(0)
	scratch_store_b64 v40, v[2:3], off offset:-8
.LBB17_122:
	s_or_b32 exec_lo, exec_lo, s0
	v_dual_mov_b32 v0, s12 :: v_dual_mov_b32 v1, s13
	s_mov_b32 s0, exec_lo
	flat_load_b32 v0, v[0:1] offset:56
	s_waitcnt vmcnt(0) lgkmcnt(0)
	v_cmpx_ne_u32_e32 15, v0
	s_cbranch_execz .LBB17_124
; %bb.123:
	v_lshl_add_u32 v40, v0, 3, 0
	scratch_load_b64 v[0:1], v40, off offset:-8
	scratch_load_b64 v[2:3], off, off offset:112
	s_waitcnt vmcnt(1)
	scratch_store_b64 off, v[0:1], off offset:112
	s_waitcnt vmcnt(0)
	scratch_store_b64 v40, v[2:3], off offset:-8
.LBB17_124:
	;; [unrolled: 16-line block ×15, first 2 shown]
	s_or_b32 exec_lo, exec_lo, s0
	v_dual_mov_b32 v0, s12 :: v_dual_mov_b32 v1, s13
	s_mov_b32 s0, exec_lo
	flat_load_b32 v0, v[0:1]
	scratch_load_b64 v[2:3], off, off
	s_waitcnt vmcnt(1) lgkmcnt(0)
	v_cmpx_ne_u32_e32 1, v0
	s_cbranch_execz .LBB17_152
; %bb.151:
	v_lshl_add_u32 v40, v0, 3, 0
	scratch_load_b64 v[0:1], v40, off offset:-8
	s_waitcnt vmcnt(0)
	scratch_store_b64 off, v[0:1], off
	scratch_store_b64 v40, v[2:3], off offset:-8
	scratch_load_b64 v[2:3], off, off
.LBB17_152:
	s_or_b32 exec_lo, exec_lo, s0
.LBB17_153:
	s_clause 0x8
	scratch_load_b128 v[40:43], off, off offset:8
	scratch_load_b128 v[44:47], off, off offset:24
	;; [unrolled: 1-line block ×8, first 2 shown]
	scratch_load_b64 v[0:1], off, off offset:136
	s_waitcnt vmcnt(9)
	global_store_b64 v[4:5], v[2:3], off
	s_waitcnt vmcnt(8)
	s_clause 0x1
	global_store_b64 v[6:7], v[40:41], off
	global_store_b64 v[8:9], v[42:43], off
	s_waitcnt vmcnt(7)
	s_clause 0x1
	global_store_b64 v[10:11], v[44:45], off
	;; [unrolled: 4-line block ×8, first 2 shown]
	global_store_b64 v[36:37], v[70:71], off
	s_waitcnt vmcnt(0)
	global_store_b64 v[38:39], v[0:1], off
	s_endpgm
	.section	.rodata,"a",@progbits
	.p2align	6, 0x0
	.amdhsa_kernel _ZN9rocsolver6v33100L18getri_kernel_smallILi18EdPdEEvT1_iilPiilS4_bb
		.amdhsa_group_segment_fixed_size 296
		.amdhsa_private_segment_fixed_size 160
		.amdhsa_kernarg_size 60
		.amdhsa_user_sgpr_count 15
		.amdhsa_user_sgpr_dispatch_ptr 0
		.amdhsa_user_sgpr_queue_ptr 0
		.amdhsa_user_sgpr_kernarg_segment_ptr 1
		.amdhsa_user_sgpr_dispatch_id 0
		.amdhsa_user_sgpr_private_segment_size 0
		.amdhsa_wavefront_size32 1
		.amdhsa_uses_dynamic_stack 0
		.amdhsa_enable_private_segment 1
		.amdhsa_system_sgpr_workgroup_id_x 1
		.amdhsa_system_sgpr_workgroup_id_y 0
		.amdhsa_system_sgpr_workgroup_id_z 0
		.amdhsa_system_sgpr_workgroup_info 0
		.amdhsa_system_vgpr_workitem_id 0
		.amdhsa_next_free_vgpr 76
		.amdhsa_next_free_sgpr 18
		.amdhsa_reserve_vcc 1
		.amdhsa_float_round_mode_32 0
		.amdhsa_float_round_mode_16_64 0
		.amdhsa_float_denorm_mode_32 3
		.amdhsa_float_denorm_mode_16_64 3
		.amdhsa_dx10_clamp 1
		.amdhsa_ieee_mode 1
		.amdhsa_fp16_overflow 0
		.amdhsa_workgroup_processor_mode 1
		.amdhsa_memory_ordered 1
		.amdhsa_forward_progress 0
		.amdhsa_shared_vgpr_count 0
		.amdhsa_exception_fp_ieee_invalid_op 0
		.amdhsa_exception_fp_denorm_src 0
		.amdhsa_exception_fp_ieee_div_zero 0
		.amdhsa_exception_fp_ieee_overflow 0
		.amdhsa_exception_fp_ieee_underflow 0
		.amdhsa_exception_fp_ieee_inexact 0
		.amdhsa_exception_int_div_zero 0
	.end_amdhsa_kernel
	.section	.text._ZN9rocsolver6v33100L18getri_kernel_smallILi18EdPdEEvT1_iilPiilS4_bb,"axG",@progbits,_ZN9rocsolver6v33100L18getri_kernel_smallILi18EdPdEEvT1_iilPiilS4_bb,comdat
.Lfunc_end17:
	.size	_ZN9rocsolver6v33100L18getri_kernel_smallILi18EdPdEEvT1_iilPiilS4_bb, .Lfunc_end17-_ZN9rocsolver6v33100L18getri_kernel_smallILi18EdPdEEvT1_iilPiilS4_bb
                                        ; -- End function
	.section	.AMDGPU.csdata,"",@progbits
; Kernel info:
; codeLenInByte = 11444
; NumSgprs: 20
; NumVgprs: 76
; ScratchSize: 160
; MemoryBound: 0
; FloatMode: 240
; IeeeMode: 1
; LDSByteSize: 296 bytes/workgroup (compile time only)
; SGPRBlocks: 2
; VGPRBlocks: 9
; NumSGPRsForWavesPerEU: 20
; NumVGPRsForWavesPerEU: 76
; Occupancy: 16
; WaveLimiterHint : 1
; COMPUTE_PGM_RSRC2:SCRATCH_EN: 1
; COMPUTE_PGM_RSRC2:USER_SGPR: 15
; COMPUTE_PGM_RSRC2:TRAP_HANDLER: 0
; COMPUTE_PGM_RSRC2:TGID_X_EN: 1
; COMPUTE_PGM_RSRC2:TGID_Y_EN: 0
; COMPUTE_PGM_RSRC2:TGID_Z_EN: 0
; COMPUTE_PGM_RSRC2:TIDIG_COMP_CNT: 0
	.section	.text._ZN9rocsolver6v33100L18getri_kernel_smallILi19EdPdEEvT1_iilPiilS4_bb,"axG",@progbits,_ZN9rocsolver6v33100L18getri_kernel_smallILi19EdPdEEvT1_iilPiilS4_bb,comdat
	.globl	_ZN9rocsolver6v33100L18getri_kernel_smallILi19EdPdEEvT1_iilPiilS4_bb ; -- Begin function _ZN9rocsolver6v33100L18getri_kernel_smallILi19EdPdEEvT1_iilPiilS4_bb
	.p2align	8
	.type	_ZN9rocsolver6v33100L18getri_kernel_smallILi19EdPdEEvT1_iilPiilS4_bb,@function
_ZN9rocsolver6v33100L18getri_kernel_smallILi19EdPdEEvT1_iilPiilS4_bb: ; @_ZN9rocsolver6v33100L18getri_kernel_smallILi19EdPdEEvT1_iilPiilS4_bb
; %bb.0:
	s_mov_b32 s2, exec_lo
	v_cmpx_gt_u32_e32 19, v0
	s_cbranch_execz .LBB18_86
; %bb.1:
	s_clause 0x2
	s_load_b32 s17, s[0:1], 0x38
	s_load_b128 s[8:11], s[0:1], 0x10
	s_load_b128 s[4:7], s[0:1], 0x28
	s_mov_b32 s14, s15
                                        ; implicit-def: $sgpr12_sgpr13
	s_waitcnt lgkmcnt(0)
	s_bitcmp1_b32 s17, 8
	s_cselect_b32 s16, -1, 0
	s_bfe_u32 s2, s17, 0x10008
	s_ashr_i32 s15, s15, 31
	s_cmp_eq_u32 s2, 0
	s_cbranch_scc1 .LBB18_3
; %bb.2:
	s_load_b32 s2, s[0:1], 0x20
	s_mul_i32 s3, s14, s5
	s_mul_hi_u32 s5, s14, s4
	s_mul_i32 s12, s15, s4
	s_add_i32 s3, s5, s3
	s_mul_i32 s4, s14, s4
	s_add_i32 s5, s3, s12
	s_delay_alu instid0(SALU_CYCLE_1)
	s_lshl_b64 s[4:5], s[4:5], 2
	s_waitcnt lgkmcnt(0)
	s_ashr_i32 s3, s2, 31
	s_add_u32 s4, s10, s4
	s_addc_u32 s5, s11, s5
	s_lshl_b64 s[2:3], s[2:3], 2
	s_delay_alu instid0(SALU_CYCLE_1)
	s_add_u32 s12, s4, s2
	s_addc_u32 s13, s5, s3
.LBB18_3:
	s_load_b128 s[0:3], s[0:1], 0x0
	s_mul_i32 s4, s14, s9
	s_mul_hi_u32 s5, s14, s8
	s_mul_i32 s9, s15, s8
	s_add_i32 s5, s5, s4
	s_mul_i32 s4, s14, s8
	s_add_i32 s5, s5, s9
	v_lshlrev_b32_e32 v3, 3, v0
	s_lshl_b64 s[4:5], s[4:5], 3
	s_waitcnt lgkmcnt(0)
	v_add3_u32 v1, s3, s3, v0
	s_ashr_i32 s9, s2, 31
	s_mov_b32 s8, s2
	s_add_u32 s2, s0, s4
	s_addc_u32 s5, s1, s5
	v_add_nc_u32_e32 v8, s3, v1
	s_lshl_b64 s[0:1], s[8:9], 3
	v_ashrrev_i32_e32 v2, 31, v1
	s_add_u32 s0, s2, s0
	s_addc_u32 s1, s5, s1
	v_add_nc_u32_e32 v10, s3, v8
	v_add_co_u32 v4, s2, s0, v3
	s_mov_b32 s4, s3
	s_ashr_i32 s5, s3, 31
	v_add_co_ci_u32_e64 v5, null, s1, 0, s2
	v_lshlrev_b64 v[1:2], 3, v[1:2]
	v_ashrrev_i32_e32 v9, 31, v8
	s_lshl_b64 s[4:5], s[4:5], 3
	v_add_nc_u32_e32 v14, s3, v10
	v_add_co_u32 v6, vcc_lo, v4, s4
	v_ashrrev_i32_e32 v11, 31, v10
	v_add_co_ci_u32_e32 v7, vcc_lo, s5, v5, vcc_lo
	v_lshlrev_b64 v[12:13], 3, v[8:9]
	v_add_co_u32 v8, vcc_lo, s0, v1
	v_add_nc_u32_e32 v16, s3, v14
	v_add_co_ci_u32_e32 v9, vcc_lo, s1, v2, vcc_lo
	v_lshlrev_b64 v[1:2], 3, v[10:11]
	v_add_co_u32 v10, vcc_lo, s0, v12
	v_ashrrev_i32_e32 v15, 31, v14
	v_add_nc_u32_e32 v18, s3, v16
	v_add_co_ci_u32_e32 v11, vcc_lo, s1, v13, vcc_lo
	v_add_co_u32 v12, vcc_lo, s0, v1
	v_add_co_ci_u32_e32 v13, vcc_lo, s1, v2, vcc_lo
	v_lshlrev_b64 v[1:2], 3, v[14:15]
	v_ashrrev_i32_e32 v17, 31, v16
	v_add_nc_u32_e32 v20, s3, v18
	v_ashrrev_i32_e32 v19, 31, v18
	s_clause 0x4
	global_load_b64 v[42:43], v3, s[0:1]
	global_load_b64 v[44:45], v[6:7], off
	global_load_b64 v[46:47], v[8:9], off
	;; [unrolled: 1-line block ×4, first 2 shown]
	v_lshlrev_b64 v[16:17], 3, v[16:17]
	v_add_co_u32 v14, vcc_lo, s0, v1
	v_ashrrev_i32_e32 v21, 31, v20
	v_add_co_ci_u32_e32 v15, vcc_lo, s1, v2, vcc_lo
	v_lshlrev_b64 v[1:2], 3, v[18:19]
	v_add_nc_u32_e32 v23, s3, v20
	v_add_co_u32 v16, vcc_lo, s0, v16
	v_lshlrev_b64 v[21:22], 3, v[20:21]
	v_add_co_ci_u32_e32 v17, vcc_lo, s1, v17, vcc_lo
	v_add_co_u32 v18, vcc_lo, s0, v1
	v_ashrrev_i32_e32 v24, 31, v23
	v_add_nc_u32_e32 v1, s3, v23
	v_add_co_ci_u32_e32 v19, vcc_lo, s1, v2, vcc_lo
	v_add_co_u32 v20, vcc_lo, s0, v21
	v_add_co_ci_u32_e32 v21, vcc_lo, s1, v22, vcc_lo
	v_lshlrev_b64 v[22:23], 3, v[23:24]
	v_add_nc_u32_e32 v24, s3, v1
	v_ashrrev_i32_e32 v2, 31, v1
	s_clause 0x3
	global_load_b64 v[52:53], v[14:15], off
	global_load_b64 v[54:55], v[16:17], off
	;; [unrolled: 1-line block ×4, first 2 shown]
	s_bitcmp0_b32 s17, 0
	v_add_nc_u32_e32 v26, s3, v24
	v_lshlrev_b64 v[1:2], 3, v[1:2]
	v_ashrrev_i32_e32 v25, 31, v24
	v_add_co_u32 v22, vcc_lo, s0, v22
	s_delay_alu instid0(VALU_DEP_4)
	v_ashrrev_i32_e32 v27, 31, v26
	v_add_nc_u32_e32 v30, s3, v26
	v_add_co_ci_u32_e32 v23, vcc_lo, s1, v23, vcc_lo
	v_lshlrev_b64 v[28:29], 3, v[24:25]
	v_add_co_u32 v24, vcc_lo, s0, v1
	v_add_co_ci_u32_e32 v25, vcc_lo, s1, v2, vcc_lo
	v_lshlrev_b64 v[1:2], 3, v[26:27]
	v_add_nc_u32_e32 v32, s3, v30
	v_add_co_u32 v26, vcc_lo, s0, v28
	v_ashrrev_i32_e32 v31, 31, v30
	v_add_co_ci_u32_e32 v27, vcc_lo, s1, v29, vcc_lo
	v_add_co_u32 v28, vcc_lo, s0, v1
	v_add_nc_u32_e32 v34, s3, v32
	v_add_co_ci_u32_e32 v29, vcc_lo, s1, v2, vcc_lo
	v_lshlrev_b64 v[1:2], 3, v[30:31]
	v_ashrrev_i32_e32 v33, 31, v32
	s_delay_alu instid0(VALU_DEP_4)
	v_ashrrev_i32_e32 v35, 31, v34
	v_add_nc_u32_e32 v36, s3, v34
	s_clause 0x3
	global_load_b64 v[60:61], v[22:23], off
	global_load_b64 v[62:63], v[24:25], off
	;; [unrolled: 1-line block ×4, first 2 shown]
	v_add_co_u32 v30, vcc_lo, s0, v1
	v_add_co_ci_u32_e32 v31, vcc_lo, s1, v2, vcc_lo
	v_lshlrev_b64 v[1:2], 3, v[34:35]
	v_add_nc_u32_e32 v34, s3, v36
	v_lshlrev_b64 v[32:33], 3, v[32:33]
	v_ashrrev_i32_e32 v37, 31, v36
	s_delay_alu instid0(VALU_DEP_3) | instskip(SKIP_1) | instid1(VALU_DEP_4)
	v_add_nc_u32_e32 v68, s3, v34
	v_ashrrev_i32_e32 v35, 31, v34
	v_add_co_u32 v32, vcc_lo, s0, v32
	s_delay_alu instid0(VALU_DEP_4)
	v_lshlrev_b64 v[38:39], 3, v[36:37]
	v_add_co_ci_u32_e32 v33, vcc_lo, s1, v33, vcc_lo
	v_add_co_u32 v36, vcc_lo, s0, v1
	v_ashrrev_i32_e32 v69, 31, v68
	v_add_co_ci_u32_e32 v37, vcc_lo, s1, v2, vcc_lo
	v_lshlrev_b64 v[1:2], 3, v[34:35]
	v_add_co_u32 v40, vcc_lo, s0, v38
	v_add_co_ci_u32_e32 v41, vcc_lo, s1, v39, vcc_lo
	v_lshlrev_b64 v[38:39], 3, v[68:69]
	s_delay_alu instid0(VALU_DEP_4) | instskip(SKIP_1) | instid1(VALU_DEP_3)
	v_add_co_u32 v34, vcc_lo, s0, v1
	v_add_co_ci_u32_e32 v35, vcc_lo, s1, v2, vcc_lo
	v_add_co_u32 v38, vcc_lo, s0, v38
	s_delay_alu instid0(VALU_DEP_4)
	v_add_co_ci_u32_e32 v39, vcc_lo, s1, v39, vcc_lo
	s_clause 0x5
	global_load_b64 v[68:69], v[30:31], off
	global_load_b64 v[70:71], v[32:33], off
	;; [unrolled: 1-line block ×6, first 2 shown]
	s_mov_b32 s1, -1
	s_waitcnt vmcnt(17)
	scratch_store_b128 off, v[42:45], off
	s_waitcnt vmcnt(15)
	scratch_store_b128 off, v[46:49], off offset:16
	s_waitcnt vmcnt(13)
	scratch_store_b128 off, v[50:53], off offset:32
	;; [unrolled: 2-line block ×8, first 2 shown]
	s_waitcnt vmcnt(0)
	scratch_store_b64 off, v[1:2], off offset:144
	s_cbranch_scc1 .LBB18_84
; %bb.4:
	v_cmp_eq_u32_e64 s0, 0, v0
	s_delay_alu instid0(VALU_DEP_1)
	s_and_saveexec_b32 s1, s0
	s_cbranch_execz .LBB18_6
; %bb.5:
	v_mov_b32_e32 v1, 0
	ds_store_b32 v1, v1 offset:152
.LBB18_6:
	s_or_b32 exec_lo, exec_lo, s1
	s_waitcnt lgkmcnt(0)
	s_waitcnt_vscnt null, 0x0
	s_barrier
	buffer_gl0_inv
	scratch_load_b64 v[1:2], v3, off
	s_mov_b32 s2, exec_lo
	s_waitcnt vmcnt(0)
	v_cmpx_eq_f64_e32 0, v[1:2]
	s_cbranch_execz .LBB18_10
; %bb.7:
	v_mov_b32_e32 v1, 0
	s_mov_b32 s3, 0
	ds_load_b32 v2, v1 offset:152
	s_waitcnt lgkmcnt(0)
	v_readfirstlane_b32 s1, v2
	v_add_nc_u32_e32 v2, 1, v0
	s_delay_alu instid0(VALU_DEP_2) | instskip(NEXT) | instid1(VALU_DEP_1)
	s_cmp_eq_u32 s1, 0
	v_cmp_gt_i32_e32 vcc_lo, s1, v2
	s_cselect_b32 s4, -1, 0
	s_delay_alu instid0(SALU_CYCLE_1) | instskip(NEXT) | instid1(SALU_CYCLE_1)
	s_or_b32 s4, s4, vcc_lo
	s_and_b32 exec_lo, exec_lo, s4
	s_cbranch_execz .LBB18_10
; %bb.8:
	v_mov_b32_e32 v42, s1
.LBB18_9:                               ; =>This Inner Loop Header: Depth=1
	ds_cmpstore_rtn_b32 v42, v1, v2, v42 offset:152
	s_waitcnt lgkmcnt(0)
	v_cmp_ne_u32_e32 vcc_lo, 0, v42
	v_cmp_le_i32_e64 s1, v42, v2
	s_delay_alu instid0(VALU_DEP_1) | instskip(NEXT) | instid1(SALU_CYCLE_1)
	s_and_b32 s1, vcc_lo, s1
	s_and_b32 s1, exec_lo, s1
	s_delay_alu instid0(SALU_CYCLE_1) | instskip(NEXT) | instid1(SALU_CYCLE_1)
	s_or_b32 s3, s1, s3
	s_and_not1_b32 exec_lo, exec_lo, s3
	s_cbranch_execnz .LBB18_9
.LBB18_10:
	s_or_b32 exec_lo, exec_lo, s2
	v_mov_b32_e32 v1, 0
	s_barrier
	buffer_gl0_inv
	ds_load_b32 v2, v1 offset:152
	s_and_saveexec_b32 s1, s0
	s_cbranch_execz .LBB18_12
; %bb.11:
	s_lshl_b64 s[2:3], s[14:15], 2
	s_delay_alu instid0(SALU_CYCLE_1)
	s_add_u32 s2, s6, s2
	s_addc_u32 s3, s7, s3
	s_waitcnt lgkmcnt(0)
	global_store_b32 v1, v2, s[2:3]
.LBB18_12:
	s_or_b32 exec_lo, exec_lo, s1
	s_waitcnt lgkmcnt(0)
	v_cmp_ne_u32_e32 vcc_lo, 0, v2
	s_mov_b32 s1, 0
	s_cbranch_vccnz .LBB18_84
; %bb.13:
	v_add_nc_u32_e32 v42, 0, v3
	scratch_load_b64 v[1:2], v42, off
	s_waitcnt vmcnt(0)
	v_div_scale_f64 v[43:44], null, v[1:2], v[1:2], 1.0
	v_div_scale_f64 v[49:50], vcc_lo, 1.0, v[1:2], 1.0
	s_delay_alu instid0(VALU_DEP_2) | instskip(SKIP_2) | instid1(VALU_DEP_1)
	v_rcp_f64_e32 v[45:46], v[43:44]
	s_waitcnt_depctr 0xfff
	v_fma_f64 v[47:48], -v[43:44], v[45:46], 1.0
	v_fma_f64 v[45:46], v[45:46], v[47:48], v[45:46]
	s_delay_alu instid0(VALU_DEP_1) | instskip(NEXT) | instid1(VALU_DEP_1)
	v_fma_f64 v[47:48], -v[43:44], v[45:46], 1.0
	v_fma_f64 v[45:46], v[45:46], v[47:48], v[45:46]
	s_delay_alu instid0(VALU_DEP_1) | instskip(NEXT) | instid1(VALU_DEP_1)
	v_mul_f64 v[47:48], v[49:50], v[45:46]
	v_fma_f64 v[43:44], -v[43:44], v[47:48], v[49:50]
	s_delay_alu instid0(VALU_DEP_1) | instskip(NEXT) | instid1(VALU_DEP_1)
	v_div_fmas_f64 v[43:44], v[43:44], v[45:46], v[47:48]
	v_div_fixup_f64 v[1:2], v[43:44], v[1:2], 1.0
	v_add_nc_u32_e32 v43, 0xa0, v3
	scratch_store_b64 v42, v[1:2], off
	scratch_load_b64 v[44:45], off, off offset:8
	v_xor_b32_e32 v2, 0x80000000, v2
	s_waitcnt vmcnt(0)
	ds_store_2addr_b64 v3, v[1:2], v[44:45] offset1:20
	s_waitcnt lgkmcnt(0)
	s_waitcnt_vscnt null, 0x0
	s_barrier
	buffer_gl0_inv
	s_and_saveexec_b32 s1, s0
	s_cbranch_execz .LBB18_15
; %bb.14:
	scratch_load_b64 v[1:2], v42, off
	ds_load_b64 v[44:45], v43
	s_waitcnt vmcnt(0) lgkmcnt(0)
	v_fma_f64 v[1:2], v[1:2], v[44:45], 0
	v_mov_b32_e32 v44, 0
	ds_load_b64 v[44:45], v44 offset:8
	s_waitcnt lgkmcnt(0)
	v_mul_f64 v[1:2], v[1:2], v[44:45]
	scratch_store_b64 off, v[1:2], off offset:8
.LBB18_15:
	s_or_b32 exec_lo, exec_lo, s1
	s_waitcnt_vscnt null, 0x0
	s_barrier
	buffer_gl0_inv
	scratch_load_b64 v[1:2], off, off offset:16
	s_mov_b32 s1, exec_lo
	s_waitcnt vmcnt(0)
	ds_store_b64 v43, v[1:2]
	s_waitcnt lgkmcnt(0)
	s_barrier
	buffer_gl0_inv
	v_cmpx_gt_u32_e32 2, v0
	s_cbranch_execz .LBB18_19
; %bb.16:
	scratch_load_b64 v[1:2], v42, off
	ds_load_b64 v[44:45], v43
	s_waitcnt vmcnt(0) lgkmcnt(0)
	v_fma_f64 v[1:2], v[1:2], v[44:45], 0
	s_and_saveexec_b32 s2, s0
	s_cbranch_execz .LBB18_18
; %bb.17:
	scratch_load_b64 v[44:45], off, off offset:8
	v_mov_b32_e32 v46, 0
	ds_load_b64 v[46:47], v46 offset:168
	s_waitcnt vmcnt(0) lgkmcnt(0)
	v_fma_f64 v[1:2], v[44:45], v[46:47], v[1:2]
.LBB18_18:
	s_or_b32 exec_lo, exec_lo, s2
	v_mov_b32_e32 v44, 0
	ds_load_b64 v[44:45], v44 offset:16
	s_waitcnt lgkmcnt(0)
	v_mul_f64 v[1:2], v[1:2], v[44:45]
	scratch_store_b64 off, v[1:2], off offset:16
.LBB18_19:
	s_or_b32 exec_lo, exec_lo, s1
	s_waitcnt_vscnt null, 0x0
	s_barrier
	buffer_gl0_inv
	scratch_load_b64 v[1:2], off, off offset:24
	v_add_nc_u32_e32 v44, -1, v0
	s_mov_b32 s0, exec_lo
	s_waitcnt vmcnt(0)
	ds_store_b64 v43, v[1:2]
	s_waitcnt lgkmcnt(0)
	s_barrier
	buffer_gl0_inv
	v_cmpx_gt_u32_e32 3, v0
	s_cbranch_execz .LBB18_23
; %bb.20:
	v_dual_mov_b32 v1, 0 :: v_dual_add_nc_u32 v46, 0xa0, v3
	v_dual_mov_b32 v2, 0 :: v_dual_add_nc_u32 v45, -1, v0
	v_add_nc_u32_e32 v47, 0, v3
	s_mov_b32 s1, 0
.LBB18_21:                              ; =>This Inner Loop Header: Depth=1
	scratch_load_b64 v[48:49], v47, off
	ds_load_b64 v[50:51], v46
	v_add_nc_u32_e32 v45, 1, v45
	v_add_nc_u32_e32 v46, 8, v46
	v_add_nc_u32_e32 v47, 8, v47
	s_delay_alu instid0(VALU_DEP_3)
	v_cmp_lt_u32_e32 vcc_lo, 1, v45
	s_or_b32 s1, vcc_lo, s1
	s_waitcnt vmcnt(0) lgkmcnt(0)
	v_fma_f64 v[1:2], v[48:49], v[50:51], v[1:2]
	s_and_not1_b32 exec_lo, exec_lo, s1
	s_cbranch_execnz .LBB18_21
; %bb.22:
	s_or_b32 exec_lo, exec_lo, s1
	v_mov_b32_e32 v45, 0
	ds_load_b64 v[45:46], v45 offset:24
	s_waitcnt lgkmcnt(0)
	v_mul_f64 v[1:2], v[1:2], v[45:46]
	scratch_store_b64 off, v[1:2], off offset:24
.LBB18_23:
	s_or_b32 exec_lo, exec_lo, s0
	s_waitcnt_vscnt null, 0x0
	s_barrier
	buffer_gl0_inv
	scratch_load_b64 v[1:2], off, off offset:32
	s_mov_b32 s0, exec_lo
	s_waitcnt vmcnt(0)
	ds_store_b64 v43, v[1:2]
	s_waitcnt lgkmcnt(0)
	s_barrier
	buffer_gl0_inv
	v_cmpx_gt_u32_e32 4, v0
	s_cbranch_execz .LBB18_27
; %bb.24:
	v_dual_mov_b32 v1, 0 :: v_dual_add_nc_u32 v46, 0xa0, v3
	v_dual_mov_b32 v2, 0 :: v_dual_add_nc_u32 v45, -1, v0
	v_add_nc_u32_e32 v47, 0, v3
	s_mov_b32 s1, 0
.LBB18_25:                              ; =>This Inner Loop Header: Depth=1
	scratch_load_b64 v[48:49], v47, off
	ds_load_b64 v[50:51], v46
	v_add_nc_u32_e32 v45, 1, v45
	v_add_nc_u32_e32 v46, 8, v46
	v_add_nc_u32_e32 v47, 8, v47
	s_delay_alu instid0(VALU_DEP_3)
	v_cmp_lt_u32_e32 vcc_lo, 2, v45
	s_or_b32 s1, vcc_lo, s1
	s_waitcnt vmcnt(0) lgkmcnt(0)
	v_fma_f64 v[1:2], v[48:49], v[50:51], v[1:2]
	s_and_not1_b32 exec_lo, exec_lo, s1
	s_cbranch_execnz .LBB18_25
; %bb.26:
	s_or_b32 exec_lo, exec_lo, s1
	v_mov_b32_e32 v45, 0
	ds_load_b64 v[45:46], v45 offset:32
	s_waitcnt lgkmcnt(0)
	v_mul_f64 v[1:2], v[1:2], v[45:46]
	scratch_store_b64 off, v[1:2], off offset:32
.LBB18_27:
	s_or_b32 exec_lo, exec_lo, s0
	s_waitcnt_vscnt null, 0x0
	s_barrier
	buffer_gl0_inv
	scratch_load_b64 v[1:2], off, off offset:40
	s_mov_b32 s0, exec_lo
	s_waitcnt vmcnt(0)
	ds_store_b64 v43, v[1:2]
	s_waitcnt lgkmcnt(0)
	s_barrier
	buffer_gl0_inv
	v_cmpx_gt_u32_e32 5, v0
	s_cbranch_execz .LBB18_31
; %bb.28:
	v_dual_mov_b32 v1, 0 :: v_dual_add_nc_u32 v46, 0xa0, v3
	v_dual_mov_b32 v2, 0 :: v_dual_add_nc_u32 v45, -1, v0
	v_add_nc_u32_e32 v47, 0, v3
	s_mov_b32 s1, 0
.LBB18_29:                              ; =>This Inner Loop Header: Depth=1
	scratch_load_b64 v[48:49], v47, off
	ds_load_b64 v[50:51], v46
	v_add_nc_u32_e32 v45, 1, v45
	v_add_nc_u32_e32 v46, 8, v46
	v_add_nc_u32_e32 v47, 8, v47
	s_delay_alu instid0(VALU_DEP_3)
	v_cmp_lt_u32_e32 vcc_lo, 3, v45
	s_or_b32 s1, vcc_lo, s1
	s_waitcnt vmcnt(0) lgkmcnt(0)
	v_fma_f64 v[1:2], v[48:49], v[50:51], v[1:2]
	s_and_not1_b32 exec_lo, exec_lo, s1
	s_cbranch_execnz .LBB18_29
; %bb.30:
	s_or_b32 exec_lo, exec_lo, s1
	v_mov_b32_e32 v45, 0
	ds_load_b64 v[45:46], v45 offset:40
	s_waitcnt lgkmcnt(0)
	v_mul_f64 v[1:2], v[1:2], v[45:46]
	scratch_store_b64 off, v[1:2], off offset:40
.LBB18_31:
	s_or_b32 exec_lo, exec_lo, s0
	s_waitcnt_vscnt null, 0x0
	s_barrier
	buffer_gl0_inv
	scratch_load_b64 v[1:2], off, off offset:48
	s_mov_b32 s0, exec_lo
	s_waitcnt vmcnt(0)
	ds_store_b64 v43, v[1:2]
	s_waitcnt lgkmcnt(0)
	s_barrier
	buffer_gl0_inv
	v_cmpx_gt_u32_e32 6, v0
	s_cbranch_execz .LBB18_35
; %bb.32:
	v_dual_mov_b32 v1, 0 :: v_dual_add_nc_u32 v46, 0xa0, v3
	v_dual_mov_b32 v2, 0 :: v_dual_add_nc_u32 v45, -1, v0
	v_add_nc_u32_e32 v47, 0, v3
	s_mov_b32 s1, 0
.LBB18_33:                              ; =>This Inner Loop Header: Depth=1
	scratch_load_b64 v[48:49], v47, off
	ds_load_b64 v[50:51], v46
	v_add_nc_u32_e32 v45, 1, v45
	v_add_nc_u32_e32 v46, 8, v46
	v_add_nc_u32_e32 v47, 8, v47
	s_delay_alu instid0(VALU_DEP_3)
	v_cmp_lt_u32_e32 vcc_lo, 4, v45
	s_or_b32 s1, vcc_lo, s1
	s_waitcnt vmcnt(0) lgkmcnt(0)
	v_fma_f64 v[1:2], v[48:49], v[50:51], v[1:2]
	s_and_not1_b32 exec_lo, exec_lo, s1
	s_cbranch_execnz .LBB18_33
; %bb.34:
	s_or_b32 exec_lo, exec_lo, s1
	v_mov_b32_e32 v45, 0
	ds_load_b64 v[45:46], v45 offset:48
	s_waitcnt lgkmcnt(0)
	v_mul_f64 v[1:2], v[1:2], v[45:46]
	scratch_store_b64 off, v[1:2], off offset:48
.LBB18_35:
	s_or_b32 exec_lo, exec_lo, s0
	s_waitcnt_vscnt null, 0x0
	s_barrier
	buffer_gl0_inv
	scratch_load_b64 v[1:2], off, off offset:56
	s_mov_b32 s0, exec_lo
	s_waitcnt vmcnt(0)
	ds_store_b64 v43, v[1:2]
	s_waitcnt lgkmcnt(0)
	s_barrier
	buffer_gl0_inv
	v_cmpx_gt_u32_e32 7, v0
	s_cbranch_execz .LBB18_39
; %bb.36:
	v_dual_mov_b32 v1, 0 :: v_dual_add_nc_u32 v46, 0xa0, v3
	v_dual_mov_b32 v2, 0 :: v_dual_add_nc_u32 v45, -1, v0
	v_add_nc_u32_e32 v47, 0, v3
	s_mov_b32 s1, 0
.LBB18_37:                              ; =>This Inner Loop Header: Depth=1
	scratch_load_b64 v[48:49], v47, off
	ds_load_b64 v[50:51], v46
	v_add_nc_u32_e32 v45, 1, v45
	v_add_nc_u32_e32 v46, 8, v46
	v_add_nc_u32_e32 v47, 8, v47
	s_delay_alu instid0(VALU_DEP_3)
	v_cmp_lt_u32_e32 vcc_lo, 5, v45
	s_or_b32 s1, vcc_lo, s1
	s_waitcnt vmcnt(0) lgkmcnt(0)
	v_fma_f64 v[1:2], v[48:49], v[50:51], v[1:2]
	s_and_not1_b32 exec_lo, exec_lo, s1
	s_cbranch_execnz .LBB18_37
; %bb.38:
	s_or_b32 exec_lo, exec_lo, s1
	v_mov_b32_e32 v45, 0
	ds_load_b64 v[45:46], v45 offset:56
	s_waitcnt lgkmcnt(0)
	v_mul_f64 v[1:2], v[1:2], v[45:46]
	scratch_store_b64 off, v[1:2], off offset:56
.LBB18_39:
	s_or_b32 exec_lo, exec_lo, s0
	s_waitcnt_vscnt null, 0x0
	s_barrier
	buffer_gl0_inv
	scratch_load_b64 v[1:2], off, off offset:64
	s_mov_b32 s0, exec_lo
	s_waitcnt vmcnt(0)
	ds_store_b64 v43, v[1:2]
	s_waitcnt lgkmcnt(0)
	s_barrier
	buffer_gl0_inv
	v_cmpx_gt_u32_e32 8, v0
	s_cbranch_execz .LBB18_43
; %bb.40:
	v_dual_mov_b32 v1, 0 :: v_dual_add_nc_u32 v46, 0xa0, v3
	v_dual_mov_b32 v2, 0 :: v_dual_add_nc_u32 v45, -1, v0
	v_add_nc_u32_e32 v47, 0, v3
	s_mov_b32 s1, 0
.LBB18_41:                              ; =>This Inner Loop Header: Depth=1
	scratch_load_b64 v[48:49], v47, off
	ds_load_b64 v[50:51], v46
	v_add_nc_u32_e32 v45, 1, v45
	v_add_nc_u32_e32 v46, 8, v46
	v_add_nc_u32_e32 v47, 8, v47
	s_delay_alu instid0(VALU_DEP_3)
	v_cmp_lt_u32_e32 vcc_lo, 6, v45
	s_or_b32 s1, vcc_lo, s1
	s_waitcnt vmcnt(0) lgkmcnt(0)
	v_fma_f64 v[1:2], v[48:49], v[50:51], v[1:2]
	s_and_not1_b32 exec_lo, exec_lo, s1
	s_cbranch_execnz .LBB18_41
; %bb.42:
	s_or_b32 exec_lo, exec_lo, s1
	v_mov_b32_e32 v45, 0
	ds_load_b64 v[45:46], v45 offset:64
	s_waitcnt lgkmcnt(0)
	v_mul_f64 v[1:2], v[1:2], v[45:46]
	scratch_store_b64 off, v[1:2], off offset:64
.LBB18_43:
	s_or_b32 exec_lo, exec_lo, s0
	s_waitcnt_vscnt null, 0x0
	s_barrier
	buffer_gl0_inv
	scratch_load_b64 v[1:2], off, off offset:72
	s_mov_b32 s0, exec_lo
	s_waitcnt vmcnt(0)
	ds_store_b64 v43, v[1:2]
	s_waitcnt lgkmcnt(0)
	s_barrier
	buffer_gl0_inv
	v_cmpx_gt_u32_e32 9, v0
	s_cbranch_execz .LBB18_47
; %bb.44:
	v_dual_mov_b32 v1, 0 :: v_dual_add_nc_u32 v46, 0xa0, v3
	v_dual_mov_b32 v2, 0 :: v_dual_add_nc_u32 v45, -1, v0
	v_add_nc_u32_e32 v47, 0, v3
	s_mov_b32 s1, 0
.LBB18_45:                              ; =>This Inner Loop Header: Depth=1
	scratch_load_b64 v[48:49], v47, off
	ds_load_b64 v[50:51], v46
	v_add_nc_u32_e32 v45, 1, v45
	v_add_nc_u32_e32 v46, 8, v46
	v_add_nc_u32_e32 v47, 8, v47
	s_delay_alu instid0(VALU_DEP_3)
	v_cmp_lt_u32_e32 vcc_lo, 7, v45
	s_or_b32 s1, vcc_lo, s1
	s_waitcnt vmcnt(0) lgkmcnt(0)
	v_fma_f64 v[1:2], v[48:49], v[50:51], v[1:2]
	s_and_not1_b32 exec_lo, exec_lo, s1
	s_cbranch_execnz .LBB18_45
; %bb.46:
	s_or_b32 exec_lo, exec_lo, s1
	v_mov_b32_e32 v45, 0
	ds_load_b64 v[45:46], v45 offset:72
	s_waitcnt lgkmcnt(0)
	v_mul_f64 v[1:2], v[1:2], v[45:46]
	scratch_store_b64 off, v[1:2], off offset:72
.LBB18_47:
	s_or_b32 exec_lo, exec_lo, s0
	s_waitcnt_vscnt null, 0x0
	s_barrier
	buffer_gl0_inv
	scratch_load_b64 v[1:2], off, off offset:80
	s_mov_b32 s0, exec_lo
	s_waitcnt vmcnt(0)
	ds_store_b64 v43, v[1:2]
	s_waitcnt lgkmcnt(0)
	s_barrier
	buffer_gl0_inv
	v_cmpx_gt_u32_e32 10, v0
	s_cbranch_execz .LBB18_51
; %bb.48:
	v_dual_mov_b32 v1, 0 :: v_dual_add_nc_u32 v46, 0xa0, v3
	v_dual_mov_b32 v2, 0 :: v_dual_add_nc_u32 v45, -1, v0
	v_add_nc_u32_e32 v47, 0, v3
	s_mov_b32 s1, 0
.LBB18_49:                              ; =>This Inner Loop Header: Depth=1
	scratch_load_b64 v[48:49], v47, off
	ds_load_b64 v[50:51], v46
	v_add_nc_u32_e32 v45, 1, v45
	v_add_nc_u32_e32 v46, 8, v46
	v_add_nc_u32_e32 v47, 8, v47
	s_delay_alu instid0(VALU_DEP_3)
	v_cmp_lt_u32_e32 vcc_lo, 8, v45
	s_or_b32 s1, vcc_lo, s1
	s_waitcnt vmcnt(0) lgkmcnt(0)
	v_fma_f64 v[1:2], v[48:49], v[50:51], v[1:2]
	s_and_not1_b32 exec_lo, exec_lo, s1
	s_cbranch_execnz .LBB18_49
; %bb.50:
	s_or_b32 exec_lo, exec_lo, s1
	v_mov_b32_e32 v45, 0
	ds_load_b64 v[45:46], v45 offset:80
	s_waitcnt lgkmcnt(0)
	v_mul_f64 v[1:2], v[1:2], v[45:46]
	scratch_store_b64 off, v[1:2], off offset:80
.LBB18_51:
	s_or_b32 exec_lo, exec_lo, s0
	s_waitcnt_vscnt null, 0x0
	s_barrier
	buffer_gl0_inv
	scratch_load_b64 v[1:2], off, off offset:88
	s_mov_b32 s0, exec_lo
	s_waitcnt vmcnt(0)
	ds_store_b64 v43, v[1:2]
	s_waitcnt lgkmcnt(0)
	s_barrier
	buffer_gl0_inv
	v_cmpx_gt_u32_e32 11, v0
	s_cbranch_execz .LBB18_55
; %bb.52:
	v_dual_mov_b32 v1, 0 :: v_dual_add_nc_u32 v46, 0xa0, v3
	v_dual_mov_b32 v2, 0 :: v_dual_add_nc_u32 v45, -1, v0
	v_add_nc_u32_e32 v47, 0, v3
	s_mov_b32 s1, 0
.LBB18_53:                              ; =>This Inner Loop Header: Depth=1
	scratch_load_b64 v[48:49], v47, off
	ds_load_b64 v[50:51], v46
	v_add_nc_u32_e32 v45, 1, v45
	v_add_nc_u32_e32 v46, 8, v46
	v_add_nc_u32_e32 v47, 8, v47
	s_delay_alu instid0(VALU_DEP_3)
	v_cmp_lt_u32_e32 vcc_lo, 9, v45
	s_or_b32 s1, vcc_lo, s1
	s_waitcnt vmcnt(0) lgkmcnt(0)
	v_fma_f64 v[1:2], v[48:49], v[50:51], v[1:2]
	s_and_not1_b32 exec_lo, exec_lo, s1
	s_cbranch_execnz .LBB18_53
; %bb.54:
	s_or_b32 exec_lo, exec_lo, s1
	v_mov_b32_e32 v45, 0
	ds_load_b64 v[45:46], v45 offset:88
	s_waitcnt lgkmcnt(0)
	v_mul_f64 v[1:2], v[1:2], v[45:46]
	scratch_store_b64 off, v[1:2], off offset:88
.LBB18_55:
	s_or_b32 exec_lo, exec_lo, s0
	s_waitcnt_vscnt null, 0x0
	s_barrier
	buffer_gl0_inv
	scratch_load_b64 v[1:2], off, off offset:96
	s_mov_b32 s0, exec_lo
	s_waitcnt vmcnt(0)
	ds_store_b64 v43, v[1:2]
	s_waitcnt lgkmcnt(0)
	s_barrier
	buffer_gl0_inv
	v_cmpx_gt_u32_e32 12, v0
	s_cbranch_execz .LBB18_59
; %bb.56:
	v_dual_mov_b32 v1, 0 :: v_dual_add_nc_u32 v46, 0xa0, v3
	v_dual_mov_b32 v2, 0 :: v_dual_add_nc_u32 v45, -1, v0
	v_add_nc_u32_e32 v47, 0, v3
	s_mov_b32 s1, 0
.LBB18_57:                              ; =>This Inner Loop Header: Depth=1
	scratch_load_b64 v[48:49], v47, off
	ds_load_b64 v[50:51], v46
	v_add_nc_u32_e32 v45, 1, v45
	v_add_nc_u32_e32 v46, 8, v46
	v_add_nc_u32_e32 v47, 8, v47
	s_delay_alu instid0(VALU_DEP_3)
	v_cmp_lt_u32_e32 vcc_lo, 10, v45
	s_or_b32 s1, vcc_lo, s1
	s_waitcnt vmcnt(0) lgkmcnt(0)
	v_fma_f64 v[1:2], v[48:49], v[50:51], v[1:2]
	s_and_not1_b32 exec_lo, exec_lo, s1
	s_cbranch_execnz .LBB18_57
; %bb.58:
	s_or_b32 exec_lo, exec_lo, s1
	v_mov_b32_e32 v45, 0
	ds_load_b64 v[45:46], v45 offset:96
	s_waitcnt lgkmcnt(0)
	v_mul_f64 v[1:2], v[1:2], v[45:46]
	scratch_store_b64 off, v[1:2], off offset:96
.LBB18_59:
	s_or_b32 exec_lo, exec_lo, s0
	s_waitcnt_vscnt null, 0x0
	s_barrier
	buffer_gl0_inv
	scratch_load_b64 v[1:2], off, off offset:104
	s_mov_b32 s0, exec_lo
	s_waitcnt vmcnt(0)
	ds_store_b64 v43, v[1:2]
	s_waitcnt lgkmcnt(0)
	s_barrier
	buffer_gl0_inv
	v_cmpx_gt_u32_e32 13, v0
	s_cbranch_execz .LBB18_63
; %bb.60:
	v_dual_mov_b32 v1, 0 :: v_dual_add_nc_u32 v46, 0xa0, v3
	v_dual_mov_b32 v2, 0 :: v_dual_add_nc_u32 v45, -1, v0
	v_add_nc_u32_e32 v47, 0, v3
	s_mov_b32 s1, 0
.LBB18_61:                              ; =>This Inner Loop Header: Depth=1
	scratch_load_b64 v[48:49], v47, off
	ds_load_b64 v[50:51], v46
	v_add_nc_u32_e32 v45, 1, v45
	v_add_nc_u32_e32 v46, 8, v46
	v_add_nc_u32_e32 v47, 8, v47
	s_delay_alu instid0(VALU_DEP_3)
	v_cmp_lt_u32_e32 vcc_lo, 11, v45
	s_or_b32 s1, vcc_lo, s1
	s_waitcnt vmcnt(0) lgkmcnt(0)
	v_fma_f64 v[1:2], v[48:49], v[50:51], v[1:2]
	s_and_not1_b32 exec_lo, exec_lo, s1
	s_cbranch_execnz .LBB18_61
; %bb.62:
	s_or_b32 exec_lo, exec_lo, s1
	v_mov_b32_e32 v45, 0
	ds_load_b64 v[45:46], v45 offset:104
	s_waitcnt lgkmcnt(0)
	v_mul_f64 v[1:2], v[1:2], v[45:46]
	scratch_store_b64 off, v[1:2], off offset:104
.LBB18_63:
	s_or_b32 exec_lo, exec_lo, s0
	s_waitcnt_vscnt null, 0x0
	s_barrier
	buffer_gl0_inv
	scratch_load_b64 v[1:2], off, off offset:112
	s_mov_b32 s0, exec_lo
	s_waitcnt vmcnt(0)
	ds_store_b64 v43, v[1:2]
	s_waitcnt lgkmcnt(0)
	s_barrier
	buffer_gl0_inv
	v_cmpx_gt_u32_e32 14, v0
	s_cbranch_execz .LBB18_67
; %bb.64:
	v_dual_mov_b32 v1, 0 :: v_dual_add_nc_u32 v46, 0xa0, v3
	v_dual_mov_b32 v2, 0 :: v_dual_add_nc_u32 v45, -1, v0
	v_add_nc_u32_e32 v47, 0, v3
	s_mov_b32 s1, 0
.LBB18_65:                              ; =>This Inner Loop Header: Depth=1
	scratch_load_b64 v[48:49], v47, off
	ds_load_b64 v[50:51], v46
	v_add_nc_u32_e32 v45, 1, v45
	v_add_nc_u32_e32 v46, 8, v46
	v_add_nc_u32_e32 v47, 8, v47
	s_delay_alu instid0(VALU_DEP_3)
	v_cmp_lt_u32_e32 vcc_lo, 12, v45
	s_or_b32 s1, vcc_lo, s1
	s_waitcnt vmcnt(0) lgkmcnt(0)
	v_fma_f64 v[1:2], v[48:49], v[50:51], v[1:2]
	s_and_not1_b32 exec_lo, exec_lo, s1
	s_cbranch_execnz .LBB18_65
; %bb.66:
	s_or_b32 exec_lo, exec_lo, s1
	v_mov_b32_e32 v45, 0
	ds_load_b64 v[45:46], v45 offset:112
	s_waitcnt lgkmcnt(0)
	v_mul_f64 v[1:2], v[1:2], v[45:46]
	scratch_store_b64 off, v[1:2], off offset:112
.LBB18_67:
	s_or_b32 exec_lo, exec_lo, s0
	s_waitcnt_vscnt null, 0x0
	s_barrier
	buffer_gl0_inv
	scratch_load_b64 v[1:2], off, off offset:120
	s_mov_b32 s0, exec_lo
	s_waitcnt vmcnt(0)
	ds_store_b64 v43, v[1:2]
	s_waitcnt lgkmcnt(0)
	s_barrier
	buffer_gl0_inv
	v_cmpx_gt_u32_e32 15, v0
	s_cbranch_execz .LBB18_71
; %bb.68:
	v_dual_mov_b32 v1, 0 :: v_dual_add_nc_u32 v46, 0xa0, v3
	v_dual_mov_b32 v2, 0 :: v_dual_add_nc_u32 v45, -1, v0
	v_add_nc_u32_e32 v47, 0, v3
	s_mov_b32 s1, 0
.LBB18_69:                              ; =>This Inner Loop Header: Depth=1
	scratch_load_b64 v[48:49], v47, off
	ds_load_b64 v[50:51], v46
	v_add_nc_u32_e32 v45, 1, v45
	v_add_nc_u32_e32 v46, 8, v46
	v_add_nc_u32_e32 v47, 8, v47
	s_delay_alu instid0(VALU_DEP_3)
	v_cmp_lt_u32_e32 vcc_lo, 13, v45
	s_or_b32 s1, vcc_lo, s1
	s_waitcnt vmcnt(0) lgkmcnt(0)
	v_fma_f64 v[1:2], v[48:49], v[50:51], v[1:2]
	s_and_not1_b32 exec_lo, exec_lo, s1
	s_cbranch_execnz .LBB18_69
; %bb.70:
	s_or_b32 exec_lo, exec_lo, s1
	v_mov_b32_e32 v45, 0
	ds_load_b64 v[45:46], v45 offset:120
	s_waitcnt lgkmcnt(0)
	v_mul_f64 v[1:2], v[1:2], v[45:46]
	scratch_store_b64 off, v[1:2], off offset:120
.LBB18_71:
	s_or_b32 exec_lo, exec_lo, s0
	s_waitcnt_vscnt null, 0x0
	s_barrier
	buffer_gl0_inv
	scratch_load_b64 v[1:2], off, off offset:128
	s_mov_b32 s0, exec_lo
	s_waitcnt vmcnt(0)
	ds_store_b64 v43, v[1:2]
	s_waitcnt lgkmcnt(0)
	s_barrier
	buffer_gl0_inv
	v_cmpx_gt_u32_e32 16, v0
	s_cbranch_execz .LBB18_75
; %bb.72:
	v_dual_mov_b32 v1, 0 :: v_dual_add_nc_u32 v46, 0xa0, v3
	v_dual_mov_b32 v2, 0 :: v_dual_add_nc_u32 v45, -1, v0
	v_add_nc_u32_e32 v47, 0, v3
	s_mov_b32 s1, 0
.LBB18_73:                              ; =>This Inner Loop Header: Depth=1
	scratch_load_b64 v[48:49], v47, off
	ds_load_b64 v[50:51], v46
	v_add_nc_u32_e32 v45, 1, v45
	v_add_nc_u32_e32 v46, 8, v46
	v_add_nc_u32_e32 v47, 8, v47
	s_delay_alu instid0(VALU_DEP_3)
	v_cmp_lt_u32_e32 vcc_lo, 14, v45
	s_or_b32 s1, vcc_lo, s1
	s_waitcnt vmcnt(0) lgkmcnt(0)
	v_fma_f64 v[1:2], v[48:49], v[50:51], v[1:2]
	s_and_not1_b32 exec_lo, exec_lo, s1
	s_cbranch_execnz .LBB18_73
; %bb.74:
	s_or_b32 exec_lo, exec_lo, s1
	v_mov_b32_e32 v45, 0
	ds_load_b64 v[45:46], v45 offset:128
	s_waitcnt lgkmcnt(0)
	v_mul_f64 v[1:2], v[1:2], v[45:46]
	scratch_store_b64 off, v[1:2], off offset:128
.LBB18_75:
	s_or_b32 exec_lo, exec_lo, s0
	s_waitcnt_vscnt null, 0x0
	s_barrier
	buffer_gl0_inv
	scratch_load_b64 v[1:2], off, off offset:136
	s_mov_b32 s0, exec_lo
	s_waitcnt vmcnt(0)
	ds_store_b64 v43, v[1:2]
	s_waitcnt lgkmcnt(0)
	s_barrier
	buffer_gl0_inv
	v_cmpx_gt_u32_e32 17, v0
	s_cbranch_execz .LBB18_79
; %bb.76:
	v_dual_mov_b32 v1, 0 :: v_dual_add_nc_u32 v46, 0xa0, v3
	v_dual_mov_b32 v2, 0 :: v_dual_add_nc_u32 v45, -1, v0
	v_add_nc_u32_e32 v3, 0, v3
	s_mov_b32 s1, 0
.LBB18_77:                              ; =>This Inner Loop Header: Depth=1
	scratch_load_b64 v[47:48], v3, off
	ds_load_b64 v[49:50], v46
	v_add_nc_u32_e32 v45, 1, v45
	v_add_nc_u32_e32 v46, 8, v46
	v_add_nc_u32_e32 v3, 8, v3
	s_delay_alu instid0(VALU_DEP_3)
	v_cmp_lt_u32_e32 vcc_lo, 15, v45
	s_or_b32 s1, vcc_lo, s1
	s_waitcnt vmcnt(0) lgkmcnt(0)
	v_fma_f64 v[1:2], v[47:48], v[49:50], v[1:2]
	s_and_not1_b32 exec_lo, exec_lo, s1
	s_cbranch_execnz .LBB18_77
; %bb.78:
	s_or_b32 exec_lo, exec_lo, s1
	v_mov_b32_e32 v3, 0
	ds_load_b64 v[45:46], v3 offset:136
	s_waitcnt lgkmcnt(0)
	v_mul_f64 v[1:2], v[1:2], v[45:46]
	scratch_store_b64 off, v[1:2], off offset:136
.LBB18_79:
	s_or_b32 exec_lo, exec_lo, s0
	s_waitcnt_vscnt null, 0x0
	s_barrier
	buffer_gl0_inv
	scratch_load_b64 v[1:2], off, off offset:144
	s_mov_b32 s0, exec_lo
	s_waitcnt vmcnt(0)
	ds_store_b64 v43, v[1:2]
	s_waitcnt lgkmcnt(0)
	s_barrier
	buffer_gl0_inv
	v_cmpx_ne_u32_e32 18, v0
	s_cbranch_execz .LBB18_83
; %bb.80:
	v_mov_b32_e32 v1, 0
	v_mov_b32_e32 v2, 0
	s_mov_b32 s1, 0
.LBB18_81:                              ; =>This Inner Loop Header: Depth=1
	scratch_load_b64 v[45:46], v42, off
	ds_load_b64 v[47:48], v43
	v_add_nc_u32_e32 v44, 1, v44
	v_add_nc_u32_e32 v43, 8, v43
	;; [unrolled: 1-line block ×3, first 2 shown]
	s_delay_alu instid0(VALU_DEP_3)
	v_cmp_lt_u32_e32 vcc_lo, 16, v44
	s_or_b32 s1, vcc_lo, s1
	s_waitcnt vmcnt(0) lgkmcnt(0)
	v_fma_f64 v[1:2], v[45:46], v[47:48], v[1:2]
	s_and_not1_b32 exec_lo, exec_lo, s1
	s_cbranch_execnz .LBB18_81
; %bb.82:
	s_or_b32 exec_lo, exec_lo, s1
	v_mov_b32_e32 v3, 0
	ds_load_b64 v[42:43], v3 offset:144
	s_waitcnt lgkmcnt(0)
	v_mul_f64 v[1:2], v[1:2], v[42:43]
	scratch_store_b64 off, v[1:2], off offset:144
.LBB18_83:
	s_or_b32 exec_lo, exec_lo, s0
	s_mov_b32 s1, -1
	s_waitcnt_vscnt null, 0x0
	s_barrier
	buffer_gl0_inv
.LBB18_84:
	s_and_b32 vcc_lo, exec_lo, s1
	s_cbranch_vccz .LBB18_86
; %bb.85:
	s_lshl_b64 s[0:1], s[14:15], 2
	v_mov_b32_e32 v1, 0
	s_add_u32 s0, s6, s0
	s_addc_u32 s1, s7, s1
	global_load_b32 v1, v1, s[0:1]
	s_waitcnt vmcnt(0)
	v_cmp_ne_u32_e32 vcc_lo, 0, v1
	s_cbranch_vccz .LBB18_87
.LBB18_86:
	s_endpgm
.LBB18_87:
	v_lshl_add_u32 v3, v0, 3, 0xa0
	s_mov_b32 s0, exec_lo
	v_cmpx_eq_u32_e32 18, v0
	s_cbranch_execz .LBB18_89
; %bb.88:
	scratch_load_b64 v[1:2], off, off offset:136
	v_mov_b32_e32 v42, 0
	s_delay_alu instid0(VALU_DEP_1)
	v_mov_b32_e32 v43, v42
	scratch_store_b64 off, v[42:43], off offset:136
	s_waitcnt vmcnt(0)
	ds_store_b64 v3, v[1:2]
.LBB18_89:
	s_or_b32 exec_lo, exec_lo, s0
	s_waitcnt lgkmcnt(0)
	s_waitcnt_vscnt null, 0x0
	s_barrier
	buffer_gl0_inv
	scratch_load_b128 v[42:45], off, off offset:136
	v_mov_b32_e32 v1, 0
	s_mov_b32 s0, exec_lo
	ds_load_b64 v[46:47], v1 offset:304
	s_waitcnt vmcnt(0) lgkmcnt(0)
	v_fma_f64 v[44:45], v[44:45], v[46:47], 0
	s_delay_alu instid0(VALU_DEP_1)
	v_add_f64 v[42:43], v[42:43], -v[44:45]
	scratch_store_b64 off, v[42:43], off offset:136
	v_cmpx_lt_u32_e32 16, v0
	s_cbranch_execz .LBB18_91
; %bb.90:
	scratch_load_b64 v[42:43], off, off offset:128
	v_mov_b32_e32 v2, v1
	scratch_store_b64 off, v[1:2], off offset:128
	s_waitcnt vmcnt(0)
	ds_store_b64 v3, v[42:43]
.LBB18_91:
	s_or_b32 exec_lo, exec_lo, s0
	s_waitcnt lgkmcnt(0)
	s_waitcnt_vscnt null, 0x0
	s_barrier
	buffer_gl0_inv
	s_clause 0x1
	scratch_load_b128 v[42:45], off, off offset:128
	scratch_load_b64 v[50:51], off, off offset:144
	ds_load_2addr_b64 v[46:49], v1 offset0:37 offset1:38
	s_mov_b32 s0, exec_lo
	s_waitcnt vmcnt(1) lgkmcnt(0)
	v_fma_f64 v[1:2], v[44:45], v[46:47], 0
	s_waitcnt vmcnt(0)
	s_delay_alu instid0(VALU_DEP_1) | instskip(NEXT) | instid1(VALU_DEP_1)
	v_fma_f64 v[1:2], v[50:51], v[48:49], v[1:2]
	v_add_f64 v[1:2], v[42:43], -v[1:2]
	scratch_store_b64 off, v[1:2], off offset:128
	v_cmpx_lt_u32_e32 15, v0
	s_cbranch_execz .LBB18_93
; %bb.92:
	scratch_load_b64 v[1:2], off, off offset:120
	v_mov_b32_e32 v42, 0
	s_delay_alu instid0(VALU_DEP_1)
	v_mov_b32_e32 v43, v42
	scratch_store_b64 off, v[42:43], off offset:120
	s_waitcnt vmcnt(0)
	ds_store_b64 v3, v[1:2]
.LBB18_93:
	s_or_b32 exec_lo, exec_lo, s0
	s_waitcnt lgkmcnt(0)
	s_waitcnt_vscnt null, 0x0
	s_barrier
	buffer_gl0_inv
	s_clause 0x1
	scratch_load_b128 v[42:45], off, off offset:120
	scratch_load_b128 v[46:49], off, off offset:136
	v_mov_b32_e32 v1, 0
	ds_load_b128 v[50:53], v1 offset:288
	ds_load_b64 v[54:55], v1 offset:304
	s_mov_b32 s0, exec_lo
	s_waitcnt vmcnt(1) lgkmcnt(1)
	v_fma_f64 v[44:45], v[44:45], v[50:51], 0
	s_waitcnt vmcnt(0)
	s_delay_alu instid0(VALU_DEP_1) | instskip(SKIP_1) | instid1(VALU_DEP_1)
	v_fma_f64 v[44:45], v[46:47], v[52:53], v[44:45]
	s_waitcnt lgkmcnt(0)
	v_fma_f64 v[44:45], v[48:49], v[54:55], v[44:45]
	s_delay_alu instid0(VALU_DEP_1)
	v_add_f64 v[42:43], v[42:43], -v[44:45]
	scratch_store_b64 off, v[42:43], off offset:120
	v_cmpx_lt_u32_e32 14, v0
	s_cbranch_execz .LBB18_95
; %bb.94:
	scratch_load_b64 v[42:43], off, off offset:112
	v_mov_b32_e32 v2, v1
	scratch_store_b64 off, v[1:2], off offset:112
	s_waitcnt vmcnt(0)
	ds_store_b64 v3, v[42:43]
.LBB18_95:
	s_or_b32 exec_lo, exec_lo, s0
	s_waitcnt lgkmcnt(0)
	s_waitcnt_vscnt null, 0x0
	s_barrier
	buffer_gl0_inv
	s_clause 0x2
	scratch_load_b128 v[42:45], off, off offset:112
	scratch_load_b128 v[46:49], off, off offset:128
	scratch_load_b64 v[58:59], off, off offset:144
	ds_load_2addr_b64 v[50:53], v1 offset0:35 offset1:36
	ds_load_2addr_b64 v[54:57], v1 offset0:37 offset1:38
	s_mov_b32 s0, exec_lo
	s_waitcnt vmcnt(2) lgkmcnt(1)
	v_fma_f64 v[1:2], v[44:45], v[50:51], 0
	s_waitcnt vmcnt(1)
	s_delay_alu instid0(VALU_DEP_1) | instskip(SKIP_1) | instid1(VALU_DEP_1)
	v_fma_f64 v[1:2], v[46:47], v[52:53], v[1:2]
	s_waitcnt lgkmcnt(0)
	v_fma_f64 v[1:2], v[48:49], v[54:55], v[1:2]
	s_waitcnt vmcnt(0)
	s_delay_alu instid0(VALU_DEP_1) | instskip(NEXT) | instid1(VALU_DEP_1)
	v_fma_f64 v[1:2], v[58:59], v[56:57], v[1:2]
	v_add_f64 v[1:2], v[42:43], -v[1:2]
	scratch_store_b64 off, v[1:2], off offset:112
	v_cmpx_lt_u32_e32 13, v0
	s_cbranch_execz .LBB18_97
; %bb.96:
	scratch_load_b64 v[1:2], off, off offset:104
	v_mov_b32_e32 v42, 0
	s_delay_alu instid0(VALU_DEP_1)
	v_mov_b32_e32 v43, v42
	scratch_store_b64 off, v[42:43], off offset:104
	s_waitcnt vmcnt(0)
	ds_store_b64 v3, v[1:2]
.LBB18_97:
	s_or_b32 exec_lo, exec_lo, s0
	s_waitcnt lgkmcnt(0)
	s_waitcnt_vscnt null, 0x0
	s_barrier
	buffer_gl0_inv
	s_clause 0x2
	scratch_load_b128 v[42:45], off, off offset:104
	scratch_load_b128 v[46:49], off, off offset:120
	;; [unrolled: 1-line block ×3, first 2 shown]
	v_mov_b32_e32 v1, 0
	ds_load_b128 v[54:57], v1 offset:272
	ds_load_b128 v[58:61], v1 offset:288
	s_mov_b32 s0, exec_lo
	s_waitcnt vmcnt(2) lgkmcnt(1)
	v_fma_f64 v[44:45], v[44:45], v[54:55], 0
	s_waitcnt vmcnt(1)
	s_delay_alu instid0(VALU_DEP_1) | instskip(SKIP_4) | instid1(VALU_DEP_1)
	v_fma_f64 v[44:45], v[46:47], v[56:57], v[44:45]
	ds_load_b64 v[46:47], v1 offset:304
	s_waitcnt lgkmcnt(1)
	v_fma_f64 v[44:45], v[48:49], v[58:59], v[44:45]
	s_waitcnt vmcnt(0)
	v_fma_f64 v[44:45], v[50:51], v[60:61], v[44:45]
	s_waitcnt lgkmcnt(0)
	s_delay_alu instid0(VALU_DEP_1) | instskip(NEXT) | instid1(VALU_DEP_1)
	v_fma_f64 v[44:45], v[52:53], v[46:47], v[44:45]
	v_add_f64 v[42:43], v[42:43], -v[44:45]
	scratch_store_b64 off, v[42:43], off offset:104
	v_cmpx_lt_u32_e32 12, v0
	s_cbranch_execz .LBB18_99
; %bb.98:
	scratch_load_b64 v[42:43], off, off offset:96
	v_mov_b32_e32 v2, v1
	scratch_store_b64 off, v[1:2], off offset:96
	s_waitcnt vmcnt(0)
	ds_store_b64 v3, v[42:43]
.LBB18_99:
	s_or_b32 exec_lo, exec_lo, s0
	s_waitcnt lgkmcnt(0)
	s_waitcnt_vscnt null, 0x0
	s_barrier
	buffer_gl0_inv
	s_clause 0x3
	scratch_load_b128 v[42:45], off, off offset:96
	scratch_load_b128 v[46:49], off, off offset:112
	;; [unrolled: 1-line block ×3, first 2 shown]
	scratch_load_b64 v[62:63], off, off offset:144
	ds_load_2addr_b64 v[54:57], v1 offset0:33 offset1:34
	ds_load_2addr_b64 v[58:61], v1 offset0:35 offset1:36
	s_mov_b32 s0, exec_lo
	s_waitcnt vmcnt(3) lgkmcnt(1)
	v_fma_f64 v[44:45], v[44:45], v[54:55], 0
	s_waitcnt vmcnt(2)
	s_delay_alu instid0(VALU_DEP_1) | instskip(SKIP_1) | instid1(VALU_DEP_1)
	v_fma_f64 v[44:45], v[46:47], v[56:57], v[44:45]
	s_waitcnt lgkmcnt(0)
	v_fma_f64 v[44:45], v[48:49], v[58:59], v[44:45]
	s_waitcnt vmcnt(1)
	s_delay_alu instid0(VALU_DEP_1) | instskip(SKIP_4) | instid1(VALU_DEP_1)
	v_fma_f64 v[48:49], v[50:51], v[60:61], v[44:45]
	ds_load_2addr_b64 v[44:47], v1 offset0:37 offset1:38
	s_waitcnt lgkmcnt(0)
	v_fma_f64 v[1:2], v[52:53], v[44:45], v[48:49]
	s_waitcnt vmcnt(0)
	v_fma_f64 v[1:2], v[62:63], v[46:47], v[1:2]
	s_delay_alu instid0(VALU_DEP_1)
	v_add_f64 v[1:2], v[42:43], -v[1:2]
	scratch_store_b64 off, v[1:2], off offset:96
	v_cmpx_lt_u32_e32 11, v0
	s_cbranch_execz .LBB18_101
; %bb.100:
	scratch_load_b64 v[1:2], off, off offset:88
	v_mov_b32_e32 v42, 0
	s_delay_alu instid0(VALU_DEP_1)
	v_mov_b32_e32 v43, v42
	scratch_store_b64 off, v[42:43], off offset:88
	s_waitcnt vmcnt(0)
	ds_store_b64 v3, v[1:2]
.LBB18_101:
	s_or_b32 exec_lo, exec_lo, s0
	s_waitcnt lgkmcnt(0)
	s_waitcnt_vscnt null, 0x0
	s_barrier
	buffer_gl0_inv
	s_clause 0x3
	scratch_load_b128 v[42:45], off, off offset:88
	scratch_load_b128 v[46:49], off, off offset:104
	;; [unrolled: 1-line block ×4, first 2 shown]
	v_mov_b32_e32 v1, 0
	ds_load_b128 v[58:61], v1 offset:256
	ds_load_b128 v[62:65], v1 offset:272
	s_mov_b32 s0, exec_lo
	s_waitcnt vmcnt(3) lgkmcnt(1)
	v_fma_f64 v[44:45], v[44:45], v[58:59], 0
	s_waitcnt vmcnt(2)
	s_delay_alu instid0(VALU_DEP_1) | instskip(SKIP_1) | instid1(VALU_DEP_1)
	v_fma_f64 v[44:45], v[46:47], v[60:61], v[44:45]
	s_waitcnt lgkmcnt(0)
	v_fma_f64 v[44:45], v[48:49], v[62:63], v[44:45]
	s_waitcnt vmcnt(1)
	s_delay_alu instid0(VALU_DEP_1)
	v_fma_f64 v[48:49], v[50:51], v[64:65], v[44:45]
	ds_load_b128 v[44:47], v1 offset:288
	ds_load_b64 v[50:51], v1 offset:304
	s_waitcnt lgkmcnt(1)
	v_fma_f64 v[44:45], v[52:53], v[44:45], v[48:49]
	s_waitcnt vmcnt(0)
	s_delay_alu instid0(VALU_DEP_1) | instskip(SKIP_1) | instid1(VALU_DEP_1)
	v_fma_f64 v[44:45], v[54:55], v[46:47], v[44:45]
	s_waitcnt lgkmcnt(0)
	v_fma_f64 v[44:45], v[56:57], v[50:51], v[44:45]
	s_delay_alu instid0(VALU_DEP_1)
	v_add_f64 v[42:43], v[42:43], -v[44:45]
	scratch_store_b64 off, v[42:43], off offset:88
	v_cmpx_lt_u32_e32 10, v0
	s_cbranch_execz .LBB18_103
; %bb.102:
	scratch_load_b64 v[42:43], off, off offset:80
	v_mov_b32_e32 v2, v1
	scratch_store_b64 off, v[1:2], off offset:80
	s_waitcnt vmcnt(0)
	ds_store_b64 v3, v[42:43]
.LBB18_103:
	s_or_b32 exec_lo, exec_lo, s0
	s_waitcnt lgkmcnt(0)
	s_waitcnt_vscnt null, 0x0
	s_barrier
	buffer_gl0_inv
	s_clause 0x4
	scratch_load_b128 v[42:45], off, off offset:80
	scratch_load_b128 v[46:49], off, off offset:96
	;; [unrolled: 1-line block ×4, first 2 shown]
	scratch_load_b64 v[66:67], off, off offset:144
	ds_load_2addr_b64 v[58:61], v1 offset0:31 offset1:32
	ds_load_2addr_b64 v[62:65], v1 offset0:33 offset1:34
	s_mov_b32 s0, exec_lo
	s_waitcnt vmcnt(4) lgkmcnt(1)
	v_fma_f64 v[44:45], v[44:45], v[58:59], 0
	s_waitcnt vmcnt(3)
	s_delay_alu instid0(VALU_DEP_1) | instskip(SKIP_1) | instid1(VALU_DEP_1)
	v_fma_f64 v[44:45], v[46:47], v[60:61], v[44:45]
	s_waitcnt lgkmcnt(0)
	v_fma_f64 v[44:45], v[48:49], v[62:63], v[44:45]
	s_waitcnt vmcnt(2)
	s_delay_alu instid0(VALU_DEP_1)
	v_fma_f64 v[58:59], v[50:51], v[64:65], v[44:45]
	ds_load_2addr_b64 v[44:47], v1 offset0:35 offset1:36
	ds_load_2addr_b64 v[48:51], v1 offset0:37 offset1:38
	s_waitcnt lgkmcnt(1)
	v_fma_f64 v[1:2], v[52:53], v[44:45], v[58:59]
	s_waitcnt vmcnt(1)
	s_delay_alu instid0(VALU_DEP_1) | instskip(SKIP_1) | instid1(VALU_DEP_1)
	v_fma_f64 v[1:2], v[54:55], v[46:47], v[1:2]
	s_waitcnt lgkmcnt(0)
	v_fma_f64 v[1:2], v[56:57], v[48:49], v[1:2]
	s_waitcnt vmcnt(0)
	s_delay_alu instid0(VALU_DEP_1) | instskip(NEXT) | instid1(VALU_DEP_1)
	v_fma_f64 v[1:2], v[66:67], v[50:51], v[1:2]
	v_add_f64 v[1:2], v[42:43], -v[1:2]
	scratch_store_b64 off, v[1:2], off offset:80
	v_cmpx_lt_u32_e32 9, v0
	s_cbranch_execz .LBB18_105
; %bb.104:
	scratch_load_b64 v[1:2], off, off offset:72
	v_mov_b32_e32 v42, 0
	s_delay_alu instid0(VALU_DEP_1)
	v_mov_b32_e32 v43, v42
	scratch_store_b64 off, v[42:43], off offset:72
	s_waitcnt vmcnt(0)
	ds_store_b64 v3, v[1:2]
.LBB18_105:
	s_or_b32 exec_lo, exec_lo, s0
	s_waitcnt lgkmcnt(0)
	s_waitcnt_vscnt null, 0x0
	s_barrier
	buffer_gl0_inv
	s_clause 0x4
	scratch_load_b128 v[42:45], off, off offset:72
	scratch_load_b128 v[46:49], off, off offset:88
	;; [unrolled: 1-line block ×5, first 2 shown]
	v_mov_b32_e32 v1, 0
	ds_load_b128 v[62:65], v1 offset:240
	ds_load_b128 v[66:69], v1 offset:256
	s_mov_b32 s0, exec_lo
	s_waitcnt vmcnt(4) lgkmcnt(1)
	v_fma_f64 v[44:45], v[44:45], v[62:63], 0
	s_waitcnt vmcnt(3)
	s_delay_alu instid0(VALU_DEP_1) | instskip(SKIP_1) | instid1(VALU_DEP_1)
	v_fma_f64 v[44:45], v[46:47], v[64:65], v[44:45]
	s_waitcnt lgkmcnt(0)
	v_fma_f64 v[44:45], v[48:49], v[66:67], v[44:45]
	s_waitcnt vmcnt(2)
	s_delay_alu instid0(VALU_DEP_1)
	v_fma_f64 v[62:63], v[50:51], v[68:69], v[44:45]
	ds_load_b128 v[44:47], v1 offset:272
	ds_load_b128 v[48:51], v1 offset:288
	s_waitcnt lgkmcnt(1)
	v_fma_f64 v[44:45], v[52:53], v[44:45], v[62:63]
	s_waitcnt vmcnt(1)
	s_delay_alu instid0(VALU_DEP_1) | instskip(SKIP_4) | instid1(VALU_DEP_1)
	v_fma_f64 v[44:45], v[54:55], v[46:47], v[44:45]
	ds_load_b64 v[46:47], v1 offset:304
	s_waitcnt lgkmcnt(1)
	v_fma_f64 v[44:45], v[56:57], v[48:49], v[44:45]
	s_waitcnt vmcnt(0)
	v_fma_f64 v[44:45], v[58:59], v[50:51], v[44:45]
	s_waitcnt lgkmcnt(0)
	s_delay_alu instid0(VALU_DEP_1) | instskip(NEXT) | instid1(VALU_DEP_1)
	v_fma_f64 v[44:45], v[60:61], v[46:47], v[44:45]
	v_add_f64 v[42:43], v[42:43], -v[44:45]
	scratch_store_b64 off, v[42:43], off offset:72
	v_cmpx_lt_u32_e32 8, v0
	s_cbranch_execz .LBB18_107
; %bb.106:
	scratch_load_b64 v[42:43], off, off offset:64
	v_mov_b32_e32 v2, v1
	scratch_store_b64 off, v[1:2], off offset:64
	s_waitcnt vmcnt(0)
	ds_store_b64 v3, v[42:43]
.LBB18_107:
	s_or_b32 exec_lo, exec_lo, s0
	s_waitcnt lgkmcnt(0)
	s_waitcnt_vscnt null, 0x0
	s_barrier
	buffer_gl0_inv
	s_clause 0x4
	scratch_load_b128 v[42:45], off, off offset:64
	scratch_load_b128 v[46:49], off, off offset:80
	;; [unrolled: 1-line block ×5, first 2 shown]
	ds_load_2addr_b64 v[62:65], v1 offset0:29 offset1:30
	ds_load_2addr_b64 v[66:69], v1 offset0:31 offset1:32
	s_mov_b32 s0, exec_lo
	s_waitcnt vmcnt(4) lgkmcnt(1)
	v_fma_f64 v[44:45], v[44:45], v[62:63], 0
	scratch_load_b64 v[62:63], off, off offset:144
	s_waitcnt vmcnt(4)
	v_fma_f64 v[44:45], v[46:47], v[64:65], v[44:45]
	s_waitcnt lgkmcnt(0)
	s_delay_alu instid0(VALU_DEP_1) | instskip(SKIP_1) | instid1(VALU_DEP_1)
	v_fma_f64 v[44:45], v[48:49], v[66:67], v[44:45]
	s_waitcnt vmcnt(3)
	v_fma_f64 v[64:65], v[50:51], v[68:69], v[44:45]
	ds_load_2addr_b64 v[44:47], v1 offset0:33 offset1:34
	ds_load_2addr_b64 v[48:51], v1 offset0:35 offset1:36
	s_waitcnt lgkmcnt(1)
	v_fma_f64 v[44:45], v[52:53], v[44:45], v[64:65]
	s_waitcnt vmcnt(2)
	s_delay_alu instid0(VALU_DEP_1) | instskip(SKIP_1) | instid1(VALU_DEP_1)
	v_fma_f64 v[44:45], v[54:55], v[46:47], v[44:45]
	s_waitcnt lgkmcnt(0)
	v_fma_f64 v[44:45], v[56:57], v[48:49], v[44:45]
	s_waitcnt vmcnt(1)
	s_delay_alu instid0(VALU_DEP_1) | instskip(SKIP_4) | instid1(VALU_DEP_1)
	v_fma_f64 v[48:49], v[58:59], v[50:51], v[44:45]
	ds_load_2addr_b64 v[44:47], v1 offset0:37 offset1:38
	s_waitcnt lgkmcnt(0)
	v_fma_f64 v[1:2], v[60:61], v[44:45], v[48:49]
	s_waitcnt vmcnt(0)
	v_fma_f64 v[1:2], v[62:63], v[46:47], v[1:2]
	s_delay_alu instid0(VALU_DEP_1)
	v_add_f64 v[1:2], v[42:43], -v[1:2]
	scratch_store_b64 off, v[1:2], off offset:64
	v_cmpx_lt_u32_e32 7, v0
	s_cbranch_execz .LBB18_109
; %bb.108:
	scratch_load_b64 v[1:2], off, off offset:56
	v_mov_b32_e32 v42, 0
	s_delay_alu instid0(VALU_DEP_1)
	v_mov_b32_e32 v43, v42
	scratch_store_b64 off, v[42:43], off offset:56
	s_waitcnt vmcnt(0)
	ds_store_b64 v3, v[1:2]
.LBB18_109:
	s_or_b32 exec_lo, exec_lo, s0
	s_waitcnt lgkmcnt(0)
	s_waitcnt_vscnt null, 0x0
	s_barrier
	buffer_gl0_inv
	s_clause 0x4
	scratch_load_b128 v[42:45], off, off offset:56
	scratch_load_b128 v[46:49], off, off offset:72
	;; [unrolled: 1-line block ×5, first 2 shown]
	v_mov_b32_e32 v1, 0
	ds_load_b128 v[62:65], v1 offset:224
	ds_load_b128 v[66:69], v1 offset:240
	scratch_load_b128 v[70:73], off, off offset:136
	s_mov_b32 s0, exec_lo
	s_waitcnt vmcnt(5) lgkmcnt(1)
	v_fma_f64 v[44:45], v[44:45], v[62:63], 0
	s_waitcnt vmcnt(4)
	s_delay_alu instid0(VALU_DEP_1) | instskip(SKIP_1) | instid1(VALU_DEP_1)
	v_fma_f64 v[44:45], v[46:47], v[64:65], v[44:45]
	s_waitcnt lgkmcnt(0)
	v_fma_f64 v[44:45], v[48:49], v[66:67], v[44:45]
	s_waitcnt vmcnt(3)
	s_delay_alu instid0(VALU_DEP_1)
	v_fma_f64 v[62:63], v[50:51], v[68:69], v[44:45]
	ds_load_b128 v[44:47], v1 offset:256
	ds_load_b128 v[48:51], v1 offset:272
	s_waitcnt lgkmcnt(1)
	v_fma_f64 v[44:45], v[52:53], v[44:45], v[62:63]
	s_waitcnt vmcnt(2)
	s_delay_alu instid0(VALU_DEP_1) | instskip(SKIP_1) | instid1(VALU_DEP_1)
	v_fma_f64 v[44:45], v[54:55], v[46:47], v[44:45]
	s_waitcnt lgkmcnt(0)
	v_fma_f64 v[44:45], v[56:57], v[48:49], v[44:45]
	s_waitcnt vmcnt(1)
	s_delay_alu instid0(VALU_DEP_1)
	v_fma_f64 v[48:49], v[58:59], v[50:51], v[44:45]
	ds_load_b128 v[44:47], v1 offset:288
	ds_load_b64 v[50:51], v1 offset:304
	s_waitcnt lgkmcnt(1)
	v_fma_f64 v[44:45], v[60:61], v[44:45], v[48:49]
	s_waitcnt vmcnt(0)
	s_delay_alu instid0(VALU_DEP_1) | instskip(SKIP_1) | instid1(VALU_DEP_1)
	v_fma_f64 v[44:45], v[70:71], v[46:47], v[44:45]
	s_waitcnt lgkmcnt(0)
	v_fma_f64 v[44:45], v[72:73], v[50:51], v[44:45]
	s_delay_alu instid0(VALU_DEP_1)
	v_add_f64 v[42:43], v[42:43], -v[44:45]
	scratch_store_b64 off, v[42:43], off offset:56
	v_cmpx_lt_u32_e32 6, v0
	s_cbranch_execz .LBB18_111
; %bb.110:
	scratch_load_b64 v[42:43], off, off offset:48
	v_mov_b32_e32 v2, v1
	scratch_store_b64 off, v[1:2], off offset:48
	s_waitcnt vmcnt(0)
	ds_store_b64 v3, v[42:43]
.LBB18_111:
	s_or_b32 exec_lo, exec_lo, s0
	s_waitcnt lgkmcnt(0)
	s_waitcnt_vscnt null, 0x0
	s_barrier
	buffer_gl0_inv
	s_clause 0x4
	scratch_load_b128 v[42:45], off, off offset:48
	scratch_load_b128 v[46:49], off, off offset:64
	;; [unrolled: 1-line block ×5, first 2 shown]
	ds_load_2addr_b64 v[62:65], v1 offset0:27 offset1:28
	ds_load_2addr_b64 v[66:69], v1 offset0:29 offset1:30
	scratch_load_b128 v[70:73], off, off offset:128
	s_mov_b32 s0, exec_lo
	s_waitcnt vmcnt(5) lgkmcnt(1)
	v_fma_f64 v[44:45], v[44:45], v[62:63], 0
	scratch_load_b64 v[62:63], off, off offset:144
	s_waitcnt vmcnt(5)
	v_fma_f64 v[44:45], v[46:47], v[64:65], v[44:45]
	s_waitcnt lgkmcnt(0)
	s_delay_alu instid0(VALU_DEP_1) | instskip(SKIP_1) | instid1(VALU_DEP_1)
	v_fma_f64 v[44:45], v[48:49], v[66:67], v[44:45]
	s_waitcnt vmcnt(4)
	v_fma_f64 v[64:65], v[50:51], v[68:69], v[44:45]
	ds_load_2addr_b64 v[44:47], v1 offset0:31 offset1:32
	ds_load_2addr_b64 v[48:51], v1 offset0:33 offset1:34
	s_waitcnt lgkmcnt(1)
	v_fma_f64 v[44:45], v[52:53], v[44:45], v[64:65]
	s_waitcnt vmcnt(3)
	s_delay_alu instid0(VALU_DEP_1) | instskip(SKIP_1) | instid1(VALU_DEP_1)
	v_fma_f64 v[44:45], v[54:55], v[46:47], v[44:45]
	s_waitcnt lgkmcnt(0)
	v_fma_f64 v[44:45], v[56:57], v[48:49], v[44:45]
	s_waitcnt vmcnt(2)
	s_delay_alu instid0(VALU_DEP_1)
	v_fma_f64 v[52:53], v[58:59], v[50:51], v[44:45]
	ds_load_2addr_b64 v[44:47], v1 offset0:35 offset1:36
	ds_load_2addr_b64 v[48:51], v1 offset0:37 offset1:38
	s_waitcnt lgkmcnt(1)
	v_fma_f64 v[1:2], v[60:61], v[44:45], v[52:53]
	s_waitcnt vmcnt(1)
	s_delay_alu instid0(VALU_DEP_1) | instskip(SKIP_1) | instid1(VALU_DEP_1)
	v_fma_f64 v[1:2], v[70:71], v[46:47], v[1:2]
	s_waitcnt lgkmcnt(0)
	v_fma_f64 v[1:2], v[72:73], v[48:49], v[1:2]
	s_waitcnt vmcnt(0)
	s_delay_alu instid0(VALU_DEP_1) | instskip(NEXT) | instid1(VALU_DEP_1)
	v_fma_f64 v[1:2], v[62:63], v[50:51], v[1:2]
	v_add_f64 v[1:2], v[42:43], -v[1:2]
	scratch_store_b64 off, v[1:2], off offset:48
	v_cmpx_lt_u32_e32 5, v0
	s_cbranch_execz .LBB18_113
; %bb.112:
	scratch_load_b64 v[1:2], off, off offset:40
	v_mov_b32_e32 v42, 0
	s_delay_alu instid0(VALU_DEP_1)
	v_mov_b32_e32 v43, v42
	scratch_store_b64 off, v[42:43], off offset:40
	s_waitcnt vmcnt(0)
	ds_store_b64 v3, v[1:2]
.LBB18_113:
	s_or_b32 exec_lo, exec_lo, s0
	s_waitcnt lgkmcnt(0)
	s_waitcnt_vscnt null, 0x0
	s_barrier
	buffer_gl0_inv
	s_clause 0x4
	scratch_load_b128 v[42:45], off, off offset:40
	scratch_load_b128 v[46:49], off, off offset:56
	;; [unrolled: 1-line block ×5, first 2 shown]
	v_mov_b32_e32 v1, 0
	ds_load_b128 v[62:65], v1 offset:208
	ds_load_b128 v[66:69], v1 offset:224
	scratch_load_b128 v[70:73], off, off offset:120
	s_mov_b32 s0, exec_lo
	s_waitcnt vmcnt(5) lgkmcnt(1)
	v_fma_f64 v[44:45], v[44:45], v[62:63], 0
	s_waitcnt vmcnt(4)
	s_delay_alu instid0(VALU_DEP_1) | instskip(SKIP_1) | instid1(VALU_DEP_1)
	v_fma_f64 v[44:45], v[46:47], v[64:65], v[44:45]
	s_waitcnt lgkmcnt(0)
	v_fma_f64 v[48:49], v[48:49], v[66:67], v[44:45]
	scratch_load_b128 v[44:47], off, off offset:136
	s_waitcnt vmcnt(4)
	v_fma_f64 v[66:67], v[50:51], v[68:69], v[48:49]
	ds_load_b128 v[48:51], v1 offset:240
	ds_load_b128 v[62:65], v1 offset:256
	s_waitcnt lgkmcnt(1)
	v_fma_f64 v[48:49], v[52:53], v[48:49], v[66:67]
	s_waitcnt vmcnt(3)
	s_delay_alu instid0(VALU_DEP_1) | instskip(SKIP_1) | instid1(VALU_DEP_1)
	v_fma_f64 v[48:49], v[54:55], v[50:51], v[48:49]
	s_waitcnt lgkmcnt(0)
	v_fma_f64 v[48:49], v[56:57], v[62:63], v[48:49]
	s_waitcnt vmcnt(2)
	s_delay_alu instid0(VALU_DEP_1)
	v_fma_f64 v[56:57], v[58:59], v[64:65], v[48:49]
	ds_load_b128 v[48:51], v1 offset:272
	ds_load_b128 v[52:55], v1 offset:288
	s_waitcnt lgkmcnt(1)
	v_fma_f64 v[48:49], v[60:61], v[48:49], v[56:57]
	s_waitcnt vmcnt(1)
	s_delay_alu instid0(VALU_DEP_1) | instskip(SKIP_1) | instid1(VALU_DEP_1)
	v_fma_f64 v[48:49], v[70:71], v[50:51], v[48:49]
	s_waitcnt lgkmcnt(0)
	v_fma_f64 v[48:49], v[72:73], v[52:53], v[48:49]
	s_waitcnt vmcnt(0)
	s_delay_alu instid0(VALU_DEP_1) | instskip(SKIP_3) | instid1(VALU_DEP_1)
	v_fma_f64 v[44:45], v[44:45], v[54:55], v[48:49]
	ds_load_b64 v[48:49], v1 offset:304
	s_waitcnt lgkmcnt(0)
	v_fma_f64 v[44:45], v[46:47], v[48:49], v[44:45]
	v_add_f64 v[42:43], v[42:43], -v[44:45]
	scratch_store_b64 off, v[42:43], off offset:40
	v_cmpx_lt_u32_e32 4, v0
	s_cbranch_execz .LBB18_115
; %bb.114:
	scratch_load_b64 v[42:43], off, off offset:32
	v_mov_b32_e32 v2, v1
	scratch_store_b64 off, v[1:2], off offset:32
	s_waitcnt vmcnt(0)
	ds_store_b64 v3, v[42:43]
.LBB18_115:
	s_or_b32 exec_lo, exec_lo, s0
	s_waitcnt lgkmcnt(0)
	s_waitcnt_vscnt null, 0x0
	s_barrier
	buffer_gl0_inv
	s_clause 0x4
	scratch_load_b128 v[42:45], off, off offset:32
	scratch_load_b128 v[46:49], off, off offset:48
	;; [unrolled: 1-line block ×5, first 2 shown]
	ds_load_2addr_b64 v[62:65], v1 offset0:25 offset1:26
	ds_load_2addr_b64 v[66:69], v1 offset0:27 offset1:28
	scratch_load_b128 v[70:73], off, off offset:112
	s_mov_b32 s0, exec_lo
	s_waitcnt vmcnt(5) lgkmcnt(1)
	v_fma_f64 v[44:45], v[44:45], v[62:63], 0
	s_waitcnt vmcnt(4)
	s_delay_alu instid0(VALU_DEP_1) | instskip(SKIP_1) | instid1(VALU_DEP_1)
	v_fma_f64 v[44:45], v[46:47], v[64:65], v[44:45]
	s_waitcnt lgkmcnt(0)
	v_fma_f64 v[48:49], v[48:49], v[66:67], v[44:45]
	scratch_load_b128 v[44:47], off, off offset:128
	s_waitcnt vmcnt(4)
	v_fma_f64 v[66:67], v[50:51], v[68:69], v[48:49]
	ds_load_2addr_b64 v[48:51], v1 offset0:29 offset1:30
	ds_load_2addr_b64 v[62:65], v1 offset0:31 offset1:32
	s_waitcnt lgkmcnt(1)
	v_fma_f64 v[48:49], v[52:53], v[48:49], v[66:67]
	scratch_load_b64 v[66:67], off, off offset:144
	s_waitcnt vmcnt(4)
	v_fma_f64 v[48:49], v[54:55], v[50:51], v[48:49]
	s_waitcnt lgkmcnt(0)
	s_delay_alu instid0(VALU_DEP_1) | instskip(SKIP_1) | instid1(VALU_DEP_1)
	v_fma_f64 v[48:49], v[56:57], v[62:63], v[48:49]
	s_waitcnt vmcnt(3)
	v_fma_f64 v[56:57], v[58:59], v[64:65], v[48:49]
	ds_load_2addr_b64 v[48:51], v1 offset0:33 offset1:34
	ds_load_2addr_b64 v[52:55], v1 offset0:35 offset1:36
	s_waitcnt lgkmcnt(1)
	v_fma_f64 v[48:49], v[60:61], v[48:49], v[56:57]
	s_waitcnt vmcnt(2)
	s_delay_alu instid0(VALU_DEP_1) | instskip(SKIP_1) | instid1(VALU_DEP_1)
	v_fma_f64 v[48:49], v[70:71], v[50:51], v[48:49]
	s_waitcnt lgkmcnt(0)
	v_fma_f64 v[48:49], v[72:73], v[52:53], v[48:49]
	s_waitcnt vmcnt(1)
	s_delay_alu instid0(VALU_DEP_1) | instskip(SKIP_4) | instid1(VALU_DEP_1)
	v_fma_f64 v[44:45], v[44:45], v[54:55], v[48:49]
	ds_load_2addr_b64 v[48:51], v1 offset0:37 offset1:38
	s_waitcnt lgkmcnt(0)
	v_fma_f64 v[1:2], v[46:47], v[48:49], v[44:45]
	s_waitcnt vmcnt(0)
	v_fma_f64 v[1:2], v[66:67], v[50:51], v[1:2]
	s_delay_alu instid0(VALU_DEP_1)
	v_add_f64 v[1:2], v[42:43], -v[1:2]
	scratch_store_b64 off, v[1:2], off offset:32
	v_cmpx_lt_u32_e32 3, v0
	s_cbranch_execz .LBB18_117
; %bb.116:
	scratch_load_b64 v[1:2], off, off offset:24
	v_mov_b32_e32 v42, 0
	s_delay_alu instid0(VALU_DEP_1)
	v_mov_b32_e32 v43, v42
	scratch_store_b64 off, v[42:43], off offset:24
	s_waitcnt vmcnt(0)
	ds_store_b64 v3, v[1:2]
.LBB18_117:
	s_or_b32 exec_lo, exec_lo, s0
	s_waitcnt lgkmcnt(0)
	s_waitcnt_vscnt null, 0x0
	s_barrier
	buffer_gl0_inv
	s_clause 0x4
	scratch_load_b128 v[42:45], off, off offset:24
	scratch_load_b128 v[46:49], off, off offset:40
	;; [unrolled: 1-line block ×5, first 2 shown]
	v_mov_b32_e32 v1, 0
	ds_load_b128 v[62:65], v1 offset:192
	ds_load_b128 v[66:69], v1 offset:208
	scratch_load_b128 v[70:73], off, off offset:104
	s_mov_b32 s0, exec_lo
	s_waitcnt vmcnt(5) lgkmcnt(1)
	v_fma_f64 v[44:45], v[44:45], v[62:63], 0
	s_waitcnt vmcnt(4)
	s_delay_alu instid0(VALU_DEP_1) | instskip(SKIP_1) | instid1(VALU_DEP_1)
	v_fma_f64 v[44:45], v[46:47], v[64:65], v[44:45]
	s_waitcnt lgkmcnt(0)
	v_fma_f64 v[48:49], v[48:49], v[66:67], v[44:45]
	scratch_load_b128 v[44:47], off, off offset:120
	s_waitcnt vmcnt(4)
	v_fma_f64 v[66:67], v[50:51], v[68:69], v[48:49]
	ds_load_b128 v[48:51], v1 offset:224
	ds_load_b128 v[62:65], v1 offset:240
	s_waitcnt lgkmcnt(1)
	v_fma_f64 v[48:49], v[52:53], v[48:49], v[66:67]
	scratch_load_b128 v[66:69], off, off offset:136
	s_waitcnt vmcnt(4)
	v_fma_f64 v[48:49], v[54:55], v[50:51], v[48:49]
	s_waitcnt lgkmcnt(0)
	s_delay_alu instid0(VALU_DEP_1) | instskip(SKIP_1) | instid1(VALU_DEP_1)
	v_fma_f64 v[48:49], v[56:57], v[62:63], v[48:49]
	s_waitcnt vmcnt(3)
	v_fma_f64 v[56:57], v[58:59], v[64:65], v[48:49]
	ds_load_b128 v[48:51], v1 offset:256
	ds_load_b128 v[52:55], v1 offset:272
	s_waitcnt lgkmcnt(1)
	v_fma_f64 v[48:49], v[60:61], v[48:49], v[56:57]
	s_waitcnt vmcnt(2)
	s_delay_alu instid0(VALU_DEP_1) | instskip(SKIP_1) | instid1(VALU_DEP_1)
	v_fma_f64 v[48:49], v[70:71], v[50:51], v[48:49]
	s_waitcnt lgkmcnt(0)
	v_fma_f64 v[48:49], v[72:73], v[52:53], v[48:49]
	s_waitcnt vmcnt(1)
	s_delay_alu instid0(VALU_DEP_1)
	v_fma_f64 v[44:45], v[44:45], v[54:55], v[48:49]
	ds_load_b128 v[48:51], v1 offset:288
	ds_load_b64 v[52:53], v1 offset:304
	s_waitcnt lgkmcnt(1)
	v_fma_f64 v[44:45], v[46:47], v[48:49], v[44:45]
	s_waitcnt vmcnt(0)
	s_delay_alu instid0(VALU_DEP_1) | instskip(SKIP_1) | instid1(VALU_DEP_1)
	v_fma_f64 v[44:45], v[66:67], v[50:51], v[44:45]
	s_waitcnt lgkmcnt(0)
	v_fma_f64 v[44:45], v[68:69], v[52:53], v[44:45]
	s_delay_alu instid0(VALU_DEP_1)
	v_add_f64 v[42:43], v[42:43], -v[44:45]
	scratch_store_b64 off, v[42:43], off offset:24
	v_cmpx_lt_u32_e32 2, v0
	s_cbranch_execz .LBB18_119
; %bb.118:
	scratch_load_b64 v[42:43], off, off offset:16
	v_mov_b32_e32 v2, v1
	scratch_store_b64 off, v[1:2], off offset:16
	s_waitcnt vmcnt(0)
	ds_store_b64 v3, v[42:43]
.LBB18_119:
	s_or_b32 exec_lo, exec_lo, s0
	s_waitcnt lgkmcnt(0)
	s_waitcnt_vscnt null, 0x0
	s_barrier
	buffer_gl0_inv
	s_clause 0x4
	scratch_load_b128 v[42:45], off, off offset:16
	scratch_load_b128 v[46:49], off, off offset:32
	scratch_load_b128 v[50:53], off, off offset:48
	scratch_load_b128 v[54:57], off, off offset:64
	scratch_load_b128 v[58:61], off, off offset:80
	ds_load_2addr_b64 v[62:65], v1 offset0:23 offset1:24
	ds_load_2addr_b64 v[66:69], v1 offset0:25 offset1:26
	scratch_load_b128 v[70:73], off, off offset:96
	s_mov_b32 s0, exec_lo
	s_waitcnt vmcnt(5) lgkmcnt(1)
	v_fma_f64 v[44:45], v[44:45], v[62:63], 0
	s_waitcnt vmcnt(4)
	s_delay_alu instid0(VALU_DEP_1) | instskip(SKIP_1) | instid1(VALU_DEP_1)
	v_fma_f64 v[44:45], v[46:47], v[64:65], v[44:45]
	s_waitcnt lgkmcnt(0)
	v_fma_f64 v[48:49], v[48:49], v[66:67], v[44:45]
	scratch_load_b128 v[44:47], off, off offset:112
	s_waitcnt vmcnt(4)
	v_fma_f64 v[66:67], v[50:51], v[68:69], v[48:49]
	ds_load_2addr_b64 v[48:51], v1 offset0:27 offset1:28
	ds_load_2addr_b64 v[62:65], v1 offset0:29 offset1:30
	s_waitcnt lgkmcnt(1)
	v_fma_f64 v[48:49], v[52:53], v[48:49], v[66:67]
	scratch_load_b128 v[66:69], off, off offset:128
	s_waitcnt vmcnt(4)
	v_fma_f64 v[48:49], v[54:55], v[50:51], v[48:49]
	s_waitcnt lgkmcnt(0)
	s_delay_alu instid0(VALU_DEP_1)
	v_fma_f64 v[48:49], v[56:57], v[62:63], v[48:49]
	scratch_load_b64 v[56:57], off, off offset:144
	s_waitcnt vmcnt(4)
	v_fma_f64 v[58:59], v[58:59], v[64:65], v[48:49]
	ds_load_2addr_b64 v[48:51], v1 offset0:31 offset1:32
	ds_load_2addr_b64 v[52:55], v1 offset0:33 offset1:34
	s_waitcnt lgkmcnt(1)
	v_fma_f64 v[48:49], v[60:61], v[48:49], v[58:59]
	s_waitcnt vmcnt(3)
	s_delay_alu instid0(VALU_DEP_1) | instskip(SKIP_1) | instid1(VALU_DEP_1)
	v_fma_f64 v[48:49], v[70:71], v[50:51], v[48:49]
	s_waitcnt lgkmcnt(0)
	v_fma_f64 v[48:49], v[72:73], v[52:53], v[48:49]
	s_waitcnt vmcnt(2)
	s_delay_alu instid0(VALU_DEP_1)
	v_fma_f64 v[44:45], v[44:45], v[54:55], v[48:49]
	ds_load_2addr_b64 v[48:51], v1 offset0:35 offset1:36
	ds_load_2addr_b64 v[52:55], v1 offset0:37 offset1:38
	s_waitcnt lgkmcnt(1)
	v_fma_f64 v[1:2], v[46:47], v[48:49], v[44:45]
	s_waitcnt vmcnt(1)
	s_delay_alu instid0(VALU_DEP_1) | instskip(SKIP_1) | instid1(VALU_DEP_1)
	v_fma_f64 v[1:2], v[66:67], v[50:51], v[1:2]
	s_waitcnt lgkmcnt(0)
	v_fma_f64 v[1:2], v[68:69], v[52:53], v[1:2]
	s_waitcnt vmcnt(0)
	s_delay_alu instid0(VALU_DEP_1) | instskip(NEXT) | instid1(VALU_DEP_1)
	v_fma_f64 v[1:2], v[56:57], v[54:55], v[1:2]
	v_add_f64 v[1:2], v[42:43], -v[1:2]
	scratch_store_b64 off, v[1:2], off offset:16
	v_cmpx_lt_u32_e32 1, v0
	s_cbranch_execz .LBB18_121
; %bb.120:
	scratch_load_b64 v[1:2], off, off offset:8
	v_mov_b32_e32 v42, 0
	s_delay_alu instid0(VALU_DEP_1)
	v_mov_b32_e32 v43, v42
	scratch_store_b64 off, v[42:43], off offset:8
	s_waitcnt vmcnt(0)
	ds_store_b64 v3, v[1:2]
.LBB18_121:
	s_or_b32 exec_lo, exec_lo, s0
	s_waitcnt lgkmcnt(0)
	s_waitcnt_vscnt null, 0x0
	s_barrier
	buffer_gl0_inv
	s_clause 0x4
	scratch_load_b128 v[43:46], off, off offset:8
	scratch_load_b128 v[47:50], off, off offset:24
	;; [unrolled: 1-line block ×5, first 2 shown]
	v_mov_b32_e32 v42, 0
	ds_load_b128 v[63:66], v42 offset:176
	ds_load_b128 v[67:70], v42 offset:192
	scratch_load_b128 v[71:74], off, off offset:88
	s_mov_b32 s0, exec_lo
	s_waitcnt vmcnt(5) lgkmcnt(1)
	v_fma_f64 v[1:2], v[45:46], v[63:64], 0
	s_waitcnt vmcnt(4)
	s_delay_alu instid0(VALU_DEP_1) | instskip(SKIP_4) | instid1(VALU_DEP_1)
	v_fma_f64 v[1:2], v[47:48], v[65:66], v[1:2]
	scratch_load_b128 v[45:48], off, off offset:104
	s_waitcnt lgkmcnt(0)
	v_fma_f64 v[1:2], v[49:50], v[67:68], v[1:2]
	s_waitcnt vmcnt(4)
	v_fma_f64 v[1:2], v[51:52], v[69:70], v[1:2]
	ds_load_b128 v[49:52], v42 offset:208
	ds_load_b128 v[63:66], v42 offset:224
	scratch_load_b128 v[67:70], off, off offset:120
	s_waitcnt lgkmcnt(1)
	v_fma_f64 v[1:2], v[53:54], v[49:50], v[1:2]
	s_waitcnt vmcnt(4)
	s_delay_alu instid0(VALU_DEP_1) | instskip(SKIP_4) | instid1(VALU_DEP_1)
	v_fma_f64 v[1:2], v[55:56], v[51:52], v[1:2]
	scratch_load_b128 v[49:52], off, off offset:136
	s_waitcnt lgkmcnt(0)
	v_fma_f64 v[1:2], v[57:58], v[63:64], v[1:2]
	s_waitcnt vmcnt(4)
	v_fma_f64 v[1:2], v[59:60], v[65:66], v[1:2]
	ds_load_b128 v[53:56], v42 offset:240
	ds_load_b128 v[57:60], v42 offset:256
	s_waitcnt lgkmcnt(1)
	v_fma_f64 v[1:2], v[61:62], v[53:54], v[1:2]
	s_waitcnt vmcnt(3)
	s_delay_alu instid0(VALU_DEP_1) | instskip(SKIP_1) | instid1(VALU_DEP_1)
	v_fma_f64 v[1:2], v[71:72], v[55:56], v[1:2]
	s_waitcnt lgkmcnt(0)
	v_fma_f64 v[1:2], v[73:74], v[57:58], v[1:2]
	s_waitcnt vmcnt(2)
	s_delay_alu instid0(VALU_DEP_1)
	v_fma_f64 v[1:2], v[45:46], v[59:60], v[1:2]
	ds_load_b128 v[53:56], v42 offset:272
	ds_load_b128 v[57:60], v42 offset:288
	ds_load_b64 v[45:46], v42 offset:304
	s_waitcnt lgkmcnt(2)
	v_fma_f64 v[1:2], v[47:48], v[53:54], v[1:2]
	s_waitcnt vmcnt(1)
	s_delay_alu instid0(VALU_DEP_1) | instskip(SKIP_1) | instid1(VALU_DEP_1)
	v_fma_f64 v[1:2], v[67:68], v[55:56], v[1:2]
	s_waitcnt lgkmcnt(1)
	v_fma_f64 v[1:2], v[69:70], v[57:58], v[1:2]
	s_waitcnt vmcnt(0)
	s_delay_alu instid0(VALU_DEP_1) | instskip(SKIP_1) | instid1(VALU_DEP_1)
	v_fma_f64 v[1:2], v[49:50], v[59:60], v[1:2]
	s_waitcnt lgkmcnt(0)
	v_fma_f64 v[1:2], v[51:52], v[45:46], v[1:2]
	s_delay_alu instid0(VALU_DEP_1)
	v_add_f64 v[1:2], v[43:44], -v[1:2]
	scratch_store_b64 off, v[1:2], off offset:8
	v_cmpx_ne_u32_e32 0, v0
	s_cbranch_execz .LBB18_123
; %bb.122:
	scratch_load_b64 v[0:1], off, off
	v_mov_b32_e32 v43, v42
	scratch_store_b64 off, v[42:43], off
	s_waitcnt vmcnt(0)
	ds_store_b64 v3, v[0:1]
.LBB18_123:
	s_or_b32 exec_lo, exec_lo, s0
	s_waitcnt lgkmcnt(0)
	s_waitcnt_vscnt null, 0x0
	s_barrier
	buffer_gl0_inv
	s_clause 0x4
	scratch_load_b128 v[43:46], off, off
	scratch_load_b128 v[0:3], off, off offset:16
	scratch_load_b128 v[47:50], off, off offset:32
	;; [unrolled: 1-line block ×4, first 2 shown]
	ds_load_2addr_b64 v[59:62], v42 offset0:21 offset1:22
	ds_load_2addr_b64 v[63:66], v42 offset0:23 offset1:24
	scratch_load_b128 v[67:70], off, off offset:80
	s_and_b32 vcc_lo, exec_lo, s16
	s_waitcnt vmcnt(5) lgkmcnt(1)
	v_fma_f64 v[45:46], v[45:46], v[59:60], 0
	s_waitcnt vmcnt(4)
	s_delay_alu instid0(VALU_DEP_1) | instskip(SKIP_4) | instid1(VALU_DEP_1)
	v_fma_f64 v[0:1], v[0:1], v[61:62], v[45:46]
	scratch_load_b128 v[59:62], off, off offset:96
	s_waitcnt lgkmcnt(0)
	v_fma_f64 v[0:1], v[2:3], v[63:64], v[0:1]
	s_waitcnt vmcnt(4)
	v_fma_f64 v[63:64], v[47:48], v[65:66], v[0:1]
	ds_load_2addr_b64 v[0:3], v42 offset0:25 offset1:26
	ds_load_2addr_b64 v[45:48], v42 offset0:27 offset1:28
	s_waitcnt lgkmcnt(1)
	v_fma_f64 v[0:1], v[49:50], v[0:1], v[63:64]
	scratch_load_b128 v[63:66], off, off offset:112
	s_waitcnt vmcnt(4)
	v_fma_f64 v[0:1], v[51:52], v[2:3], v[0:1]
	s_waitcnt lgkmcnt(0)
	s_delay_alu instid0(VALU_DEP_1)
	v_fma_f64 v[45:46], v[53:54], v[45:46], v[0:1]
	scratch_load_b128 v[0:3], off, off offset:128
	s_waitcnt vmcnt(4)
	v_fma_f64 v[53:54], v[55:56], v[47:48], v[45:46]
	ds_load_2addr_b64 v[45:48], v42 offset0:29 offset1:30
	ds_load_2addr_b64 v[49:52], v42 offset0:31 offset1:32
	s_waitcnt lgkmcnt(1)
	v_fma_f64 v[45:46], v[57:58], v[45:46], v[53:54]
	scratch_load_b64 v[53:54], off, off offset:144
	s_waitcnt vmcnt(4)
	v_fma_f64 v[45:46], v[67:68], v[47:48], v[45:46]
	s_waitcnt lgkmcnt(0)
	s_delay_alu instid0(VALU_DEP_1) | instskip(SKIP_1) | instid1(VALU_DEP_1)
	v_fma_f64 v[45:46], v[69:70], v[49:50], v[45:46]
	s_waitcnt vmcnt(3)
	v_fma_f64 v[55:56], v[59:60], v[51:52], v[45:46]
	ds_load_2addr_b64 v[45:48], v42 offset0:33 offset1:34
	ds_load_2addr_b64 v[49:52], v42 offset0:35 offset1:36
	s_waitcnt lgkmcnt(1)
	v_fma_f64 v[45:46], v[61:62], v[45:46], v[55:56]
	s_waitcnt vmcnt(2)
	s_delay_alu instid0(VALU_DEP_1) | instskip(SKIP_1) | instid1(VALU_DEP_1)
	v_fma_f64 v[45:46], v[63:64], v[47:48], v[45:46]
	s_waitcnt lgkmcnt(0)
	v_fma_f64 v[45:46], v[65:66], v[49:50], v[45:46]
	s_waitcnt vmcnt(1)
	s_delay_alu instid0(VALU_DEP_1) | instskip(SKIP_4) | instid1(VALU_DEP_1)
	v_fma_f64 v[0:1], v[0:1], v[51:52], v[45:46]
	ds_load_2addr_b64 v[45:48], v42 offset0:37 offset1:38
	s_waitcnt lgkmcnt(0)
	v_fma_f64 v[0:1], v[2:3], v[45:46], v[0:1]
	s_waitcnt vmcnt(0)
	v_fma_f64 v[0:1], v[53:54], v[47:48], v[0:1]
	s_delay_alu instid0(VALU_DEP_1)
	v_add_f64 v[0:1], v[43:44], -v[0:1]
	scratch_store_b64 off, v[0:1], off
	s_cbranch_vccz .LBB18_161
; %bb.124:
	v_dual_mov_b32 v0, s12 :: v_dual_mov_b32 v1, s13
	s_mov_b32 s0, exec_lo
	flat_load_b32 v0, v[0:1] offset:68
	s_waitcnt vmcnt(0) lgkmcnt(0)
	v_cmpx_ne_u32_e32 18, v0
	s_cbranch_execz .LBB18_126
; %bb.125:
	v_lshl_add_u32 v42, v0, 3, 0
	scratch_load_b64 v[0:1], v42, off offset:-8
	s_waitcnt vmcnt(0)
	scratch_store_b64 off, v[0:1], off offset:136
	scratch_store_b64 v42, v[2:3], off offset:-8
.LBB18_126:
	s_or_b32 exec_lo, exec_lo, s0
	v_dual_mov_b32 v0, s12 :: v_dual_mov_b32 v1, s13
	s_mov_b32 s0, exec_lo
	flat_load_b32 v0, v[0:1] offset:64
	s_waitcnt vmcnt(0) lgkmcnt(0)
	v_cmpx_ne_u32_e32 17, v0
	s_cbranch_execz .LBB18_128
; %bb.127:
	v_lshl_add_u32 v42, v0, 3, 0
	scratch_load_b64 v[0:1], v42, off offset:-8
	scratch_load_b64 v[2:3], off, off offset:128
	s_waitcnt vmcnt(1)
	scratch_store_b64 off, v[0:1], off offset:128
	s_waitcnt vmcnt(0)
	scratch_store_b64 v42, v[2:3], off offset:-8
.LBB18_128:
	s_or_b32 exec_lo, exec_lo, s0
	v_dual_mov_b32 v0, s12 :: v_dual_mov_b32 v1, s13
	s_mov_b32 s0, exec_lo
	flat_load_b32 v0, v[0:1] offset:60
	s_waitcnt vmcnt(0) lgkmcnt(0)
	v_cmpx_ne_u32_e32 16, v0
	s_cbranch_execz .LBB18_130
; %bb.129:
	v_lshl_add_u32 v42, v0, 3, 0
	scratch_load_b64 v[0:1], v42, off offset:-8
	scratch_load_b64 v[2:3], off, off offset:120
	s_waitcnt vmcnt(1)
	scratch_store_b64 off, v[0:1], off offset:120
	s_waitcnt vmcnt(0)
	scratch_store_b64 v42, v[2:3], off offset:-8
.LBB18_130:
	;; [unrolled: 16-line block ×16, first 2 shown]
	s_or_b32 exec_lo, exec_lo, s0
	v_dual_mov_b32 v0, s12 :: v_dual_mov_b32 v1, s13
	s_mov_b32 s0, exec_lo
	flat_load_b32 v2, v[0:1]
	scratch_load_b64 v[0:1], off, off
	s_waitcnt vmcnt(1) lgkmcnt(0)
	v_cmpx_ne_u32_e32 1, v2
	s_cbranch_execz .LBB18_160
; %bb.159:
	v_lshl_add_u32 v42, v2, 3, 0
	scratch_load_b64 v[2:3], v42, off offset:-8
	s_waitcnt vmcnt(0)
	scratch_store_b64 off, v[2:3], off
	scratch_store_b64 v42, v[0:1], off offset:-8
	scratch_load_b64 v[0:1], off, off
.LBB18_160:
	s_or_b32 exec_lo, exec_lo, s0
.LBB18_161:
	s_clause 0x8
	scratch_load_b128 v[42:45], off, off offset:8
	scratch_load_b128 v[46:49], off, off offset:24
	;; [unrolled: 1-line block ×9, first 2 shown]
	s_waitcnt vmcnt(9)
	global_store_b64 v[4:5], v[0:1], off
	s_waitcnt vmcnt(8)
	s_clause 0x1
	global_store_b64 v[6:7], v[42:43], off
	global_store_b64 v[8:9], v[44:45], off
	s_waitcnt vmcnt(7)
	s_clause 0x1
	global_store_b64 v[10:11], v[46:47], off
	;; [unrolled: 4-line block ×9, first 2 shown]
	global_store_b64 v[38:39], v[76:77], off
	s_endpgm
	.section	.rodata,"a",@progbits
	.p2align	6, 0x0
	.amdhsa_kernel _ZN9rocsolver6v33100L18getri_kernel_smallILi19EdPdEEvT1_iilPiilS4_bb
		.amdhsa_group_segment_fixed_size 312
		.amdhsa_private_segment_fixed_size 160
		.amdhsa_kernarg_size 60
		.amdhsa_user_sgpr_count 15
		.amdhsa_user_sgpr_dispatch_ptr 0
		.amdhsa_user_sgpr_queue_ptr 0
		.amdhsa_user_sgpr_kernarg_segment_ptr 1
		.amdhsa_user_sgpr_dispatch_id 0
		.amdhsa_user_sgpr_private_segment_size 0
		.amdhsa_wavefront_size32 1
		.amdhsa_uses_dynamic_stack 0
		.amdhsa_enable_private_segment 1
		.amdhsa_system_sgpr_workgroup_id_x 1
		.amdhsa_system_sgpr_workgroup_id_y 0
		.amdhsa_system_sgpr_workgroup_id_z 0
		.amdhsa_system_sgpr_workgroup_info 0
		.amdhsa_system_vgpr_workitem_id 0
		.amdhsa_next_free_vgpr 78
		.amdhsa_next_free_sgpr 18
		.amdhsa_reserve_vcc 1
		.amdhsa_float_round_mode_32 0
		.amdhsa_float_round_mode_16_64 0
		.amdhsa_float_denorm_mode_32 3
		.amdhsa_float_denorm_mode_16_64 3
		.amdhsa_dx10_clamp 1
		.amdhsa_ieee_mode 1
		.amdhsa_fp16_overflow 0
		.amdhsa_workgroup_processor_mode 1
		.amdhsa_memory_ordered 1
		.amdhsa_forward_progress 0
		.amdhsa_shared_vgpr_count 0
		.amdhsa_exception_fp_ieee_invalid_op 0
		.amdhsa_exception_fp_denorm_src 0
		.amdhsa_exception_fp_ieee_div_zero 0
		.amdhsa_exception_fp_ieee_overflow 0
		.amdhsa_exception_fp_ieee_underflow 0
		.amdhsa_exception_fp_ieee_inexact 0
		.amdhsa_exception_int_div_zero 0
	.end_amdhsa_kernel
	.section	.text._ZN9rocsolver6v33100L18getri_kernel_smallILi19EdPdEEvT1_iilPiilS4_bb,"axG",@progbits,_ZN9rocsolver6v33100L18getri_kernel_smallILi19EdPdEEvT1_iilPiilS4_bb,comdat
.Lfunc_end18:
	.size	_ZN9rocsolver6v33100L18getri_kernel_smallILi19EdPdEEvT1_iilPiilS4_bb, .Lfunc_end18-_ZN9rocsolver6v33100L18getri_kernel_smallILi19EdPdEEvT1_iilPiilS4_bb
                                        ; -- End function
	.section	.AMDGPU.csdata,"",@progbits
; Kernel info:
; codeLenInByte = 12276
; NumSgprs: 20
; NumVgprs: 78
; ScratchSize: 160
; MemoryBound: 0
; FloatMode: 240
; IeeeMode: 1
; LDSByteSize: 312 bytes/workgroup (compile time only)
; SGPRBlocks: 2
; VGPRBlocks: 9
; NumSGPRsForWavesPerEU: 20
; NumVGPRsForWavesPerEU: 78
; Occupancy: 16
; WaveLimiterHint : 1
; COMPUTE_PGM_RSRC2:SCRATCH_EN: 1
; COMPUTE_PGM_RSRC2:USER_SGPR: 15
; COMPUTE_PGM_RSRC2:TRAP_HANDLER: 0
; COMPUTE_PGM_RSRC2:TGID_X_EN: 1
; COMPUTE_PGM_RSRC2:TGID_Y_EN: 0
; COMPUTE_PGM_RSRC2:TGID_Z_EN: 0
; COMPUTE_PGM_RSRC2:TIDIG_COMP_CNT: 0
	.section	.text._ZN9rocsolver6v33100L18getri_kernel_smallILi20EdPdEEvT1_iilPiilS4_bb,"axG",@progbits,_ZN9rocsolver6v33100L18getri_kernel_smallILi20EdPdEEvT1_iilPiilS4_bb,comdat
	.globl	_ZN9rocsolver6v33100L18getri_kernel_smallILi20EdPdEEvT1_iilPiilS4_bb ; -- Begin function _ZN9rocsolver6v33100L18getri_kernel_smallILi20EdPdEEvT1_iilPiilS4_bb
	.p2align	8
	.type	_ZN9rocsolver6v33100L18getri_kernel_smallILi20EdPdEEvT1_iilPiilS4_bb,@function
_ZN9rocsolver6v33100L18getri_kernel_smallILi20EdPdEEvT1_iilPiilS4_bb: ; @_ZN9rocsolver6v33100L18getri_kernel_smallILi20EdPdEEvT1_iilPiilS4_bb
; %bb.0:
	s_mov_b32 s2, exec_lo
	v_cmpx_gt_u32_e32 20, v0
	s_cbranch_execz .LBB19_90
; %bb.1:
	s_clause 0x2
	s_load_b32 s17, s[0:1], 0x38
	s_load_b128 s[8:11], s[0:1], 0x10
	s_load_b128 s[4:7], s[0:1], 0x28
	s_mov_b32 s14, s15
                                        ; implicit-def: $sgpr12_sgpr13
	s_waitcnt lgkmcnt(0)
	s_bitcmp1_b32 s17, 8
	s_cselect_b32 s16, -1, 0
	s_bfe_u32 s2, s17, 0x10008
	s_ashr_i32 s15, s15, 31
	s_cmp_eq_u32 s2, 0
	s_cbranch_scc1 .LBB19_3
; %bb.2:
	s_load_b32 s2, s[0:1], 0x20
	s_mul_i32 s3, s14, s5
	s_mul_hi_u32 s5, s14, s4
	s_mul_i32 s12, s15, s4
	s_add_i32 s3, s5, s3
	s_mul_i32 s4, s14, s4
	s_add_i32 s5, s3, s12
	s_delay_alu instid0(SALU_CYCLE_1)
	s_lshl_b64 s[4:5], s[4:5], 2
	s_waitcnt lgkmcnt(0)
	s_ashr_i32 s3, s2, 31
	s_add_u32 s4, s10, s4
	s_addc_u32 s5, s11, s5
	s_lshl_b64 s[2:3], s[2:3], 2
	s_delay_alu instid0(SALU_CYCLE_1)
	s_add_u32 s12, s4, s2
	s_addc_u32 s13, s5, s3
.LBB19_3:
	s_load_b128 s[0:3], s[0:1], 0x0
	s_mul_i32 s4, s14, s9
	s_mul_hi_u32 s5, s14, s8
	s_mul_i32 s9, s15, s8
	s_add_i32 s5, s5, s4
	s_mul_i32 s4, s14, s8
	s_add_i32 s5, s5, s9
	v_lshlrev_b32_e32 v3, 3, v0
	s_lshl_b64 s[4:5], s[4:5], 3
	s_waitcnt lgkmcnt(0)
	v_add3_u32 v1, s3, s3, v0
	s_ashr_i32 s9, s2, 31
	s_mov_b32 s8, s2
	s_add_u32 s2, s0, s4
	s_addc_u32 s5, s1, s5
	v_add_nc_u32_e32 v8, s3, v1
	s_lshl_b64 s[0:1], s[8:9], 3
	v_ashrrev_i32_e32 v2, 31, v1
	s_add_u32 s0, s2, s0
	s_addc_u32 s1, s5, s1
	v_add_nc_u32_e32 v10, s3, v8
	v_add_co_u32 v4, s2, s0, v3
	s_mov_b32 s4, s3
	s_ashr_i32 s5, s3, 31
	v_add_co_ci_u32_e64 v5, null, s1, 0, s2
	v_lshlrev_b64 v[1:2], 3, v[1:2]
	v_ashrrev_i32_e32 v9, 31, v8
	s_lshl_b64 s[4:5], s[4:5], 3
	v_add_nc_u32_e32 v14, s3, v10
	v_add_co_u32 v6, vcc_lo, v4, s4
	v_ashrrev_i32_e32 v11, 31, v10
	v_add_co_ci_u32_e32 v7, vcc_lo, s5, v5, vcc_lo
	v_lshlrev_b64 v[12:13], 3, v[8:9]
	v_add_co_u32 v8, vcc_lo, s0, v1
	v_add_nc_u32_e32 v16, s3, v14
	v_add_co_ci_u32_e32 v9, vcc_lo, s1, v2, vcc_lo
	v_lshlrev_b64 v[1:2], 3, v[10:11]
	v_add_co_u32 v10, vcc_lo, s0, v12
	v_ashrrev_i32_e32 v15, 31, v14
	v_add_nc_u32_e32 v18, s3, v16
	v_add_co_ci_u32_e32 v11, vcc_lo, s1, v13, vcc_lo
	v_add_co_u32 v12, vcc_lo, s0, v1
	v_add_co_ci_u32_e32 v13, vcc_lo, s1, v2, vcc_lo
	v_lshlrev_b64 v[1:2], 3, v[14:15]
	v_ashrrev_i32_e32 v17, 31, v16
	v_add_nc_u32_e32 v20, s3, v18
	v_ashrrev_i32_e32 v19, 31, v18
	s_clause 0x4
	global_load_b64 v[44:45], v3, s[0:1]
	global_load_b64 v[46:47], v[6:7], off
	global_load_b64 v[48:49], v[8:9], off
	;; [unrolled: 1-line block ×4, first 2 shown]
	v_lshlrev_b64 v[16:17], 3, v[16:17]
	v_add_co_u32 v14, vcc_lo, s0, v1
	v_ashrrev_i32_e32 v21, 31, v20
	v_add_co_ci_u32_e32 v15, vcc_lo, s1, v2, vcc_lo
	v_lshlrev_b64 v[1:2], 3, v[18:19]
	v_add_nc_u32_e32 v23, s3, v20
	v_add_co_u32 v16, vcc_lo, s0, v16
	v_lshlrev_b64 v[21:22], 3, v[20:21]
	v_add_co_ci_u32_e32 v17, vcc_lo, s1, v17, vcc_lo
	v_add_co_u32 v18, vcc_lo, s0, v1
	v_ashrrev_i32_e32 v24, 31, v23
	v_add_nc_u32_e32 v1, s3, v23
	v_add_co_ci_u32_e32 v19, vcc_lo, s1, v2, vcc_lo
	v_add_co_u32 v20, vcc_lo, s0, v21
	v_add_co_ci_u32_e32 v21, vcc_lo, s1, v22, vcc_lo
	v_lshlrev_b64 v[22:23], 3, v[23:24]
	v_add_nc_u32_e32 v24, s3, v1
	v_ashrrev_i32_e32 v2, 31, v1
	s_clause 0x3
	global_load_b64 v[54:55], v[14:15], off
	global_load_b64 v[56:57], v[16:17], off
	;; [unrolled: 1-line block ×4, first 2 shown]
	s_bitcmp0_b32 s17, 0
	v_add_nc_u32_e32 v26, s3, v24
	v_lshlrev_b64 v[1:2], 3, v[1:2]
	v_ashrrev_i32_e32 v25, 31, v24
	v_add_co_u32 v22, vcc_lo, s0, v22
	s_delay_alu instid0(VALU_DEP_4) | instskip(SKIP_3) | instid1(VALU_DEP_4)
	v_add_nc_u32_e32 v30, s3, v26
	v_ashrrev_i32_e32 v27, 31, v26
	v_add_co_ci_u32_e32 v23, vcc_lo, s1, v23, vcc_lo
	v_lshlrev_b64 v[28:29], 3, v[24:25]
	v_add_nc_u32_e32 v32, s3, v30
	v_add_co_u32 v24, vcc_lo, s0, v1
	v_add_co_ci_u32_e32 v25, vcc_lo, s1, v2, vcc_lo
	v_lshlrev_b64 v[1:2], 3, v[26:27]
	s_delay_alu instid0(VALU_DEP_4)
	v_add_nc_u32_e32 v34, s3, v32
	v_add_co_u32 v26, vcc_lo, s0, v28
	v_ashrrev_i32_e32 v31, 31, v30
	v_add_co_ci_u32_e32 v27, vcc_lo, s1, v29, vcc_lo
	v_add_co_u32 v28, vcc_lo, s0, v1
	v_add_nc_u32_e32 v36, s3, v34
	v_add_co_ci_u32_e32 v29, vcc_lo, s1, v2, vcc_lo
	v_lshlrev_b64 v[1:2], 3, v[30:31]
	v_ashrrev_i32_e32 v33, 31, v32
	v_ashrrev_i32_e32 v35, 31, v34
	v_add_nc_u32_e32 v38, s3, v36
	v_ashrrev_i32_e32 v37, 31, v36
	s_clause 0x3
	global_load_b64 v[62:63], v[22:23], off
	global_load_b64 v[64:65], v[24:25], off
	;; [unrolled: 1-line block ×4, first 2 shown]
	v_lshlrev_b64 v[32:33], 3, v[32:33]
	v_add_co_u32 v30, vcc_lo, s0, v1
	v_add_co_ci_u32_e32 v31, vcc_lo, s1, v2, vcc_lo
	v_lshlrev_b64 v[1:2], 3, v[34:35]
	v_add_nc_u32_e32 v40, s3, v38
	v_add_co_u32 v32, vcc_lo, s0, v32
	v_ashrrev_i32_e32 v39, 31, v38
	v_add_co_ci_u32_e32 v33, vcc_lo, s1, v33, vcc_lo
	v_lshlrev_b64 v[36:37], 3, v[36:37]
	v_add_co_u32 v34, vcc_lo, s0, v1
	v_add_nc_u32_e32 v42, s3, v40
	v_add_co_ci_u32_e32 v35, vcc_lo, s1, v2, vcc_lo
	v_lshlrev_b64 v[1:2], 3, v[38:39]
	v_ashrrev_i32_e32 v41, 31, v40
	v_add_co_u32 v36, vcc_lo, s0, v36
	v_ashrrev_i32_e32 v43, 31, v42
	v_add_co_ci_u32_e32 v37, vcc_lo, s1, v37, vcc_lo
	s_delay_alu instid0(VALU_DEP_4) | instskip(SKIP_3) | instid1(VALU_DEP_4)
	v_lshlrev_b64 v[40:41], 3, v[40:41]
	v_add_co_u32 v38, vcc_lo, s0, v1
	v_add_co_ci_u32_e32 v39, vcc_lo, s1, v2, vcc_lo
	v_lshlrev_b64 v[1:2], 3, v[42:43]
	v_add_co_u32 v40, vcc_lo, s0, v40
	v_add_co_ci_u32_e32 v41, vcc_lo, s1, v41, vcc_lo
	s_delay_alu instid0(VALU_DEP_3) | instskip(NEXT) | instid1(VALU_DEP_4)
	v_add_co_u32 v42, vcc_lo, s0, v1
	v_add_co_ci_u32_e32 v43, vcc_lo, s1, v2, vcc_lo
	s_clause 0x6
	global_load_b64 v[70:71], v[30:31], off
	global_load_b64 v[72:73], v[32:33], off
	;; [unrolled: 1-line block ×7, first 2 shown]
	s_mov_b32 s1, -1
	s_waitcnt vmcnt(18)
	scratch_store_b128 off, v[44:47], off
	s_waitcnt vmcnt(16)
	scratch_store_b128 off, v[48:51], off offset:16
	s_waitcnt vmcnt(14)
	scratch_store_b128 off, v[52:55], off offset:32
	;; [unrolled: 2-line block ×9, first 2 shown]
	s_cbranch_scc1 .LBB19_88
; %bb.4:
	v_cmp_eq_u32_e64 s0, 0, v0
	s_delay_alu instid0(VALU_DEP_1)
	s_and_saveexec_b32 s1, s0
	s_cbranch_execz .LBB19_6
; %bb.5:
	v_mov_b32_e32 v1, 0
	ds_store_b32 v1, v1 offset:320
.LBB19_6:
	s_or_b32 exec_lo, exec_lo, s1
	s_waitcnt lgkmcnt(0)
	s_waitcnt_vscnt null, 0x0
	s_barrier
	buffer_gl0_inv
	scratch_load_b64 v[1:2], v3, off
	s_mov_b32 s2, exec_lo
	s_waitcnt vmcnt(0)
	v_cmpx_eq_f64_e32 0, v[1:2]
	s_cbranch_execz .LBB19_10
; %bb.7:
	v_mov_b32_e32 v1, 0
	s_mov_b32 s3, 0
	ds_load_b32 v2, v1 offset:320
	s_waitcnt lgkmcnt(0)
	v_readfirstlane_b32 s1, v2
	v_add_nc_u32_e32 v2, 1, v0
	s_delay_alu instid0(VALU_DEP_2) | instskip(NEXT) | instid1(VALU_DEP_1)
	s_cmp_eq_u32 s1, 0
	v_cmp_gt_i32_e32 vcc_lo, s1, v2
	s_cselect_b32 s4, -1, 0
	s_delay_alu instid0(SALU_CYCLE_1) | instskip(NEXT) | instid1(SALU_CYCLE_1)
	s_or_b32 s4, s4, vcc_lo
	s_and_b32 exec_lo, exec_lo, s4
	s_cbranch_execz .LBB19_10
; %bb.8:
	v_mov_b32_e32 v44, s1
.LBB19_9:                               ; =>This Inner Loop Header: Depth=1
	ds_cmpstore_rtn_b32 v44, v1, v2, v44 offset:320
	s_waitcnt lgkmcnt(0)
	v_cmp_ne_u32_e32 vcc_lo, 0, v44
	v_cmp_le_i32_e64 s1, v44, v2
	s_delay_alu instid0(VALU_DEP_1) | instskip(NEXT) | instid1(SALU_CYCLE_1)
	s_and_b32 s1, vcc_lo, s1
	s_and_b32 s1, exec_lo, s1
	s_delay_alu instid0(SALU_CYCLE_1) | instskip(NEXT) | instid1(SALU_CYCLE_1)
	s_or_b32 s3, s1, s3
	s_and_not1_b32 exec_lo, exec_lo, s3
	s_cbranch_execnz .LBB19_9
.LBB19_10:
	s_or_b32 exec_lo, exec_lo, s2
	v_mov_b32_e32 v1, 0
	s_barrier
	buffer_gl0_inv
	ds_load_b32 v2, v1 offset:320
	s_and_saveexec_b32 s1, s0
	s_cbranch_execz .LBB19_12
; %bb.11:
	s_lshl_b64 s[2:3], s[14:15], 2
	s_delay_alu instid0(SALU_CYCLE_1)
	s_add_u32 s2, s6, s2
	s_addc_u32 s3, s7, s3
	s_waitcnt lgkmcnt(0)
	global_store_b32 v1, v2, s[2:3]
.LBB19_12:
	s_or_b32 exec_lo, exec_lo, s1
	s_waitcnt lgkmcnt(0)
	v_cmp_ne_u32_e32 vcc_lo, 0, v2
	s_mov_b32 s1, 0
	s_cbranch_vccnz .LBB19_88
; %bb.13:
	v_add_nc_u32_e32 v44, 0, v3
	scratch_load_b64 v[1:2], v44, off
	s_waitcnt vmcnt(0)
	v_div_scale_f64 v[45:46], null, v[1:2], v[1:2], 1.0
	v_div_scale_f64 v[51:52], vcc_lo, 1.0, v[1:2], 1.0
	s_delay_alu instid0(VALU_DEP_2) | instskip(SKIP_2) | instid1(VALU_DEP_1)
	v_rcp_f64_e32 v[47:48], v[45:46]
	s_waitcnt_depctr 0xfff
	v_fma_f64 v[49:50], -v[45:46], v[47:48], 1.0
	v_fma_f64 v[47:48], v[47:48], v[49:50], v[47:48]
	s_delay_alu instid0(VALU_DEP_1) | instskip(NEXT) | instid1(VALU_DEP_1)
	v_fma_f64 v[49:50], -v[45:46], v[47:48], 1.0
	v_fma_f64 v[47:48], v[47:48], v[49:50], v[47:48]
	s_delay_alu instid0(VALU_DEP_1) | instskip(NEXT) | instid1(VALU_DEP_1)
	v_mul_f64 v[49:50], v[51:52], v[47:48]
	v_fma_f64 v[45:46], -v[45:46], v[49:50], v[51:52]
	s_delay_alu instid0(VALU_DEP_1) | instskip(NEXT) | instid1(VALU_DEP_1)
	v_div_fmas_f64 v[45:46], v[45:46], v[47:48], v[49:50]
	v_div_fixup_f64 v[1:2], v[45:46], v[1:2], 1.0
	v_add_nc_u32_e32 v45, 0xa0, v3
	scratch_store_b64 v44, v[1:2], off
	scratch_load_b64 v[46:47], off, off offset:8
	v_xor_b32_e32 v2, 0x80000000, v2
	s_waitcnt vmcnt(0)
	ds_store_2addr_b64 v3, v[1:2], v[46:47] offset1:20
	s_waitcnt lgkmcnt(0)
	s_waitcnt_vscnt null, 0x0
	s_barrier
	buffer_gl0_inv
	s_and_saveexec_b32 s1, s0
	s_cbranch_execz .LBB19_15
; %bb.14:
	scratch_load_b64 v[1:2], v44, off
	ds_load_b64 v[46:47], v45
	s_waitcnt vmcnt(0) lgkmcnt(0)
	v_fma_f64 v[1:2], v[1:2], v[46:47], 0
	v_mov_b32_e32 v46, 0
	ds_load_b64 v[46:47], v46 offset:8
	s_waitcnt lgkmcnt(0)
	v_mul_f64 v[1:2], v[1:2], v[46:47]
	scratch_store_b64 off, v[1:2], off offset:8
.LBB19_15:
	s_or_b32 exec_lo, exec_lo, s1
	s_waitcnt_vscnt null, 0x0
	s_barrier
	buffer_gl0_inv
	scratch_load_b64 v[1:2], off, off offset:16
	s_mov_b32 s1, exec_lo
	s_waitcnt vmcnt(0)
	ds_store_b64 v45, v[1:2]
	s_waitcnt lgkmcnt(0)
	s_barrier
	buffer_gl0_inv
	v_cmpx_gt_u32_e32 2, v0
	s_cbranch_execz .LBB19_19
; %bb.16:
	scratch_load_b64 v[1:2], v44, off
	ds_load_b64 v[46:47], v45
	s_waitcnt vmcnt(0) lgkmcnt(0)
	v_fma_f64 v[1:2], v[1:2], v[46:47], 0
	s_and_saveexec_b32 s2, s0
	s_cbranch_execz .LBB19_18
; %bb.17:
	scratch_load_b64 v[46:47], off, off offset:8
	v_mov_b32_e32 v48, 0
	ds_load_b64 v[48:49], v48 offset:168
	s_waitcnt vmcnt(0) lgkmcnt(0)
	v_fma_f64 v[1:2], v[46:47], v[48:49], v[1:2]
.LBB19_18:
	s_or_b32 exec_lo, exec_lo, s2
	v_mov_b32_e32 v46, 0
	ds_load_b64 v[46:47], v46 offset:16
	s_waitcnt lgkmcnt(0)
	v_mul_f64 v[1:2], v[1:2], v[46:47]
	scratch_store_b64 off, v[1:2], off offset:16
.LBB19_19:
	s_or_b32 exec_lo, exec_lo, s1
	s_waitcnt_vscnt null, 0x0
	s_barrier
	buffer_gl0_inv
	scratch_load_b64 v[1:2], off, off offset:24
	v_add_nc_u32_e32 v46, -1, v0
	s_mov_b32 s0, exec_lo
	s_waitcnt vmcnt(0)
	ds_store_b64 v45, v[1:2]
	s_waitcnt lgkmcnt(0)
	s_barrier
	buffer_gl0_inv
	v_cmpx_gt_u32_e32 3, v0
	s_cbranch_execz .LBB19_23
; %bb.20:
	v_dual_mov_b32 v1, 0 :: v_dual_add_nc_u32 v48, 0xa0, v3
	v_dual_mov_b32 v2, 0 :: v_dual_add_nc_u32 v47, -1, v0
	v_add_nc_u32_e32 v49, 0, v3
	s_mov_b32 s1, 0
.LBB19_21:                              ; =>This Inner Loop Header: Depth=1
	scratch_load_b64 v[50:51], v49, off
	ds_load_b64 v[52:53], v48
	v_add_nc_u32_e32 v47, 1, v47
	v_add_nc_u32_e32 v48, 8, v48
	v_add_nc_u32_e32 v49, 8, v49
	s_delay_alu instid0(VALU_DEP_3)
	v_cmp_lt_u32_e32 vcc_lo, 1, v47
	s_or_b32 s1, vcc_lo, s1
	s_waitcnt vmcnt(0) lgkmcnt(0)
	v_fma_f64 v[1:2], v[50:51], v[52:53], v[1:2]
	s_and_not1_b32 exec_lo, exec_lo, s1
	s_cbranch_execnz .LBB19_21
; %bb.22:
	s_or_b32 exec_lo, exec_lo, s1
	v_mov_b32_e32 v47, 0
	ds_load_b64 v[47:48], v47 offset:24
	s_waitcnt lgkmcnt(0)
	v_mul_f64 v[1:2], v[1:2], v[47:48]
	scratch_store_b64 off, v[1:2], off offset:24
.LBB19_23:
	s_or_b32 exec_lo, exec_lo, s0
	s_waitcnt_vscnt null, 0x0
	s_barrier
	buffer_gl0_inv
	scratch_load_b64 v[1:2], off, off offset:32
	s_mov_b32 s0, exec_lo
	s_waitcnt vmcnt(0)
	ds_store_b64 v45, v[1:2]
	s_waitcnt lgkmcnt(0)
	s_barrier
	buffer_gl0_inv
	v_cmpx_gt_u32_e32 4, v0
	s_cbranch_execz .LBB19_27
; %bb.24:
	v_dual_mov_b32 v1, 0 :: v_dual_add_nc_u32 v48, 0xa0, v3
	v_dual_mov_b32 v2, 0 :: v_dual_add_nc_u32 v47, -1, v0
	v_add_nc_u32_e32 v49, 0, v3
	s_mov_b32 s1, 0
.LBB19_25:                              ; =>This Inner Loop Header: Depth=1
	scratch_load_b64 v[50:51], v49, off
	ds_load_b64 v[52:53], v48
	v_add_nc_u32_e32 v47, 1, v47
	v_add_nc_u32_e32 v48, 8, v48
	v_add_nc_u32_e32 v49, 8, v49
	s_delay_alu instid0(VALU_DEP_3)
	v_cmp_lt_u32_e32 vcc_lo, 2, v47
	s_or_b32 s1, vcc_lo, s1
	s_waitcnt vmcnt(0) lgkmcnt(0)
	v_fma_f64 v[1:2], v[50:51], v[52:53], v[1:2]
	s_and_not1_b32 exec_lo, exec_lo, s1
	s_cbranch_execnz .LBB19_25
; %bb.26:
	s_or_b32 exec_lo, exec_lo, s1
	v_mov_b32_e32 v47, 0
	ds_load_b64 v[47:48], v47 offset:32
	s_waitcnt lgkmcnt(0)
	v_mul_f64 v[1:2], v[1:2], v[47:48]
	scratch_store_b64 off, v[1:2], off offset:32
.LBB19_27:
	s_or_b32 exec_lo, exec_lo, s0
	s_waitcnt_vscnt null, 0x0
	s_barrier
	buffer_gl0_inv
	scratch_load_b64 v[1:2], off, off offset:40
	s_mov_b32 s0, exec_lo
	s_waitcnt vmcnt(0)
	ds_store_b64 v45, v[1:2]
	s_waitcnt lgkmcnt(0)
	s_barrier
	buffer_gl0_inv
	v_cmpx_gt_u32_e32 5, v0
	s_cbranch_execz .LBB19_31
; %bb.28:
	v_dual_mov_b32 v1, 0 :: v_dual_add_nc_u32 v48, 0xa0, v3
	v_dual_mov_b32 v2, 0 :: v_dual_add_nc_u32 v47, -1, v0
	v_add_nc_u32_e32 v49, 0, v3
	s_mov_b32 s1, 0
.LBB19_29:                              ; =>This Inner Loop Header: Depth=1
	scratch_load_b64 v[50:51], v49, off
	ds_load_b64 v[52:53], v48
	v_add_nc_u32_e32 v47, 1, v47
	v_add_nc_u32_e32 v48, 8, v48
	v_add_nc_u32_e32 v49, 8, v49
	s_delay_alu instid0(VALU_DEP_3)
	v_cmp_lt_u32_e32 vcc_lo, 3, v47
	s_or_b32 s1, vcc_lo, s1
	s_waitcnt vmcnt(0) lgkmcnt(0)
	v_fma_f64 v[1:2], v[50:51], v[52:53], v[1:2]
	s_and_not1_b32 exec_lo, exec_lo, s1
	s_cbranch_execnz .LBB19_29
; %bb.30:
	s_or_b32 exec_lo, exec_lo, s1
	v_mov_b32_e32 v47, 0
	ds_load_b64 v[47:48], v47 offset:40
	s_waitcnt lgkmcnt(0)
	v_mul_f64 v[1:2], v[1:2], v[47:48]
	scratch_store_b64 off, v[1:2], off offset:40
.LBB19_31:
	s_or_b32 exec_lo, exec_lo, s0
	s_waitcnt_vscnt null, 0x0
	s_barrier
	buffer_gl0_inv
	scratch_load_b64 v[1:2], off, off offset:48
	s_mov_b32 s0, exec_lo
	s_waitcnt vmcnt(0)
	ds_store_b64 v45, v[1:2]
	s_waitcnt lgkmcnt(0)
	s_barrier
	buffer_gl0_inv
	v_cmpx_gt_u32_e32 6, v0
	s_cbranch_execz .LBB19_35
; %bb.32:
	v_dual_mov_b32 v1, 0 :: v_dual_add_nc_u32 v48, 0xa0, v3
	v_dual_mov_b32 v2, 0 :: v_dual_add_nc_u32 v47, -1, v0
	v_add_nc_u32_e32 v49, 0, v3
	s_mov_b32 s1, 0
.LBB19_33:                              ; =>This Inner Loop Header: Depth=1
	scratch_load_b64 v[50:51], v49, off
	ds_load_b64 v[52:53], v48
	v_add_nc_u32_e32 v47, 1, v47
	v_add_nc_u32_e32 v48, 8, v48
	v_add_nc_u32_e32 v49, 8, v49
	s_delay_alu instid0(VALU_DEP_3)
	v_cmp_lt_u32_e32 vcc_lo, 4, v47
	s_or_b32 s1, vcc_lo, s1
	s_waitcnt vmcnt(0) lgkmcnt(0)
	v_fma_f64 v[1:2], v[50:51], v[52:53], v[1:2]
	s_and_not1_b32 exec_lo, exec_lo, s1
	s_cbranch_execnz .LBB19_33
; %bb.34:
	s_or_b32 exec_lo, exec_lo, s1
	v_mov_b32_e32 v47, 0
	ds_load_b64 v[47:48], v47 offset:48
	s_waitcnt lgkmcnt(0)
	v_mul_f64 v[1:2], v[1:2], v[47:48]
	scratch_store_b64 off, v[1:2], off offset:48
.LBB19_35:
	s_or_b32 exec_lo, exec_lo, s0
	s_waitcnt_vscnt null, 0x0
	s_barrier
	buffer_gl0_inv
	scratch_load_b64 v[1:2], off, off offset:56
	s_mov_b32 s0, exec_lo
	s_waitcnt vmcnt(0)
	ds_store_b64 v45, v[1:2]
	s_waitcnt lgkmcnt(0)
	s_barrier
	buffer_gl0_inv
	v_cmpx_gt_u32_e32 7, v0
	s_cbranch_execz .LBB19_39
; %bb.36:
	v_dual_mov_b32 v1, 0 :: v_dual_add_nc_u32 v48, 0xa0, v3
	v_dual_mov_b32 v2, 0 :: v_dual_add_nc_u32 v47, -1, v0
	v_add_nc_u32_e32 v49, 0, v3
	s_mov_b32 s1, 0
.LBB19_37:                              ; =>This Inner Loop Header: Depth=1
	scratch_load_b64 v[50:51], v49, off
	ds_load_b64 v[52:53], v48
	v_add_nc_u32_e32 v47, 1, v47
	v_add_nc_u32_e32 v48, 8, v48
	v_add_nc_u32_e32 v49, 8, v49
	s_delay_alu instid0(VALU_DEP_3)
	v_cmp_lt_u32_e32 vcc_lo, 5, v47
	s_or_b32 s1, vcc_lo, s1
	s_waitcnt vmcnt(0) lgkmcnt(0)
	v_fma_f64 v[1:2], v[50:51], v[52:53], v[1:2]
	s_and_not1_b32 exec_lo, exec_lo, s1
	s_cbranch_execnz .LBB19_37
; %bb.38:
	s_or_b32 exec_lo, exec_lo, s1
	v_mov_b32_e32 v47, 0
	ds_load_b64 v[47:48], v47 offset:56
	s_waitcnt lgkmcnt(0)
	v_mul_f64 v[1:2], v[1:2], v[47:48]
	scratch_store_b64 off, v[1:2], off offset:56
.LBB19_39:
	s_or_b32 exec_lo, exec_lo, s0
	s_waitcnt_vscnt null, 0x0
	s_barrier
	buffer_gl0_inv
	scratch_load_b64 v[1:2], off, off offset:64
	s_mov_b32 s0, exec_lo
	s_waitcnt vmcnt(0)
	ds_store_b64 v45, v[1:2]
	s_waitcnt lgkmcnt(0)
	s_barrier
	buffer_gl0_inv
	v_cmpx_gt_u32_e32 8, v0
	s_cbranch_execz .LBB19_43
; %bb.40:
	v_dual_mov_b32 v1, 0 :: v_dual_add_nc_u32 v48, 0xa0, v3
	v_dual_mov_b32 v2, 0 :: v_dual_add_nc_u32 v47, -1, v0
	v_add_nc_u32_e32 v49, 0, v3
	s_mov_b32 s1, 0
.LBB19_41:                              ; =>This Inner Loop Header: Depth=1
	scratch_load_b64 v[50:51], v49, off
	ds_load_b64 v[52:53], v48
	v_add_nc_u32_e32 v47, 1, v47
	v_add_nc_u32_e32 v48, 8, v48
	v_add_nc_u32_e32 v49, 8, v49
	s_delay_alu instid0(VALU_DEP_3)
	v_cmp_lt_u32_e32 vcc_lo, 6, v47
	s_or_b32 s1, vcc_lo, s1
	s_waitcnt vmcnt(0) lgkmcnt(0)
	v_fma_f64 v[1:2], v[50:51], v[52:53], v[1:2]
	s_and_not1_b32 exec_lo, exec_lo, s1
	s_cbranch_execnz .LBB19_41
; %bb.42:
	s_or_b32 exec_lo, exec_lo, s1
	v_mov_b32_e32 v47, 0
	ds_load_b64 v[47:48], v47 offset:64
	s_waitcnt lgkmcnt(0)
	v_mul_f64 v[1:2], v[1:2], v[47:48]
	scratch_store_b64 off, v[1:2], off offset:64
.LBB19_43:
	s_or_b32 exec_lo, exec_lo, s0
	s_waitcnt_vscnt null, 0x0
	s_barrier
	buffer_gl0_inv
	scratch_load_b64 v[1:2], off, off offset:72
	s_mov_b32 s0, exec_lo
	s_waitcnt vmcnt(0)
	ds_store_b64 v45, v[1:2]
	s_waitcnt lgkmcnt(0)
	s_barrier
	buffer_gl0_inv
	v_cmpx_gt_u32_e32 9, v0
	s_cbranch_execz .LBB19_47
; %bb.44:
	v_dual_mov_b32 v1, 0 :: v_dual_add_nc_u32 v48, 0xa0, v3
	v_dual_mov_b32 v2, 0 :: v_dual_add_nc_u32 v47, -1, v0
	v_add_nc_u32_e32 v49, 0, v3
	s_mov_b32 s1, 0
.LBB19_45:                              ; =>This Inner Loop Header: Depth=1
	scratch_load_b64 v[50:51], v49, off
	ds_load_b64 v[52:53], v48
	v_add_nc_u32_e32 v47, 1, v47
	v_add_nc_u32_e32 v48, 8, v48
	v_add_nc_u32_e32 v49, 8, v49
	s_delay_alu instid0(VALU_DEP_3)
	v_cmp_lt_u32_e32 vcc_lo, 7, v47
	s_or_b32 s1, vcc_lo, s1
	s_waitcnt vmcnt(0) lgkmcnt(0)
	v_fma_f64 v[1:2], v[50:51], v[52:53], v[1:2]
	s_and_not1_b32 exec_lo, exec_lo, s1
	s_cbranch_execnz .LBB19_45
; %bb.46:
	s_or_b32 exec_lo, exec_lo, s1
	v_mov_b32_e32 v47, 0
	ds_load_b64 v[47:48], v47 offset:72
	s_waitcnt lgkmcnt(0)
	v_mul_f64 v[1:2], v[1:2], v[47:48]
	scratch_store_b64 off, v[1:2], off offset:72
.LBB19_47:
	s_or_b32 exec_lo, exec_lo, s0
	s_waitcnt_vscnt null, 0x0
	s_barrier
	buffer_gl0_inv
	scratch_load_b64 v[1:2], off, off offset:80
	s_mov_b32 s0, exec_lo
	s_waitcnt vmcnt(0)
	ds_store_b64 v45, v[1:2]
	s_waitcnt lgkmcnt(0)
	s_barrier
	buffer_gl0_inv
	v_cmpx_gt_u32_e32 10, v0
	s_cbranch_execz .LBB19_51
; %bb.48:
	v_dual_mov_b32 v1, 0 :: v_dual_add_nc_u32 v48, 0xa0, v3
	v_dual_mov_b32 v2, 0 :: v_dual_add_nc_u32 v47, -1, v0
	v_add_nc_u32_e32 v49, 0, v3
	s_mov_b32 s1, 0
.LBB19_49:                              ; =>This Inner Loop Header: Depth=1
	scratch_load_b64 v[50:51], v49, off
	ds_load_b64 v[52:53], v48
	v_add_nc_u32_e32 v47, 1, v47
	v_add_nc_u32_e32 v48, 8, v48
	v_add_nc_u32_e32 v49, 8, v49
	s_delay_alu instid0(VALU_DEP_3)
	v_cmp_lt_u32_e32 vcc_lo, 8, v47
	s_or_b32 s1, vcc_lo, s1
	s_waitcnt vmcnt(0) lgkmcnt(0)
	v_fma_f64 v[1:2], v[50:51], v[52:53], v[1:2]
	s_and_not1_b32 exec_lo, exec_lo, s1
	s_cbranch_execnz .LBB19_49
; %bb.50:
	s_or_b32 exec_lo, exec_lo, s1
	v_mov_b32_e32 v47, 0
	ds_load_b64 v[47:48], v47 offset:80
	s_waitcnt lgkmcnt(0)
	v_mul_f64 v[1:2], v[1:2], v[47:48]
	scratch_store_b64 off, v[1:2], off offset:80
.LBB19_51:
	s_or_b32 exec_lo, exec_lo, s0
	s_waitcnt_vscnt null, 0x0
	s_barrier
	buffer_gl0_inv
	scratch_load_b64 v[1:2], off, off offset:88
	s_mov_b32 s0, exec_lo
	s_waitcnt vmcnt(0)
	ds_store_b64 v45, v[1:2]
	s_waitcnt lgkmcnt(0)
	s_barrier
	buffer_gl0_inv
	v_cmpx_gt_u32_e32 11, v0
	s_cbranch_execz .LBB19_55
; %bb.52:
	v_dual_mov_b32 v1, 0 :: v_dual_add_nc_u32 v48, 0xa0, v3
	v_dual_mov_b32 v2, 0 :: v_dual_add_nc_u32 v47, -1, v0
	v_add_nc_u32_e32 v49, 0, v3
	s_mov_b32 s1, 0
.LBB19_53:                              ; =>This Inner Loop Header: Depth=1
	scratch_load_b64 v[50:51], v49, off
	ds_load_b64 v[52:53], v48
	v_add_nc_u32_e32 v47, 1, v47
	v_add_nc_u32_e32 v48, 8, v48
	v_add_nc_u32_e32 v49, 8, v49
	s_delay_alu instid0(VALU_DEP_3)
	v_cmp_lt_u32_e32 vcc_lo, 9, v47
	s_or_b32 s1, vcc_lo, s1
	s_waitcnt vmcnt(0) lgkmcnt(0)
	v_fma_f64 v[1:2], v[50:51], v[52:53], v[1:2]
	s_and_not1_b32 exec_lo, exec_lo, s1
	s_cbranch_execnz .LBB19_53
; %bb.54:
	s_or_b32 exec_lo, exec_lo, s1
	v_mov_b32_e32 v47, 0
	ds_load_b64 v[47:48], v47 offset:88
	s_waitcnt lgkmcnt(0)
	v_mul_f64 v[1:2], v[1:2], v[47:48]
	scratch_store_b64 off, v[1:2], off offset:88
.LBB19_55:
	s_or_b32 exec_lo, exec_lo, s0
	s_waitcnt_vscnt null, 0x0
	s_barrier
	buffer_gl0_inv
	scratch_load_b64 v[1:2], off, off offset:96
	s_mov_b32 s0, exec_lo
	s_waitcnt vmcnt(0)
	ds_store_b64 v45, v[1:2]
	s_waitcnt lgkmcnt(0)
	s_barrier
	buffer_gl0_inv
	v_cmpx_gt_u32_e32 12, v0
	s_cbranch_execz .LBB19_59
; %bb.56:
	v_dual_mov_b32 v1, 0 :: v_dual_add_nc_u32 v48, 0xa0, v3
	v_dual_mov_b32 v2, 0 :: v_dual_add_nc_u32 v47, -1, v0
	v_add_nc_u32_e32 v49, 0, v3
	s_mov_b32 s1, 0
.LBB19_57:                              ; =>This Inner Loop Header: Depth=1
	scratch_load_b64 v[50:51], v49, off
	ds_load_b64 v[52:53], v48
	v_add_nc_u32_e32 v47, 1, v47
	v_add_nc_u32_e32 v48, 8, v48
	v_add_nc_u32_e32 v49, 8, v49
	s_delay_alu instid0(VALU_DEP_3)
	v_cmp_lt_u32_e32 vcc_lo, 10, v47
	s_or_b32 s1, vcc_lo, s1
	s_waitcnt vmcnt(0) lgkmcnt(0)
	v_fma_f64 v[1:2], v[50:51], v[52:53], v[1:2]
	s_and_not1_b32 exec_lo, exec_lo, s1
	s_cbranch_execnz .LBB19_57
; %bb.58:
	s_or_b32 exec_lo, exec_lo, s1
	v_mov_b32_e32 v47, 0
	ds_load_b64 v[47:48], v47 offset:96
	s_waitcnt lgkmcnt(0)
	v_mul_f64 v[1:2], v[1:2], v[47:48]
	scratch_store_b64 off, v[1:2], off offset:96
.LBB19_59:
	s_or_b32 exec_lo, exec_lo, s0
	s_waitcnt_vscnt null, 0x0
	s_barrier
	buffer_gl0_inv
	scratch_load_b64 v[1:2], off, off offset:104
	s_mov_b32 s0, exec_lo
	s_waitcnt vmcnt(0)
	ds_store_b64 v45, v[1:2]
	s_waitcnt lgkmcnt(0)
	s_barrier
	buffer_gl0_inv
	v_cmpx_gt_u32_e32 13, v0
	s_cbranch_execz .LBB19_63
; %bb.60:
	v_dual_mov_b32 v1, 0 :: v_dual_add_nc_u32 v48, 0xa0, v3
	v_dual_mov_b32 v2, 0 :: v_dual_add_nc_u32 v47, -1, v0
	v_add_nc_u32_e32 v49, 0, v3
	s_mov_b32 s1, 0
.LBB19_61:                              ; =>This Inner Loop Header: Depth=1
	scratch_load_b64 v[50:51], v49, off
	ds_load_b64 v[52:53], v48
	v_add_nc_u32_e32 v47, 1, v47
	v_add_nc_u32_e32 v48, 8, v48
	v_add_nc_u32_e32 v49, 8, v49
	s_delay_alu instid0(VALU_DEP_3)
	v_cmp_lt_u32_e32 vcc_lo, 11, v47
	s_or_b32 s1, vcc_lo, s1
	s_waitcnt vmcnt(0) lgkmcnt(0)
	v_fma_f64 v[1:2], v[50:51], v[52:53], v[1:2]
	s_and_not1_b32 exec_lo, exec_lo, s1
	s_cbranch_execnz .LBB19_61
; %bb.62:
	s_or_b32 exec_lo, exec_lo, s1
	v_mov_b32_e32 v47, 0
	ds_load_b64 v[47:48], v47 offset:104
	s_waitcnt lgkmcnt(0)
	v_mul_f64 v[1:2], v[1:2], v[47:48]
	scratch_store_b64 off, v[1:2], off offset:104
.LBB19_63:
	s_or_b32 exec_lo, exec_lo, s0
	s_waitcnt_vscnt null, 0x0
	s_barrier
	buffer_gl0_inv
	scratch_load_b64 v[1:2], off, off offset:112
	s_mov_b32 s0, exec_lo
	s_waitcnt vmcnt(0)
	ds_store_b64 v45, v[1:2]
	s_waitcnt lgkmcnt(0)
	s_barrier
	buffer_gl0_inv
	v_cmpx_gt_u32_e32 14, v0
	s_cbranch_execz .LBB19_67
; %bb.64:
	v_dual_mov_b32 v1, 0 :: v_dual_add_nc_u32 v48, 0xa0, v3
	v_dual_mov_b32 v2, 0 :: v_dual_add_nc_u32 v47, -1, v0
	v_add_nc_u32_e32 v49, 0, v3
	s_mov_b32 s1, 0
.LBB19_65:                              ; =>This Inner Loop Header: Depth=1
	scratch_load_b64 v[50:51], v49, off
	ds_load_b64 v[52:53], v48
	v_add_nc_u32_e32 v47, 1, v47
	v_add_nc_u32_e32 v48, 8, v48
	v_add_nc_u32_e32 v49, 8, v49
	s_delay_alu instid0(VALU_DEP_3)
	v_cmp_lt_u32_e32 vcc_lo, 12, v47
	s_or_b32 s1, vcc_lo, s1
	s_waitcnt vmcnt(0) lgkmcnt(0)
	v_fma_f64 v[1:2], v[50:51], v[52:53], v[1:2]
	s_and_not1_b32 exec_lo, exec_lo, s1
	s_cbranch_execnz .LBB19_65
; %bb.66:
	s_or_b32 exec_lo, exec_lo, s1
	v_mov_b32_e32 v47, 0
	ds_load_b64 v[47:48], v47 offset:112
	s_waitcnt lgkmcnt(0)
	v_mul_f64 v[1:2], v[1:2], v[47:48]
	scratch_store_b64 off, v[1:2], off offset:112
.LBB19_67:
	s_or_b32 exec_lo, exec_lo, s0
	s_waitcnt_vscnt null, 0x0
	s_barrier
	buffer_gl0_inv
	scratch_load_b64 v[1:2], off, off offset:120
	s_mov_b32 s0, exec_lo
	s_waitcnt vmcnt(0)
	ds_store_b64 v45, v[1:2]
	s_waitcnt lgkmcnt(0)
	s_barrier
	buffer_gl0_inv
	v_cmpx_gt_u32_e32 15, v0
	s_cbranch_execz .LBB19_71
; %bb.68:
	v_dual_mov_b32 v1, 0 :: v_dual_add_nc_u32 v48, 0xa0, v3
	v_dual_mov_b32 v2, 0 :: v_dual_add_nc_u32 v47, -1, v0
	v_add_nc_u32_e32 v49, 0, v3
	s_mov_b32 s1, 0
.LBB19_69:                              ; =>This Inner Loop Header: Depth=1
	scratch_load_b64 v[50:51], v49, off
	ds_load_b64 v[52:53], v48
	v_add_nc_u32_e32 v47, 1, v47
	v_add_nc_u32_e32 v48, 8, v48
	v_add_nc_u32_e32 v49, 8, v49
	s_delay_alu instid0(VALU_DEP_3)
	v_cmp_lt_u32_e32 vcc_lo, 13, v47
	s_or_b32 s1, vcc_lo, s1
	s_waitcnt vmcnt(0) lgkmcnt(0)
	v_fma_f64 v[1:2], v[50:51], v[52:53], v[1:2]
	s_and_not1_b32 exec_lo, exec_lo, s1
	s_cbranch_execnz .LBB19_69
; %bb.70:
	s_or_b32 exec_lo, exec_lo, s1
	v_mov_b32_e32 v47, 0
	ds_load_b64 v[47:48], v47 offset:120
	s_waitcnt lgkmcnt(0)
	v_mul_f64 v[1:2], v[1:2], v[47:48]
	scratch_store_b64 off, v[1:2], off offset:120
.LBB19_71:
	s_or_b32 exec_lo, exec_lo, s0
	s_waitcnt_vscnt null, 0x0
	s_barrier
	buffer_gl0_inv
	scratch_load_b64 v[1:2], off, off offset:128
	s_mov_b32 s0, exec_lo
	s_waitcnt vmcnt(0)
	ds_store_b64 v45, v[1:2]
	s_waitcnt lgkmcnt(0)
	s_barrier
	buffer_gl0_inv
	v_cmpx_gt_u32_e32 16, v0
	s_cbranch_execz .LBB19_75
; %bb.72:
	v_dual_mov_b32 v1, 0 :: v_dual_add_nc_u32 v48, 0xa0, v3
	v_dual_mov_b32 v2, 0 :: v_dual_add_nc_u32 v47, -1, v0
	v_add_nc_u32_e32 v49, 0, v3
	s_mov_b32 s1, 0
.LBB19_73:                              ; =>This Inner Loop Header: Depth=1
	scratch_load_b64 v[50:51], v49, off
	ds_load_b64 v[52:53], v48
	v_add_nc_u32_e32 v47, 1, v47
	v_add_nc_u32_e32 v48, 8, v48
	v_add_nc_u32_e32 v49, 8, v49
	s_delay_alu instid0(VALU_DEP_3)
	v_cmp_lt_u32_e32 vcc_lo, 14, v47
	s_or_b32 s1, vcc_lo, s1
	s_waitcnt vmcnt(0) lgkmcnt(0)
	v_fma_f64 v[1:2], v[50:51], v[52:53], v[1:2]
	s_and_not1_b32 exec_lo, exec_lo, s1
	s_cbranch_execnz .LBB19_73
; %bb.74:
	s_or_b32 exec_lo, exec_lo, s1
	v_mov_b32_e32 v47, 0
	ds_load_b64 v[47:48], v47 offset:128
	s_waitcnt lgkmcnt(0)
	v_mul_f64 v[1:2], v[1:2], v[47:48]
	scratch_store_b64 off, v[1:2], off offset:128
.LBB19_75:
	s_or_b32 exec_lo, exec_lo, s0
	s_waitcnt_vscnt null, 0x0
	s_barrier
	buffer_gl0_inv
	scratch_load_b64 v[1:2], off, off offset:136
	s_mov_b32 s0, exec_lo
	s_waitcnt vmcnt(0)
	ds_store_b64 v45, v[1:2]
	s_waitcnt lgkmcnt(0)
	s_barrier
	buffer_gl0_inv
	v_cmpx_gt_u32_e32 17, v0
	s_cbranch_execz .LBB19_79
; %bb.76:
	v_dual_mov_b32 v1, 0 :: v_dual_add_nc_u32 v48, 0xa0, v3
	v_dual_mov_b32 v2, 0 :: v_dual_add_nc_u32 v47, -1, v0
	v_add_nc_u32_e32 v49, 0, v3
	s_mov_b32 s1, 0
.LBB19_77:                              ; =>This Inner Loop Header: Depth=1
	scratch_load_b64 v[50:51], v49, off
	ds_load_b64 v[52:53], v48
	v_add_nc_u32_e32 v47, 1, v47
	v_add_nc_u32_e32 v48, 8, v48
	v_add_nc_u32_e32 v49, 8, v49
	s_delay_alu instid0(VALU_DEP_3)
	v_cmp_lt_u32_e32 vcc_lo, 15, v47
	s_or_b32 s1, vcc_lo, s1
	s_waitcnt vmcnt(0) lgkmcnt(0)
	v_fma_f64 v[1:2], v[50:51], v[52:53], v[1:2]
	s_and_not1_b32 exec_lo, exec_lo, s1
	s_cbranch_execnz .LBB19_77
; %bb.78:
	s_or_b32 exec_lo, exec_lo, s1
	v_mov_b32_e32 v47, 0
	ds_load_b64 v[47:48], v47 offset:136
	s_waitcnt lgkmcnt(0)
	v_mul_f64 v[1:2], v[1:2], v[47:48]
	scratch_store_b64 off, v[1:2], off offset:136
.LBB19_79:
	s_or_b32 exec_lo, exec_lo, s0
	s_waitcnt_vscnt null, 0x0
	s_barrier
	buffer_gl0_inv
	scratch_load_b64 v[1:2], off, off offset:144
	s_mov_b32 s0, exec_lo
	s_waitcnt vmcnt(0)
	ds_store_b64 v45, v[1:2]
	s_waitcnt lgkmcnt(0)
	s_barrier
	buffer_gl0_inv
	v_cmpx_gt_u32_e32 18, v0
	s_cbranch_execz .LBB19_83
; %bb.80:
	v_dual_mov_b32 v1, 0 :: v_dual_add_nc_u32 v48, 0xa0, v3
	v_dual_mov_b32 v2, 0 :: v_dual_add_nc_u32 v47, -1, v0
	v_add_nc_u32_e32 v3, 0, v3
	s_mov_b32 s1, 0
.LBB19_81:                              ; =>This Inner Loop Header: Depth=1
	scratch_load_b64 v[49:50], v3, off
	ds_load_b64 v[51:52], v48
	v_add_nc_u32_e32 v47, 1, v47
	v_add_nc_u32_e32 v48, 8, v48
	v_add_nc_u32_e32 v3, 8, v3
	s_delay_alu instid0(VALU_DEP_3)
	v_cmp_lt_u32_e32 vcc_lo, 16, v47
	s_or_b32 s1, vcc_lo, s1
	s_waitcnt vmcnt(0) lgkmcnt(0)
	v_fma_f64 v[1:2], v[49:50], v[51:52], v[1:2]
	s_and_not1_b32 exec_lo, exec_lo, s1
	s_cbranch_execnz .LBB19_81
; %bb.82:
	s_or_b32 exec_lo, exec_lo, s1
	v_mov_b32_e32 v3, 0
	ds_load_b64 v[47:48], v3 offset:144
	s_waitcnt lgkmcnt(0)
	v_mul_f64 v[1:2], v[1:2], v[47:48]
	scratch_store_b64 off, v[1:2], off offset:144
.LBB19_83:
	s_or_b32 exec_lo, exec_lo, s0
	s_waitcnt_vscnt null, 0x0
	s_barrier
	buffer_gl0_inv
	scratch_load_b64 v[1:2], off, off offset:152
	s_mov_b32 s0, exec_lo
	s_waitcnt vmcnt(0)
	ds_store_b64 v45, v[1:2]
	s_waitcnt lgkmcnt(0)
	s_barrier
	buffer_gl0_inv
	v_cmpx_ne_u32_e32 19, v0
	s_cbranch_execz .LBB19_87
; %bb.84:
	v_mov_b32_e32 v1, 0
	v_mov_b32_e32 v2, 0
	s_mov_b32 s1, 0
.LBB19_85:                              ; =>This Inner Loop Header: Depth=1
	scratch_load_b64 v[47:48], v44, off
	ds_load_b64 v[49:50], v45
	v_add_nc_u32_e32 v46, 1, v46
	v_add_nc_u32_e32 v45, 8, v45
	;; [unrolled: 1-line block ×3, first 2 shown]
	s_delay_alu instid0(VALU_DEP_3)
	v_cmp_lt_u32_e32 vcc_lo, 17, v46
	s_or_b32 s1, vcc_lo, s1
	s_waitcnt vmcnt(0) lgkmcnt(0)
	v_fma_f64 v[1:2], v[47:48], v[49:50], v[1:2]
	s_and_not1_b32 exec_lo, exec_lo, s1
	s_cbranch_execnz .LBB19_85
; %bb.86:
	s_or_b32 exec_lo, exec_lo, s1
	v_mov_b32_e32 v3, 0
	ds_load_b64 v[44:45], v3 offset:152
	s_waitcnt lgkmcnt(0)
	v_mul_f64 v[1:2], v[1:2], v[44:45]
	scratch_store_b64 off, v[1:2], off offset:152
.LBB19_87:
	s_or_b32 exec_lo, exec_lo, s0
	s_mov_b32 s1, -1
	s_waitcnt_vscnt null, 0x0
	s_barrier
	buffer_gl0_inv
.LBB19_88:
	s_and_b32 vcc_lo, exec_lo, s1
	s_cbranch_vccz .LBB19_90
; %bb.89:
	s_lshl_b64 s[0:1], s[14:15], 2
	v_mov_b32_e32 v1, 0
	s_add_u32 s0, s6, s0
	s_addc_u32 s1, s7, s1
	global_load_b32 v1, v1, s[0:1]
	s_waitcnt vmcnt(0)
	v_cmp_ne_u32_e32 vcc_lo, 0, v1
	s_cbranch_vccz .LBB19_91
.LBB19_90:
	s_endpgm
.LBB19_91:
	v_lshl_add_u32 v3, v0, 3, 0xa0
	s_mov_b32 s0, exec_lo
	v_cmpx_eq_u32_e32 19, v0
	s_cbranch_execz .LBB19_93
; %bb.92:
	scratch_load_b64 v[1:2], off, off offset:144
	v_mov_b32_e32 v44, 0
	s_delay_alu instid0(VALU_DEP_1)
	v_mov_b32_e32 v45, v44
	scratch_store_b64 off, v[44:45], off offset:144
	s_waitcnt vmcnt(0)
	ds_store_b64 v3, v[1:2]
.LBB19_93:
	s_or_b32 exec_lo, exec_lo, s0
	s_waitcnt lgkmcnt(0)
	s_waitcnt_vscnt null, 0x0
	s_barrier
	buffer_gl0_inv
	scratch_load_b128 v[44:47], off, off offset:144
	v_mov_b32_e32 v1, 0
	s_mov_b32 s0, exec_lo
	ds_load_b64 v[48:49], v1 offset:312
	s_waitcnt vmcnt(0) lgkmcnt(0)
	v_fma_f64 v[46:47], v[46:47], v[48:49], 0
	s_delay_alu instid0(VALU_DEP_1)
	v_add_f64 v[44:45], v[44:45], -v[46:47]
	scratch_store_b64 off, v[44:45], off offset:144
	v_cmpx_lt_u32_e32 17, v0
	s_cbranch_execz .LBB19_95
; %bb.94:
	scratch_load_b64 v[44:45], off, off offset:136
	v_mov_b32_e32 v2, v1
	scratch_store_b64 off, v[1:2], off offset:136
	s_waitcnt vmcnt(0)
	ds_store_b64 v3, v[44:45]
.LBB19_95:
	s_or_b32 exec_lo, exec_lo, s0
	s_waitcnt lgkmcnt(0)
	s_waitcnt_vscnt null, 0x0
	s_barrier
	buffer_gl0_inv
	s_clause 0x1
	scratch_load_b128 v[44:47], off, off offset:136
	scratch_load_b64 v[52:53], off, off offset:152
	ds_load_b128 v[48:51], v1 offset:304
	s_mov_b32 s0, exec_lo
	s_waitcnt vmcnt(1) lgkmcnt(0)
	v_fma_f64 v[1:2], v[46:47], v[48:49], 0
	s_waitcnt vmcnt(0)
	s_delay_alu instid0(VALU_DEP_1) | instskip(NEXT) | instid1(VALU_DEP_1)
	v_fma_f64 v[1:2], v[52:53], v[50:51], v[1:2]
	v_add_f64 v[1:2], v[44:45], -v[1:2]
	scratch_store_b64 off, v[1:2], off offset:136
	v_cmpx_lt_u32_e32 16, v0
	s_cbranch_execz .LBB19_97
; %bb.96:
	scratch_load_b64 v[1:2], off, off offset:128
	v_mov_b32_e32 v44, 0
	s_delay_alu instid0(VALU_DEP_1)
	v_mov_b32_e32 v45, v44
	scratch_store_b64 off, v[44:45], off offset:128
	s_waitcnt vmcnt(0)
	ds_store_b64 v3, v[1:2]
.LBB19_97:
	s_or_b32 exec_lo, exec_lo, s0
	s_waitcnt lgkmcnt(0)
	s_waitcnt_vscnt null, 0x0
	s_barrier
	buffer_gl0_inv
	s_clause 0x1
	scratch_load_b128 v[44:47], off, off offset:128
	scratch_load_b128 v[48:51], off, off offset:144
	v_mov_b32_e32 v1, 0
	ds_load_2addr_b64 v[52:55], v1 offset0:37 offset1:38
	ds_load_b64 v[56:57], v1 offset:312
	s_mov_b32 s0, exec_lo
	s_waitcnt vmcnt(1) lgkmcnt(1)
	v_fma_f64 v[46:47], v[46:47], v[52:53], 0
	s_waitcnt vmcnt(0)
	s_delay_alu instid0(VALU_DEP_1) | instskip(SKIP_1) | instid1(VALU_DEP_1)
	v_fma_f64 v[46:47], v[48:49], v[54:55], v[46:47]
	s_waitcnt lgkmcnt(0)
	v_fma_f64 v[46:47], v[50:51], v[56:57], v[46:47]
	s_delay_alu instid0(VALU_DEP_1)
	v_add_f64 v[44:45], v[44:45], -v[46:47]
	scratch_store_b64 off, v[44:45], off offset:128
	v_cmpx_lt_u32_e32 15, v0
	s_cbranch_execz .LBB19_99
; %bb.98:
	scratch_load_b64 v[44:45], off, off offset:120
	v_mov_b32_e32 v2, v1
	scratch_store_b64 off, v[1:2], off offset:120
	s_waitcnt vmcnt(0)
	ds_store_b64 v3, v[44:45]
.LBB19_99:
	s_or_b32 exec_lo, exec_lo, s0
	s_waitcnt lgkmcnt(0)
	s_waitcnt_vscnt null, 0x0
	s_barrier
	buffer_gl0_inv
	s_clause 0x2
	scratch_load_b128 v[44:47], off, off offset:120
	scratch_load_b128 v[48:51], off, off offset:136
	scratch_load_b64 v[60:61], off, off offset:152
	ds_load_b128 v[52:55], v1 offset:288
	ds_load_b128 v[56:59], v1 offset:304
	s_mov_b32 s0, exec_lo
	s_waitcnt vmcnt(2) lgkmcnt(1)
	v_fma_f64 v[1:2], v[46:47], v[52:53], 0
	s_waitcnt vmcnt(1)
	s_delay_alu instid0(VALU_DEP_1) | instskip(SKIP_1) | instid1(VALU_DEP_1)
	v_fma_f64 v[1:2], v[48:49], v[54:55], v[1:2]
	s_waitcnt lgkmcnt(0)
	v_fma_f64 v[1:2], v[50:51], v[56:57], v[1:2]
	s_waitcnt vmcnt(0)
	s_delay_alu instid0(VALU_DEP_1) | instskip(NEXT) | instid1(VALU_DEP_1)
	v_fma_f64 v[1:2], v[60:61], v[58:59], v[1:2]
	v_add_f64 v[1:2], v[44:45], -v[1:2]
	scratch_store_b64 off, v[1:2], off offset:120
	v_cmpx_lt_u32_e32 14, v0
	s_cbranch_execz .LBB19_101
; %bb.100:
	scratch_load_b64 v[1:2], off, off offset:112
	v_mov_b32_e32 v44, 0
	s_delay_alu instid0(VALU_DEP_1)
	v_mov_b32_e32 v45, v44
	scratch_store_b64 off, v[44:45], off offset:112
	s_waitcnt vmcnt(0)
	ds_store_b64 v3, v[1:2]
.LBB19_101:
	s_or_b32 exec_lo, exec_lo, s0
	s_waitcnt lgkmcnt(0)
	s_waitcnt_vscnt null, 0x0
	s_barrier
	buffer_gl0_inv
	s_clause 0x2
	scratch_load_b128 v[44:47], off, off offset:112
	scratch_load_b128 v[48:51], off, off offset:128
	scratch_load_b128 v[52:55], off, off offset:144
	v_mov_b32_e32 v1, 0
	ds_load_2addr_b64 v[56:59], v1 offset0:35 offset1:36
	ds_load_2addr_b64 v[60:63], v1 offset0:37 offset1:38
	s_mov_b32 s0, exec_lo
	s_waitcnt vmcnt(2) lgkmcnt(1)
	v_fma_f64 v[46:47], v[46:47], v[56:57], 0
	s_waitcnt vmcnt(1)
	s_delay_alu instid0(VALU_DEP_1) | instskip(SKIP_4) | instid1(VALU_DEP_1)
	v_fma_f64 v[46:47], v[48:49], v[58:59], v[46:47]
	ds_load_b64 v[48:49], v1 offset:312
	s_waitcnt lgkmcnt(1)
	v_fma_f64 v[46:47], v[50:51], v[60:61], v[46:47]
	s_waitcnt vmcnt(0)
	v_fma_f64 v[46:47], v[52:53], v[62:63], v[46:47]
	s_waitcnt lgkmcnt(0)
	s_delay_alu instid0(VALU_DEP_1) | instskip(NEXT) | instid1(VALU_DEP_1)
	v_fma_f64 v[46:47], v[54:55], v[48:49], v[46:47]
	v_add_f64 v[44:45], v[44:45], -v[46:47]
	scratch_store_b64 off, v[44:45], off offset:112
	v_cmpx_lt_u32_e32 13, v0
	s_cbranch_execz .LBB19_103
; %bb.102:
	scratch_load_b64 v[44:45], off, off offset:104
	v_mov_b32_e32 v2, v1
	scratch_store_b64 off, v[1:2], off offset:104
	s_waitcnt vmcnt(0)
	ds_store_b64 v3, v[44:45]
.LBB19_103:
	s_or_b32 exec_lo, exec_lo, s0
	s_waitcnt lgkmcnt(0)
	s_waitcnt_vscnt null, 0x0
	s_barrier
	buffer_gl0_inv
	s_clause 0x3
	scratch_load_b128 v[44:47], off, off offset:104
	scratch_load_b128 v[48:51], off, off offset:120
	;; [unrolled: 1-line block ×3, first 2 shown]
	scratch_load_b64 v[64:65], off, off offset:152
	ds_load_b128 v[56:59], v1 offset:272
	ds_load_b128 v[60:63], v1 offset:288
	s_mov_b32 s0, exec_lo
	s_waitcnt vmcnt(3) lgkmcnt(1)
	v_fma_f64 v[46:47], v[46:47], v[56:57], 0
	s_waitcnt vmcnt(2)
	s_delay_alu instid0(VALU_DEP_1) | instskip(SKIP_1) | instid1(VALU_DEP_1)
	v_fma_f64 v[46:47], v[48:49], v[58:59], v[46:47]
	s_waitcnt lgkmcnt(0)
	v_fma_f64 v[46:47], v[50:51], v[60:61], v[46:47]
	s_waitcnt vmcnt(1)
	s_delay_alu instid0(VALU_DEP_1) | instskip(SKIP_4) | instid1(VALU_DEP_1)
	v_fma_f64 v[50:51], v[52:53], v[62:63], v[46:47]
	ds_load_b128 v[46:49], v1 offset:304
	s_waitcnt lgkmcnt(0)
	v_fma_f64 v[1:2], v[54:55], v[46:47], v[50:51]
	s_waitcnt vmcnt(0)
	v_fma_f64 v[1:2], v[64:65], v[48:49], v[1:2]
	s_delay_alu instid0(VALU_DEP_1)
	v_add_f64 v[1:2], v[44:45], -v[1:2]
	scratch_store_b64 off, v[1:2], off offset:104
	v_cmpx_lt_u32_e32 12, v0
	s_cbranch_execz .LBB19_105
; %bb.104:
	scratch_load_b64 v[1:2], off, off offset:96
	v_mov_b32_e32 v44, 0
	s_delay_alu instid0(VALU_DEP_1)
	v_mov_b32_e32 v45, v44
	scratch_store_b64 off, v[44:45], off offset:96
	s_waitcnt vmcnt(0)
	ds_store_b64 v3, v[1:2]
.LBB19_105:
	s_or_b32 exec_lo, exec_lo, s0
	s_waitcnt lgkmcnt(0)
	s_waitcnt_vscnt null, 0x0
	s_barrier
	buffer_gl0_inv
	s_clause 0x3
	scratch_load_b128 v[44:47], off, off offset:96
	scratch_load_b128 v[48:51], off, off offset:112
	;; [unrolled: 1-line block ×4, first 2 shown]
	v_mov_b32_e32 v1, 0
	ds_load_2addr_b64 v[60:63], v1 offset0:33 offset1:34
	ds_load_2addr_b64 v[64:67], v1 offset0:35 offset1:36
	s_mov_b32 s0, exec_lo
	s_waitcnt vmcnt(3) lgkmcnt(1)
	v_fma_f64 v[46:47], v[46:47], v[60:61], 0
	s_waitcnt vmcnt(2)
	s_delay_alu instid0(VALU_DEP_1) | instskip(SKIP_1) | instid1(VALU_DEP_1)
	v_fma_f64 v[46:47], v[48:49], v[62:63], v[46:47]
	s_waitcnt lgkmcnt(0)
	v_fma_f64 v[46:47], v[50:51], v[64:65], v[46:47]
	s_waitcnt vmcnt(1)
	s_delay_alu instid0(VALU_DEP_1)
	v_fma_f64 v[50:51], v[52:53], v[66:67], v[46:47]
	ds_load_2addr_b64 v[46:49], v1 offset0:37 offset1:38
	ds_load_b64 v[52:53], v1 offset:312
	s_waitcnt lgkmcnt(1)
	v_fma_f64 v[46:47], v[54:55], v[46:47], v[50:51]
	s_waitcnt vmcnt(0)
	s_delay_alu instid0(VALU_DEP_1) | instskip(SKIP_1) | instid1(VALU_DEP_1)
	v_fma_f64 v[46:47], v[56:57], v[48:49], v[46:47]
	s_waitcnt lgkmcnt(0)
	v_fma_f64 v[46:47], v[58:59], v[52:53], v[46:47]
	s_delay_alu instid0(VALU_DEP_1)
	v_add_f64 v[44:45], v[44:45], -v[46:47]
	scratch_store_b64 off, v[44:45], off offset:96
	v_cmpx_lt_u32_e32 11, v0
	s_cbranch_execz .LBB19_107
; %bb.106:
	scratch_load_b64 v[44:45], off, off offset:88
	v_mov_b32_e32 v2, v1
	scratch_store_b64 off, v[1:2], off offset:88
	s_waitcnt vmcnt(0)
	ds_store_b64 v3, v[44:45]
.LBB19_107:
	s_or_b32 exec_lo, exec_lo, s0
	s_waitcnt lgkmcnt(0)
	s_waitcnt_vscnt null, 0x0
	s_barrier
	buffer_gl0_inv
	s_clause 0x4
	scratch_load_b128 v[44:47], off, off offset:88
	scratch_load_b128 v[48:51], off, off offset:104
	;; [unrolled: 1-line block ×4, first 2 shown]
	scratch_load_b64 v[68:69], off, off offset:152
	ds_load_b128 v[60:63], v1 offset:256
	ds_load_b128 v[64:67], v1 offset:272
	s_mov_b32 s0, exec_lo
	s_waitcnt vmcnt(4) lgkmcnt(1)
	v_fma_f64 v[46:47], v[46:47], v[60:61], 0
	s_waitcnt vmcnt(3)
	s_delay_alu instid0(VALU_DEP_1) | instskip(SKIP_1) | instid1(VALU_DEP_1)
	v_fma_f64 v[46:47], v[48:49], v[62:63], v[46:47]
	s_waitcnt lgkmcnt(0)
	v_fma_f64 v[46:47], v[50:51], v[64:65], v[46:47]
	s_waitcnt vmcnt(2)
	s_delay_alu instid0(VALU_DEP_1)
	v_fma_f64 v[60:61], v[52:53], v[66:67], v[46:47]
	ds_load_b128 v[46:49], v1 offset:288
	ds_load_b128 v[50:53], v1 offset:304
	s_waitcnt lgkmcnt(1)
	v_fma_f64 v[1:2], v[54:55], v[46:47], v[60:61]
	s_waitcnt vmcnt(1)
	s_delay_alu instid0(VALU_DEP_1) | instskip(SKIP_1) | instid1(VALU_DEP_1)
	v_fma_f64 v[1:2], v[56:57], v[48:49], v[1:2]
	s_waitcnt lgkmcnt(0)
	v_fma_f64 v[1:2], v[58:59], v[50:51], v[1:2]
	s_waitcnt vmcnt(0)
	s_delay_alu instid0(VALU_DEP_1) | instskip(NEXT) | instid1(VALU_DEP_1)
	v_fma_f64 v[1:2], v[68:69], v[52:53], v[1:2]
	v_add_f64 v[1:2], v[44:45], -v[1:2]
	scratch_store_b64 off, v[1:2], off offset:88
	v_cmpx_lt_u32_e32 10, v0
	s_cbranch_execz .LBB19_109
; %bb.108:
	scratch_load_b64 v[1:2], off, off offset:80
	v_mov_b32_e32 v44, 0
	s_delay_alu instid0(VALU_DEP_1)
	v_mov_b32_e32 v45, v44
	scratch_store_b64 off, v[44:45], off offset:80
	s_waitcnt vmcnt(0)
	ds_store_b64 v3, v[1:2]
.LBB19_109:
	s_or_b32 exec_lo, exec_lo, s0
	s_waitcnt lgkmcnt(0)
	s_waitcnt_vscnt null, 0x0
	s_barrier
	buffer_gl0_inv
	s_clause 0x4
	scratch_load_b128 v[44:47], off, off offset:80
	scratch_load_b128 v[48:51], off, off offset:96
	;; [unrolled: 1-line block ×5, first 2 shown]
	v_mov_b32_e32 v1, 0
	ds_load_2addr_b64 v[64:67], v1 offset0:31 offset1:32
	ds_load_2addr_b64 v[68:71], v1 offset0:33 offset1:34
	s_mov_b32 s0, exec_lo
	s_waitcnt vmcnt(4) lgkmcnt(1)
	v_fma_f64 v[46:47], v[46:47], v[64:65], 0
	s_waitcnt vmcnt(3)
	s_delay_alu instid0(VALU_DEP_1) | instskip(SKIP_1) | instid1(VALU_DEP_1)
	v_fma_f64 v[46:47], v[48:49], v[66:67], v[46:47]
	s_waitcnt lgkmcnt(0)
	v_fma_f64 v[46:47], v[50:51], v[68:69], v[46:47]
	s_waitcnt vmcnt(2)
	s_delay_alu instid0(VALU_DEP_1)
	v_fma_f64 v[64:65], v[52:53], v[70:71], v[46:47]
	ds_load_2addr_b64 v[46:49], v1 offset0:35 offset1:36
	ds_load_2addr_b64 v[50:53], v1 offset0:37 offset1:38
	s_waitcnt lgkmcnt(1)
	v_fma_f64 v[46:47], v[54:55], v[46:47], v[64:65]
	s_waitcnt vmcnt(1)
	s_delay_alu instid0(VALU_DEP_1) | instskip(SKIP_4) | instid1(VALU_DEP_1)
	v_fma_f64 v[46:47], v[56:57], v[48:49], v[46:47]
	ds_load_b64 v[48:49], v1 offset:312
	s_waitcnt lgkmcnt(1)
	v_fma_f64 v[46:47], v[58:59], v[50:51], v[46:47]
	s_waitcnt vmcnt(0)
	v_fma_f64 v[46:47], v[60:61], v[52:53], v[46:47]
	s_waitcnt lgkmcnt(0)
	s_delay_alu instid0(VALU_DEP_1) | instskip(NEXT) | instid1(VALU_DEP_1)
	v_fma_f64 v[46:47], v[62:63], v[48:49], v[46:47]
	v_add_f64 v[44:45], v[44:45], -v[46:47]
	scratch_store_b64 off, v[44:45], off offset:80
	v_cmpx_lt_u32_e32 9, v0
	s_cbranch_execz .LBB19_111
; %bb.110:
	scratch_load_b64 v[44:45], off, off offset:72
	v_mov_b32_e32 v2, v1
	scratch_store_b64 off, v[1:2], off offset:72
	s_waitcnt vmcnt(0)
	ds_store_b64 v3, v[44:45]
.LBB19_111:
	s_or_b32 exec_lo, exec_lo, s0
	s_waitcnt lgkmcnt(0)
	s_waitcnt_vscnt null, 0x0
	s_barrier
	buffer_gl0_inv
	s_clause 0x4
	scratch_load_b128 v[44:47], off, off offset:72
	scratch_load_b128 v[48:51], off, off offset:88
	;; [unrolled: 1-line block ×5, first 2 shown]
	ds_load_b128 v[64:67], v1 offset:240
	ds_load_b128 v[68:71], v1 offset:256
	s_mov_b32 s0, exec_lo
	s_waitcnt vmcnt(4) lgkmcnt(1)
	v_fma_f64 v[46:47], v[46:47], v[64:65], 0
	scratch_load_b64 v[64:65], off, off offset:152
	s_waitcnt vmcnt(4)
	v_fma_f64 v[46:47], v[48:49], v[66:67], v[46:47]
	s_waitcnt lgkmcnt(0)
	s_delay_alu instid0(VALU_DEP_1) | instskip(SKIP_1) | instid1(VALU_DEP_1)
	v_fma_f64 v[46:47], v[50:51], v[68:69], v[46:47]
	s_waitcnt vmcnt(3)
	v_fma_f64 v[66:67], v[52:53], v[70:71], v[46:47]
	ds_load_b128 v[46:49], v1 offset:272
	ds_load_b128 v[50:53], v1 offset:288
	s_waitcnt lgkmcnt(1)
	v_fma_f64 v[46:47], v[54:55], v[46:47], v[66:67]
	s_waitcnt vmcnt(2)
	s_delay_alu instid0(VALU_DEP_1) | instskip(SKIP_1) | instid1(VALU_DEP_1)
	v_fma_f64 v[46:47], v[56:57], v[48:49], v[46:47]
	s_waitcnt lgkmcnt(0)
	v_fma_f64 v[46:47], v[58:59], v[50:51], v[46:47]
	s_waitcnt vmcnt(1)
	s_delay_alu instid0(VALU_DEP_1) | instskip(SKIP_4) | instid1(VALU_DEP_1)
	v_fma_f64 v[50:51], v[60:61], v[52:53], v[46:47]
	ds_load_b128 v[46:49], v1 offset:304
	s_waitcnt lgkmcnt(0)
	v_fma_f64 v[1:2], v[62:63], v[46:47], v[50:51]
	s_waitcnt vmcnt(0)
	v_fma_f64 v[1:2], v[64:65], v[48:49], v[1:2]
	s_delay_alu instid0(VALU_DEP_1)
	v_add_f64 v[1:2], v[44:45], -v[1:2]
	scratch_store_b64 off, v[1:2], off offset:72
	v_cmpx_lt_u32_e32 8, v0
	s_cbranch_execz .LBB19_113
; %bb.112:
	scratch_load_b64 v[1:2], off, off offset:64
	v_mov_b32_e32 v44, 0
	s_delay_alu instid0(VALU_DEP_1)
	v_mov_b32_e32 v45, v44
	scratch_store_b64 off, v[44:45], off offset:64
	s_waitcnt vmcnt(0)
	ds_store_b64 v3, v[1:2]
.LBB19_113:
	s_or_b32 exec_lo, exec_lo, s0
	s_waitcnt lgkmcnt(0)
	s_waitcnt_vscnt null, 0x0
	s_barrier
	buffer_gl0_inv
	s_clause 0x4
	scratch_load_b128 v[44:47], off, off offset:64
	scratch_load_b128 v[48:51], off, off offset:80
	;; [unrolled: 1-line block ×5, first 2 shown]
	v_mov_b32_e32 v1, 0
	ds_load_2addr_b64 v[64:67], v1 offset0:29 offset1:30
	ds_load_2addr_b64 v[68:71], v1 offset0:31 offset1:32
	scratch_load_b128 v[72:75], off, off offset:144
	s_mov_b32 s0, exec_lo
	s_waitcnt vmcnt(5) lgkmcnt(1)
	v_fma_f64 v[46:47], v[46:47], v[64:65], 0
	s_waitcnt vmcnt(4)
	s_delay_alu instid0(VALU_DEP_1) | instskip(SKIP_1) | instid1(VALU_DEP_1)
	v_fma_f64 v[46:47], v[48:49], v[66:67], v[46:47]
	s_waitcnt lgkmcnt(0)
	v_fma_f64 v[46:47], v[50:51], v[68:69], v[46:47]
	s_waitcnt vmcnt(3)
	s_delay_alu instid0(VALU_DEP_1)
	v_fma_f64 v[64:65], v[52:53], v[70:71], v[46:47]
	ds_load_2addr_b64 v[46:49], v1 offset0:33 offset1:34
	ds_load_2addr_b64 v[50:53], v1 offset0:35 offset1:36
	s_waitcnt lgkmcnt(1)
	v_fma_f64 v[46:47], v[54:55], v[46:47], v[64:65]
	s_waitcnt vmcnt(2)
	s_delay_alu instid0(VALU_DEP_1) | instskip(SKIP_1) | instid1(VALU_DEP_1)
	v_fma_f64 v[46:47], v[56:57], v[48:49], v[46:47]
	s_waitcnt lgkmcnt(0)
	v_fma_f64 v[46:47], v[58:59], v[50:51], v[46:47]
	s_waitcnt vmcnt(1)
	s_delay_alu instid0(VALU_DEP_1)
	v_fma_f64 v[50:51], v[60:61], v[52:53], v[46:47]
	ds_load_2addr_b64 v[46:49], v1 offset0:37 offset1:38
	ds_load_b64 v[52:53], v1 offset:312
	s_waitcnt lgkmcnt(1)
	v_fma_f64 v[46:47], v[62:63], v[46:47], v[50:51]
	s_waitcnt vmcnt(0)
	s_delay_alu instid0(VALU_DEP_1) | instskip(SKIP_1) | instid1(VALU_DEP_1)
	v_fma_f64 v[46:47], v[72:73], v[48:49], v[46:47]
	s_waitcnt lgkmcnt(0)
	v_fma_f64 v[46:47], v[74:75], v[52:53], v[46:47]
	s_delay_alu instid0(VALU_DEP_1)
	v_add_f64 v[44:45], v[44:45], -v[46:47]
	scratch_store_b64 off, v[44:45], off offset:64
	v_cmpx_lt_u32_e32 7, v0
	s_cbranch_execz .LBB19_115
; %bb.114:
	scratch_load_b64 v[44:45], off, off offset:56
	v_mov_b32_e32 v2, v1
	scratch_store_b64 off, v[1:2], off offset:56
	s_waitcnt vmcnt(0)
	ds_store_b64 v3, v[44:45]
.LBB19_115:
	s_or_b32 exec_lo, exec_lo, s0
	s_waitcnt lgkmcnt(0)
	s_waitcnt_vscnt null, 0x0
	s_barrier
	buffer_gl0_inv
	s_clause 0x4
	scratch_load_b128 v[44:47], off, off offset:56
	scratch_load_b128 v[48:51], off, off offset:72
	;; [unrolled: 1-line block ×5, first 2 shown]
	ds_load_b128 v[64:67], v1 offset:224
	ds_load_b128 v[68:71], v1 offset:240
	scratch_load_b128 v[72:75], off, off offset:136
	s_mov_b32 s0, exec_lo
	s_waitcnt vmcnt(5) lgkmcnt(1)
	v_fma_f64 v[46:47], v[46:47], v[64:65], 0
	scratch_load_b64 v[64:65], off, off offset:152
	s_waitcnt vmcnt(5)
	v_fma_f64 v[46:47], v[48:49], v[66:67], v[46:47]
	s_waitcnt lgkmcnt(0)
	s_delay_alu instid0(VALU_DEP_1) | instskip(SKIP_1) | instid1(VALU_DEP_1)
	v_fma_f64 v[46:47], v[50:51], v[68:69], v[46:47]
	s_waitcnt vmcnt(4)
	v_fma_f64 v[66:67], v[52:53], v[70:71], v[46:47]
	ds_load_b128 v[46:49], v1 offset:256
	ds_load_b128 v[50:53], v1 offset:272
	s_waitcnt lgkmcnt(1)
	v_fma_f64 v[46:47], v[54:55], v[46:47], v[66:67]
	s_waitcnt vmcnt(3)
	s_delay_alu instid0(VALU_DEP_1) | instskip(SKIP_1) | instid1(VALU_DEP_1)
	v_fma_f64 v[46:47], v[56:57], v[48:49], v[46:47]
	s_waitcnt lgkmcnt(0)
	v_fma_f64 v[46:47], v[58:59], v[50:51], v[46:47]
	s_waitcnt vmcnt(2)
	s_delay_alu instid0(VALU_DEP_1)
	v_fma_f64 v[54:55], v[60:61], v[52:53], v[46:47]
	ds_load_b128 v[46:49], v1 offset:288
	ds_load_b128 v[50:53], v1 offset:304
	s_waitcnt lgkmcnt(1)
	v_fma_f64 v[1:2], v[62:63], v[46:47], v[54:55]
	s_waitcnt vmcnt(1)
	s_delay_alu instid0(VALU_DEP_1) | instskip(SKIP_1) | instid1(VALU_DEP_1)
	v_fma_f64 v[1:2], v[72:73], v[48:49], v[1:2]
	s_waitcnt lgkmcnt(0)
	v_fma_f64 v[1:2], v[74:75], v[50:51], v[1:2]
	s_waitcnt vmcnt(0)
	s_delay_alu instid0(VALU_DEP_1) | instskip(NEXT) | instid1(VALU_DEP_1)
	v_fma_f64 v[1:2], v[64:65], v[52:53], v[1:2]
	v_add_f64 v[1:2], v[44:45], -v[1:2]
	scratch_store_b64 off, v[1:2], off offset:56
	v_cmpx_lt_u32_e32 6, v0
	s_cbranch_execz .LBB19_117
; %bb.116:
	scratch_load_b64 v[1:2], off, off offset:48
	v_mov_b32_e32 v44, 0
	s_delay_alu instid0(VALU_DEP_1)
	v_mov_b32_e32 v45, v44
	scratch_store_b64 off, v[44:45], off offset:48
	s_waitcnt vmcnt(0)
	ds_store_b64 v3, v[1:2]
.LBB19_117:
	s_or_b32 exec_lo, exec_lo, s0
	s_waitcnt lgkmcnt(0)
	s_waitcnt_vscnt null, 0x0
	s_barrier
	buffer_gl0_inv
	s_clause 0x4
	scratch_load_b128 v[44:47], off, off offset:48
	scratch_load_b128 v[48:51], off, off offset:64
	;; [unrolled: 1-line block ×5, first 2 shown]
	v_mov_b32_e32 v1, 0
	ds_load_2addr_b64 v[64:67], v1 offset0:27 offset1:28
	ds_load_2addr_b64 v[68:71], v1 offset0:29 offset1:30
	scratch_load_b128 v[72:75], off, off offset:128
	s_mov_b32 s0, exec_lo
	s_waitcnt vmcnt(5) lgkmcnt(1)
	v_fma_f64 v[46:47], v[46:47], v[64:65], 0
	s_waitcnt vmcnt(4)
	s_delay_alu instid0(VALU_DEP_1) | instskip(SKIP_1) | instid1(VALU_DEP_1)
	v_fma_f64 v[46:47], v[48:49], v[66:67], v[46:47]
	s_waitcnt lgkmcnt(0)
	v_fma_f64 v[50:51], v[50:51], v[68:69], v[46:47]
	scratch_load_b128 v[46:49], off, off offset:144
	s_waitcnt vmcnt(4)
	v_fma_f64 v[68:69], v[52:53], v[70:71], v[50:51]
	ds_load_2addr_b64 v[50:53], v1 offset0:31 offset1:32
	ds_load_2addr_b64 v[64:67], v1 offset0:33 offset1:34
	s_waitcnt lgkmcnt(1)
	v_fma_f64 v[50:51], v[54:55], v[50:51], v[68:69]
	s_waitcnt vmcnt(3)
	s_delay_alu instid0(VALU_DEP_1) | instskip(SKIP_1) | instid1(VALU_DEP_1)
	v_fma_f64 v[50:51], v[56:57], v[52:53], v[50:51]
	s_waitcnt lgkmcnt(0)
	v_fma_f64 v[50:51], v[58:59], v[64:65], v[50:51]
	s_waitcnt vmcnt(2)
	s_delay_alu instid0(VALU_DEP_1)
	v_fma_f64 v[58:59], v[60:61], v[66:67], v[50:51]
	ds_load_2addr_b64 v[50:53], v1 offset0:35 offset1:36
	ds_load_2addr_b64 v[54:57], v1 offset0:37 offset1:38
	s_waitcnt lgkmcnt(1)
	v_fma_f64 v[50:51], v[62:63], v[50:51], v[58:59]
	s_waitcnt vmcnt(1)
	s_delay_alu instid0(VALU_DEP_1) | instskip(SKIP_1) | instid1(VALU_DEP_1)
	v_fma_f64 v[50:51], v[72:73], v[52:53], v[50:51]
	s_waitcnt lgkmcnt(0)
	v_fma_f64 v[50:51], v[74:75], v[54:55], v[50:51]
	s_waitcnt vmcnt(0)
	s_delay_alu instid0(VALU_DEP_1) | instskip(SKIP_3) | instid1(VALU_DEP_1)
	v_fma_f64 v[46:47], v[46:47], v[56:57], v[50:51]
	ds_load_b64 v[50:51], v1 offset:312
	s_waitcnt lgkmcnt(0)
	v_fma_f64 v[46:47], v[48:49], v[50:51], v[46:47]
	v_add_f64 v[44:45], v[44:45], -v[46:47]
	scratch_store_b64 off, v[44:45], off offset:48
	v_cmpx_lt_u32_e32 5, v0
	s_cbranch_execz .LBB19_119
; %bb.118:
	scratch_load_b64 v[44:45], off, off offset:40
	v_mov_b32_e32 v2, v1
	scratch_store_b64 off, v[1:2], off offset:40
	s_waitcnt vmcnt(0)
	ds_store_b64 v3, v[44:45]
.LBB19_119:
	s_or_b32 exec_lo, exec_lo, s0
	s_waitcnt lgkmcnt(0)
	s_waitcnt_vscnt null, 0x0
	s_barrier
	buffer_gl0_inv
	s_clause 0x4
	scratch_load_b128 v[44:47], off, off offset:40
	scratch_load_b128 v[48:51], off, off offset:56
	;; [unrolled: 1-line block ×5, first 2 shown]
	ds_load_b128 v[64:67], v1 offset:208
	ds_load_b128 v[68:71], v1 offset:224
	scratch_load_b128 v[72:75], off, off offset:120
	s_mov_b32 s0, exec_lo
	s_waitcnt vmcnt(5) lgkmcnt(1)
	v_fma_f64 v[46:47], v[46:47], v[64:65], 0
	s_waitcnt vmcnt(4)
	s_delay_alu instid0(VALU_DEP_1) | instskip(SKIP_1) | instid1(VALU_DEP_1)
	v_fma_f64 v[46:47], v[48:49], v[66:67], v[46:47]
	s_waitcnt lgkmcnt(0)
	v_fma_f64 v[50:51], v[50:51], v[68:69], v[46:47]
	scratch_load_b128 v[46:49], off, off offset:136
	s_waitcnt vmcnt(4)
	v_fma_f64 v[68:69], v[52:53], v[70:71], v[50:51]
	ds_load_b128 v[50:53], v1 offset:240
	ds_load_b128 v[64:67], v1 offset:256
	s_waitcnt lgkmcnt(1)
	v_fma_f64 v[50:51], v[54:55], v[50:51], v[68:69]
	scratch_load_b64 v[68:69], off, off offset:152
	s_waitcnt vmcnt(4)
	v_fma_f64 v[50:51], v[56:57], v[52:53], v[50:51]
	s_waitcnt lgkmcnt(0)
	s_delay_alu instid0(VALU_DEP_1) | instskip(SKIP_1) | instid1(VALU_DEP_1)
	v_fma_f64 v[50:51], v[58:59], v[64:65], v[50:51]
	s_waitcnt vmcnt(3)
	v_fma_f64 v[58:59], v[60:61], v[66:67], v[50:51]
	ds_load_b128 v[50:53], v1 offset:272
	ds_load_b128 v[54:57], v1 offset:288
	s_waitcnt lgkmcnt(1)
	v_fma_f64 v[50:51], v[62:63], v[50:51], v[58:59]
	s_waitcnt vmcnt(2)
	s_delay_alu instid0(VALU_DEP_1) | instskip(SKIP_1) | instid1(VALU_DEP_1)
	v_fma_f64 v[50:51], v[72:73], v[52:53], v[50:51]
	s_waitcnt lgkmcnt(0)
	v_fma_f64 v[50:51], v[74:75], v[54:55], v[50:51]
	s_waitcnt vmcnt(1)
	s_delay_alu instid0(VALU_DEP_1) | instskip(SKIP_4) | instid1(VALU_DEP_1)
	v_fma_f64 v[46:47], v[46:47], v[56:57], v[50:51]
	ds_load_b128 v[50:53], v1 offset:304
	s_waitcnt lgkmcnt(0)
	v_fma_f64 v[1:2], v[48:49], v[50:51], v[46:47]
	s_waitcnt vmcnt(0)
	v_fma_f64 v[1:2], v[68:69], v[52:53], v[1:2]
	s_delay_alu instid0(VALU_DEP_1)
	v_add_f64 v[1:2], v[44:45], -v[1:2]
	scratch_store_b64 off, v[1:2], off offset:40
	v_cmpx_lt_u32_e32 4, v0
	s_cbranch_execz .LBB19_121
; %bb.120:
	scratch_load_b64 v[1:2], off, off offset:32
	v_mov_b32_e32 v44, 0
	s_delay_alu instid0(VALU_DEP_1)
	v_mov_b32_e32 v45, v44
	scratch_store_b64 off, v[44:45], off offset:32
	s_waitcnt vmcnt(0)
	ds_store_b64 v3, v[1:2]
.LBB19_121:
	s_or_b32 exec_lo, exec_lo, s0
	s_waitcnt lgkmcnt(0)
	s_waitcnt_vscnt null, 0x0
	s_barrier
	buffer_gl0_inv
	s_clause 0x4
	scratch_load_b128 v[44:47], off, off offset:32
	scratch_load_b128 v[48:51], off, off offset:48
	;; [unrolled: 1-line block ×5, first 2 shown]
	v_mov_b32_e32 v1, 0
	ds_load_2addr_b64 v[64:67], v1 offset0:25 offset1:26
	ds_load_2addr_b64 v[68:71], v1 offset0:27 offset1:28
	scratch_load_b128 v[72:75], off, off offset:112
	s_mov_b32 s0, exec_lo
	s_waitcnt vmcnt(5) lgkmcnt(1)
	v_fma_f64 v[46:47], v[46:47], v[64:65], 0
	s_waitcnt vmcnt(4)
	s_delay_alu instid0(VALU_DEP_1) | instskip(SKIP_1) | instid1(VALU_DEP_1)
	v_fma_f64 v[46:47], v[48:49], v[66:67], v[46:47]
	s_waitcnt lgkmcnt(0)
	v_fma_f64 v[50:51], v[50:51], v[68:69], v[46:47]
	scratch_load_b128 v[46:49], off, off offset:128
	s_waitcnt vmcnt(4)
	v_fma_f64 v[68:69], v[52:53], v[70:71], v[50:51]
	ds_load_2addr_b64 v[50:53], v1 offset0:29 offset1:30
	ds_load_2addr_b64 v[64:67], v1 offset0:31 offset1:32
	s_waitcnt lgkmcnt(1)
	v_fma_f64 v[50:51], v[54:55], v[50:51], v[68:69]
	scratch_load_b128 v[68:71], off, off offset:144
	s_waitcnt vmcnt(4)
	v_fma_f64 v[50:51], v[56:57], v[52:53], v[50:51]
	s_waitcnt lgkmcnt(0)
	s_delay_alu instid0(VALU_DEP_1) | instskip(SKIP_1) | instid1(VALU_DEP_1)
	v_fma_f64 v[50:51], v[58:59], v[64:65], v[50:51]
	s_waitcnt vmcnt(3)
	v_fma_f64 v[58:59], v[60:61], v[66:67], v[50:51]
	ds_load_2addr_b64 v[50:53], v1 offset0:33 offset1:34
	ds_load_2addr_b64 v[54:57], v1 offset0:35 offset1:36
	s_waitcnt lgkmcnt(1)
	v_fma_f64 v[50:51], v[62:63], v[50:51], v[58:59]
	s_waitcnt vmcnt(2)
	s_delay_alu instid0(VALU_DEP_1) | instskip(SKIP_1) | instid1(VALU_DEP_1)
	v_fma_f64 v[50:51], v[72:73], v[52:53], v[50:51]
	s_waitcnt lgkmcnt(0)
	v_fma_f64 v[50:51], v[74:75], v[54:55], v[50:51]
	s_waitcnt vmcnt(1)
	s_delay_alu instid0(VALU_DEP_1)
	v_fma_f64 v[46:47], v[46:47], v[56:57], v[50:51]
	ds_load_2addr_b64 v[50:53], v1 offset0:37 offset1:38
	ds_load_b64 v[54:55], v1 offset:312
	s_waitcnt lgkmcnt(1)
	v_fma_f64 v[46:47], v[48:49], v[50:51], v[46:47]
	s_waitcnt vmcnt(0)
	s_delay_alu instid0(VALU_DEP_1) | instskip(SKIP_1) | instid1(VALU_DEP_1)
	v_fma_f64 v[46:47], v[68:69], v[52:53], v[46:47]
	s_waitcnt lgkmcnt(0)
	v_fma_f64 v[46:47], v[70:71], v[54:55], v[46:47]
	s_delay_alu instid0(VALU_DEP_1)
	v_add_f64 v[44:45], v[44:45], -v[46:47]
	scratch_store_b64 off, v[44:45], off offset:32
	v_cmpx_lt_u32_e32 3, v0
	s_cbranch_execz .LBB19_123
; %bb.122:
	scratch_load_b64 v[44:45], off, off offset:24
	v_mov_b32_e32 v2, v1
	scratch_store_b64 off, v[1:2], off offset:24
	s_waitcnt vmcnt(0)
	ds_store_b64 v3, v[44:45]
.LBB19_123:
	s_or_b32 exec_lo, exec_lo, s0
	s_waitcnt lgkmcnt(0)
	s_waitcnt_vscnt null, 0x0
	s_barrier
	buffer_gl0_inv
	s_clause 0x4
	scratch_load_b128 v[44:47], off, off offset:24
	scratch_load_b128 v[48:51], off, off offset:40
	;; [unrolled: 1-line block ×5, first 2 shown]
	ds_load_b128 v[64:67], v1 offset:192
	ds_load_b128 v[68:71], v1 offset:208
	scratch_load_b128 v[72:75], off, off offset:104
	s_mov_b32 s0, exec_lo
	s_waitcnt vmcnt(5) lgkmcnt(1)
	v_fma_f64 v[46:47], v[46:47], v[64:65], 0
	s_waitcnt vmcnt(4)
	s_delay_alu instid0(VALU_DEP_1) | instskip(SKIP_1) | instid1(VALU_DEP_1)
	v_fma_f64 v[46:47], v[48:49], v[66:67], v[46:47]
	s_waitcnt lgkmcnt(0)
	v_fma_f64 v[50:51], v[50:51], v[68:69], v[46:47]
	scratch_load_b128 v[46:49], off, off offset:120
	s_waitcnt vmcnt(4)
	v_fma_f64 v[68:69], v[52:53], v[70:71], v[50:51]
	ds_load_b128 v[50:53], v1 offset:224
	ds_load_b128 v[64:67], v1 offset:240
	s_waitcnt lgkmcnt(1)
	v_fma_f64 v[50:51], v[54:55], v[50:51], v[68:69]
	scratch_load_b128 v[68:71], off, off offset:136
	s_waitcnt vmcnt(4)
	v_fma_f64 v[50:51], v[56:57], v[52:53], v[50:51]
	s_waitcnt lgkmcnt(0)
	s_delay_alu instid0(VALU_DEP_1)
	v_fma_f64 v[50:51], v[58:59], v[64:65], v[50:51]
	scratch_load_b64 v[58:59], off, off offset:152
	s_waitcnt vmcnt(4)
	v_fma_f64 v[60:61], v[60:61], v[66:67], v[50:51]
	ds_load_b128 v[50:53], v1 offset:256
	ds_load_b128 v[54:57], v1 offset:272
	s_waitcnt lgkmcnt(1)
	v_fma_f64 v[50:51], v[62:63], v[50:51], v[60:61]
	s_waitcnt vmcnt(3)
	s_delay_alu instid0(VALU_DEP_1) | instskip(SKIP_1) | instid1(VALU_DEP_1)
	v_fma_f64 v[50:51], v[72:73], v[52:53], v[50:51]
	s_waitcnt lgkmcnt(0)
	v_fma_f64 v[50:51], v[74:75], v[54:55], v[50:51]
	s_waitcnt vmcnt(2)
	s_delay_alu instid0(VALU_DEP_1)
	v_fma_f64 v[46:47], v[46:47], v[56:57], v[50:51]
	ds_load_b128 v[50:53], v1 offset:288
	ds_load_b128 v[54:57], v1 offset:304
	s_waitcnt lgkmcnt(1)
	v_fma_f64 v[1:2], v[48:49], v[50:51], v[46:47]
	s_waitcnt vmcnt(1)
	s_delay_alu instid0(VALU_DEP_1) | instskip(SKIP_1) | instid1(VALU_DEP_1)
	v_fma_f64 v[1:2], v[68:69], v[52:53], v[1:2]
	s_waitcnt lgkmcnt(0)
	v_fma_f64 v[1:2], v[70:71], v[54:55], v[1:2]
	s_waitcnt vmcnt(0)
	s_delay_alu instid0(VALU_DEP_1) | instskip(NEXT) | instid1(VALU_DEP_1)
	v_fma_f64 v[1:2], v[58:59], v[56:57], v[1:2]
	v_add_f64 v[1:2], v[44:45], -v[1:2]
	scratch_store_b64 off, v[1:2], off offset:24
	v_cmpx_lt_u32_e32 2, v0
	s_cbranch_execz .LBB19_125
; %bb.124:
	scratch_load_b64 v[1:2], off, off offset:16
	v_mov_b32_e32 v44, 0
	s_delay_alu instid0(VALU_DEP_1)
	v_mov_b32_e32 v45, v44
	scratch_store_b64 off, v[44:45], off offset:16
	s_waitcnt vmcnt(0)
	ds_store_b64 v3, v[1:2]
.LBB19_125:
	s_or_b32 exec_lo, exec_lo, s0
	s_waitcnt lgkmcnt(0)
	s_waitcnt_vscnt null, 0x0
	s_barrier
	buffer_gl0_inv
	s_clause 0x4
	scratch_load_b128 v[44:47], off, off offset:16
	scratch_load_b128 v[48:51], off, off offset:32
	;; [unrolled: 1-line block ×5, first 2 shown]
	v_mov_b32_e32 v1, 0
	ds_load_2addr_b64 v[64:67], v1 offset0:23 offset1:24
	ds_load_2addr_b64 v[68:71], v1 offset0:25 offset1:26
	scratch_load_b128 v[72:75], off, off offset:96
	s_mov_b32 s0, exec_lo
	s_waitcnt vmcnt(5) lgkmcnt(1)
	v_fma_f64 v[46:47], v[46:47], v[64:65], 0
	s_waitcnt vmcnt(4)
	s_delay_alu instid0(VALU_DEP_1) | instskip(SKIP_1) | instid1(VALU_DEP_1)
	v_fma_f64 v[46:47], v[48:49], v[66:67], v[46:47]
	s_waitcnt lgkmcnt(0)
	v_fma_f64 v[50:51], v[50:51], v[68:69], v[46:47]
	scratch_load_b128 v[46:49], off, off offset:112
	s_waitcnt vmcnt(4)
	v_fma_f64 v[68:69], v[52:53], v[70:71], v[50:51]
	ds_load_2addr_b64 v[50:53], v1 offset0:27 offset1:28
	ds_load_2addr_b64 v[64:67], v1 offset0:29 offset1:30
	s_waitcnt lgkmcnt(1)
	v_fma_f64 v[50:51], v[54:55], v[50:51], v[68:69]
	scratch_load_b128 v[68:71], off, off offset:128
	s_waitcnt vmcnt(4)
	v_fma_f64 v[50:51], v[56:57], v[52:53], v[50:51]
	s_waitcnt lgkmcnt(0)
	s_delay_alu instid0(VALU_DEP_1)
	v_fma_f64 v[54:55], v[58:59], v[64:65], v[50:51]
	scratch_load_b128 v[50:53], off, off offset:144
	s_waitcnt vmcnt(4)
	v_fma_f64 v[64:65], v[60:61], v[66:67], v[54:55]
	ds_load_2addr_b64 v[54:57], v1 offset0:31 offset1:32
	ds_load_2addr_b64 v[58:61], v1 offset0:33 offset1:34
	s_waitcnt lgkmcnt(1)
	v_fma_f64 v[54:55], v[62:63], v[54:55], v[64:65]
	s_waitcnt vmcnt(3)
	s_delay_alu instid0(VALU_DEP_1) | instskip(SKIP_1) | instid1(VALU_DEP_1)
	v_fma_f64 v[54:55], v[72:73], v[56:57], v[54:55]
	s_waitcnt lgkmcnt(0)
	v_fma_f64 v[54:55], v[74:75], v[58:59], v[54:55]
	s_waitcnt vmcnt(2)
	s_delay_alu instid0(VALU_DEP_1)
	v_fma_f64 v[46:47], v[46:47], v[60:61], v[54:55]
	ds_load_2addr_b64 v[54:57], v1 offset0:35 offset1:36
	ds_load_2addr_b64 v[58:61], v1 offset0:37 offset1:38
	s_waitcnt lgkmcnt(1)
	v_fma_f64 v[46:47], v[48:49], v[54:55], v[46:47]
	ds_load_b64 v[48:49], v1 offset:312
	s_waitcnt vmcnt(1)
	v_fma_f64 v[46:47], v[68:69], v[56:57], v[46:47]
	s_waitcnt lgkmcnt(1)
	s_delay_alu instid0(VALU_DEP_1) | instskip(SKIP_1) | instid1(VALU_DEP_1)
	v_fma_f64 v[46:47], v[70:71], v[58:59], v[46:47]
	s_waitcnt vmcnt(0)
	v_fma_f64 v[46:47], v[50:51], v[60:61], v[46:47]
	s_waitcnt lgkmcnt(0)
	s_delay_alu instid0(VALU_DEP_1) | instskip(NEXT) | instid1(VALU_DEP_1)
	v_fma_f64 v[46:47], v[52:53], v[48:49], v[46:47]
	v_add_f64 v[44:45], v[44:45], -v[46:47]
	scratch_store_b64 off, v[44:45], off offset:16
	v_cmpx_lt_u32_e32 1, v0
	s_cbranch_execz .LBB19_127
; %bb.126:
	scratch_load_b64 v[44:45], off, off offset:8
	v_mov_b32_e32 v2, v1
	scratch_store_b64 off, v[1:2], off offset:8
	s_waitcnt vmcnt(0)
	ds_store_b64 v3, v[44:45]
.LBB19_127:
	s_or_b32 exec_lo, exec_lo, s0
	s_waitcnt lgkmcnt(0)
	s_waitcnt_vscnt null, 0x0
	s_barrier
	buffer_gl0_inv
	s_clause 0x4
	scratch_load_b128 v[44:47], off, off offset:8
	scratch_load_b128 v[48:51], off, off offset:24
	scratch_load_b128 v[52:55], off, off offset:40
	scratch_load_b128 v[56:59], off, off offset:56
	scratch_load_b128 v[60:63], off, off offset:72
	ds_load_b128 v[64:67], v1 offset:176
	ds_load_b128 v[68:71], v1 offset:192
	scratch_load_b128 v[72:75], off, off offset:88
	s_mov_b32 s0, exec_lo
	s_waitcnt vmcnt(5) lgkmcnt(1)
	v_fma_f64 v[46:47], v[46:47], v[64:65], 0
	s_waitcnt vmcnt(4)
	s_delay_alu instid0(VALU_DEP_1) | instskip(SKIP_1) | instid1(VALU_DEP_1)
	v_fma_f64 v[46:47], v[48:49], v[66:67], v[46:47]
	s_waitcnt lgkmcnt(0)
	v_fma_f64 v[50:51], v[50:51], v[68:69], v[46:47]
	scratch_load_b128 v[46:49], off, off offset:104
	s_waitcnt vmcnt(4)
	v_fma_f64 v[68:69], v[52:53], v[70:71], v[50:51]
	ds_load_b128 v[50:53], v1 offset:208
	ds_load_b128 v[64:67], v1 offset:224
	s_waitcnt lgkmcnt(1)
	v_fma_f64 v[50:51], v[54:55], v[50:51], v[68:69]
	scratch_load_b128 v[68:71], off, off offset:120
	s_waitcnt vmcnt(4)
	v_fma_f64 v[50:51], v[56:57], v[52:53], v[50:51]
	s_waitcnt lgkmcnt(0)
	s_delay_alu instid0(VALU_DEP_1)
	v_fma_f64 v[54:55], v[58:59], v[64:65], v[50:51]
	scratch_load_b128 v[50:53], off, off offset:136
	s_waitcnt vmcnt(4)
	v_fma_f64 v[64:65], v[60:61], v[66:67], v[54:55]
	ds_load_b128 v[54:57], v1 offset:240
	ds_load_b128 v[58:61], v1 offset:256
	s_waitcnt lgkmcnt(1)
	v_fma_f64 v[54:55], v[62:63], v[54:55], v[64:65]
	scratch_load_b64 v[62:63], off, off offset:152
	s_waitcnt vmcnt(4)
	v_fma_f64 v[54:55], v[72:73], v[56:57], v[54:55]
	s_waitcnt lgkmcnt(0)
	s_delay_alu instid0(VALU_DEP_1) | instskip(SKIP_1) | instid1(VALU_DEP_1)
	v_fma_f64 v[54:55], v[74:75], v[58:59], v[54:55]
	s_waitcnt vmcnt(3)
	v_fma_f64 v[46:47], v[46:47], v[60:61], v[54:55]
	ds_load_b128 v[54:57], v1 offset:272
	ds_load_b128 v[58:61], v1 offset:288
	s_waitcnt lgkmcnt(1)
	v_fma_f64 v[46:47], v[48:49], v[54:55], v[46:47]
	s_waitcnt vmcnt(2)
	s_delay_alu instid0(VALU_DEP_1) | instskip(SKIP_1) | instid1(VALU_DEP_1)
	v_fma_f64 v[46:47], v[68:69], v[56:57], v[46:47]
	s_waitcnt lgkmcnt(0)
	v_fma_f64 v[46:47], v[70:71], v[58:59], v[46:47]
	s_waitcnt vmcnt(1)
	s_delay_alu instid0(VALU_DEP_1) | instskip(SKIP_4) | instid1(VALU_DEP_1)
	v_fma_f64 v[50:51], v[50:51], v[60:61], v[46:47]
	ds_load_b128 v[46:49], v1 offset:304
	s_waitcnt lgkmcnt(0)
	v_fma_f64 v[1:2], v[52:53], v[46:47], v[50:51]
	s_waitcnt vmcnt(0)
	v_fma_f64 v[1:2], v[62:63], v[48:49], v[1:2]
	s_delay_alu instid0(VALU_DEP_1)
	v_add_f64 v[1:2], v[44:45], -v[1:2]
	scratch_store_b64 off, v[1:2], off offset:8
	v_cmpx_ne_u32_e32 0, v0
	s_cbranch_execz .LBB19_129
; %bb.128:
	scratch_load_b64 v[0:1], off, off
	v_mov_b32_e32 v44, 0
	s_delay_alu instid0(VALU_DEP_1)
	v_mov_b32_e32 v45, v44
	scratch_store_b64 off, v[44:45], off
	s_waitcnt vmcnt(0)
	ds_store_b64 v3, v[0:1]
.LBB19_129:
	s_or_b32 exec_lo, exec_lo, s0
	s_waitcnt lgkmcnt(0)
	s_waitcnt_vscnt null, 0x0
	s_barrier
	buffer_gl0_inv
	s_clause 0x4
	scratch_load_b128 v[44:47], off, off
	scratch_load_b128 v[0:3], off, off offset:16
	scratch_load_b128 v[48:51], off, off offset:32
	;; [unrolled: 1-line block ×4, first 2 shown]
	v_mov_b32_e32 v72, 0
	ds_load_2addr_b64 v[60:63], v72 offset0:21 offset1:22
	ds_load_2addr_b64 v[64:67], v72 offset0:23 offset1:24
	scratch_load_b128 v[68:71], off, off offset:80
	s_and_b32 vcc_lo, exec_lo, s16
	s_waitcnt vmcnt(5) lgkmcnt(1)
	v_fma_f64 v[46:47], v[46:47], v[60:61], 0
	s_waitcnt vmcnt(4)
	s_delay_alu instid0(VALU_DEP_1) | instskip(SKIP_4) | instid1(VALU_DEP_1)
	v_fma_f64 v[0:1], v[0:1], v[62:63], v[46:47]
	scratch_load_b128 v[60:63], off, off offset:96
	s_waitcnt lgkmcnt(0)
	v_fma_f64 v[0:1], v[2:3], v[64:65], v[0:1]
	s_waitcnt vmcnt(4)
	v_fma_f64 v[64:65], v[48:49], v[66:67], v[0:1]
	ds_load_2addr_b64 v[0:3], v72 offset0:25 offset1:26
	ds_load_2addr_b64 v[46:49], v72 offset0:27 offset1:28
	s_waitcnt lgkmcnt(1)
	v_fma_f64 v[0:1], v[50:51], v[0:1], v[64:65]
	scratch_load_b128 v[64:67], off, off offset:112
	s_waitcnt vmcnt(4)
	v_fma_f64 v[0:1], v[52:53], v[2:3], v[0:1]
	scratch_load_b128 v[50:53], off, off offset:128
	s_waitcnt lgkmcnt(0)
	v_fma_f64 v[0:1], v[54:55], v[46:47], v[0:1]
	s_waitcnt vmcnt(4)
	s_delay_alu instid0(VALU_DEP_1)
	v_fma_f64 v[0:1], v[56:57], v[48:49], v[0:1]
	ds_load_2addr_b64 v[46:49], v72 offset0:29 offset1:30
	ds_load_2addr_b64 v[54:57], v72 offset0:31 offset1:32
	s_waitcnt lgkmcnt(1)
	v_fma_f64 v[46:47], v[58:59], v[46:47], v[0:1]
	scratch_load_b128 v[0:3], off, off offset:144
	s_waitcnt vmcnt(4)
	v_fma_f64 v[46:47], v[68:69], v[48:49], v[46:47]
	s_waitcnt lgkmcnt(0)
	s_delay_alu instid0(VALU_DEP_1) | instskip(SKIP_1) | instid1(VALU_DEP_1)
	v_fma_f64 v[46:47], v[70:71], v[54:55], v[46:47]
	s_waitcnt vmcnt(3)
	v_fma_f64 v[58:59], v[60:61], v[56:57], v[46:47]
	ds_load_2addr_b64 v[46:49], v72 offset0:33 offset1:34
	ds_load_2addr_b64 v[54:57], v72 offset0:35 offset1:36
	s_waitcnt lgkmcnt(1)
	v_fma_f64 v[46:47], v[62:63], v[46:47], v[58:59]
	s_waitcnt vmcnt(2)
	s_delay_alu instid0(VALU_DEP_1) | instskip(SKIP_1) | instid1(VALU_DEP_1)
	v_fma_f64 v[46:47], v[64:65], v[48:49], v[46:47]
	s_waitcnt lgkmcnt(0)
	v_fma_f64 v[46:47], v[66:67], v[54:55], v[46:47]
	s_waitcnt vmcnt(1)
	s_delay_alu instid0(VALU_DEP_1)
	v_fma_f64 v[50:51], v[50:51], v[56:57], v[46:47]
	ds_load_2addr_b64 v[46:49], v72 offset0:37 offset1:38
	ds_load_b64 v[54:55], v72 offset:312
	s_waitcnt lgkmcnt(1)
	v_fma_f64 v[46:47], v[52:53], v[46:47], v[50:51]
	s_waitcnt vmcnt(0)
	s_delay_alu instid0(VALU_DEP_1) | instskip(SKIP_1) | instid1(VALU_DEP_1)
	v_fma_f64 v[46:47], v[0:1], v[48:49], v[46:47]
	s_waitcnt lgkmcnt(0)
	v_fma_f64 v[2:3], v[2:3], v[54:55], v[46:47]
	s_delay_alu instid0(VALU_DEP_1)
	v_add_f64 v[2:3], v[44:45], -v[2:3]
	scratch_store_b64 off, v[2:3], off
	s_cbranch_vccz .LBB19_169
; %bb.130:
	v_dual_mov_b32 v2, s12 :: v_dual_mov_b32 v3, s13
	s_mov_b32 s0, exec_lo
	flat_load_b32 v2, v[2:3] offset:72
	s_waitcnt vmcnt(0) lgkmcnt(0)
	v_cmpx_ne_u32_e32 19, v2
	s_cbranch_execz .LBB19_132
; %bb.131:
	v_lshl_add_u32 v44, v2, 3, 0
	scratch_load_b64 v[2:3], v44, off offset:-8
	s_waitcnt vmcnt(0)
	scratch_store_b64 off, v[2:3], off offset:144
	scratch_store_b64 v44, v[0:1], off offset:-8
.LBB19_132:
	s_or_b32 exec_lo, exec_lo, s0
	v_dual_mov_b32 v0, s12 :: v_dual_mov_b32 v1, s13
	s_mov_b32 s0, exec_lo
	flat_load_b32 v0, v[0:1] offset:68
	s_waitcnt vmcnt(0) lgkmcnt(0)
	v_cmpx_ne_u32_e32 18, v0
	s_cbranch_execz .LBB19_134
; %bb.133:
	v_lshl_add_u32 v44, v0, 3, 0
	scratch_load_b64 v[0:1], v44, off offset:-8
	scratch_load_b64 v[2:3], off, off offset:136
	s_waitcnt vmcnt(1)
	scratch_store_b64 off, v[0:1], off offset:136
	s_waitcnt vmcnt(0)
	scratch_store_b64 v44, v[2:3], off offset:-8
.LBB19_134:
	s_or_b32 exec_lo, exec_lo, s0
	v_dual_mov_b32 v0, s12 :: v_dual_mov_b32 v1, s13
	s_mov_b32 s0, exec_lo
	flat_load_b32 v0, v[0:1] offset:64
	s_waitcnt vmcnt(0) lgkmcnt(0)
	v_cmpx_ne_u32_e32 17, v0
	s_cbranch_execz .LBB19_136
; %bb.135:
	v_lshl_add_u32 v44, v0, 3, 0
	scratch_load_b64 v[0:1], v44, off offset:-8
	scratch_load_b64 v[2:3], off, off offset:128
	s_waitcnt vmcnt(1)
	scratch_store_b64 off, v[0:1], off offset:128
	s_waitcnt vmcnt(0)
	scratch_store_b64 v44, v[2:3], off offset:-8
.LBB19_136:
	;; [unrolled: 16-line block ×17, first 2 shown]
	s_or_b32 exec_lo, exec_lo, s0
	v_dual_mov_b32 v0, s12 :: v_dual_mov_b32 v1, s13
	s_mov_b32 s0, exec_lo
	flat_load_b32 v0, v[0:1]
	scratch_load_b64 v[2:3], off, off
	s_waitcnt vmcnt(1) lgkmcnt(0)
	v_cmpx_ne_u32_e32 1, v0
	s_cbranch_execz .LBB19_168
; %bb.167:
	v_lshl_add_u32 v44, v0, 3, 0
	scratch_load_b64 v[0:1], v44, off offset:-8
	s_waitcnt vmcnt(0)
	scratch_store_b64 off, v[0:1], off
	scratch_store_b64 v44, v[2:3], off offset:-8
	scratch_load_b64 v[2:3], off, off
.LBB19_168:
	s_or_b32 exec_lo, exec_lo, s0
.LBB19_169:
	s_clause 0x9
	scratch_load_b128 v[44:47], off, off offset:8
	scratch_load_b128 v[48:51], off, off offset:24
	;; [unrolled: 1-line block ×9, first 2 shown]
	scratch_load_b64 v[0:1], off, off offset:152
	s_waitcnt vmcnt(10)
	global_store_b64 v[4:5], v[2:3], off
	s_waitcnt vmcnt(9)
	s_clause 0x1
	global_store_b64 v[6:7], v[44:45], off
	global_store_b64 v[8:9], v[46:47], off
	s_waitcnt vmcnt(8)
	s_clause 0x1
	global_store_b64 v[10:11], v[48:49], off
	;; [unrolled: 4-line block ×9, first 2 shown]
	global_store_b64 v[40:41], v[78:79], off
	s_waitcnt vmcnt(0)
	global_store_b64 v[42:43], v[0:1], off
	s_endpgm
	.section	.rodata,"a",@progbits
	.p2align	6, 0x0
	.amdhsa_kernel _ZN9rocsolver6v33100L18getri_kernel_smallILi20EdPdEEvT1_iilPiilS4_bb
		.amdhsa_group_segment_fixed_size 328
		.amdhsa_private_segment_fixed_size 176
		.amdhsa_kernarg_size 60
		.amdhsa_user_sgpr_count 15
		.amdhsa_user_sgpr_dispatch_ptr 0
		.amdhsa_user_sgpr_queue_ptr 0
		.amdhsa_user_sgpr_kernarg_segment_ptr 1
		.amdhsa_user_sgpr_dispatch_id 0
		.amdhsa_user_sgpr_private_segment_size 0
		.amdhsa_wavefront_size32 1
		.amdhsa_uses_dynamic_stack 0
		.amdhsa_enable_private_segment 1
		.amdhsa_system_sgpr_workgroup_id_x 1
		.amdhsa_system_sgpr_workgroup_id_y 0
		.amdhsa_system_sgpr_workgroup_id_z 0
		.amdhsa_system_sgpr_workgroup_info 0
		.amdhsa_system_vgpr_workitem_id 0
		.amdhsa_next_free_vgpr 84
		.amdhsa_next_free_sgpr 18
		.amdhsa_reserve_vcc 1
		.amdhsa_float_round_mode_32 0
		.amdhsa_float_round_mode_16_64 0
		.amdhsa_float_denorm_mode_32 3
		.amdhsa_float_denorm_mode_16_64 3
		.amdhsa_dx10_clamp 1
		.amdhsa_ieee_mode 1
		.amdhsa_fp16_overflow 0
		.amdhsa_workgroup_processor_mode 1
		.amdhsa_memory_ordered 1
		.amdhsa_forward_progress 0
		.amdhsa_shared_vgpr_count 0
		.amdhsa_exception_fp_ieee_invalid_op 0
		.amdhsa_exception_fp_denorm_src 0
		.amdhsa_exception_fp_ieee_div_zero 0
		.amdhsa_exception_fp_ieee_overflow 0
		.amdhsa_exception_fp_ieee_underflow 0
		.amdhsa_exception_fp_ieee_inexact 0
		.amdhsa_exception_int_div_zero 0
	.end_amdhsa_kernel
	.section	.text._ZN9rocsolver6v33100L18getri_kernel_smallILi20EdPdEEvT1_iilPiilS4_bb,"axG",@progbits,_ZN9rocsolver6v33100L18getri_kernel_smallILi20EdPdEEvT1_iilPiilS4_bb,comdat
.Lfunc_end19:
	.size	_ZN9rocsolver6v33100L18getri_kernel_smallILi20EdPdEEvT1_iilPiilS4_bb, .Lfunc_end19-_ZN9rocsolver6v33100L18getri_kernel_smallILi20EdPdEEvT1_iilPiilS4_bb
                                        ; -- End function
	.section	.AMDGPU.csdata,"",@progbits
; Kernel info:
; codeLenInByte = 13112
; NumSgprs: 20
; NumVgprs: 84
; ScratchSize: 176
; MemoryBound: 0
; FloatMode: 240
; IeeeMode: 1
; LDSByteSize: 328 bytes/workgroup (compile time only)
; SGPRBlocks: 2
; VGPRBlocks: 10
; NumSGPRsForWavesPerEU: 20
; NumVGPRsForWavesPerEU: 84
; Occupancy: 16
; WaveLimiterHint : 1
; COMPUTE_PGM_RSRC2:SCRATCH_EN: 1
; COMPUTE_PGM_RSRC2:USER_SGPR: 15
; COMPUTE_PGM_RSRC2:TRAP_HANDLER: 0
; COMPUTE_PGM_RSRC2:TGID_X_EN: 1
; COMPUTE_PGM_RSRC2:TGID_Y_EN: 0
; COMPUTE_PGM_RSRC2:TGID_Z_EN: 0
; COMPUTE_PGM_RSRC2:TIDIG_COMP_CNT: 0
	.section	.text._ZN9rocsolver6v33100L18getri_kernel_smallILi21EdPdEEvT1_iilPiilS4_bb,"axG",@progbits,_ZN9rocsolver6v33100L18getri_kernel_smallILi21EdPdEEvT1_iilPiilS4_bb,comdat
	.globl	_ZN9rocsolver6v33100L18getri_kernel_smallILi21EdPdEEvT1_iilPiilS4_bb ; -- Begin function _ZN9rocsolver6v33100L18getri_kernel_smallILi21EdPdEEvT1_iilPiilS4_bb
	.p2align	8
	.type	_ZN9rocsolver6v33100L18getri_kernel_smallILi21EdPdEEvT1_iilPiilS4_bb,@function
_ZN9rocsolver6v33100L18getri_kernel_smallILi21EdPdEEvT1_iilPiilS4_bb: ; @_ZN9rocsolver6v33100L18getri_kernel_smallILi21EdPdEEvT1_iilPiilS4_bb
; %bb.0:
	s_mov_b32 s2, exec_lo
	v_cmpx_gt_u32_e32 21, v0
	s_cbranch_execz .LBB20_94
; %bb.1:
	s_clause 0x2
	s_load_b32 s17, s[0:1], 0x38
	s_load_b128 s[8:11], s[0:1], 0x10
	s_load_b128 s[4:7], s[0:1], 0x28
	s_mov_b32 s14, s15
                                        ; implicit-def: $sgpr12_sgpr13
	s_waitcnt lgkmcnt(0)
	s_bitcmp1_b32 s17, 8
	s_cselect_b32 s16, -1, 0
	s_bfe_u32 s2, s17, 0x10008
	s_ashr_i32 s15, s15, 31
	s_cmp_eq_u32 s2, 0
	s_cbranch_scc1 .LBB20_3
; %bb.2:
	s_load_b32 s2, s[0:1], 0x20
	s_mul_i32 s3, s14, s5
	s_mul_hi_u32 s5, s14, s4
	s_mul_i32 s12, s15, s4
	s_add_i32 s3, s5, s3
	s_mul_i32 s4, s14, s4
	s_add_i32 s5, s3, s12
	s_delay_alu instid0(SALU_CYCLE_1)
	s_lshl_b64 s[4:5], s[4:5], 2
	s_waitcnt lgkmcnt(0)
	s_ashr_i32 s3, s2, 31
	s_add_u32 s4, s10, s4
	s_addc_u32 s5, s11, s5
	s_lshl_b64 s[2:3], s[2:3], 2
	s_delay_alu instid0(SALU_CYCLE_1)
	s_add_u32 s12, s4, s2
	s_addc_u32 s13, s5, s3
.LBB20_3:
	s_load_b128 s[0:3], s[0:1], 0x0
	s_mul_i32 s4, s14, s9
	s_mul_hi_u32 s5, s14, s8
	s_mul_i32 s9, s15, s8
	s_add_i32 s5, s5, s4
	s_mul_i32 s4, s14, s8
	s_add_i32 s5, s5, s9
	v_lshlrev_b32_e32 v3, 3, v0
	s_lshl_b64 s[4:5], s[4:5], 3
	s_waitcnt lgkmcnt(0)
	v_add3_u32 v1, s3, s3, v0
	s_ashr_i32 s9, s2, 31
	s_mov_b32 s8, s2
	s_add_u32 s2, s0, s4
	s_addc_u32 s5, s1, s5
	v_add_nc_u32_e32 v8, s3, v1
	s_lshl_b64 s[0:1], s[8:9], 3
	v_ashrrev_i32_e32 v2, 31, v1
	s_add_u32 s0, s2, s0
	s_addc_u32 s1, s5, s1
	v_add_nc_u32_e32 v10, s3, v8
	v_add_co_u32 v4, s2, s0, v3
	s_mov_b32 s4, s3
	s_ashr_i32 s5, s3, 31
	v_add_co_ci_u32_e64 v5, null, s1, 0, s2
	v_lshlrev_b64 v[1:2], 3, v[1:2]
	v_ashrrev_i32_e32 v9, 31, v8
	s_lshl_b64 s[4:5], s[4:5], 3
	v_add_nc_u32_e32 v14, s3, v10
	v_add_co_u32 v6, vcc_lo, v4, s4
	v_ashrrev_i32_e32 v11, 31, v10
	v_add_co_ci_u32_e32 v7, vcc_lo, s5, v5, vcc_lo
	v_lshlrev_b64 v[12:13], 3, v[8:9]
	v_add_co_u32 v8, vcc_lo, s0, v1
	v_add_nc_u32_e32 v16, s3, v14
	v_add_co_ci_u32_e32 v9, vcc_lo, s1, v2, vcc_lo
	v_lshlrev_b64 v[1:2], 3, v[10:11]
	v_add_co_u32 v10, vcc_lo, s0, v12
	v_ashrrev_i32_e32 v15, 31, v14
	v_add_nc_u32_e32 v18, s3, v16
	v_add_co_ci_u32_e32 v11, vcc_lo, s1, v13, vcc_lo
	v_add_co_u32 v12, vcc_lo, s0, v1
	v_add_co_ci_u32_e32 v13, vcc_lo, s1, v2, vcc_lo
	v_lshlrev_b64 v[1:2], 3, v[14:15]
	v_ashrrev_i32_e32 v17, 31, v16
	v_add_nc_u32_e32 v20, s3, v18
	v_ashrrev_i32_e32 v19, 31, v18
	s_clause 0x4
	global_load_b64 v[46:47], v3, s[0:1]
	global_load_b64 v[48:49], v[6:7], off
	global_load_b64 v[50:51], v[8:9], off
	;; [unrolled: 1-line block ×4, first 2 shown]
	v_lshlrev_b64 v[16:17], 3, v[16:17]
	v_add_co_u32 v14, vcc_lo, s0, v1
	v_ashrrev_i32_e32 v21, 31, v20
	v_add_co_ci_u32_e32 v15, vcc_lo, s1, v2, vcc_lo
	v_lshlrev_b64 v[1:2], 3, v[18:19]
	v_add_nc_u32_e32 v23, s3, v20
	v_add_co_u32 v16, vcc_lo, s0, v16
	v_lshlrev_b64 v[21:22], 3, v[20:21]
	v_add_co_ci_u32_e32 v17, vcc_lo, s1, v17, vcc_lo
	v_add_co_u32 v18, vcc_lo, s0, v1
	v_ashrrev_i32_e32 v24, 31, v23
	v_add_nc_u32_e32 v1, s3, v23
	v_add_co_ci_u32_e32 v19, vcc_lo, s1, v2, vcc_lo
	v_add_co_u32 v20, vcc_lo, s0, v21
	v_add_co_ci_u32_e32 v21, vcc_lo, s1, v22, vcc_lo
	v_lshlrev_b64 v[22:23], 3, v[23:24]
	v_add_nc_u32_e32 v24, s3, v1
	v_ashrrev_i32_e32 v2, 31, v1
	s_clause 0x3
	global_load_b64 v[56:57], v[14:15], off
	global_load_b64 v[58:59], v[16:17], off
	;; [unrolled: 1-line block ×4, first 2 shown]
	s_bitcmp0_b32 s17, 0
	v_add_nc_u32_e32 v26, s3, v24
	v_lshlrev_b64 v[1:2], 3, v[1:2]
	v_ashrrev_i32_e32 v25, 31, v24
	v_add_co_u32 v22, vcc_lo, s0, v22
	s_delay_alu instid0(VALU_DEP_4)
	v_ashrrev_i32_e32 v27, 31, v26
	v_add_nc_u32_e32 v30, s3, v26
	v_add_co_ci_u32_e32 v23, vcc_lo, s1, v23, vcc_lo
	v_lshlrev_b64 v[28:29], 3, v[24:25]
	v_add_co_u32 v24, vcc_lo, s0, v1
	v_add_co_ci_u32_e32 v25, vcc_lo, s1, v2, vcc_lo
	v_lshlrev_b64 v[1:2], 3, v[26:27]
	v_add_nc_u32_e32 v32, s3, v30
	v_add_co_u32 v26, vcc_lo, s0, v28
	v_ashrrev_i32_e32 v31, 31, v30
	v_add_co_ci_u32_e32 v27, vcc_lo, s1, v29, vcc_lo
	v_add_co_u32 v28, vcc_lo, s0, v1
	v_add_nc_u32_e32 v34, s3, v32
	v_add_co_ci_u32_e32 v29, vcc_lo, s1, v2, vcc_lo
	v_lshlrev_b64 v[1:2], 3, v[30:31]
	v_ashrrev_i32_e32 v33, 31, v32
	s_delay_alu instid0(VALU_DEP_4)
	v_ashrrev_i32_e32 v35, 31, v34
	v_add_nc_u32_e32 v36, s3, v34
	s_clause 0x3
	global_load_b64 v[64:65], v[22:23], off
	global_load_b64 v[66:67], v[24:25], off
	;; [unrolled: 1-line block ×4, first 2 shown]
	v_lshlrev_b64 v[32:33], 3, v[32:33]
	v_add_co_u32 v30, vcc_lo, s0, v1
	v_add_co_ci_u32_e32 v31, vcc_lo, s1, v2, vcc_lo
	v_lshlrev_b64 v[1:2], 3, v[34:35]
	v_add_nc_u32_e32 v39, s3, v36
	v_ashrrev_i32_e32 v37, 31, v36
	v_add_co_u32 v32, vcc_lo, s0, v32
	v_add_co_ci_u32_e32 v33, vcc_lo, s1, v33, vcc_lo
	v_add_co_u32 v34, vcc_lo, s0, v1
	v_add_nc_u32_e32 v1, s3, v39
	v_lshlrev_b64 v[37:38], 3, v[36:37]
	v_ashrrev_i32_e32 v40, 31, v39
	v_add_co_ci_u32_e32 v35, vcc_lo, s1, v2, vcc_lo
	s_delay_alu instid0(VALU_DEP_4)
	v_add_nc_u32_e32 v42, s3, v1
	v_ashrrev_i32_e32 v2, 31, v1
	v_add_co_u32 v36, vcc_lo, s0, v37
	v_add_co_ci_u32_e32 v37, vcc_lo, s1, v38, vcc_lo
	v_lshlrev_b64 v[38:39], 3, v[39:40]
	v_add_nc_u32_e32 v80, s3, v42
	v_lshlrev_b64 v[1:2], 3, v[1:2]
	v_ashrrev_i32_e32 v43, 31, v42
	s_clause 0x3
	global_load_b64 v[72:73], v[30:31], off
	global_load_b64 v[74:75], v[32:33], off
	;; [unrolled: 1-line block ×4, first 2 shown]
	v_add_co_u32 v40, vcc_lo, s0, v38
	v_ashrrev_i32_e32 v81, 31, v80
	v_add_co_ci_u32_e32 v41, vcc_lo, s1, v39, vcc_lo
	v_lshlrev_b64 v[38:39], 3, v[42:43]
	v_add_co_u32 v44, vcc_lo, s0, v1
	v_add_co_ci_u32_e32 v45, vcc_lo, s1, v2, vcc_lo
	v_lshlrev_b64 v[1:2], 3, v[80:81]
	s_delay_alu instid0(VALU_DEP_4) | instskip(SKIP_1) | instid1(VALU_DEP_3)
	v_add_co_u32 v38, vcc_lo, s0, v38
	v_add_co_ci_u32_e32 v39, vcc_lo, s1, v39, vcc_lo
	v_add_co_u32 v42, vcc_lo, s0, v1
	s_delay_alu instid0(VALU_DEP_4)
	v_add_co_ci_u32_e32 v43, vcc_lo, s1, v2, vcc_lo
	s_clause 0x3
	global_load_b64 v[80:81], v[40:41], off
	global_load_b64 v[82:83], v[44:45], off
	;; [unrolled: 1-line block ×4, first 2 shown]
	s_mov_b32 s1, -1
	s_waitcnt vmcnt(19)
	scratch_store_b128 off, v[46:49], off
	s_waitcnt vmcnt(17)
	scratch_store_b128 off, v[50:53], off offset:16
	s_waitcnt vmcnt(15)
	scratch_store_b128 off, v[54:57], off offset:32
	;; [unrolled: 2-line block ×9, first 2 shown]
	s_waitcnt vmcnt(0)
	scratch_store_b64 off, v[1:2], off offset:160
	s_cbranch_scc1 .LBB20_92
; %bb.4:
	v_cmp_eq_u32_e64 s0, 0, v0
	s_delay_alu instid0(VALU_DEP_1)
	s_and_saveexec_b32 s1, s0
	s_cbranch_execz .LBB20_6
; %bb.5:
	v_mov_b32_e32 v1, 0
	ds_store_b32 v1, v1 offset:168
.LBB20_6:
	s_or_b32 exec_lo, exec_lo, s1
	s_waitcnt lgkmcnt(0)
	s_waitcnt_vscnt null, 0x0
	s_barrier
	buffer_gl0_inv
	scratch_load_b64 v[1:2], v3, off
	s_mov_b32 s2, exec_lo
	s_waitcnt vmcnt(0)
	v_cmpx_eq_f64_e32 0, v[1:2]
	s_cbranch_execz .LBB20_10
; %bb.7:
	v_mov_b32_e32 v1, 0
	s_mov_b32 s3, 0
	ds_load_b32 v2, v1 offset:168
	s_waitcnt lgkmcnt(0)
	v_readfirstlane_b32 s1, v2
	v_add_nc_u32_e32 v2, 1, v0
	s_delay_alu instid0(VALU_DEP_2) | instskip(NEXT) | instid1(VALU_DEP_1)
	s_cmp_eq_u32 s1, 0
	v_cmp_gt_i32_e32 vcc_lo, s1, v2
	s_cselect_b32 s4, -1, 0
	s_delay_alu instid0(SALU_CYCLE_1) | instskip(NEXT) | instid1(SALU_CYCLE_1)
	s_or_b32 s4, s4, vcc_lo
	s_and_b32 exec_lo, exec_lo, s4
	s_cbranch_execz .LBB20_10
; %bb.8:
	v_mov_b32_e32 v46, s1
.LBB20_9:                               ; =>This Inner Loop Header: Depth=1
	ds_cmpstore_rtn_b32 v46, v1, v2, v46 offset:168
	s_waitcnt lgkmcnt(0)
	v_cmp_ne_u32_e32 vcc_lo, 0, v46
	v_cmp_le_i32_e64 s1, v46, v2
	s_delay_alu instid0(VALU_DEP_1) | instskip(NEXT) | instid1(SALU_CYCLE_1)
	s_and_b32 s1, vcc_lo, s1
	s_and_b32 s1, exec_lo, s1
	s_delay_alu instid0(SALU_CYCLE_1) | instskip(NEXT) | instid1(SALU_CYCLE_1)
	s_or_b32 s3, s1, s3
	s_and_not1_b32 exec_lo, exec_lo, s3
	s_cbranch_execnz .LBB20_9
.LBB20_10:
	s_or_b32 exec_lo, exec_lo, s2
	v_mov_b32_e32 v1, 0
	s_barrier
	buffer_gl0_inv
	ds_load_b32 v2, v1 offset:168
	s_and_saveexec_b32 s1, s0
	s_cbranch_execz .LBB20_12
; %bb.11:
	s_lshl_b64 s[2:3], s[14:15], 2
	s_delay_alu instid0(SALU_CYCLE_1)
	s_add_u32 s2, s6, s2
	s_addc_u32 s3, s7, s3
	s_waitcnt lgkmcnt(0)
	global_store_b32 v1, v2, s[2:3]
.LBB20_12:
	s_or_b32 exec_lo, exec_lo, s1
	s_waitcnt lgkmcnt(0)
	v_cmp_ne_u32_e32 vcc_lo, 0, v2
	s_mov_b32 s1, 0
	s_cbranch_vccnz .LBB20_92
; %bb.13:
	v_add_nc_u32_e32 v46, 0, v3
	scratch_load_b64 v[1:2], v46, off
	s_waitcnt vmcnt(0)
	v_div_scale_f64 v[47:48], null, v[1:2], v[1:2], 1.0
	v_div_scale_f64 v[53:54], vcc_lo, 1.0, v[1:2], 1.0
	s_delay_alu instid0(VALU_DEP_2) | instskip(SKIP_2) | instid1(VALU_DEP_1)
	v_rcp_f64_e32 v[49:50], v[47:48]
	s_waitcnt_depctr 0xfff
	v_fma_f64 v[51:52], -v[47:48], v[49:50], 1.0
	v_fma_f64 v[49:50], v[49:50], v[51:52], v[49:50]
	s_delay_alu instid0(VALU_DEP_1) | instskip(NEXT) | instid1(VALU_DEP_1)
	v_fma_f64 v[51:52], -v[47:48], v[49:50], 1.0
	v_fma_f64 v[49:50], v[49:50], v[51:52], v[49:50]
	s_delay_alu instid0(VALU_DEP_1) | instskip(NEXT) | instid1(VALU_DEP_1)
	v_mul_f64 v[51:52], v[53:54], v[49:50]
	v_fma_f64 v[47:48], -v[47:48], v[51:52], v[53:54]
	s_delay_alu instid0(VALU_DEP_1) | instskip(NEXT) | instid1(VALU_DEP_1)
	v_div_fmas_f64 v[47:48], v[47:48], v[49:50], v[51:52]
	v_div_fixup_f64 v[1:2], v[47:48], v[1:2], 1.0
	v_add_nc_u32_e32 v47, 0xb0, v3
	scratch_store_b64 v46, v[1:2], off
	scratch_load_b64 v[48:49], off, off offset:8
	v_xor_b32_e32 v2, 0x80000000, v2
	s_waitcnt vmcnt(0)
	ds_store_2addr_b64 v3, v[1:2], v[48:49] offset1:22
	s_waitcnt lgkmcnt(0)
	s_waitcnt_vscnt null, 0x0
	s_barrier
	buffer_gl0_inv
	s_and_saveexec_b32 s1, s0
	s_cbranch_execz .LBB20_15
; %bb.14:
	scratch_load_b64 v[1:2], v46, off
	ds_load_b64 v[48:49], v47
	s_waitcnt vmcnt(0) lgkmcnt(0)
	v_fma_f64 v[1:2], v[1:2], v[48:49], 0
	v_mov_b32_e32 v48, 0
	ds_load_b64 v[48:49], v48 offset:8
	s_waitcnt lgkmcnt(0)
	v_mul_f64 v[1:2], v[1:2], v[48:49]
	scratch_store_b64 off, v[1:2], off offset:8
.LBB20_15:
	s_or_b32 exec_lo, exec_lo, s1
	s_waitcnt_vscnt null, 0x0
	s_barrier
	buffer_gl0_inv
	scratch_load_b64 v[1:2], off, off offset:16
	s_mov_b32 s1, exec_lo
	s_waitcnt vmcnt(0)
	ds_store_b64 v47, v[1:2]
	s_waitcnt lgkmcnt(0)
	s_barrier
	buffer_gl0_inv
	v_cmpx_gt_u32_e32 2, v0
	s_cbranch_execz .LBB20_19
; %bb.16:
	scratch_load_b64 v[1:2], v46, off
	ds_load_b64 v[48:49], v47
	s_waitcnt vmcnt(0) lgkmcnt(0)
	v_fma_f64 v[1:2], v[1:2], v[48:49], 0
	s_and_saveexec_b32 s2, s0
	s_cbranch_execz .LBB20_18
; %bb.17:
	scratch_load_b64 v[48:49], off, off offset:8
	v_mov_b32_e32 v50, 0
	ds_load_b64 v[50:51], v50 offset:184
	s_waitcnt vmcnt(0) lgkmcnt(0)
	v_fma_f64 v[1:2], v[48:49], v[50:51], v[1:2]
.LBB20_18:
	s_or_b32 exec_lo, exec_lo, s2
	v_mov_b32_e32 v48, 0
	ds_load_b64 v[48:49], v48 offset:16
	s_waitcnt lgkmcnt(0)
	v_mul_f64 v[1:2], v[1:2], v[48:49]
	scratch_store_b64 off, v[1:2], off offset:16
.LBB20_19:
	s_or_b32 exec_lo, exec_lo, s1
	s_waitcnt_vscnt null, 0x0
	s_barrier
	buffer_gl0_inv
	scratch_load_b64 v[1:2], off, off offset:24
	v_add_nc_u32_e32 v48, -1, v0
	s_mov_b32 s0, exec_lo
	s_waitcnt vmcnt(0)
	ds_store_b64 v47, v[1:2]
	s_waitcnt lgkmcnt(0)
	s_barrier
	buffer_gl0_inv
	v_cmpx_gt_u32_e32 3, v0
	s_cbranch_execz .LBB20_23
; %bb.20:
	v_dual_mov_b32 v1, 0 :: v_dual_add_nc_u32 v50, 0xb0, v3
	v_dual_mov_b32 v2, 0 :: v_dual_add_nc_u32 v49, -1, v0
	v_add_nc_u32_e32 v51, 0, v3
	s_mov_b32 s1, 0
.LBB20_21:                              ; =>This Inner Loop Header: Depth=1
	scratch_load_b64 v[52:53], v51, off
	ds_load_b64 v[54:55], v50
	v_add_nc_u32_e32 v49, 1, v49
	v_add_nc_u32_e32 v50, 8, v50
	v_add_nc_u32_e32 v51, 8, v51
	s_delay_alu instid0(VALU_DEP_3)
	v_cmp_lt_u32_e32 vcc_lo, 1, v49
	s_or_b32 s1, vcc_lo, s1
	s_waitcnt vmcnt(0) lgkmcnt(0)
	v_fma_f64 v[1:2], v[52:53], v[54:55], v[1:2]
	s_and_not1_b32 exec_lo, exec_lo, s1
	s_cbranch_execnz .LBB20_21
; %bb.22:
	s_or_b32 exec_lo, exec_lo, s1
	v_mov_b32_e32 v49, 0
	ds_load_b64 v[49:50], v49 offset:24
	s_waitcnt lgkmcnt(0)
	v_mul_f64 v[1:2], v[1:2], v[49:50]
	scratch_store_b64 off, v[1:2], off offset:24
.LBB20_23:
	s_or_b32 exec_lo, exec_lo, s0
	s_waitcnt_vscnt null, 0x0
	s_barrier
	buffer_gl0_inv
	scratch_load_b64 v[1:2], off, off offset:32
	s_mov_b32 s0, exec_lo
	s_waitcnt vmcnt(0)
	ds_store_b64 v47, v[1:2]
	s_waitcnt lgkmcnt(0)
	s_barrier
	buffer_gl0_inv
	v_cmpx_gt_u32_e32 4, v0
	s_cbranch_execz .LBB20_27
; %bb.24:
	v_dual_mov_b32 v1, 0 :: v_dual_add_nc_u32 v50, 0xb0, v3
	v_dual_mov_b32 v2, 0 :: v_dual_add_nc_u32 v49, -1, v0
	v_add_nc_u32_e32 v51, 0, v3
	s_mov_b32 s1, 0
.LBB20_25:                              ; =>This Inner Loop Header: Depth=1
	scratch_load_b64 v[52:53], v51, off
	ds_load_b64 v[54:55], v50
	v_add_nc_u32_e32 v49, 1, v49
	v_add_nc_u32_e32 v50, 8, v50
	v_add_nc_u32_e32 v51, 8, v51
	s_delay_alu instid0(VALU_DEP_3)
	v_cmp_lt_u32_e32 vcc_lo, 2, v49
	s_or_b32 s1, vcc_lo, s1
	s_waitcnt vmcnt(0) lgkmcnt(0)
	v_fma_f64 v[1:2], v[52:53], v[54:55], v[1:2]
	s_and_not1_b32 exec_lo, exec_lo, s1
	s_cbranch_execnz .LBB20_25
; %bb.26:
	s_or_b32 exec_lo, exec_lo, s1
	v_mov_b32_e32 v49, 0
	ds_load_b64 v[49:50], v49 offset:32
	s_waitcnt lgkmcnt(0)
	v_mul_f64 v[1:2], v[1:2], v[49:50]
	scratch_store_b64 off, v[1:2], off offset:32
.LBB20_27:
	s_or_b32 exec_lo, exec_lo, s0
	s_waitcnt_vscnt null, 0x0
	s_barrier
	buffer_gl0_inv
	scratch_load_b64 v[1:2], off, off offset:40
	;; [unrolled: 39-line block ×17, first 2 shown]
	s_mov_b32 s0, exec_lo
	s_waitcnt vmcnt(0)
	ds_store_b64 v47, v[1:2]
	s_waitcnt lgkmcnt(0)
	s_barrier
	buffer_gl0_inv
	v_cmpx_ne_u32_e32 20, v0
	s_cbranch_execz .LBB20_91
; %bb.88:
	v_mov_b32_e32 v1, 0
	v_mov_b32_e32 v2, 0
	s_mov_b32 s1, 0
.LBB20_89:                              ; =>This Inner Loop Header: Depth=1
	scratch_load_b64 v[49:50], v46, off
	ds_load_b64 v[51:52], v47
	v_add_nc_u32_e32 v48, 1, v48
	v_add_nc_u32_e32 v47, 8, v47
	;; [unrolled: 1-line block ×3, first 2 shown]
	s_delay_alu instid0(VALU_DEP_3)
	v_cmp_lt_u32_e32 vcc_lo, 18, v48
	s_or_b32 s1, vcc_lo, s1
	s_waitcnt vmcnt(0) lgkmcnt(0)
	v_fma_f64 v[1:2], v[49:50], v[51:52], v[1:2]
	s_and_not1_b32 exec_lo, exec_lo, s1
	s_cbranch_execnz .LBB20_89
; %bb.90:
	s_or_b32 exec_lo, exec_lo, s1
	v_mov_b32_e32 v3, 0
	ds_load_b64 v[46:47], v3 offset:160
	s_waitcnt lgkmcnt(0)
	v_mul_f64 v[1:2], v[1:2], v[46:47]
	scratch_store_b64 off, v[1:2], off offset:160
.LBB20_91:
	s_or_b32 exec_lo, exec_lo, s0
	s_mov_b32 s1, -1
	s_waitcnt_vscnt null, 0x0
	s_barrier
	buffer_gl0_inv
.LBB20_92:
	s_and_b32 vcc_lo, exec_lo, s1
	s_cbranch_vccz .LBB20_94
; %bb.93:
	s_lshl_b64 s[0:1], s[14:15], 2
	v_mov_b32_e32 v1, 0
	s_add_u32 s0, s6, s0
	s_addc_u32 s1, s7, s1
	global_load_b32 v1, v1, s[0:1]
	s_waitcnt vmcnt(0)
	v_cmp_ne_u32_e32 vcc_lo, 0, v1
	s_cbranch_vccz .LBB20_95
.LBB20_94:
	s_endpgm
.LBB20_95:
	v_lshl_add_u32 v3, v0, 3, 0xb0
	s_mov_b32 s0, exec_lo
	v_cmpx_eq_u32_e32 20, v0
	s_cbranch_execz .LBB20_97
; %bb.96:
	scratch_load_b64 v[1:2], off, off offset:152
	v_mov_b32_e32 v46, 0
	s_delay_alu instid0(VALU_DEP_1)
	v_mov_b32_e32 v47, v46
	scratch_store_b64 off, v[46:47], off offset:152
	s_waitcnt vmcnt(0)
	ds_store_b64 v3, v[1:2]
.LBB20_97:
	s_or_b32 exec_lo, exec_lo, s0
	s_waitcnt lgkmcnt(0)
	s_waitcnt_vscnt null, 0x0
	s_barrier
	buffer_gl0_inv
	scratch_load_b128 v[46:49], off, off offset:152
	v_mov_b32_e32 v1, 0
	s_mov_b32 s0, exec_lo
	ds_load_b64 v[50:51], v1 offset:336
	s_waitcnt vmcnt(0) lgkmcnt(0)
	v_fma_f64 v[48:49], v[48:49], v[50:51], 0
	s_delay_alu instid0(VALU_DEP_1)
	v_add_f64 v[46:47], v[46:47], -v[48:49]
	scratch_store_b64 off, v[46:47], off offset:152
	v_cmpx_lt_u32_e32 18, v0
	s_cbranch_execz .LBB20_99
; %bb.98:
	scratch_load_b64 v[46:47], off, off offset:144
	v_mov_b32_e32 v2, v1
	scratch_store_b64 off, v[1:2], off offset:144
	s_waitcnt vmcnt(0)
	ds_store_b64 v3, v[46:47]
.LBB20_99:
	s_or_b32 exec_lo, exec_lo, s0
	s_waitcnt lgkmcnt(0)
	s_waitcnt_vscnt null, 0x0
	s_barrier
	buffer_gl0_inv
	s_clause 0x1
	scratch_load_b128 v[46:49], off, off offset:144
	scratch_load_b64 v[54:55], off, off offset:160
	ds_load_2addr_b64 v[50:53], v1 offset0:41 offset1:42
	s_mov_b32 s0, exec_lo
	s_waitcnt vmcnt(1) lgkmcnt(0)
	v_fma_f64 v[1:2], v[48:49], v[50:51], 0
	s_waitcnt vmcnt(0)
	s_delay_alu instid0(VALU_DEP_1) | instskip(NEXT) | instid1(VALU_DEP_1)
	v_fma_f64 v[1:2], v[54:55], v[52:53], v[1:2]
	v_add_f64 v[1:2], v[46:47], -v[1:2]
	scratch_store_b64 off, v[1:2], off offset:144
	v_cmpx_lt_u32_e32 17, v0
	s_cbranch_execz .LBB20_101
; %bb.100:
	scratch_load_b64 v[1:2], off, off offset:136
	v_mov_b32_e32 v46, 0
	s_delay_alu instid0(VALU_DEP_1)
	v_mov_b32_e32 v47, v46
	scratch_store_b64 off, v[46:47], off offset:136
	s_waitcnt vmcnt(0)
	ds_store_b64 v3, v[1:2]
.LBB20_101:
	s_or_b32 exec_lo, exec_lo, s0
	s_waitcnt lgkmcnt(0)
	s_waitcnt_vscnt null, 0x0
	s_barrier
	buffer_gl0_inv
	s_clause 0x1
	scratch_load_b128 v[46:49], off, off offset:136
	scratch_load_b128 v[50:53], off, off offset:152
	v_mov_b32_e32 v1, 0
	ds_load_b128 v[54:57], v1 offset:320
	ds_load_b64 v[58:59], v1 offset:336
	s_mov_b32 s0, exec_lo
	s_waitcnt vmcnt(1) lgkmcnt(1)
	v_fma_f64 v[48:49], v[48:49], v[54:55], 0
	s_waitcnt vmcnt(0)
	s_delay_alu instid0(VALU_DEP_1) | instskip(SKIP_1) | instid1(VALU_DEP_1)
	v_fma_f64 v[48:49], v[50:51], v[56:57], v[48:49]
	s_waitcnt lgkmcnt(0)
	v_fma_f64 v[48:49], v[52:53], v[58:59], v[48:49]
	s_delay_alu instid0(VALU_DEP_1)
	v_add_f64 v[46:47], v[46:47], -v[48:49]
	scratch_store_b64 off, v[46:47], off offset:136
	v_cmpx_lt_u32_e32 16, v0
	s_cbranch_execz .LBB20_103
; %bb.102:
	scratch_load_b64 v[46:47], off, off offset:128
	v_mov_b32_e32 v2, v1
	scratch_store_b64 off, v[1:2], off offset:128
	s_waitcnt vmcnt(0)
	ds_store_b64 v3, v[46:47]
.LBB20_103:
	s_or_b32 exec_lo, exec_lo, s0
	s_waitcnt lgkmcnt(0)
	s_waitcnt_vscnt null, 0x0
	s_barrier
	buffer_gl0_inv
	s_clause 0x2
	scratch_load_b128 v[46:49], off, off offset:128
	scratch_load_b128 v[50:53], off, off offset:144
	scratch_load_b64 v[62:63], off, off offset:160
	ds_load_2addr_b64 v[54:57], v1 offset0:39 offset1:40
	ds_load_2addr_b64 v[58:61], v1 offset0:41 offset1:42
	s_mov_b32 s0, exec_lo
	s_waitcnt vmcnt(2) lgkmcnt(1)
	v_fma_f64 v[1:2], v[48:49], v[54:55], 0
	s_waitcnt vmcnt(1)
	s_delay_alu instid0(VALU_DEP_1) | instskip(SKIP_1) | instid1(VALU_DEP_1)
	v_fma_f64 v[1:2], v[50:51], v[56:57], v[1:2]
	s_waitcnt lgkmcnt(0)
	v_fma_f64 v[1:2], v[52:53], v[58:59], v[1:2]
	s_waitcnt vmcnt(0)
	s_delay_alu instid0(VALU_DEP_1) | instskip(NEXT) | instid1(VALU_DEP_1)
	v_fma_f64 v[1:2], v[62:63], v[60:61], v[1:2]
	v_add_f64 v[1:2], v[46:47], -v[1:2]
	scratch_store_b64 off, v[1:2], off offset:128
	v_cmpx_lt_u32_e32 15, v0
	s_cbranch_execz .LBB20_105
; %bb.104:
	scratch_load_b64 v[1:2], off, off offset:120
	v_mov_b32_e32 v46, 0
	s_delay_alu instid0(VALU_DEP_1)
	v_mov_b32_e32 v47, v46
	scratch_store_b64 off, v[46:47], off offset:120
	s_waitcnt vmcnt(0)
	ds_store_b64 v3, v[1:2]
.LBB20_105:
	s_or_b32 exec_lo, exec_lo, s0
	s_waitcnt lgkmcnt(0)
	s_waitcnt_vscnt null, 0x0
	s_barrier
	buffer_gl0_inv
	s_clause 0x2
	scratch_load_b128 v[46:49], off, off offset:120
	scratch_load_b128 v[50:53], off, off offset:136
	;; [unrolled: 1-line block ×3, first 2 shown]
	v_mov_b32_e32 v1, 0
	ds_load_b128 v[58:61], v1 offset:304
	ds_load_b128 v[62:65], v1 offset:320
	s_mov_b32 s0, exec_lo
	s_waitcnt vmcnt(2) lgkmcnt(1)
	v_fma_f64 v[48:49], v[48:49], v[58:59], 0
	s_waitcnt vmcnt(1)
	s_delay_alu instid0(VALU_DEP_1) | instskip(SKIP_4) | instid1(VALU_DEP_1)
	v_fma_f64 v[48:49], v[50:51], v[60:61], v[48:49]
	ds_load_b64 v[50:51], v1 offset:336
	s_waitcnt lgkmcnt(1)
	v_fma_f64 v[48:49], v[52:53], v[62:63], v[48:49]
	s_waitcnt vmcnt(0)
	v_fma_f64 v[48:49], v[54:55], v[64:65], v[48:49]
	s_waitcnt lgkmcnt(0)
	s_delay_alu instid0(VALU_DEP_1) | instskip(NEXT) | instid1(VALU_DEP_1)
	v_fma_f64 v[48:49], v[56:57], v[50:51], v[48:49]
	v_add_f64 v[46:47], v[46:47], -v[48:49]
	scratch_store_b64 off, v[46:47], off offset:120
	v_cmpx_lt_u32_e32 14, v0
	s_cbranch_execz .LBB20_107
; %bb.106:
	scratch_load_b64 v[46:47], off, off offset:112
	v_mov_b32_e32 v2, v1
	scratch_store_b64 off, v[1:2], off offset:112
	s_waitcnt vmcnt(0)
	ds_store_b64 v3, v[46:47]
.LBB20_107:
	s_or_b32 exec_lo, exec_lo, s0
	s_waitcnt lgkmcnt(0)
	s_waitcnt_vscnt null, 0x0
	s_barrier
	buffer_gl0_inv
	s_clause 0x3
	scratch_load_b128 v[46:49], off, off offset:112
	scratch_load_b128 v[50:53], off, off offset:128
	;; [unrolled: 1-line block ×3, first 2 shown]
	scratch_load_b64 v[66:67], off, off offset:160
	ds_load_2addr_b64 v[58:61], v1 offset0:37 offset1:38
	ds_load_2addr_b64 v[62:65], v1 offset0:39 offset1:40
	s_mov_b32 s0, exec_lo
	s_waitcnt vmcnt(3) lgkmcnt(1)
	v_fma_f64 v[48:49], v[48:49], v[58:59], 0
	s_waitcnt vmcnt(2)
	s_delay_alu instid0(VALU_DEP_1) | instskip(SKIP_1) | instid1(VALU_DEP_1)
	v_fma_f64 v[48:49], v[50:51], v[60:61], v[48:49]
	s_waitcnt lgkmcnt(0)
	v_fma_f64 v[48:49], v[52:53], v[62:63], v[48:49]
	s_waitcnt vmcnt(1)
	s_delay_alu instid0(VALU_DEP_1) | instskip(SKIP_4) | instid1(VALU_DEP_1)
	v_fma_f64 v[52:53], v[54:55], v[64:65], v[48:49]
	ds_load_2addr_b64 v[48:51], v1 offset0:41 offset1:42
	s_waitcnt lgkmcnt(0)
	v_fma_f64 v[1:2], v[56:57], v[48:49], v[52:53]
	s_waitcnt vmcnt(0)
	v_fma_f64 v[1:2], v[66:67], v[50:51], v[1:2]
	s_delay_alu instid0(VALU_DEP_1)
	v_add_f64 v[1:2], v[46:47], -v[1:2]
	scratch_store_b64 off, v[1:2], off offset:112
	v_cmpx_lt_u32_e32 13, v0
	s_cbranch_execz .LBB20_109
; %bb.108:
	scratch_load_b64 v[1:2], off, off offset:104
	v_mov_b32_e32 v46, 0
	s_delay_alu instid0(VALU_DEP_1)
	v_mov_b32_e32 v47, v46
	scratch_store_b64 off, v[46:47], off offset:104
	s_waitcnt vmcnt(0)
	ds_store_b64 v3, v[1:2]
.LBB20_109:
	s_or_b32 exec_lo, exec_lo, s0
	s_waitcnt lgkmcnt(0)
	s_waitcnt_vscnt null, 0x0
	s_barrier
	buffer_gl0_inv
	s_clause 0x3
	scratch_load_b128 v[46:49], off, off offset:104
	scratch_load_b128 v[50:53], off, off offset:120
	;; [unrolled: 1-line block ×4, first 2 shown]
	v_mov_b32_e32 v1, 0
	ds_load_b128 v[62:65], v1 offset:288
	ds_load_b128 v[66:69], v1 offset:304
	s_mov_b32 s0, exec_lo
	s_waitcnt vmcnt(3) lgkmcnt(1)
	v_fma_f64 v[48:49], v[48:49], v[62:63], 0
	s_waitcnt vmcnt(2)
	s_delay_alu instid0(VALU_DEP_1) | instskip(SKIP_1) | instid1(VALU_DEP_1)
	v_fma_f64 v[48:49], v[50:51], v[64:65], v[48:49]
	s_waitcnt lgkmcnt(0)
	v_fma_f64 v[48:49], v[52:53], v[66:67], v[48:49]
	s_waitcnt vmcnt(1)
	s_delay_alu instid0(VALU_DEP_1)
	v_fma_f64 v[52:53], v[54:55], v[68:69], v[48:49]
	ds_load_b128 v[48:51], v1 offset:320
	ds_load_b64 v[54:55], v1 offset:336
	s_waitcnt lgkmcnt(1)
	v_fma_f64 v[48:49], v[56:57], v[48:49], v[52:53]
	s_waitcnt vmcnt(0)
	s_delay_alu instid0(VALU_DEP_1) | instskip(SKIP_1) | instid1(VALU_DEP_1)
	v_fma_f64 v[48:49], v[58:59], v[50:51], v[48:49]
	s_waitcnt lgkmcnt(0)
	v_fma_f64 v[48:49], v[60:61], v[54:55], v[48:49]
	s_delay_alu instid0(VALU_DEP_1)
	v_add_f64 v[46:47], v[46:47], -v[48:49]
	scratch_store_b64 off, v[46:47], off offset:104
	v_cmpx_lt_u32_e32 12, v0
	s_cbranch_execz .LBB20_111
; %bb.110:
	scratch_load_b64 v[46:47], off, off offset:96
	v_mov_b32_e32 v2, v1
	scratch_store_b64 off, v[1:2], off offset:96
	s_waitcnt vmcnt(0)
	ds_store_b64 v3, v[46:47]
.LBB20_111:
	s_or_b32 exec_lo, exec_lo, s0
	s_waitcnt lgkmcnt(0)
	s_waitcnt_vscnt null, 0x0
	s_barrier
	buffer_gl0_inv
	s_clause 0x4
	scratch_load_b128 v[46:49], off, off offset:96
	scratch_load_b128 v[50:53], off, off offset:112
	;; [unrolled: 1-line block ×4, first 2 shown]
	scratch_load_b64 v[70:71], off, off offset:160
	ds_load_2addr_b64 v[62:65], v1 offset0:35 offset1:36
	ds_load_2addr_b64 v[66:69], v1 offset0:37 offset1:38
	s_mov_b32 s0, exec_lo
	s_waitcnt vmcnt(4) lgkmcnt(1)
	v_fma_f64 v[48:49], v[48:49], v[62:63], 0
	s_waitcnt vmcnt(3)
	s_delay_alu instid0(VALU_DEP_1) | instskip(SKIP_1) | instid1(VALU_DEP_1)
	v_fma_f64 v[48:49], v[50:51], v[64:65], v[48:49]
	s_waitcnt lgkmcnt(0)
	v_fma_f64 v[48:49], v[52:53], v[66:67], v[48:49]
	s_waitcnt vmcnt(2)
	s_delay_alu instid0(VALU_DEP_1)
	v_fma_f64 v[62:63], v[54:55], v[68:69], v[48:49]
	ds_load_2addr_b64 v[48:51], v1 offset0:39 offset1:40
	ds_load_2addr_b64 v[52:55], v1 offset0:41 offset1:42
	s_waitcnt lgkmcnt(1)
	v_fma_f64 v[1:2], v[56:57], v[48:49], v[62:63]
	s_waitcnt vmcnt(1)
	s_delay_alu instid0(VALU_DEP_1) | instskip(SKIP_1) | instid1(VALU_DEP_1)
	v_fma_f64 v[1:2], v[58:59], v[50:51], v[1:2]
	s_waitcnt lgkmcnt(0)
	v_fma_f64 v[1:2], v[60:61], v[52:53], v[1:2]
	s_waitcnt vmcnt(0)
	s_delay_alu instid0(VALU_DEP_1) | instskip(NEXT) | instid1(VALU_DEP_1)
	v_fma_f64 v[1:2], v[70:71], v[54:55], v[1:2]
	v_add_f64 v[1:2], v[46:47], -v[1:2]
	scratch_store_b64 off, v[1:2], off offset:96
	v_cmpx_lt_u32_e32 11, v0
	s_cbranch_execz .LBB20_113
; %bb.112:
	scratch_load_b64 v[1:2], off, off offset:88
	v_mov_b32_e32 v46, 0
	s_delay_alu instid0(VALU_DEP_1)
	v_mov_b32_e32 v47, v46
	scratch_store_b64 off, v[46:47], off offset:88
	s_waitcnt vmcnt(0)
	ds_store_b64 v3, v[1:2]
.LBB20_113:
	s_or_b32 exec_lo, exec_lo, s0
	s_waitcnt lgkmcnt(0)
	s_waitcnt_vscnt null, 0x0
	s_barrier
	buffer_gl0_inv
	s_clause 0x4
	scratch_load_b128 v[46:49], off, off offset:88
	scratch_load_b128 v[50:53], off, off offset:104
	;; [unrolled: 1-line block ×5, first 2 shown]
	v_mov_b32_e32 v1, 0
	ds_load_b128 v[66:69], v1 offset:272
	ds_load_b128 v[70:73], v1 offset:288
	s_mov_b32 s0, exec_lo
	s_waitcnt vmcnt(4) lgkmcnt(1)
	v_fma_f64 v[48:49], v[48:49], v[66:67], 0
	s_waitcnt vmcnt(3)
	s_delay_alu instid0(VALU_DEP_1) | instskip(SKIP_1) | instid1(VALU_DEP_1)
	v_fma_f64 v[48:49], v[50:51], v[68:69], v[48:49]
	s_waitcnt lgkmcnt(0)
	v_fma_f64 v[48:49], v[52:53], v[70:71], v[48:49]
	s_waitcnt vmcnt(2)
	s_delay_alu instid0(VALU_DEP_1)
	v_fma_f64 v[66:67], v[54:55], v[72:73], v[48:49]
	ds_load_b128 v[48:51], v1 offset:304
	ds_load_b128 v[52:55], v1 offset:320
	s_waitcnt lgkmcnt(1)
	v_fma_f64 v[48:49], v[56:57], v[48:49], v[66:67]
	s_waitcnt vmcnt(1)
	s_delay_alu instid0(VALU_DEP_1) | instskip(SKIP_4) | instid1(VALU_DEP_1)
	v_fma_f64 v[48:49], v[58:59], v[50:51], v[48:49]
	ds_load_b64 v[50:51], v1 offset:336
	s_waitcnt lgkmcnt(1)
	v_fma_f64 v[48:49], v[60:61], v[52:53], v[48:49]
	s_waitcnt vmcnt(0)
	v_fma_f64 v[48:49], v[62:63], v[54:55], v[48:49]
	s_waitcnt lgkmcnt(0)
	s_delay_alu instid0(VALU_DEP_1) | instskip(NEXT) | instid1(VALU_DEP_1)
	v_fma_f64 v[48:49], v[64:65], v[50:51], v[48:49]
	v_add_f64 v[46:47], v[46:47], -v[48:49]
	scratch_store_b64 off, v[46:47], off offset:88
	v_cmpx_lt_u32_e32 10, v0
	s_cbranch_execz .LBB20_115
; %bb.114:
	scratch_load_b64 v[46:47], off, off offset:80
	v_mov_b32_e32 v2, v1
	scratch_store_b64 off, v[1:2], off offset:80
	s_waitcnt vmcnt(0)
	ds_store_b64 v3, v[46:47]
.LBB20_115:
	s_or_b32 exec_lo, exec_lo, s0
	s_waitcnt lgkmcnt(0)
	s_waitcnt_vscnt null, 0x0
	s_barrier
	buffer_gl0_inv
	s_clause 0x4
	scratch_load_b128 v[46:49], off, off offset:80
	scratch_load_b128 v[50:53], off, off offset:96
	;; [unrolled: 1-line block ×5, first 2 shown]
	ds_load_2addr_b64 v[66:69], v1 offset0:33 offset1:34
	ds_load_2addr_b64 v[70:73], v1 offset0:35 offset1:36
	s_mov_b32 s0, exec_lo
	s_waitcnt vmcnt(4) lgkmcnt(1)
	v_fma_f64 v[48:49], v[48:49], v[66:67], 0
	scratch_load_b64 v[66:67], off, off offset:160
	s_waitcnt vmcnt(4)
	v_fma_f64 v[48:49], v[50:51], v[68:69], v[48:49]
	s_waitcnt lgkmcnt(0)
	s_delay_alu instid0(VALU_DEP_1) | instskip(SKIP_1) | instid1(VALU_DEP_1)
	v_fma_f64 v[48:49], v[52:53], v[70:71], v[48:49]
	s_waitcnt vmcnt(3)
	v_fma_f64 v[68:69], v[54:55], v[72:73], v[48:49]
	ds_load_2addr_b64 v[48:51], v1 offset0:37 offset1:38
	ds_load_2addr_b64 v[52:55], v1 offset0:39 offset1:40
	s_waitcnt lgkmcnt(1)
	v_fma_f64 v[48:49], v[56:57], v[48:49], v[68:69]
	s_waitcnt vmcnt(2)
	s_delay_alu instid0(VALU_DEP_1) | instskip(SKIP_1) | instid1(VALU_DEP_1)
	v_fma_f64 v[48:49], v[58:59], v[50:51], v[48:49]
	s_waitcnt lgkmcnt(0)
	v_fma_f64 v[48:49], v[60:61], v[52:53], v[48:49]
	s_waitcnt vmcnt(1)
	s_delay_alu instid0(VALU_DEP_1) | instskip(SKIP_4) | instid1(VALU_DEP_1)
	v_fma_f64 v[52:53], v[62:63], v[54:55], v[48:49]
	ds_load_2addr_b64 v[48:51], v1 offset0:41 offset1:42
	s_waitcnt lgkmcnt(0)
	v_fma_f64 v[1:2], v[64:65], v[48:49], v[52:53]
	s_waitcnt vmcnt(0)
	v_fma_f64 v[1:2], v[66:67], v[50:51], v[1:2]
	s_delay_alu instid0(VALU_DEP_1)
	v_add_f64 v[1:2], v[46:47], -v[1:2]
	scratch_store_b64 off, v[1:2], off offset:80
	v_cmpx_lt_u32_e32 9, v0
	s_cbranch_execz .LBB20_117
; %bb.116:
	scratch_load_b64 v[1:2], off, off offset:72
	v_mov_b32_e32 v46, 0
	s_delay_alu instid0(VALU_DEP_1)
	v_mov_b32_e32 v47, v46
	scratch_store_b64 off, v[46:47], off offset:72
	s_waitcnt vmcnt(0)
	ds_store_b64 v3, v[1:2]
.LBB20_117:
	s_or_b32 exec_lo, exec_lo, s0
	s_waitcnt lgkmcnt(0)
	s_waitcnt_vscnt null, 0x0
	s_barrier
	buffer_gl0_inv
	s_clause 0x4
	scratch_load_b128 v[46:49], off, off offset:72
	scratch_load_b128 v[50:53], off, off offset:88
	scratch_load_b128 v[54:57], off, off offset:104
	scratch_load_b128 v[58:61], off, off offset:120
	scratch_load_b128 v[62:65], off, off offset:136
	v_mov_b32_e32 v1, 0
	ds_load_b128 v[66:69], v1 offset:256
	ds_load_b128 v[70:73], v1 offset:272
	scratch_load_b128 v[74:77], off, off offset:152
	s_mov_b32 s0, exec_lo
	s_waitcnt vmcnt(5) lgkmcnt(1)
	v_fma_f64 v[48:49], v[48:49], v[66:67], 0
	s_waitcnt vmcnt(4)
	s_delay_alu instid0(VALU_DEP_1) | instskip(SKIP_1) | instid1(VALU_DEP_1)
	v_fma_f64 v[48:49], v[50:51], v[68:69], v[48:49]
	s_waitcnt lgkmcnt(0)
	v_fma_f64 v[48:49], v[52:53], v[70:71], v[48:49]
	s_waitcnt vmcnt(3)
	s_delay_alu instid0(VALU_DEP_1)
	v_fma_f64 v[66:67], v[54:55], v[72:73], v[48:49]
	ds_load_b128 v[48:51], v1 offset:288
	ds_load_b128 v[52:55], v1 offset:304
	s_waitcnt lgkmcnt(1)
	v_fma_f64 v[48:49], v[56:57], v[48:49], v[66:67]
	s_waitcnt vmcnt(2)
	s_delay_alu instid0(VALU_DEP_1) | instskip(SKIP_1) | instid1(VALU_DEP_1)
	v_fma_f64 v[48:49], v[58:59], v[50:51], v[48:49]
	s_waitcnt lgkmcnt(0)
	v_fma_f64 v[48:49], v[60:61], v[52:53], v[48:49]
	s_waitcnt vmcnt(1)
	s_delay_alu instid0(VALU_DEP_1)
	v_fma_f64 v[52:53], v[62:63], v[54:55], v[48:49]
	ds_load_b128 v[48:51], v1 offset:320
	ds_load_b64 v[54:55], v1 offset:336
	s_waitcnt lgkmcnt(1)
	v_fma_f64 v[48:49], v[64:65], v[48:49], v[52:53]
	s_waitcnt vmcnt(0)
	s_delay_alu instid0(VALU_DEP_1) | instskip(SKIP_1) | instid1(VALU_DEP_1)
	v_fma_f64 v[48:49], v[74:75], v[50:51], v[48:49]
	s_waitcnt lgkmcnt(0)
	v_fma_f64 v[48:49], v[76:77], v[54:55], v[48:49]
	s_delay_alu instid0(VALU_DEP_1)
	v_add_f64 v[46:47], v[46:47], -v[48:49]
	scratch_store_b64 off, v[46:47], off offset:72
	v_cmpx_lt_u32_e32 8, v0
	s_cbranch_execz .LBB20_119
; %bb.118:
	scratch_load_b64 v[46:47], off, off offset:64
	v_mov_b32_e32 v2, v1
	scratch_store_b64 off, v[1:2], off offset:64
	s_waitcnt vmcnt(0)
	ds_store_b64 v3, v[46:47]
.LBB20_119:
	s_or_b32 exec_lo, exec_lo, s0
	s_waitcnt lgkmcnt(0)
	s_waitcnt_vscnt null, 0x0
	s_barrier
	buffer_gl0_inv
	s_clause 0x4
	scratch_load_b128 v[46:49], off, off offset:64
	scratch_load_b128 v[50:53], off, off offset:80
	;; [unrolled: 1-line block ×5, first 2 shown]
	ds_load_2addr_b64 v[66:69], v1 offset0:31 offset1:32
	ds_load_2addr_b64 v[70:73], v1 offset0:33 offset1:34
	scratch_load_b128 v[74:77], off, off offset:144
	s_mov_b32 s0, exec_lo
	s_waitcnt vmcnt(5) lgkmcnt(1)
	v_fma_f64 v[48:49], v[48:49], v[66:67], 0
	scratch_load_b64 v[66:67], off, off offset:160
	s_waitcnt vmcnt(5)
	v_fma_f64 v[48:49], v[50:51], v[68:69], v[48:49]
	s_waitcnt lgkmcnt(0)
	s_delay_alu instid0(VALU_DEP_1) | instskip(SKIP_1) | instid1(VALU_DEP_1)
	v_fma_f64 v[48:49], v[52:53], v[70:71], v[48:49]
	s_waitcnt vmcnt(4)
	v_fma_f64 v[68:69], v[54:55], v[72:73], v[48:49]
	ds_load_2addr_b64 v[48:51], v1 offset0:35 offset1:36
	ds_load_2addr_b64 v[52:55], v1 offset0:37 offset1:38
	s_waitcnt lgkmcnt(1)
	v_fma_f64 v[48:49], v[56:57], v[48:49], v[68:69]
	s_waitcnt vmcnt(3)
	s_delay_alu instid0(VALU_DEP_1) | instskip(SKIP_1) | instid1(VALU_DEP_1)
	v_fma_f64 v[48:49], v[58:59], v[50:51], v[48:49]
	s_waitcnt lgkmcnt(0)
	v_fma_f64 v[48:49], v[60:61], v[52:53], v[48:49]
	s_waitcnt vmcnt(2)
	s_delay_alu instid0(VALU_DEP_1)
	v_fma_f64 v[56:57], v[62:63], v[54:55], v[48:49]
	ds_load_2addr_b64 v[48:51], v1 offset0:39 offset1:40
	ds_load_2addr_b64 v[52:55], v1 offset0:41 offset1:42
	s_waitcnt lgkmcnt(1)
	v_fma_f64 v[1:2], v[64:65], v[48:49], v[56:57]
	s_waitcnt vmcnt(1)
	s_delay_alu instid0(VALU_DEP_1) | instskip(SKIP_1) | instid1(VALU_DEP_1)
	v_fma_f64 v[1:2], v[74:75], v[50:51], v[1:2]
	s_waitcnt lgkmcnt(0)
	v_fma_f64 v[1:2], v[76:77], v[52:53], v[1:2]
	s_waitcnt vmcnt(0)
	s_delay_alu instid0(VALU_DEP_1) | instskip(NEXT) | instid1(VALU_DEP_1)
	v_fma_f64 v[1:2], v[66:67], v[54:55], v[1:2]
	v_add_f64 v[1:2], v[46:47], -v[1:2]
	scratch_store_b64 off, v[1:2], off offset:64
	v_cmpx_lt_u32_e32 7, v0
	s_cbranch_execz .LBB20_121
; %bb.120:
	scratch_load_b64 v[1:2], off, off offset:56
	v_mov_b32_e32 v46, 0
	s_delay_alu instid0(VALU_DEP_1)
	v_mov_b32_e32 v47, v46
	scratch_store_b64 off, v[46:47], off offset:56
	s_waitcnt vmcnt(0)
	ds_store_b64 v3, v[1:2]
.LBB20_121:
	s_or_b32 exec_lo, exec_lo, s0
	s_waitcnt lgkmcnt(0)
	s_waitcnt_vscnt null, 0x0
	s_barrier
	buffer_gl0_inv
	s_clause 0x4
	scratch_load_b128 v[46:49], off, off offset:56
	scratch_load_b128 v[50:53], off, off offset:72
	;; [unrolled: 1-line block ×5, first 2 shown]
	v_mov_b32_e32 v1, 0
	ds_load_b128 v[66:69], v1 offset:240
	ds_load_b128 v[70:73], v1 offset:256
	scratch_load_b128 v[74:77], off, off offset:136
	s_mov_b32 s0, exec_lo
	s_waitcnt vmcnt(5) lgkmcnt(1)
	v_fma_f64 v[48:49], v[48:49], v[66:67], 0
	s_waitcnt vmcnt(4)
	s_delay_alu instid0(VALU_DEP_1) | instskip(SKIP_1) | instid1(VALU_DEP_1)
	v_fma_f64 v[48:49], v[50:51], v[68:69], v[48:49]
	s_waitcnt lgkmcnt(0)
	v_fma_f64 v[52:53], v[52:53], v[70:71], v[48:49]
	scratch_load_b128 v[48:51], off, off offset:152
	s_waitcnt vmcnt(4)
	v_fma_f64 v[70:71], v[54:55], v[72:73], v[52:53]
	ds_load_b128 v[52:55], v1 offset:272
	ds_load_b128 v[66:69], v1 offset:288
	s_waitcnt lgkmcnt(1)
	v_fma_f64 v[52:53], v[56:57], v[52:53], v[70:71]
	s_waitcnt vmcnt(3)
	s_delay_alu instid0(VALU_DEP_1) | instskip(SKIP_1) | instid1(VALU_DEP_1)
	v_fma_f64 v[52:53], v[58:59], v[54:55], v[52:53]
	s_waitcnt lgkmcnt(0)
	v_fma_f64 v[52:53], v[60:61], v[66:67], v[52:53]
	s_waitcnt vmcnt(2)
	s_delay_alu instid0(VALU_DEP_1)
	v_fma_f64 v[60:61], v[62:63], v[68:69], v[52:53]
	ds_load_b128 v[52:55], v1 offset:304
	ds_load_b128 v[56:59], v1 offset:320
	s_waitcnt lgkmcnt(1)
	v_fma_f64 v[52:53], v[64:65], v[52:53], v[60:61]
	s_waitcnt vmcnt(1)
	s_delay_alu instid0(VALU_DEP_1) | instskip(SKIP_1) | instid1(VALU_DEP_1)
	v_fma_f64 v[52:53], v[74:75], v[54:55], v[52:53]
	s_waitcnt lgkmcnt(0)
	v_fma_f64 v[52:53], v[76:77], v[56:57], v[52:53]
	s_waitcnt vmcnt(0)
	s_delay_alu instid0(VALU_DEP_1) | instskip(SKIP_3) | instid1(VALU_DEP_1)
	v_fma_f64 v[48:49], v[48:49], v[58:59], v[52:53]
	ds_load_b64 v[52:53], v1 offset:336
	s_waitcnt lgkmcnt(0)
	v_fma_f64 v[48:49], v[50:51], v[52:53], v[48:49]
	v_add_f64 v[46:47], v[46:47], -v[48:49]
	scratch_store_b64 off, v[46:47], off offset:56
	v_cmpx_lt_u32_e32 6, v0
	s_cbranch_execz .LBB20_123
; %bb.122:
	scratch_load_b64 v[46:47], off, off offset:48
	v_mov_b32_e32 v2, v1
	scratch_store_b64 off, v[1:2], off offset:48
	s_waitcnt vmcnt(0)
	ds_store_b64 v3, v[46:47]
.LBB20_123:
	s_or_b32 exec_lo, exec_lo, s0
	s_waitcnt lgkmcnt(0)
	s_waitcnt_vscnt null, 0x0
	s_barrier
	buffer_gl0_inv
	s_clause 0x4
	scratch_load_b128 v[46:49], off, off offset:48
	scratch_load_b128 v[50:53], off, off offset:64
	;; [unrolled: 1-line block ×5, first 2 shown]
	ds_load_2addr_b64 v[66:69], v1 offset0:29 offset1:30
	ds_load_2addr_b64 v[70:73], v1 offset0:31 offset1:32
	scratch_load_b128 v[74:77], off, off offset:128
	s_mov_b32 s0, exec_lo
	s_waitcnt vmcnt(5) lgkmcnt(1)
	v_fma_f64 v[48:49], v[48:49], v[66:67], 0
	s_waitcnt vmcnt(4)
	s_delay_alu instid0(VALU_DEP_1) | instskip(SKIP_1) | instid1(VALU_DEP_1)
	v_fma_f64 v[48:49], v[50:51], v[68:69], v[48:49]
	s_waitcnt lgkmcnt(0)
	v_fma_f64 v[52:53], v[52:53], v[70:71], v[48:49]
	scratch_load_b128 v[48:51], off, off offset:144
	s_waitcnt vmcnt(4)
	v_fma_f64 v[70:71], v[54:55], v[72:73], v[52:53]
	ds_load_2addr_b64 v[52:55], v1 offset0:33 offset1:34
	ds_load_2addr_b64 v[66:69], v1 offset0:35 offset1:36
	s_waitcnt lgkmcnt(1)
	v_fma_f64 v[52:53], v[56:57], v[52:53], v[70:71]
	scratch_load_b64 v[70:71], off, off offset:160
	s_waitcnt vmcnt(4)
	v_fma_f64 v[52:53], v[58:59], v[54:55], v[52:53]
	s_waitcnt lgkmcnt(0)
	s_delay_alu instid0(VALU_DEP_1) | instskip(SKIP_1) | instid1(VALU_DEP_1)
	v_fma_f64 v[52:53], v[60:61], v[66:67], v[52:53]
	s_waitcnt vmcnt(3)
	v_fma_f64 v[60:61], v[62:63], v[68:69], v[52:53]
	ds_load_2addr_b64 v[52:55], v1 offset0:37 offset1:38
	ds_load_2addr_b64 v[56:59], v1 offset0:39 offset1:40
	s_waitcnt lgkmcnt(1)
	v_fma_f64 v[52:53], v[64:65], v[52:53], v[60:61]
	s_waitcnt vmcnt(2)
	s_delay_alu instid0(VALU_DEP_1) | instskip(SKIP_1) | instid1(VALU_DEP_1)
	v_fma_f64 v[52:53], v[74:75], v[54:55], v[52:53]
	s_waitcnt lgkmcnt(0)
	v_fma_f64 v[52:53], v[76:77], v[56:57], v[52:53]
	s_waitcnt vmcnt(1)
	s_delay_alu instid0(VALU_DEP_1) | instskip(SKIP_4) | instid1(VALU_DEP_1)
	v_fma_f64 v[48:49], v[48:49], v[58:59], v[52:53]
	ds_load_2addr_b64 v[52:55], v1 offset0:41 offset1:42
	s_waitcnt lgkmcnt(0)
	v_fma_f64 v[1:2], v[50:51], v[52:53], v[48:49]
	s_waitcnt vmcnt(0)
	v_fma_f64 v[1:2], v[70:71], v[54:55], v[1:2]
	s_delay_alu instid0(VALU_DEP_1)
	v_add_f64 v[1:2], v[46:47], -v[1:2]
	scratch_store_b64 off, v[1:2], off offset:48
	v_cmpx_lt_u32_e32 5, v0
	s_cbranch_execz .LBB20_125
; %bb.124:
	scratch_load_b64 v[1:2], off, off offset:40
	v_mov_b32_e32 v46, 0
	s_delay_alu instid0(VALU_DEP_1)
	v_mov_b32_e32 v47, v46
	scratch_store_b64 off, v[46:47], off offset:40
	s_waitcnt vmcnt(0)
	ds_store_b64 v3, v[1:2]
.LBB20_125:
	s_or_b32 exec_lo, exec_lo, s0
	s_waitcnt lgkmcnt(0)
	s_waitcnt_vscnt null, 0x0
	s_barrier
	buffer_gl0_inv
	s_clause 0x4
	scratch_load_b128 v[46:49], off, off offset:40
	scratch_load_b128 v[50:53], off, off offset:56
	scratch_load_b128 v[54:57], off, off offset:72
	scratch_load_b128 v[58:61], off, off offset:88
	scratch_load_b128 v[62:65], off, off offset:104
	v_mov_b32_e32 v1, 0
	ds_load_b128 v[66:69], v1 offset:224
	ds_load_b128 v[70:73], v1 offset:240
	scratch_load_b128 v[74:77], off, off offset:120
	s_mov_b32 s0, exec_lo
	s_waitcnt vmcnt(5) lgkmcnt(1)
	v_fma_f64 v[48:49], v[48:49], v[66:67], 0
	s_waitcnt vmcnt(4)
	s_delay_alu instid0(VALU_DEP_1) | instskip(SKIP_1) | instid1(VALU_DEP_1)
	v_fma_f64 v[48:49], v[50:51], v[68:69], v[48:49]
	s_waitcnt lgkmcnt(0)
	v_fma_f64 v[52:53], v[52:53], v[70:71], v[48:49]
	scratch_load_b128 v[48:51], off, off offset:136
	s_waitcnt vmcnt(4)
	v_fma_f64 v[70:71], v[54:55], v[72:73], v[52:53]
	ds_load_b128 v[52:55], v1 offset:256
	ds_load_b128 v[66:69], v1 offset:272
	s_waitcnt lgkmcnt(1)
	v_fma_f64 v[52:53], v[56:57], v[52:53], v[70:71]
	scratch_load_b128 v[70:73], off, off offset:152
	s_waitcnt vmcnt(4)
	v_fma_f64 v[52:53], v[58:59], v[54:55], v[52:53]
	s_waitcnt lgkmcnt(0)
	s_delay_alu instid0(VALU_DEP_1) | instskip(SKIP_1) | instid1(VALU_DEP_1)
	v_fma_f64 v[52:53], v[60:61], v[66:67], v[52:53]
	s_waitcnt vmcnt(3)
	v_fma_f64 v[60:61], v[62:63], v[68:69], v[52:53]
	ds_load_b128 v[52:55], v1 offset:288
	ds_load_b128 v[56:59], v1 offset:304
	s_waitcnt lgkmcnt(1)
	v_fma_f64 v[52:53], v[64:65], v[52:53], v[60:61]
	s_waitcnt vmcnt(2)
	s_delay_alu instid0(VALU_DEP_1) | instskip(SKIP_1) | instid1(VALU_DEP_1)
	v_fma_f64 v[52:53], v[74:75], v[54:55], v[52:53]
	s_waitcnt lgkmcnt(0)
	v_fma_f64 v[52:53], v[76:77], v[56:57], v[52:53]
	s_waitcnt vmcnt(1)
	s_delay_alu instid0(VALU_DEP_1)
	v_fma_f64 v[48:49], v[48:49], v[58:59], v[52:53]
	ds_load_b128 v[52:55], v1 offset:320
	ds_load_b64 v[56:57], v1 offset:336
	s_waitcnt lgkmcnt(1)
	v_fma_f64 v[48:49], v[50:51], v[52:53], v[48:49]
	s_waitcnt vmcnt(0)
	s_delay_alu instid0(VALU_DEP_1) | instskip(SKIP_1) | instid1(VALU_DEP_1)
	v_fma_f64 v[48:49], v[70:71], v[54:55], v[48:49]
	s_waitcnt lgkmcnt(0)
	v_fma_f64 v[48:49], v[72:73], v[56:57], v[48:49]
	s_delay_alu instid0(VALU_DEP_1)
	v_add_f64 v[46:47], v[46:47], -v[48:49]
	scratch_store_b64 off, v[46:47], off offset:40
	v_cmpx_lt_u32_e32 4, v0
	s_cbranch_execz .LBB20_127
; %bb.126:
	scratch_load_b64 v[46:47], off, off offset:32
	v_mov_b32_e32 v2, v1
	scratch_store_b64 off, v[1:2], off offset:32
	s_waitcnt vmcnt(0)
	ds_store_b64 v3, v[46:47]
.LBB20_127:
	s_or_b32 exec_lo, exec_lo, s0
	s_waitcnt lgkmcnt(0)
	s_waitcnt_vscnt null, 0x0
	s_barrier
	buffer_gl0_inv
	s_clause 0x4
	scratch_load_b128 v[46:49], off, off offset:32
	scratch_load_b128 v[50:53], off, off offset:48
	;; [unrolled: 1-line block ×5, first 2 shown]
	ds_load_2addr_b64 v[66:69], v1 offset0:27 offset1:28
	ds_load_2addr_b64 v[70:73], v1 offset0:29 offset1:30
	scratch_load_b128 v[74:77], off, off offset:112
	s_mov_b32 s0, exec_lo
	s_waitcnt vmcnt(5) lgkmcnt(1)
	v_fma_f64 v[48:49], v[48:49], v[66:67], 0
	s_waitcnt vmcnt(4)
	s_delay_alu instid0(VALU_DEP_1) | instskip(SKIP_1) | instid1(VALU_DEP_1)
	v_fma_f64 v[48:49], v[50:51], v[68:69], v[48:49]
	s_waitcnt lgkmcnt(0)
	v_fma_f64 v[52:53], v[52:53], v[70:71], v[48:49]
	scratch_load_b128 v[48:51], off, off offset:128
	s_waitcnt vmcnt(4)
	v_fma_f64 v[70:71], v[54:55], v[72:73], v[52:53]
	ds_load_2addr_b64 v[52:55], v1 offset0:31 offset1:32
	ds_load_2addr_b64 v[66:69], v1 offset0:33 offset1:34
	s_waitcnt lgkmcnt(1)
	v_fma_f64 v[52:53], v[56:57], v[52:53], v[70:71]
	scratch_load_b128 v[70:73], off, off offset:144
	s_waitcnt vmcnt(4)
	v_fma_f64 v[52:53], v[58:59], v[54:55], v[52:53]
	s_waitcnt lgkmcnt(0)
	s_delay_alu instid0(VALU_DEP_1)
	v_fma_f64 v[52:53], v[60:61], v[66:67], v[52:53]
	scratch_load_b64 v[60:61], off, off offset:160
	s_waitcnt vmcnt(4)
	v_fma_f64 v[62:63], v[62:63], v[68:69], v[52:53]
	ds_load_2addr_b64 v[52:55], v1 offset0:35 offset1:36
	ds_load_2addr_b64 v[56:59], v1 offset0:37 offset1:38
	s_waitcnt lgkmcnt(1)
	v_fma_f64 v[52:53], v[64:65], v[52:53], v[62:63]
	s_waitcnt vmcnt(3)
	s_delay_alu instid0(VALU_DEP_1) | instskip(SKIP_1) | instid1(VALU_DEP_1)
	v_fma_f64 v[52:53], v[74:75], v[54:55], v[52:53]
	s_waitcnt lgkmcnt(0)
	v_fma_f64 v[52:53], v[76:77], v[56:57], v[52:53]
	s_waitcnt vmcnt(2)
	s_delay_alu instid0(VALU_DEP_1)
	v_fma_f64 v[48:49], v[48:49], v[58:59], v[52:53]
	ds_load_2addr_b64 v[52:55], v1 offset0:39 offset1:40
	ds_load_2addr_b64 v[56:59], v1 offset0:41 offset1:42
	s_waitcnt lgkmcnt(1)
	v_fma_f64 v[1:2], v[50:51], v[52:53], v[48:49]
	s_waitcnt vmcnt(1)
	s_delay_alu instid0(VALU_DEP_1) | instskip(SKIP_1) | instid1(VALU_DEP_1)
	v_fma_f64 v[1:2], v[70:71], v[54:55], v[1:2]
	s_waitcnt lgkmcnt(0)
	v_fma_f64 v[1:2], v[72:73], v[56:57], v[1:2]
	s_waitcnt vmcnt(0)
	s_delay_alu instid0(VALU_DEP_1) | instskip(NEXT) | instid1(VALU_DEP_1)
	v_fma_f64 v[1:2], v[60:61], v[58:59], v[1:2]
	v_add_f64 v[1:2], v[46:47], -v[1:2]
	scratch_store_b64 off, v[1:2], off offset:32
	v_cmpx_lt_u32_e32 3, v0
	s_cbranch_execz .LBB20_129
; %bb.128:
	scratch_load_b64 v[1:2], off, off offset:24
	v_mov_b32_e32 v46, 0
	s_delay_alu instid0(VALU_DEP_1)
	v_mov_b32_e32 v47, v46
	scratch_store_b64 off, v[46:47], off offset:24
	s_waitcnt vmcnt(0)
	ds_store_b64 v3, v[1:2]
.LBB20_129:
	s_or_b32 exec_lo, exec_lo, s0
	s_waitcnt lgkmcnt(0)
	s_waitcnt_vscnt null, 0x0
	s_barrier
	buffer_gl0_inv
	s_clause 0x4
	scratch_load_b128 v[46:49], off, off offset:24
	scratch_load_b128 v[50:53], off, off offset:40
	;; [unrolled: 1-line block ×5, first 2 shown]
	v_mov_b32_e32 v1, 0
	ds_load_b128 v[66:69], v1 offset:208
	ds_load_b128 v[70:73], v1 offset:224
	scratch_load_b128 v[74:77], off, off offset:104
	s_mov_b32 s0, exec_lo
	s_waitcnt vmcnt(5) lgkmcnt(1)
	v_fma_f64 v[48:49], v[48:49], v[66:67], 0
	s_waitcnt vmcnt(4)
	s_delay_alu instid0(VALU_DEP_1) | instskip(SKIP_1) | instid1(VALU_DEP_1)
	v_fma_f64 v[48:49], v[50:51], v[68:69], v[48:49]
	s_waitcnt lgkmcnt(0)
	v_fma_f64 v[52:53], v[52:53], v[70:71], v[48:49]
	scratch_load_b128 v[48:51], off, off offset:120
	s_waitcnt vmcnt(4)
	v_fma_f64 v[70:71], v[54:55], v[72:73], v[52:53]
	ds_load_b128 v[52:55], v1 offset:240
	ds_load_b128 v[66:69], v1 offset:256
	s_waitcnt lgkmcnt(1)
	v_fma_f64 v[52:53], v[56:57], v[52:53], v[70:71]
	scratch_load_b128 v[70:73], off, off offset:136
	s_waitcnt vmcnt(4)
	v_fma_f64 v[52:53], v[58:59], v[54:55], v[52:53]
	s_waitcnt lgkmcnt(0)
	s_delay_alu instid0(VALU_DEP_1)
	v_fma_f64 v[56:57], v[60:61], v[66:67], v[52:53]
	scratch_load_b128 v[52:55], off, off offset:152
	s_waitcnt vmcnt(4)
	v_fma_f64 v[66:67], v[62:63], v[68:69], v[56:57]
	ds_load_b128 v[56:59], v1 offset:272
	ds_load_b128 v[60:63], v1 offset:288
	s_waitcnt lgkmcnt(1)
	v_fma_f64 v[56:57], v[64:65], v[56:57], v[66:67]
	s_waitcnt vmcnt(3)
	s_delay_alu instid0(VALU_DEP_1) | instskip(SKIP_1) | instid1(VALU_DEP_1)
	v_fma_f64 v[56:57], v[74:75], v[58:59], v[56:57]
	s_waitcnt lgkmcnt(0)
	v_fma_f64 v[56:57], v[76:77], v[60:61], v[56:57]
	s_waitcnt vmcnt(2)
	s_delay_alu instid0(VALU_DEP_1)
	v_fma_f64 v[48:49], v[48:49], v[62:63], v[56:57]
	ds_load_b128 v[56:59], v1 offset:304
	ds_load_b128 v[60:63], v1 offset:320
	s_waitcnt lgkmcnt(1)
	v_fma_f64 v[48:49], v[50:51], v[56:57], v[48:49]
	ds_load_b64 v[50:51], v1 offset:336
	s_waitcnt vmcnt(1)
	v_fma_f64 v[48:49], v[70:71], v[58:59], v[48:49]
	s_waitcnt lgkmcnt(1)
	s_delay_alu instid0(VALU_DEP_1) | instskip(SKIP_1) | instid1(VALU_DEP_1)
	v_fma_f64 v[48:49], v[72:73], v[60:61], v[48:49]
	s_waitcnt vmcnt(0)
	v_fma_f64 v[48:49], v[52:53], v[62:63], v[48:49]
	s_waitcnt lgkmcnt(0)
	s_delay_alu instid0(VALU_DEP_1) | instskip(NEXT) | instid1(VALU_DEP_1)
	v_fma_f64 v[48:49], v[54:55], v[50:51], v[48:49]
	v_add_f64 v[46:47], v[46:47], -v[48:49]
	scratch_store_b64 off, v[46:47], off offset:24
	v_cmpx_lt_u32_e32 2, v0
	s_cbranch_execz .LBB20_131
; %bb.130:
	scratch_load_b64 v[46:47], off, off offset:16
	v_mov_b32_e32 v2, v1
	scratch_store_b64 off, v[1:2], off offset:16
	s_waitcnt vmcnt(0)
	ds_store_b64 v3, v[46:47]
.LBB20_131:
	s_or_b32 exec_lo, exec_lo, s0
	s_waitcnt lgkmcnt(0)
	s_waitcnt_vscnt null, 0x0
	s_barrier
	buffer_gl0_inv
	s_clause 0x4
	scratch_load_b128 v[46:49], off, off offset:16
	scratch_load_b128 v[50:53], off, off offset:32
	;; [unrolled: 1-line block ×5, first 2 shown]
	ds_load_2addr_b64 v[66:69], v1 offset0:25 offset1:26
	ds_load_2addr_b64 v[70:73], v1 offset0:27 offset1:28
	scratch_load_b128 v[74:77], off, off offset:96
	s_mov_b32 s0, exec_lo
	s_waitcnt vmcnt(5) lgkmcnt(1)
	v_fma_f64 v[48:49], v[48:49], v[66:67], 0
	s_waitcnt vmcnt(4)
	s_delay_alu instid0(VALU_DEP_1) | instskip(SKIP_1) | instid1(VALU_DEP_1)
	v_fma_f64 v[48:49], v[50:51], v[68:69], v[48:49]
	s_waitcnt lgkmcnt(0)
	v_fma_f64 v[52:53], v[52:53], v[70:71], v[48:49]
	scratch_load_b128 v[48:51], off, off offset:112
	s_waitcnt vmcnt(4)
	v_fma_f64 v[70:71], v[54:55], v[72:73], v[52:53]
	ds_load_2addr_b64 v[52:55], v1 offset0:29 offset1:30
	ds_load_2addr_b64 v[66:69], v1 offset0:31 offset1:32
	s_waitcnt lgkmcnt(1)
	v_fma_f64 v[52:53], v[56:57], v[52:53], v[70:71]
	scratch_load_b128 v[70:73], off, off offset:128
	s_waitcnt vmcnt(4)
	v_fma_f64 v[52:53], v[58:59], v[54:55], v[52:53]
	s_waitcnt lgkmcnt(0)
	s_delay_alu instid0(VALU_DEP_1)
	v_fma_f64 v[56:57], v[60:61], v[66:67], v[52:53]
	scratch_load_b128 v[52:55], off, off offset:144
	s_waitcnt vmcnt(4)
	v_fma_f64 v[66:67], v[62:63], v[68:69], v[56:57]
	ds_load_2addr_b64 v[56:59], v1 offset0:33 offset1:34
	ds_load_2addr_b64 v[60:63], v1 offset0:35 offset1:36
	s_waitcnt lgkmcnt(1)
	v_fma_f64 v[56:57], v[64:65], v[56:57], v[66:67]
	scratch_load_b64 v[64:65], off, off offset:160
	s_waitcnt vmcnt(4)
	v_fma_f64 v[56:57], v[74:75], v[58:59], v[56:57]
	s_waitcnt lgkmcnt(0)
	s_delay_alu instid0(VALU_DEP_1) | instskip(SKIP_1) | instid1(VALU_DEP_1)
	v_fma_f64 v[56:57], v[76:77], v[60:61], v[56:57]
	s_waitcnt vmcnt(3)
	v_fma_f64 v[48:49], v[48:49], v[62:63], v[56:57]
	ds_load_2addr_b64 v[56:59], v1 offset0:37 offset1:38
	ds_load_2addr_b64 v[60:63], v1 offset0:39 offset1:40
	s_waitcnt lgkmcnt(1)
	v_fma_f64 v[48:49], v[50:51], v[56:57], v[48:49]
	s_waitcnt vmcnt(2)
	s_delay_alu instid0(VALU_DEP_1) | instskip(SKIP_1) | instid1(VALU_DEP_1)
	v_fma_f64 v[48:49], v[70:71], v[58:59], v[48:49]
	s_waitcnt lgkmcnt(0)
	v_fma_f64 v[48:49], v[72:73], v[60:61], v[48:49]
	s_waitcnt vmcnt(1)
	s_delay_alu instid0(VALU_DEP_1) | instskip(SKIP_4) | instid1(VALU_DEP_1)
	v_fma_f64 v[52:53], v[52:53], v[62:63], v[48:49]
	ds_load_2addr_b64 v[48:51], v1 offset0:41 offset1:42
	s_waitcnt lgkmcnt(0)
	v_fma_f64 v[1:2], v[54:55], v[48:49], v[52:53]
	s_waitcnt vmcnt(0)
	v_fma_f64 v[1:2], v[64:65], v[50:51], v[1:2]
	s_delay_alu instid0(VALU_DEP_1)
	v_add_f64 v[1:2], v[46:47], -v[1:2]
	scratch_store_b64 off, v[1:2], off offset:16
	v_cmpx_lt_u32_e32 1, v0
	s_cbranch_execz .LBB20_133
; %bb.132:
	scratch_load_b64 v[1:2], off, off offset:8
	v_mov_b32_e32 v46, 0
	s_delay_alu instid0(VALU_DEP_1)
	v_mov_b32_e32 v47, v46
	scratch_store_b64 off, v[46:47], off offset:8
	s_waitcnt vmcnt(0)
	ds_store_b64 v3, v[1:2]
.LBB20_133:
	s_or_b32 exec_lo, exec_lo, s0
	s_waitcnt lgkmcnt(0)
	s_waitcnt_vscnt null, 0x0
	s_barrier
	buffer_gl0_inv
	s_clause 0x4
	scratch_load_b128 v[47:50], off, off offset:8
	scratch_load_b128 v[51:54], off, off offset:24
	;; [unrolled: 1-line block ×5, first 2 shown]
	v_mov_b32_e32 v46, 0
	ds_load_b128 v[67:70], v46 offset:192
	ds_load_b128 v[71:74], v46 offset:208
	scratch_load_b128 v[75:78], off, off offset:88
	s_mov_b32 s0, exec_lo
	s_waitcnt vmcnt(5) lgkmcnt(1)
	v_fma_f64 v[1:2], v[49:50], v[67:68], 0
	s_waitcnt vmcnt(4)
	s_delay_alu instid0(VALU_DEP_1) | instskip(SKIP_4) | instid1(VALU_DEP_1)
	v_fma_f64 v[1:2], v[51:52], v[69:70], v[1:2]
	scratch_load_b128 v[49:52], off, off offset:104
	s_waitcnt lgkmcnt(0)
	v_fma_f64 v[1:2], v[53:54], v[71:72], v[1:2]
	s_waitcnt vmcnt(4)
	v_fma_f64 v[1:2], v[55:56], v[73:74], v[1:2]
	ds_load_b128 v[53:56], v46 offset:224
	ds_load_b128 v[67:70], v46 offset:240
	scratch_load_b128 v[71:74], off, off offset:120
	s_waitcnt lgkmcnt(1)
	v_fma_f64 v[1:2], v[57:58], v[53:54], v[1:2]
	s_waitcnt vmcnt(4)
	s_delay_alu instid0(VALU_DEP_1) | instskip(SKIP_4) | instid1(VALU_DEP_1)
	v_fma_f64 v[1:2], v[59:60], v[55:56], v[1:2]
	scratch_load_b128 v[53:56], off, off offset:136
	s_waitcnt lgkmcnt(0)
	v_fma_f64 v[1:2], v[61:62], v[67:68], v[1:2]
	s_waitcnt vmcnt(4)
	v_fma_f64 v[1:2], v[63:64], v[69:70], v[1:2]
	ds_load_b128 v[57:60], v46 offset:256
	ds_load_b128 v[61:64], v46 offset:272
	s_waitcnt lgkmcnt(1)
	v_fma_f64 v[1:2], v[65:66], v[57:58], v[1:2]
	scratch_load_b128 v[65:68], off, off offset:152
	s_waitcnt vmcnt(4)
	v_fma_f64 v[1:2], v[75:76], v[59:60], v[1:2]
	s_waitcnt lgkmcnt(0)
	s_delay_alu instid0(VALU_DEP_1) | instskip(SKIP_1) | instid1(VALU_DEP_1)
	v_fma_f64 v[1:2], v[77:78], v[61:62], v[1:2]
	s_waitcnt vmcnt(3)
	v_fma_f64 v[1:2], v[49:50], v[63:64], v[1:2]
	ds_load_b128 v[57:60], v46 offset:288
	ds_load_b128 v[61:64], v46 offset:304
	s_waitcnt lgkmcnt(1)
	v_fma_f64 v[1:2], v[51:52], v[57:58], v[1:2]
	s_waitcnt vmcnt(2)
	s_delay_alu instid0(VALU_DEP_1) | instskip(SKIP_1) | instid1(VALU_DEP_1)
	v_fma_f64 v[1:2], v[71:72], v[59:60], v[1:2]
	s_waitcnt lgkmcnt(0)
	v_fma_f64 v[1:2], v[73:74], v[61:62], v[1:2]
	s_waitcnt vmcnt(1)
	s_delay_alu instid0(VALU_DEP_1)
	v_fma_f64 v[1:2], v[53:54], v[63:64], v[1:2]
	ds_load_b128 v[49:52], v46 offset:320
	ds_load_b64 v[53:54], v46 offset:336
	s_waitcnt lgkmcnt(1)
	v_fma_f64 v[1:2], v[55:56], v[49:50], v[1:2]
	s_waitcnt vmcnt(0)
	s_delay_alu instid0(VALU_DEP_1) | instskip(SKIP_1) | instid1(VALU_DEP_1)
	v_fma_f64 v[1:2], v[65:66], v[51:52], v[1:2]
	s_waitcnt lgkmcnt(0)
	v_fma_f64 v[1:2], v[67:68], v[53:54], v[1:2]
	s_delay_alu instid0(VALU_DEP_1)
	v_add_f64 v[1:2], v[47:48], -v[1:2]
	scratch_store_b64 off, v[1:2], off offset:8
	v_cmpx_ne_u32_e32 0, v0
	s_cbranch_execz .LBB20_135
; %bb.134:
	scratch_load_b64 v[0:1], off, off
	v_mov_b32_e32 v47, v46
	scratch_store_b64 off, v[46:47], off
	s_waitcnt vmcnt(0)
	ds_store_b64 v3, v[0:1]
.LBB20_135:
	s_or_b32 exec_lo, exec_lo, s0
	s_waitcnt lgkmcnt(0)
	s_waitcnt_vscnt null, 0x0
	s_barrier
	buffer_gl0_inv
	s_clause 0x4
	scratch_load_b128 v[47:50], off, off
	scratch_load_b128 v[0:3], off, off offset:16
	scratch_load_b128 v[51:54], off, off offset:32
	scratch_load_b128 v[55:58], off, off offset:48
	scratch_load_b128 v[59:62], off, off offset:64
	ds_load_2addr_b64 v[63:66], v46 offset0:23 offset1:24
	ds_load_2addr_b64 v[67:70], v46 offset0:25 offset1:26
	scratch_load_b128 v[71:74], off, off offset:80
	s_and_b32 vcc_lo, exec_lo, s16
	s_waitcnt vmcnt(5) lgkmcnt(1)
	v_fma_f64 v[49:50], v[49:50], v[63:64], 0
	s_waitcnt vmcnt(4)
	s_delay_alu instid0(VALU_DEP_1) | instskip(SKIP_4) | instid1(VALU_DEP_1)
	v_fma_f64 v[0:1], v[0:1], v[65:66], v[49:50]
	scratch_load_b128 v[63:66], off, off offset:96
	s_waitcnt lgkmcnt(0)
	v_fma_f64 v[0:1], v[2:3], v[67:68], v[0:1]
	s_waitcnt vmcnt(4)
	v_fma_f64 v[67:68], v[51:52], v[69:70], v[0:1]
	ds_load_2addr_b64 v[0:3], v46 offset0:27 offset1:28
	ds_load_2addr_b64 v[49:52], v46 offset0:29 offset1:30
	s_waitcnt lgkmcnt(1)
	v_fma_f64 v[0:1], v[53:54], v[0:1], v[67:68]
	scratch_load_b128 v[67:70], off, off offset:112
	s_waitcnt vmcnt(4)
	v_fma_f64 v[0:1], v[55:56], v[2:3], v[0:1]
	scratch_load_b128 v[53:56], off, off offset:128
	s_waitcnt lgkmcnt(0)
	v_fma_f64 v[0:1], v[57:58], v[49:50], v[0:1]
	s_waitcnt vmcnt(4)
	s_delay_alu instid0(VALU_DEP_1)
	v_fma_f64 v[0:1], v[59:60], v[51:52], v[0:1]
	ds_load_2addr_b64 v[49:52], v46 offset0:31 offset1:32
	ds_load_2addr_b64 v[57:60], v46 offset0:33 offset1:34
	s_waitcnt lgkmcnt(1)
	v_fma_f64 v[49:50], v[61:62], v[49:50], v[0:1]
	s_clause 0x1
	scratch_load_b128 v[0:3], off, off offset:144
	scratch_load_b64 v[61:62], off, off offset:160
	s_waitcnt vmcnt(5)
	v_fma_f64 v[49:50], v[71:72], v[51:52], v[49:50]
	s_waitcnt lgkmcnt(0)
	s_delay_alu instid0(VALU_DEP_1) | instskip(SKIP_1) | instid1(VALU_DEP_1)
	v_fma_f64 v[49:50], v[73:74], v[57:58], v[49:50]
	s_waitcnt vmcnt(4)
	v_fma_f64 v[63:64], v[63:64], v[59:60], v[49:50]
	ds_load_2addr_b64 v[49:52], v46 offset0:35 offset1:36
	ds_load_2addr_b64 v[57:60], v46 offset0:37 offset1:38
	s_waitcnt lgkmcnt(1)
	v_fma_f64 v[49:50], v[65:66], v[49:50], v[63:64]
	s_waitcnt vmcnt(3)
	s_delay_alu instid0(VALU_DEP_1) | instskip(SKIP_1) | instid1(VALU_DEP_1)
	v_fma_f64 v[49:50], v[67:68], v[51:52], v[49:50]
	s_waitcnt lgkmcnt(0)
	v_fma_f64 v[49:50], v[69:70], v[57:58], v[49:50]
	s_waitcnt vmcnt(2)
	s_delay_alu instid0(VALU_DEP_1)
	v_fma_f64 v[53:54], v[53:54], v[59:60], v[49:50]
	ds_load_2addr_b64 v[49:52], v46 offset0:39 offset1:40
	ds_load_2addr_b64 v[57:60], v46 offset0:41 offset1:42
	s_waitcnt lgkmcnt(1)
	v_fma_f64 v[49:50], v[55:56], v[49:50], v[53:54]
	s_waitcnt vmcnt(1)
	s_delay_alu instid0(VALU_DEP_1) | instskip(SKIP_1) | instid1(VALU_DEP_1)
	v_fma_f64 v[0:1], v[0:1], v[51:52], v[49:50]
	s_waitcnt lgkmcnt(0)
	v_fma_f64 v[0:1], v[2:3], v[57:58], v[0:1]
	s_waitcnt vmcnt(0)
	s_delay_alu instid0(VALU_DEP_1) | instskip(NEXT) | instid1(VALU_DEP_1)
	v_fma_f64 v[0:1], v[61:62], v[59:60], v[0:1]
	v_add_f64 v[0:1], v[47:48], -v[0:1]
	scratch_store_b64 off, v[0:1], off
	s_cbranch_vccz .LBB20_177
; %bb.136:
	v_dual_mov_b32 v0, s12 :: v_dual_mov_b32 v1, s13
	s_mov_b32 s0, exec_lo
	flat_load_b32 v0, v[0:1] offset:76
	s_waitcnt vmcnt(0) lgkmcnt(0)
	v_cmpx_ne_u32_e32 20, v0
	s_cbranch_execz .LBB20_138
; %bb.137:
	v_lshl_add_u32 v46, v0, 3, 0
	scratch_load_b64 v[0:1], v46, off offset:-8
	s_waitcnt vmcnt(0)
	scratch_store_b64 off, v[0:1], off offset:152
	scratch_store_b64 v46, v[2:3], off offset:-8
.LBB20_138:
	s_or_b32 exec_lo, exec_lo, s0
	v_dual_mov_b32 v0, s12 :: v_dual_mov_b32 v1, s13
	s_mov_b32 s0, exec_lo
	flat_load_b32 v0, v[0:1] offset:72
	s_waitcnt vmcnt(0) lgkmcnt(0)
	v_cmpx_ne_u32_e32 19, v0
	s_cbranch_execz .LBB20_140
; %bb.139:
	v_lshl_add_u32 v46, v0, 3, 0
	scratch_load_b64 v[0:1], v46, off offset:-8
	scratch_load_b64 v[2:3], off, off offset:144
	s_waitcnt vmcnt(1)
	scratch_store_b64 off, v[0:1], off offset:144
	s_waitcnt vmcnt(0)
	scratch_store_b64 v46, v[2:3], off offset:-8
.LBB20_140:
	s_or_b32 exec_lo, exec_lo, s0
	v_dual_mov_b32 v0, s12 :: v_dual_mov_b32 v1, s13
	s_mov_b32 s0, exec_lo
	flat_load_b32 v0, v[0:1] offset:68
	s_waitcnt vmcnt(0) lgkmcnt(0)
	v_cmpx_ne_u32_e32 18, v0
	s_cbranch_execz .LBB20_142
; %bb.141:
	v_lshl_add_u32 v46, v0, 3, 0
	scratch_load_b64 v[0:1], v46, off offset:-8
	scratch_load_b64 v[2:3], off, off offset:136
	s_waitcnt vmcnt(1)
	scratch_store_b64 off, v[0:1], off offset:136
	s_waitcnt vmcnt(0)
	scratch_store_b64 v46, v[2:3], off offset:-8
.LBB20_142:
	;; [unrolled: 16-line block ×18, first 2 shown]
	s_or_b32 exec_lo, exec_lo, s0
	v_dual_mov_b32 v0, s12 :: v_dual_mov_b32 v1, s13
	s_mov_b32 s0, exec_lo
	flat_load_b32 v2, v[0:1]
	scratch_load_b64 v[0:1], off, off
	s_waitcnt vmcnt(1) lgkmcnt(0)
	v_cmpx_ne_u32_e32 1, v2
	s_cbranch_execz .LBB20_176
; %bb.175:
	v_lshl_add_u32 v46, v2, 3, 0
	scratch_load_b64 v[2:3], v46, off offset:-8
	s_waitcnt vmcnt(0)
	scratch_store_b64 off, v[2:3], off
	scratch_store_b64 v46, v[0:1], off offset:-8
	scratch_load_b64 v[0:1], off, off
.LBB20_176:
	s_or_b32 exec_lo, exec_lo, s0
.LBB20_177:
	s_clause 0x9
	scratch_load_b128 v[46:49], off, off offset:8
	scratch_load_b128 v[50:53], off, off offset:24
	;; [unrolled: 1-line block ×10, first 2 shown]
	s_waitcnt vmcnt(10)
	global_store_b64 v[4:5], v[0:1], off
	s_waitcnt vmcnt(9)
	s_clause 0x1
	global_store_b64 v[6:7], v[46:47], off
	global_store_b64 v[8:9], v[48:49], off
	s_waitcnt vmcnt(8)
	s_clause 0x1
	global_store_b64 v[10:11], v[50:51], off
	;; [unrolled: 4-line block ×10, first 2 shown]
	global_store_b64 v[42:43], v[84:85], off
	s_endpgm
	.section	.rodata,"a",@progbits
	.p2align	6, 0x0
	.amdhsa_kernel _ZN9rocsolver6v33100L18getri_kernel_smallILi21EdPdEEvT1_iilPiilS4_bb
		.amdhsa_group_segment_fixed_size 344
		.amdhsa_private_segment_fixed_size 176
		.amdhsa_kernarg_size 60
		.amdhsa_user_sgpr_count 15
		.amdhsa_user_sgpr_dispatch_ptr 0
		.amdhsa_user_sgpr_queue_ptr 0
		.amdhsa_user_sgpr_kernarg_segment_ptr 1
		.amdhsa_user_sgpr_dispatch_id 0
		.amdhsa_user_sgpr_private_segment_size 0
		.amdhsa_wavefront_size32 1
		.amdhsa_uses_dynamic_stack 0
		.amdhsa_enable_private_segment 1
		.amdhsa_system_sgpr_workgroup_id_x 1
		.amdhsa_system_sgpr_workgroup_id_y 0
		.amdhsa_system_sgpr_workgroup_id_z 0
		.amdhsa_system_sgpr_workgroup_info 0
		.amdhsa_system_vgpr_workitem_id 0
		.amdhsa_next_free_vgpr 86
		.amdhsa_next_free_sgpr 18
		.amdhsa_reserve_vcc 1
		.amdhsa_float_round_mode_32 0
		.amdhsa_float_round_mode_16_64 0
		.amdhsa_float_denorm_mode_32 3
		.amdhsa_float_denorm_mode_16_64 3
		.amdhsa_dx10_clamp 1
		.amdhsa_ieee_mode 1
		.amdhsa_fp16_overflow 0
		.amdhsa_workgroup_processor_mode 1
		.amdhsa_memory_ordered 1
		.amdhsa_forward_progress 0
		.amdhsa_shared_vgpr_count 0
		.amdhsa_exception_fp_ieee_invalid_op 0
		.amdhsa_exception_fp_denorm_src 0
		.amdhsa_exception_fp_ieee_div_zero 0
		.amdhsa_exception_fp_ieee_overflow 0
		.amdhsa_exception_fp_ieee_underflow 0
		.amdhsa_exception_fp_ieee_inexact 0
		.amdhsa_exception_int_div_zero 0
	.end_amdhsa_kernel
	.section	.text._ZN9rocsolver6v33100L18getri_kernel_smallILi21EdPdEEvT1_iilPiilS4_bb,"axG",@progbits,_ZN9rocsolver6v33100L18getri_kernel_smallILi21EdPdEEvT1_iilPiilS4_bb,comdat
.Lfunc_end20:
	.size	_ZN9rocsolver6v33100L18getri_kernel_smallILi21EdPdEEvT1_iilPiilS4_bb, .Lfunc_end20-_ZN9rocsolver6v33100L18getri_kernel_smallILi21EdPdEEvT1_iilPiilS4_bb
                                        ; -- End function
	.section	.AMDGPU.csdata,"",@progbits
; Kernel info:
; codeLenInByte = 13984
; NumSgprs: 20
; NumVgprs: 86
; ScratchSize: 176
; MemoryBound: 0
; FloatMode: 240
; IeeeMode: 1
; LDSByteSize: 344 bytes/workgroup (compile time only)
; SGPRBlocks: 2
; VGPRBlocks: 10
; NumSGPRsForWavesPerEU: 20
; NumVGPRsForWavesPerEU: 86
; Occupancy: 16
; WaveLimiterHint : 1
; COMPUTE_PGM_RSRC2:SCRATCH_EN: 1
; COMPUTE_PGM_RSRC2:USER_SGPR: 15
; COMPUTE_PGM_RSRC2:TRAP_HANDLER: 0
; COMPUTE_PGM_RSRC2:TGID_X_EN: 1
; COMPUTE_PGM_RSRC2:TGID_Y_EN: 0
; COMPUTE_PGM_RSRC2:TGID_Z_EN: 0
; COMPUTE_PGM_RSRC2:TIDIG_COMP_CNT: 0
	.section	.text._ZN9rocsolver6v33100L18getri_kernel_smallILi22EdPdEEvT1_iilPiilS4_bb,"axG",@progbits,_ZN9rocsolver6v33100L18getri_kernel_smallILi22EdPdEEvT1_iilPiilS4_bb,comdat
	.globl	_ZN9rocsolver6v33100L18getri_kernel_smallILi22EdPdEEvT1_iilPiilS4_bb ; -- Begin function _ZN9rocsolver6v33100L18getri_kernel_smallILi22EdPdEEvT1_iilPiilS4_bb
	.p2align	8
	.type	_ZN9rocsolver6v33100L18getri_kernel_smallILi22EdPdEEvT1_iilPiilS4_bb,@function
_ZN9rocsolver6v33100L18getri_kernel_smallILi22EdPdEEvT1_iilPiilS4_bb: ; @_ZN9rocsolver6v33100L18getri_kernel_smallILi22EdPdEEvT1_iilPiilS4_bb
; %bb.0:
	s_mov_b32 s2, exec_lo
	v_cmpx_gt_u32_e32 22, v0
	s_cbranch_execz .LBB21_98
; %bb.1:
	s_clause 0x2
	s_load_b32 s17, s[0:1], 0x38
	s_load_b128 s[8:11], s[0:1], 0x10
	s_load_b128 s[4:7], s[0:1], 0x28
	s_mov_b32 s14, s15
                                        ; implicit-def: $sgpr12_sgpr13
	s_waitcnt lgkmcnt(0)
	s_bitcmp1_b32 s17, 8
	s_cselect_b32 s16, -1, 0
	s_bfe_u32 s2, s17, 0x10008
	s_ashr_i32 s15, s15, 31
	s_cmp_eq_u32 s2, 0
	s_cbranch_scc1 .LBB21_3
; %bb.2:
	s_load_b32 s2, s[0:1], 0x20
	s_mul_i32 s3, s14, s5
	s_mul_hi_u32 s5, s14, s4
	s_mul_i32 s12, s15, s4
	s_add_i32 s3, s5, s3
	s_mul_i32 s4, s14, s4
	s_add_i32 s5, s3, s12
	s_delay_alu instid0(SALU_CYCLE_1)
	s_lshl_b64 s[4:5], s[4:5], 2
	s_waitcnt lgkmcnt(0)
	s_ashr_i32 s3, s2, 31
	s_add_u32 s4, s10, s4
	s_addc_u32 s5, s11, s5
	s_lshl_b64 s[2:3], s[2:3], 2
	s_delay_alu instid0(SALU_CYCLE_1)
	s_add_u32 s12, s4, s2
	s_addc_u32 s13, s5, s3
.LBB21_3:
	s_load_b128 s[0:3], s[0:1], 0x0
	s_mul_i32 s4, s14, s9
	s_mul_hi_u32 s5, s14, s8
	s_mul_i32 s9, s15, s8
	s_add_i32 s5, s5, s4
	s_mul_i32 s4, s14, s8
	s_add_i32 s5, s5, s9
	v_lshlrev_b32_e32 v3, 3, v0
	s_lshl_b64 s[4:5], s[4:5], 3
	s_waitcnt lgkmcnt(0)
	v_add3_u32 v1, s3, s3, v0
	s_ashr_i32 s9, s2, 31
	s_mov_b32 s8, s2
	s_add_u32 s2, s0, s4
	s_addc_u32 s5, s1, s5
	v_add_nc_u32_e32 v8, s3, v1
	s_lshl_b64 s[0:1], s[8:9], 3
	v_ashrrev_i32_e32 v2, 31, v1
	s_add_u32 s0, s2, s0
	s_addc_u32 s1, s5, s1
	v_add_nc_u32_e32 v10, s3, v8
	v_add_co_u32 v4, s2, s0, v3
	s_mov_b32 s4, s3
	s_ashr_i32 s5, s3, 31
	v_add_co_ci_u32_e64 v5, null, s1, 0, s2
	v_lshlrev_b64 v[1:2], 3, v[1:2]
	v_ashrrev_i32_e32 v9, 31, v8
	s_lshl_b64 s[4:5], s[4:5], 3
	v_add_nc_u32_e32 v14, s3, v10
	v_add_co_u32 v6, vcc_lo, v4, s4
	v_ashrrev_i32_e32 v11, 31, v10
	v_add_co_ci_u32_e32 v7, vcc_lo, s5, v5, vcc_lo
	v_lshlrev_b64 v[12:13], 3, v[8:9]
	v_add_co_u32 v8, vcc_lo, s0, v1
	v_add_nc_u32_e32 v16, s3, v14
	v_add_co_ci_u32_e32 v9, vcc_lo, s1, v2, vcc_lo
	v_lshlrev_b64 v[1:2], 3, v[10:11]
	v_add_co_u32 v10, vcc_lo, s0, v12
	v_ashrrev_i32_e32 v15, 31, v14
	v_add_nc_u32_e32 v18, s3, v16
	v_add_co_ci_u32_e32 v11, vcc_lo, s1, v13, vcc_lo
	v_add_co_u32 v12, vcc_lo, s0, v1
	v_add_co_ci_u32_e32 v13, vcc_lo, s1, v2, vcc_lo
	v_lshlrev_b64 v[1:2], 3, v[14:15]
	v_ashrrev_i32_e32 v17, 31, v16
	v_add_nc_u32_e32 v20, s3, v18
	v_ashrrev_i32_e32 v19, 31, v18
	s_clause 0x4
	global_load_b64 v[48:49], v3, s[0:1]
	global_load_b64 v[50:51], v[6:7], off
	global_load_b64 v[52:53], v[8:9], off
	;; [unrolled: 1-line block ×4, first 2 shown]
	v_lshlrev_b64 v[16:17], 3, v[16:17]
	v_add_co_u32 v14, vcc_lo, s0, v1
	v_ashrrev_i32_e32 v21, 31, v20
	v_add_co_ci_u32_e32 v15, vcc_lo, s1, v2, vcc_lo
	v_lshlrev_b64 v[1:2], 3, v[18:19]
	v_add_nc_u32_e32 v23, s3, v20
	v_add_co_u32 v16, vcc_lo, s0, v16
	v_lshlrev_b64 v[21:22], 3, v[20:21]
	v_add_co_ci_u32_e32 v17, vcc_lo, s1, v17, vcc_lo
	v_add_co_u32 v18, vcc_lo, s0, v1
	v_ashrrev_i32_e32 v24, 31, v23
	v_add_nc_u32_e32 v1, s3, v23
	v_add_co_ci_u32_e32 v19, vcc_lo, s1, v2, vcc_lo
	v_add_co_u32 v20, vcc_lo, s0, v21
	v_add_co_ci_u32_e32 v21, vcc_lo, s1, v22, vcc_lo
	v_lshlrev_b64 v[22:23], 3, v[23:24]
	v_add_nc_u32_e32 v24, s3, v1
	v_ashrrev_i32_e32 v2, 31, v1
	s_clause 0x3
	global_load_b64 v[58:59], v[14:15], off
	global_load_b64 v[60:61], v[16:17], off
	;; [unrolled: 1-line block ×4, first 2 shown]
	s_bitcmp0_b32 s17, 0
	v_add_nc_u32_e32 v26, s3, v24
	v_lshlrev_b64 v[1:2], 3, v[1:2]
	v_ashrrev_i32_e32 v25, 31, v24
	v_add_co_u32 v22, vcc_lo, s0, v22
	s_delay_alu instid0(VALU_DEP_4)
	v_add_nc_u32_e32 v30, s3, v26
	v_ashrrev_i32_e32 v27, 31, v26
	v_add_co_ci_u32_e32 v23, vcc_lo, s1, v23, vcc_lo
	v_lshlrev_b64 v[28:29], 3, v[24:25]
	v_add_co_u32 v24, vcc_lo, s0, v1
	v_add_nc_u32_e32 v32, s3, v30
	v_add_co_ci_u32_e32 v25, vcc_lo, s1, v2, vcc_lo
	v_lshlrev_b64 v[1:2], 3, v[26:27]
	v_add_co_u32 v26, vcc_lo, s0, v28
	v_ashrrev_i32_e32 v31, 31, v30
	v_add_nc_u32_e32 v34, s3, v32
	v_add_co_ci_u32_e32 v27, vcc_lo, s1, v29, vcc_lo
	v_add_co_u32 v28, vcc_lo, s0, v1
	v_add_co_ci_u32_e32 v29, vcc_lo, s1, v2, vcc_lo
	v_lshlrev_b64 v[1:2], 3, v[30:31]
	v_ashrrev_i32_e32 v33, 31, v32
	v_add_nc_u32_e32 v36, s3, v34
	v_ashrrev_i32_e32 v35, 31, v34
	s_clause 0x3
	global_load_b64 v[66:67], v[22:23], off
	global_load_b64 v[68:69], v[24:25], off
	;; [unrolled: 1-line block ×4, first 2 shown]
	v_lshlrev_b64 v[32:33], 3, v[32:33]
	v_add_co_u32 v30, vcc_lo, s0, v1
	v_ashrrev_i32_e32 v37, 31, v36
	v_add_co_ci_u32_e32 v31, vcc_lo, s1, v2, vcc_lo
	v_lshlrev_b64 v[1:2], 3, v[34:35]
	v_add_nc_u32_e32 v39, s3, v36
	v_add_co_u32 v32, vcc_lo, s0, v32
	v_lshlrev_b64 v[37:38], 3, v[36:37]
	v_add_co_ci_u32_e32 v33, vcc_lo, s1, v33, vcc_lo
	v_add_co_u32 v34, vcc_lo, s0, v1
	v_ashrrev_i32_e32 v40, 31, v39
	v_add_nc_u32_e32 v1, s3, v39
	v_add_co_ci_u32_e32 v35, vcc_lo, s1, v2, vcc_lo
	v_add_co_u32 v36, vcc_lo, s0, v37
	v_add_co_ci_u32_e32 v37, vcc_lo, s1, v38, vcc_lo
	v_lshlrev_b64 v[38:39], 3, v[39:40]
	v_add_nc_u32_e32 v40, s3, v1
	v_ashrrev_i32_e32 v2, 31, v1
	s_clause 0x3
	global_load_b64 v[74:75], v[30:31], off
	global_load_b64 v[76:77], v[32:33], off
	global_load_b64 v[78:79], v[34:35], off
	global_load_b64 v[80:81], v[36:37], off
	v_add_nc_u32_e32 v42, s3, v40
	v_lshlrev_b64 v[1:2], 3, v[1:2]
	v_ashrrev_i32_e32 v41, 31, v40
	v_add_co_u32 v38, vcc_lo, s0, v38
	s_delay_alu instid0(VALU_DEP_4)
	v_add_nc_u32_e32 v46, s3, v42
	v_ashrrev_i32_e32 v43, 31, v42
	v_add_co_ci_u32_e32 v39, vcc_lo, s1, v39, vcc_lo
	v_lshlrev_b64 v[44:45], 3, v[40:41]
	v_add_co_u32 v40, vcc_lo, s0, v1
	v_ashrrev_i32_e32 v47, 31, v46
	v_add_co_ci_u32_e32 v41, vcc_lo, s1, v2, vcc_lo
	v_lshlrev_b64 v[1:2], 3, v[42:43]
	v_add_co_u32 v42, vcc_lo, s0, v44
	s_delay_alu instid0(VALU_DEP_4) | instskip(SKIP_1) | instid1(VALU_DEP_4)
	v_lshlrev_b64 v[46:47], 3, v[46:47]
	v_add_co_ci_u32_e32 v43, vcc_lo, s1, v45, vcc_lo
	v_add_co_u32 v44, vcc_lo, s0, v1
	v_add_co_ci_u32_e32 v45, vcc_lo, s1, v2, vcc_lo
	s_delay_alu instid0(VALU_DEP_4)
	v_add_co_u32 v46, vcc_lo, s0, v46
	v_add_co_ci_u32_e32 v47, vcc_lo, s1, v47, vcc_lo
	s_clause 0x4
	global_load_b64 v[82:83], v[38:39], off
	global_load_b64 v[84:85], v[40:41], off
	;; [unrolled: 1-line block ×5, first 2 shown]
	s_mov_b32 s1, -1
	s_waitcnt vmcnt(20)
	scratch_store_b128 off, v[48:51], off
	s_waitcnt vmcnt(18)
	scratch_store_b128 off, v[52:55], off offset:16
	s_waitcnt vmcnt(16)
	scratch_store_b128 off, v[56:59], off offset:32
	;; [unrolled: 2-line block ×10, first 2 shown]
	s_cbranch_scc1 .LBB21_96
; %bb.4:
	v_cmp_eq_u32_e64 s0, 0, v0
	s_delay_alu instid0(VALU_DEP_1)
	s_and_saveexec_b32 s1, s0
	s_cbranch_execz .LBB21_6
; %bb.5:
	v_mov_b32_e32 v1, 0
	ds_store_b32 v1, v1 offset:352
.LBB21_6:
	s_or_b32 exec_lo, exec_lo, s1
	s_waitcnt lgkmcnt(0)
	s_waitcnt_vscnt null, 0x0
	s_barrier
	buffer_gl0_inv
	scratch_load_b64 v[1:2], v3, off
	s_mov_b32 s2, exec_lo
	s_waitcnt vmcnt(0)
	v_cmpx_eq_f64_e32 0, v[1:2]
	s_cbranch_execz .LBB21_10
; %bb.7:
	v_mov_b32_e32 v1, 0
	s_mov_b32 s3, 0
	ds_load_b32 v2, v1 offset:352
	s_waitcnt lgkmcnt(0)
	v_readfirstlane_b32 s1, v2
	v_add_nc_u32_e32 v2, 1, v0
	s_delay_alu instid0(VALU_DEP_2) | instskip(NEXT) | instid1(VALU_DEP_1)
	s_cmp_eq_u32 s1, 0
	v_cmp_gt_i32_e32 vcc_lo, s1, v2
	s_cselect_b32 s4, -1, 0
	s_delay_alu instid0(SALU_CYCLE_1) | instskip(NEXT) | instid1(SALU_CYCLE_1)
	s_or_b32 s4, s4, vcc_lo
	s_and_b32 exec_lo, exec_lo, s4
	s_cbranch_execz .LBB21_10
; %bb.8:
	v_mov_b32_e32 v48, s1
.LBB21_9:                               ; =>This Inner Loop Header: Depth=1
	ds_cmpstore_rtn_b32 v48, v1, v2, v48 offset:352
	s_waitcnt lgkmcnt(0)
	v_cmp_ne_u32_e32 vcc_lo, 0, v48
	v_cmp_le_i32_e64 s1, v48, v2
	s_delay_alu instid0(VALU_DEP_1) | instskip(NEXT) | instid1(SALU_CYCLE_1)
	s_and_b32 s1, vcc_lo, s1
	s_and_b32 s1, exec_lo, s1
	s_delay_alu instid0(SALU_CYCLE_1) | instskip(NEXT) | instid1(SALU_CYCLE_1)
	s_or_b32 s3, s1, s3
	s_and_not1_b32 exec_lo, exec_lo, s3
	s_cbranch_execnz .LBB21_9
.LBB21_10:
	s_or_b32 exec_lo, exec_lo, s2
	v_mov_b32_e32 v1, 0
	s_barrier
	buffer_gl0_inv
	ds_load_b32 v2, v1 offset:352
	s_and_saveexec_b32 s1, s0
	s_cbranch_execz .LBB21_12
; %bb.11:
	s_lshl_b64 s[2:3], s[14:15], 2
	s_delay_alu instid0(SALU_CYCLE_1)
	s_add_u32 s2, s6, s2
	s_addc_u32 s3, s7, s3
	s_waitcnt lgkmcnt(0)
	global_store_b32 v1, v2, s[2:3]
.LBB21_12:
	s_or_b32 exec_lo, exec_lo, s1
	s_waitcnt lgkmcnt(0)
	v_cmp_ne_u32_e32 vcc_lo, 0, v2
	s_mov_b32 s1, 0
	s_cbranch_vccnz .LBB21_96
; %bb.13:
	v_add_nc_u32_e32 v48, 0, v3
	scratch_load_b64 v[1:2], v48, off
	s_waitcnt vmcnt(0)
	v_div_scale_f64 v[49:50], null, v[1:2], v[1:2], 1.0
	v_div_scale_f64 v[55:56], vcc_lo, 1.0, v[1:2], 1.0
	s_delay_alu instid0(VALU_DEP_2) | instskip(SKIP_2) | instid1(VALU_DEP_1)
	v_rcp_f64_e32 v[51:52], v[49:50]
	s_waitcnt_depctr 0xfff
	v_fma_f64 v[53:54], -v[49:50], v[51:52], 1.0
	v_fma_f64 v[51:52], v[51:52], v[53:54], v[51:52]
	s_delay_alu instid0(VALU_DEP_1) | instskip(NEXT) | instid1(VALU_DEP_1)
	v_fma_f64 v[53:54], -v[49:50], v[51:52], 1.0
	v_fma_f64 v[51:52], v[51:52], v[53:54], v[51:52]
	s_delay_alu instid0(VALU_DEP_1) | instskip(NEXT) | instid1(VALU_DEP_1)
	v_mul_f64 v[53:54], v[55:56], v[51:52]
	v_fma_f64 v[49:50], -v[49:50], v[53:54], v[55:56]
	s_delay_alu instid0(VALU_DEP_1) | instskip(NEXT) | instid1(VALU_DEP_1)
	v_div_fmas_f64 v[49:50], v[49:50], v[51:52], v[53:54]
	v_div_fixup_f64 v[1:2], v[49:50], v[1:2], 1.0
	v_add_nc_u32_e32 v49, 0xb0, v3
	scratch_store_b64 v48, v[1:2], off
	scratch_load_b64 v[50:51], off, off offset:8
	v_xor_b32_e32 v2, 0x80000000, v2
	s_waitcnt vmcnt(0)
	ds_store_2addr_b64 v3, v[1:2], v[50:51] offset1:22
	s_waitcnt lgkmcnt(0)
	s_waitcnt_vscnt null, 0x0
	s_barrier
	buffer_gl0_inv
	s_and_saveexec_b32 s1, s0
	s_cbranch_execz .LBB21_15
; %bb.14:
	scratch_load_b64 v[1:2], v48, off
	ds_load_b64 v[50:51], v49
	s_waitcnt vmcnt(0) lgkmcnt(0)
	v_fma_f64 v[1:2], v[1:2], v[50:51], 0
	v_mov_b32_e32 v50, 0
	ds_load_b64 v[50:51], v50 offset:8
	s_waitcnt lgkmcnt(0)
	v_mul_f64 v[1:2], v[1:2], v[50:51]
	scratch_store_b64 off, v[1:2], off offset:8
.LBB21_15:
	s_or_b32 exec_lo, exec_lo, s1
	s_waitcnt_vscnt null, 0x0
	s_barrier
	buffer_gl0_inv
	scratch_load_b64 v[1:2], off, off offset:16
	s_mov_b32 s1, exec_lo
	s_waitcnt vmcnt(0)
	ds_store_b64 v49, v[1:2]
	s_waitcnt lgkmcnt(0)
	s_barrier
	buffer_gl0_inv
	v_cmpx_gt_u32_e32 2, v0
	s_cbranch_execz .LBB21_19
; %bb.16:
	scratch_load_b64 v[1:2], v48, off
	ds_load_b64 v[50:51], v49
	s_waitcnt vmcnt(0) lgkmcnt(0)
	v_fma_f64 v[1:2], v[1:2], v[50:51], 0
	s_and_saveexec_b32 s2, s0
	s_cbranch_execz .LBB21_18
; %bb.17:
	scratch_load_b64 v[50:51], off, off offset:8
	v_mov_b32_e32 v52, 0
	ds_load_b64 v[52:53], v52 offset:184
	s_waitcnt vmcnt(0) lgkmcnt(0)
	v_fma_f64 v[1:2], v[50:51], v[52:53], v[1:2]
.LBB21_18:
	s_or_b32 exec_lo, exec_lo, s2
	v_mov_b32_e32 v50, 0
	ds_load_b64 v[50:51], v50 offset:16
	s_waitcnt lgkmcnt(0)
	v_mul_f64 v[1:2], v[1:2], v[50:51]
	scratch_store_b64 off, v[1:2], off offset:16
.LBB21_19:
	s_or_b32 exec_lo, exec_lo, s1
	s_waitcnt_vscnt null, 0x0
	s_barrier
	buffer_gl0_inv
	scratch_load_b64 v[1:2], off, off offset:24
	v_add_nc_u32_e32 v50, -1, v0
	s_mov_b32 s0, exec_lo
	s_waitcnt vmcnt(0)
	ds_store_b64 v49, v[1:2]
	s_waitcnt lgkmcnt(0)
	s_barrier
	buffer_gl0_inv
	v_cmpx_gt_u32_e32 3, v0
	s_cbranch_execz .LBB21_23
; %bb.20:
	v_dual_mov_b32 v1, 0 :: v_dual_add_nc_u32 v52, 0xb0, v3
	v_dual_mov_b32 v2, 0 :: v_dual_add_nc_u32 v51, -1, v0
	v_add_nc_u32_e32 v53, 0, v3
	s_mov_b32 s1, 0
.LBB21_21:                              ; =>This Inner Loop Header: Depth=1
	scratch_load_b64 v[54:55], v53, off
	ds_load_b64 v[56:57], v52
	v_add_nc_u32_e32 v51, 1, v51
	v_add_nc_u32_e32 v52, 8, v52
	v_add_nc_u32_e32 v53, 8, v53
	s_delay_alu instid0(VALU_DEP_3)
	v_cmp_lt_u32_e32 vcc_lo, 1, v51
	s_or_b32 s1, vcc_lo, s1
	s_waitcnt vmcnt(0) lgkmcnt(0)
	v_fma_f64 v[1:2], v[54:55], v[56:57], v[1:2]
	s_and_not1_b32 exec_lo, exec_lo, s1
	s_cbranch_execnz .LBB21_21
; %bb.22:
	s_or_b32 exec_lo, exec_lo, s1
	v_mov_b32_e32 v51, 0
	ds_load_b64 v[51:52], v51 offset:24
	s_waitcnt lgkmcnt(0)
	v_mul_f64 v[1:2], v[1:2], v[51:52]
	scratch_store_b64 off, v[1:2], off offset:24
.LBB21_23:
	s_or_b32 exec_lo, exec_lo, s0
	s_waitcnt_vscnt null, 0x0
	s_barrier
	buffer_gl0_inv
	scratch_load_b64 v[1:2], off, off offset:32
	s_mov_b32 s0, exec_lo
	s_waitcnt vmcnt(0)
	ds_store_b64 v49, v[1:2]
	s_waitcnt lgkmcnt(0)
	s_barrier
	buffer_gl0_inv
	v_cmpx_gt_u32_e32 4, v0
	s_cbranch_execz .LBB21_27
; %bb.24:
	v_dual_mov_b32 v1, 0 :: v_dual_add_nc_u32 v52, 0xb0, v3
	v_dual_mov_b32 v2, 0 :: v_dual_add_nc_u32 v51, -1, v0
	v_add_nc_u32_e32 v53, 0, v3
	s_mov_b32 s1, 0
.LBB21_25:                              ; =>This Inner Loop Header: Depth=1
	scratch_load_b64 v[54:55], v53, off
	ds_load_b64 v[56:57], v52
	v_add_nc_u32_e32 v51, 1, v51
	v_add_nc_u32_e32 v52, 8, v52
	v_add_nc_u32_e32 v53, 8, v53
	s_delay_alu instid0(VALU_DEP_3)
	v_cmp_lt_u32_e32 vcc_lo, 2, v51
	s_or_b32 s1, vcc_lo, s1
	s_waitcnt vmcnt(0) lgkmcnt(0)
	v_fma_f64 v[1:2], v[54:55], v[56:57], v[1:2]
	s_and_not1_b32 exec_lo, exec_lo, s1
	s_cbranch_execnz .LBB21_25
; %bb.26:
	s_or_b32 exec_lo, exec_lo, s1
	v_mov_b32_e32 v51, 0
	ds_load_b64 v[51:52], v51 offset:32
	s_waitcnt lgkmcnt(0)
	v_mul_f64 v[1:2], v[1:2], v[51:52]
	scratch_store_b64 off, v[1:2], off offset:32
.LBB21_27:
	s_or_b32 exec_lo, exec_lo, s0
	s_waitcnt_vscnt null, 0x0
	s_barrier
	buffer_gl0_inv
	scratch_load_b64 v[1:2], off, off offset:40
	;; [unrolled: 39-line block ×18, first 2 shown]
	s_mov_b32 s0, exec_lo
	s_waitcnt vmcnt(0)
	ds_store_b64 v49, v[1:2]
	s_waitcnt lgkmcnt(0)
	s_barrier
	buffer_gl0_inv
	v_cmpx_ne_u32_e32 21, v0
	s_cbranch_execz .LBB21_95
; %bb.92:
	v_mov_b32_e32 v1, 0
	v_mov_b32_e32 v2, 0
	s_mov_b32 s1, 0
.LBB21_93:                              ; =>This Inner Loop Header: Depth=1
	scratch_load_b64 v[51:52], v48, off
	ds_load_b64 v[53:54], v49
	v_add_nc_u32_e32 v50, 1, v50
	v_add_nc_u32_e32 v49, 8, v49
	;; [unrolled: 1-line block ×3, first 2 shown]
	s_delay_alu instid0(VALU_DEP_3)
	v_cmp_lt_u32_e32 vcc_lo, 19, v50
	s_or_b32 s1, vcc_lo, s1
	s_waitcnt vmcnt(0) lgkmcnt(0)
	v_fma_f64 v[1:2], v[51:52], v[53:54], v[1:2]
	s_and_not1_b32 exec_lo, exec_lo, s1
	s_cbranch_execnz .LBB21_93
; %bb.94:
	s_or_b32 exec_lo, exec_lo, s1
	v_mov_b32_e32 v3, 0
	ds_load_b64 v[48:49], v3 offset:168
	s_waitcnt lgkmcnt(0)
	v_mul_f64 v[1:2], v[1:2], v[48:49]
	scratch_store_b64 off, v[1:2], off offset:168
.LBB21_95:
	s_or_b32 exec_lo, exec_lo, s0
	s_mov_b32 s1, -1
	s_waitcnt_vscnt null, 0x0
	s_barrier
	buffer_gl0_inv
.LBB21_96:
	s_and_b32 vcc_lo, exec_lo, s1
	s_cbranch_vccz .LBB21_98
; %bb.97:
	s_lshl_b64 s[0:1], s[14:15], 2
	v_mov_b32_e32 v1, 0
	s_add_u32 s0, s6, s0
	s_addc_u32 s1, s7, s1
	global_load_b32 v1, v1, s[0:1]
	s_waitcnt vmcnt(0)
	v_cmp_ne_u32_e32 vcc_lo, 0, v1
	s_cbranch_vccz .LBB21_99
.LBB21_98:
	s_endpgm
.LBB21_99:
	v_lshl_add_u32 v3, v0, 3, 0xb0
	s_mov_b32 s0, exec_lo
	v_cmpx_eq_u32_e32 21, v0
	s_cbranch_execz .LBB21_101
; %bb.100:
	scratch_load_b64 v[1:2], off, off offset:160
	v_mov_b32_e32 v48, 0
	s_delay_alu instid0(VALU_DEP_1)
	v_mov_b32_e32 v49, v48
	scratch_store_b64 off, v[48:49], off offset:160
	s_waitcnt vmcnt(0)
	ds_store_b64 v3, v[1:2]
.LBB21_101:
	s_or_b32 exec_lo, exec_lo, s0
	s_waitcnt lgkmcnt(0)
	s_waitcnt_vscnt null, 0x0
	s_barrier
	buffer_gl0_inv
	scratch_load_b128 v[48:51], off, off offset:160
	v_mov_b32_e32 v1, 0
	s_mov_b32 s0, exec_lo
	ds_load_b64 v[52:53], v1 offset:344
	s_waitcnt vmcnt(0) lgkmcnt(0)
	v_fma_f64 v[50:51], v[50:51], v[52:53], 0
	s_delay_alu instid0(VALU_DEP_1)
	v_add_f64 v[48:49], v[48:49], -v[50:51]
	scratch_store_b64 off, v[48:49], off offset:160
	v_cmpx_lt_u32_e32 19, v0
	s_cbranch_execz .LBB21_103
; %bb.102:
	scratch_load_b64 v[48:49], off, off offset:152
	v_mov_b32_e32 v2, v1
	scratch_store_b64 off, v[1:2], off offset:152
	s_waitcnt vmcnt(0)
	ds_store_b64 v3, v[48:49]
.LBB21_103:
	s_or_b32 exec_lo, exec_lo, s0
	s_waitcnt lgkmcnt(0)
	s_waitcnt_vscnt null, 0x0
	s_barrier
	buffer_gl0_inv
	s_clause 0x1
	scratch_load_b128 v[48:51], off, off offset:152
	scratch_load_b64 v[56:57], off, off offset:168
	ds_load_b128 v[52:55], v1 offset:336
	s_mov_b32 s0, exec_lo
	s_waitcnt vmcnt(1) lgkmcnt(0)
	v_fma_f64 v[1:2], v[50:51], v[52:53], 0
	s_waitcnt vmcnt(0)
	s_delay_alu instid0(VALU_DEP_1) | instskip(NEXT) | instid1(VALU_DEP_1)
	v_fma_f64 v[1:2], v[56:57], v[54:55], v[1:2]
	v_add_f64 v[1:2], v[48:49], -v[1:2]
	scratch_store_b64 off, v[1:2], off offset:152
	v_cmpx_lt_u32_e32 18, v0
	s_cbranch_execz .LBB21_105
; %bb.104:
	scratch_load_b64 v[1:2], off, off offset:144
	v_mov_b32_e32 v48, 0
	s_delay_alu instid0(VALU_DEP_1)
	v_mov_b32_e32 v49, v48
	scratch_store_b64 off, v[48:49], off offset:144
	s_waitcnt vmcnt(0)
	ds_store_b64 v3, v[1:2]
.LBB21_105:
	s_or_b32 exec_lo, exec_lo, s0
	s_waitcnt lgkmcnt(0)
	s_waitcnt_vscnt null, 0x0
	s_barrier
	buffer_gl0_inv
	s_clause 0x1
	scratch_load_b128 v[48:51], off, off offset:144
	scratch_load_b128 v[52:55], off, off offset:160
	v_mov_b32_e32 v1, 0
	ds_load_2addr_b64 v[56:59], v1 offset0:41 offset1:42
	ds_load_b64 v[60:61], v1 offset:344
	s_mov_b32 s0, exec_lo
	s_waitcnt vmcnt(1) lgkmcnt(1)
	v_fma_f64 v[50:51], v[50:51], v[56:57], 0
	s_waitcnt vmcnt(0)
	s_delay_alu instid0(VALU_DEP_1) | instskip(SKIP_1) | instid1(VALU_DEP_1)
	v_fma_f64 v[50:51], v[52:53], v[58:59], v[50:51]
	s_waitcnt lgkmcnt(0)
	v_fma_f64 v[50:51], v[54:55], v[60:61], v[50:51]
	s_delay_alu instid0(VALU_DEP_1)
	v_add_f64 v[48:49], v[48:49], -v[50:51]
	scratch_store_b64 off, v[48:49], off offset:144
	v_cmpx_lt_u32_e32 17, v0
	s_cbranch_execz .LBB21_107
; %bb.106:
	scratch_load_b64 v[48:49], off, off offset:136
	v_mov_b32_e32 v2, v1
	scratch_store_b64 off, v[1:2], off offset:136
	s_waitcnt vmcnt(0)
	ds_store_b64 v3, v[48:49]
.LBB21_107:
	s_or_b32 exec_lo, exec_lo, s0
	s_waitcnt lgkmcnt(0)
	s_waitcnt_vscnt null, 0x0
	s_barrier
	buffer_gl0_inv
	s_clause 0x2
	scratch_load_b128 v[48:51], off, off offset:136
	scratch_load_b128 v[52:55], off, off offset:152
	scratch_load_b64 v[64:65], off, off offset:168
	ds_load_b128 v[56:59], v1 offset:320
	ds_load_b128 v[60:63], v1 offset:336
	s_mov_b32 s0, exec_lo
	s_waitcnt vmcnt(2) lgkmcnt(1)
	v_fma_f64 v[1:2], v[50:51], v[56:57], 0
	s_waitcnt vmcnt(1)
	s_delay_alu instid0(VALU_DEP_1) | instskip(SKIP_1) | instid1(VALU_DEP_1)
	v_fma_f64 v[1:2], v[52:53], v[58:59], v[1:2]
	s_waitcnt lgkmcnt(0)
	v_fma_f64 v[1:2], v[54:55], v[60:61], v[1:2]
	s_waitcnt vmcnt(0)
	s_delay_alu instid0(VALU_DEP_1) | instskip(NEXT) | instid1(VALU_DEP_1)
	v_fma_f64 v[1:2], v[64:65], v[62:63], v[1:2]
	v_add_f64 v[1:2], v[48:49], -v[1:2]
	scratch_store_b64 off, v[1:2], off offset:136
	v_cmpx_lt_u32_e32 16, v0
	s_cbranch_execz .LBB21_109
; %bb.108:
	scratch_load_b64 v[1:2], off, off offset:128
	v_mov_b32_e32 v48, 0
	s_delay_alu instid0(VALU_DEP_1)
	v_mov_b32_e32 v49, v48
	scratch_store_b64 off, v[48:49], off offset:128
	s_waitcnt vmcnt(0)
	ds_store_b64 v3, v[1:2]
.LBB21_109:
	s_or_b32 exec_lo, exec_lo, s0
	s_waitcnt lgkmcnt(0)
	s_waitcnt_vscnt null, 0x0
	s_barrier
	buffer_gl0_inv
	s_clause 0x2
	scratch_load_b128 v[48:51], off, off offset:128
	scratch_load_b128 v[52:55], off, off offset:144
	;; [unrolled: 1-line block ×3, first 2 shown]
	v_mov_b32_e32 v1, 0
	ds_load_2addr_b64 v[60:63], v1 offset0:39 offset1:40
	ds_load_2addr_b64 v[64:67], v1 offset0:41 offset1:42
	s_mov_b32 s0, exec_lo
	s_waitcnt vmcnt(2) lgkmcnt(1)
	v_fma_f64 v[50:51], v[50:51], v[60:61], 0
	s_waitcnt vmcnt(1)
	s_delay_alu instid0(VALU_DEP_1) | instskip(SKIP_4) | instid1(VALU_DEP_1)
	v_fma_f64 v[50:51], v[52:53], v[62:63], v[50:51]
	ds_load_b64 v[52:53], v1 offset:344
	s_waitcnt lgkmcnt(1)
	v_fma_f64 v[50:51], v[54:55], v[64:65], v[50:51]
	s_waitcnt vmcnt(0)
	v_fma_f64 v[50:51], v[56:57], v[66:67], v[50:51]
	s_waitcnt lgkmcnt(0)
	s_delay_alu instid0(VALU_DEP_1) | instskip(NEXT) | instid1(VALU_DEP_1)
	v_fma_f64 v[50:51], v[58:59], v[52:53], v[50:51]
	v_add_f64 v[48:49], v[48:49], -v[50:51]
	scratch_store_b64 off, v[48:49], off offset:128
	v_cmpx_lt_u32_e32 15, v0
	s_cbranch_execz .LBB21_111
; %bb.110:
	scratch_load_b64 v[48:49], off, off offset:120
	v_mov_b32_e32 v2, v1
	scratch_store_b64 off, v[1:2], off offset:120
	s_waitcnt vmcnt(0)
	ds_store_b64 v3, v[48:49]
.LBB21_111:
	s_or_b32 exec_lo, exec_lo, s0
	s_waitcnt lgkmcnt(0)
	s_waitcnt_vscnt null, 0x0
	s_barrier
	buffer_gl0_inv
	s_clause 0x3
	scratch_load_b128 v[48:51], off, off offset:120
	scratch_load_b128 v[52:55], off, off offset:136
	;; [unrolled: 1-line block ×3, first 2 shown]
	scratch_load_b64 v[68:69], off, off offset:168
	ds_load_b128 v[60:63], v1 offset:304
	ds_load_b128 v[64:67], v1 offset:320
	s_mov_b32 s0, exec_lo
	s_waitcnt vmcnt(3) lgkmcnt(1)
	v_fma_f64 v[50:51], v[50:51], v[60:61], 0
	s_waitcnt vmcnt(2)
	s_delay_alu instid0(VALU_DEP_1) | instskip(SKIP_1) | instid1(VALU_DEP_1)
	v_fma_f64 v[50:51], v[52:53], v[62:63], v[50:51]
	s_waitcnt lgkmcnt(0)
	v_fma_f64 v[50:51], v[54:55], v[64:65], v[50:51]
	s_waitcnt vmcnt(1)
	s_delay_alu instid0(VALU_DEP_1) | instskip(SKIP_4) | instid1(VALU_DEP_1)
	v_fma_f64 v[54:55], v[56:57], v[66:67], v[50:51]
	ds_load_b128 v[50:53], v1 offset:336
	s_waitcnt lgkmcnt(0)
	v_fma_f64 v[1:2], v[58:59], v[50:51], v[54:55]
	s_waitcnt vmcnt(0)
	v_fma_f64 v[1:2], v[68:69], v[52:53], v[1:2]
	s_delay_alu instid0(VALU_DEP_1)
	v_add_f64 v[1:2], v[48:49], -v[1:2]
	scratch_store_b64 off, v[1:2], off offset:120
	v_cmpx_lt_u32_e32 14, v0
	s_cbranch_execz .LBB21_113
; %bb.112:
	scratch_load_b64 v[1:2], off, off offset:112
	v_mov_b32_e32 v48, 0
	s_delay_alu instid0(VALU_DEP_1)
	v_mov_b32_e32 v49, v48
	scratch_store_b64 off, v[48:49], off offset:112
	s_waitcnt vmcnt(0)
	ds_store_b64 v3, v[1:2]
.LBB21_113:
	s_or_b32 exec_lo, exec_lo, s0
	s_waitcnt lgkmcnt(0)
	s_waitcnt_vscnt null, 0x0
	s_barrier
	buffer_gl0_inv
	s_clause 0x3
	scratch_load_b128 v[48:51], off, off offset:112
	scratch_load_b128 v[52:55], off, off offset:128
	;; [unrolled: 1-line block ×4, first 2 shown]
	v_mov_b32_e32 v1, 0
	ds_load_2addr_b64 v[64:67], v1 offset0:37 offset1:38
	ds_load_2addr_b64 v[68:71], v1 offset0:39 offset1:40
	s_mov_b32 s0, exec_lo
	s_waitcnt vmcnt(3) lgkmcnt(1)
	v_fma_f64 v[50:51], v[50:51], v[64:65], 0
	s_waitcnt vmcnt(2)
	s_delay_alu instid0(VALU_DEP_1) | instskip(SKIP_1) | instid1(VALU_DEP_1)
	v_fma_f64 v[50:51], v[52:53], v[66:67], v[50:51]
	s_waitcnt lgkmcnt(0)
	v_fma_f64 v[50:51], v[54:55], v[68:69], v[50:51]
	s_waitcnt vmcnt(1)
	s_delay_alu instid0(VALU_DEP_1)
	v_fma_f64 v[54:55], v[56:57], v[70:71], v[50:51]
	ds_load_2addr_b64 v[50:53], v1 offset0:41 offset1:42
	ds_load_b64 v[56:57], v1 offset:344
	s_waitcnt lgkmcnt(1)
	v_fma_f64 v[50:51], v[58:59], v[50:51], v[54:55]
	s_waitcnt vmcnt(0)
	s_delay_alu instid0(VALU_DEP_1) | instskip(SKIP_1) | instid1(VALU_DEP_1)
	v_fma_f64 v[50:51], v[60:61], v[52:53], v[50:51]
	s_waitcnt lgkmcnt(0)
	v_fma_f64 v[50:51], v[62:63], v[56:57], v[50:51]
	s_delay_alu instid0(VALU_DEP_1)
	v_add_f64 v[48:49], v[48:49], -v[50:51]
	scratch_store_b64 off, v[48:49], off offset:112
	v_cmpx_lt_u32_e32 13, v0
	s_cbranch_execz .LBB21_115
; %bb.114:
	scratch_load_b64 v[48:49], off, off offset:104
	v_mov_b32_e32 v2, v1
	scratch_store_b64 off, v[1:2], off offset:104
	s_waitcnt vmcnt(0)
	ds_store_b64 v3, v[48:49]
.LBB21_115:
	s_or_b32 exec_lo, exec_lo, s0
	s_waitcnt lgkmcnt(0)
	s_waitcnt_vscnt null, 0x0
	s_barrier
	buffer_gl0_inv
	s_clause 0x4
	scratch_load_b128 v[48:51], off, off offset:104
	scratch_load_b128 v[52:55], off, off offset:120
	;; [unrolled: 1-line block ×4, first 2 shown]
	scratch_load_b64 v[72:73], off, off offset:168
	ds_load_b128 v[64:67], v1 offset:288
	ds_load_b128 v[68:71], v1 offset:304
	s_mov_b32 s0, exec_lo
	s_waitcnt vmcnt(4) lgkmcnt(1)
	v_fma_f64 v[50:51], v[50:51], v[64:65], 0
	s_waitcnt vmcnt(3)
	s_delay_alu instid0(VALU_DEP_1) | instskip(SKIP_1) | instid1(VALU_DEP_1)
	v_fma_f64 v[50:51], v[52:53], v[66:67], v[50:51]
	s_waitcnt lgkmcnt(0)
	v_fma_f64 v[50:51], v[54:55], v[68:69], v[50:51]
	s_waitcnt vmcnt(2)
	s_delay_alu instid0(VALU_DEP_1)
	v_fma_f64 v[64:65], v[56:57], v[70:71], v[50:51]
	ds_load_b128 v[50:53], v1 offset:320
	ds_load_b128 v[54:57], v1 offset:336
	s_waitcnt lgkmcnt(1)
	v_fma_f64 v[1:2], v[58:59], v[50:51], v[64:65]
	s_waitcnt vmcnt(1)
	s_delay_alu instid0(VALU_DEP_1) | instskip(SKIP_1) | instid1(VALU_DEP_1)
	v_fma_f64 v[1:2], v[60:61], v[52:53], v[1:2]
	s_waitcnt lgkmcnt(0)
	v_fma_f64 v[1:2], v[62:63], v[54:55], v[1:2]
	s_waitcnt vmcnt(0)
	s_delay_alu instid0(VALU_DEP_1) | instskip(NEXT) | instid1(VALU_DEP_1)
	v_fma_f64 v[1:2], v[72:73], v[56:57], v[1:2]
	v_add_f64 v[1:2], v[48:49], -v[1:2]
	scratch_store_b64 off, v[1:2], off offset:104
	v_cmpx_lt_u32_e32 12, v0
	s_cbranch_execz .LBB21_117
; %bb.116:
	scratch_load_b64 v[1:2], off, off offset:96
	v_mov_b32_e32 v48, 0
	s_delay_alu instid0(VALU_DEP_1)
	v_mov_b32_e32 v49, v48
	scratch_store_b64 off, v[48:49], off offset:96
	s_waitcnt vmcnt(0)
	ds_store_b64 v3, v[1:2]
.LBB21_117:
	s_or_b32 exec_lo, exec_lo, s0
	s_waitcnt lgkmcnt(0)
	s_waitcnt_vscnt null, 0x0
	s_barrier
	buffer_gl0_inv
	s_clause 0x4
	scratch_load_b128 v[48:51], off, off offset:96
	scratch_load_b128 v[52:55], off, off offset:112
	;; [unrolled: 1-line block ×5, first 2 shown]
	v_mov_b32_e32 v1, 0
	ds_load_2addr_b64 v[68:71], v1 offset0:35 offset1:36
	ds_load_2addr_b64 v[72:75], v1 offset0:37 offset1:38
	s_mov_b32 s0, exec_lo
	s_waitcnt vmcnt(4) lgkmcnt(1)
	v_fma_f64 v[50:51], v[50:51], v[68:69], 0
	s_waitcnt vmcnt(3)
	s_delay_alu instid0(VALU_DEP_1) | instskip(SKIP_1) | instid1(VALU_DEP_1)
	v_fma_f64 v[50:51], v[52:53], v[70:71], v[50:51]
	s_waitcnt lgkmcnt(0)
	v_fma_f64 v[50:51], v[54:55], v[72:73], v[50:51]
	s_waitcnt vmcnt(2)
	s_delay_alu instid0(VALU_DEP_1)
	v_fma_f64 v[68:69], v[56:57], v[74:75], v[50:51]
	ds_load_2addr_b64 v[50:53], v1 offset0:39 offset1:40
	ds_load_2addr_b64 v[54:57], v1 offset0:41 offset1:42
	s_waitcnt lgkmcnt(1)
	v_fma_f64 v[50:51], v[58:59], v[50:51], v[68:69]
	s_waitcnt vmcnt(1)
	s_delay_alu instid0(VALU_DEP_1) | instskip(SKIP_4) | instid1(VALU_DEP_1)
	v_fma_f64 v[50:51], v[60:61], v[52:53], v[50:51]
	ds_load_b64 v[52:53], v1 offset:344
	s_waitcnt lgkmcnt(1)
	v_fma_f64 v[50:51], v[62:63], v[54:55], v[50:51]
	s_waitcnt vmcnt(0)
	v_fma_f64 v[50:51], v[64:65], v[56:57], v[50:51]
	s_waitcnt lgkmcnt(0)
	s_delay_alu instid0(VALU_DEP_1) | instskip(NEXT) | instid1(VALU_DEP_1)
	v_fma_f64 v[50:51], v[66:67], v[52:53], v[50:51]
	v_add_f64 v[48:49], v[48:49], -v[50:51]
	scratch_store_b64 off, v[48:49], off offset:96
	v_cmpx_lt_u32_e32 11, v0
	s_cbranch_execz .LBB21_119
; %bb.118:
	scratch_load_b64 v[48:49], off, off offset:88
	v_mov_b32_e32 v2, v1
	scratch_store_b64 off, v[1:2], off offset:88
	s_waitcnt vmcnt(0)
	ds_store_b64 v3, v[48:49]
.LBB21_119:
	s_or_b32 exec_lo, exec_lo, s0
	s_waitcnt lgkmcnt(0)
	s_waitcnt_vscnt null, 0x0
	s_barrier
	buffer_gl0_inv
	s_clause 0x4
	scratch_load_b128 v[48:51], off, off offset:88
	scratch_load_b128 v[52:55], off, off offset:104
	;; [unrolled: 1-line block ×5, first 2 shown]
	ds_load_b128 v[68:71], v1 offset:272
	ds_load_b128 v[72:75], v1 offset:288
	s_mov_b32 s0, exec_lo
	s_waitcnt vmcnt(4) lgkmcnt(1)
	v_fma_f64 v[50:51], v[50:51], v[68:69], 0
	scratch_load_b64 v[68:69], off, off offset:168
	s_waitcnt vmcnt(4)
	v_fma_f64 v[50:51], v[52:53], v[70:71], v[50:51]
	s_waitcnt lgkmcnt(0)
	s_delay_alu instid0(VALU_DEP_1) | instskip(SKIP_1) | instid1(VALU_DEP_1)
	v_fma_f64 v[50:51], v[54:55], v[72:73], v[50:51]
	s_waitcnt vmcnt(3)
	v_fma_f64 v[70:71], v[56:57], v[74:75], v[50:51]
	ds_load_b128 v[50:53], v1 offset:304
	ds_load_b128 v[54:57], v1 offset:320
	s_waitcnt lgkmcnt(1)
	v_fma_f64 v[50:51], v[58:59], v[50:51], v[70:71]
	s_waitcnt vmcnt(2)
	s_delay_alu instid0(VALU_DEP_1) | instskip(SKIP_1) | instid1(VALU_DEP_1)
	v_fma_f64 v[50:51], v[60:61], v[52:53], v[50:51]
	s_waitcnt lgkmcnt(0)
	v_fma_f64 v[50:51], v[62:63], v[54:55], v[50:51]
	s_waitcnt vmcnt(1)
	s_delay_alu instid0(VALU_DEP_1) | instskip(SKIP_4) | instid1(VALU_DEP_1)
	v_fma_f64 v[54:55], v[64:65], v[56:57], v[50:51]
	ds_load_b128 v[50:53], v1 offset:336
	s_waitcnt lgkmcnt(0)
	v_fma_f64 v[1:2], v[66:67], v[50:51], v[54:55]
	s_waitcnt vmcnt(0)
	v_fma_f64 v[1:2], v[68:69], v[52:53], v[1:2]
	s_delay_alu instid0(VALU_DEP_1)
	v_add_f64 v[1:2], v[48:49], -v[1:2]
	scratch_store_b64 off, v[1:2], off offset:88
	v_cmpx_lt_u32_e32 10, v0
	s_cbranch_execz .LBB21_121
; %bb.120:
	scratch_load_b64 v[1:2], off, off offset:80
	v_mov_b32_e32 v48, 0
	s_delay_alu instid0(VALU_DEP_1)
	v_mov_b32_e32 v49, v48
	scratch_store_b64 off, v[48:49], off offset:80
	s_waitcnt vmcnt(0)
	ds_store_b64 v3, v[1:2]
.LBB21_121:
	s_or_b32 exec_lo, exec_lo, s0
	s_waitcnt lgkmcnt(0)
	s_waitcnt_vscnt null, 0x0
	s_barrier
	buffer_gl0_inv
	s_clause 0x4
	scratch_load_b128 v[48:51], off, off offset:80
	scratch_load_b128 v[52:55], off, off offset:96
	scratch_load_b128 v[56:59], off, off offset:112
	scratch_load_b128 v[60:63], off, off offset:128
	scratch_load_b128 v[64:67], off, off offset:144
	v_mov_b32_e32 v1, 0
	ds_load_2addr_b64 v[68:71], v1 offset0:33 offset1:34
	ds_load_2addr_b64 v[72:75], v1 offset0:35 offset1:36
	scratch_load_b128 v[76:79], off, off offset:160
	s_mov_b32 s0, exec_lo
	s_waitcnt vmcnt(5) lgkmcnt(1)
	v_fma_f64 v[50:51], v[50:51], v[68:69], 0
	s_waitcnt vmcnt(4)
	s_delay_alu instid0(VALU_DEP_1) | instskip(SKIP_1) | instid1(VALU_DEP_1)
	v_fma_f64 v[50:51], v[52:53], v[70:71], v[50:51]
	s_waitcnt lgkmcnt(0)
	v_fma_f64 v[50:51], v[54:55], v[72:73], v[50:51]
	s_waitcnt vmcnt(3)
	s_delay_alu instid0(VALU_DEP_1)
	v_fma_f64 v[68:69], v[56:57], v[74:75], v[50:51]
	ds_load_2addr_b64 v[50:53], v1 offset0:37 offset1:38
	ds_load_2addr_b64 v[54:57], v1 offset0:39 offset1:40
	s_waitcnt lgkmcnt(1)
	v_fma_f64 v[50:51], v[58:59], v[50:51], v[68:69]
	s_waitcnt vmcnt(2)
	s_delay_alu instid0(VALU_DEP_1) | instskip(SKIP_1) | instid1(VALU_DEP_1)
	v_fma_f64 v[50:51], v[60:61], v[52:53], v[50:51]
	s_waitcnt lgkmcnt(0)
	v_fma_f64 v[50:51], v[62:63], v[54:55], v[50:51]
	s_waitcnt vmcnt(1)
	s_delay_alu instid0(VALU_DEP_1)
	v_fma_f64 v[54:55], v[64:65], v[56:57], v[50:51]
	ds_load_2addr_b64 v[50:53], v1 offset0:41 offset1:42
	ds_load_b64 v[56:57], v1 offset:344
	s_waitcnt lgkmcnt(1)
	v_fma_f64 v[50:51], v[66:67], v[50:51], v[54:55]
	s_waitcnt vmcnt(0)
	s_delay_alu instid0(VALU_DEP_1) | instskip(SKIP_1) | instid1(VALU_DEP_1)
	v_fma_f64 v[50:51], v[76:77], v[52:53], v[50:51]
	s_waitcnt lgkmcnt(0)
	v_fma_f64 v[50:51], v[78:79], v[56:57], v[50:51]
	s_delay_alu instid0(VALU_DEP_1)
	v_add_f64 v[48:49], v[48:49], -v[50:51]
	scratch_store_b64 off, v[48:49], off offset:80
	v_cmpx_lt_u32_e32 9, v0
	s_cbranch_execz .LBB21_123
; %bb.122:
	scratch_load_b64 v[48:49], off, off offset:72
	v_mov_b32_e32 v2, v1
	scratch_store_b64 off, v[1:2], off offset:72
	s_waitcnt vmcnt(0)
	ds_store_b64 v3, v[48:49]
.LBB21_123:
	s_or_b32 exec_lo, exec_lo, s0
	s_waitcnt lgkmcnt(0)
	s_waitcnt_vscnt null, 0x0
	s_barrier
	buffer_gl0_inv
	s_clause 0x4
	scratch_load_b128 v[48:51], off, off offset:72
	scratch_load_b128 v[52:55], off, off offset:88
	scratch_load_b128 v[56:59], off, off offset:104
	scratch_load_b128 v[60:63], off, off offset:120
	scratch_load_b128 v[64:67], off, off offset:136
	ds_load_b128 v[68:71], v1 offset:256
	ds_load_b128 v[72:75], v1 offset:272
	scratch_load_b128 v[76:79], off, off offset:152
	s_mov_b32 s0, exec_lo
	s_waitcnt vmcnt(5) lgkmcnt(1)
	v_fma_f64 v[50:51], v[50:51], v[68:69], 0
	scratch_load_b64 v[68:69], off, off offset:168
	s_waitcnt vmcnt(5)
	v_fma_f64 v[50:51], v[52:53], v[70:71], v[50:51]
	s_waitcnt lgkmcnt(0)
	s_delay_alu instid0(VALU_DEP_1) | instskip(SKIP_1) | instid1(VALU_DEP_1)
	v_fma_f64 v[50:51], v[54:55], v[72:73], v[50:51]
	s_waitcnt vmcnt(4)
	v_fma_f64 v[70:71], v[56:57], v[74:75], v[50:51]
	ds_load_b128 v[50:53], v1 offset:288
	ds_load_b128 v[54:57], v1 offset:304
	s_waitcnt lgkmcnt(1)
	v_fma_f64 v[50:51], v[58:59], v[50:51], v[70:71]
	s_waitcnt vmcnt(3)
	s_delay_alu instid0(VALU_DEP_1) | instskip(SKIP_1) | instid1(VALU_DEP_1)
	v_fma_f64 v[50:51], v[60:61], v[52:53], v[50:51]
	s_waitcnt lgkmcnt(0)
	v_fma_f64 v[50:51], v[62:63], v[54:55], v[50:51]
	s_waitcnt vmcnt(2)
	s_delay_alu instid0(VALU_DEP_1)
	v_fma_f64 v[58:59], v[64:65], v[56:57], v[50:51]
	ds_load_b128 v[50:53], v1 offset:320
	ds_load_b128 v[54:57], v1 offset:336
	s_waitcnt lgkmcnt(1)
	v_fma_f64 v[1:2], v[66:67], v[50:51], v[58:59]
	s_waitcnt vmcnt(1)
	s_delay_alu instid0(VALU_DEP_1) | instskip(SKIP_1) | instid1(VALU_DEP_1)
	v_fma_f64 v[1:2], v[76:77], v[52:53], v[1:2]
	s_waitcnt lgkmcnt(0)
	v_fma_f64 v[1:2], v[78:79], v[54:55], v[1:2]
	s_waitcnt vmcnt(0)
	s_delay_alu instid0(VALU_DEP_1) | instskip(NEXT) | instid1(VALU_DEP_1)
	v_fma_f64 v[1:2], v[68:69], v[56:57], v[1:2]
	v_add_f64 v[1:2], v[48:49], -v[1:2]
	scratch_store_b64 off, v[1:2], off offset:72
	v_cmpx_lt_u32_e32 8, v0
	s_cbranch_execz .LBB21_125
; %bb.124:
	scratch_load_b64 v[1:2], off, off offset:64
	v_mov_b32_e32 v48, 0
	s_delay_alu instid0(VALU_DEP_1)
	v_mov_b32_e32 v49, v48
	scratch_store_b64 off, v[48:49], off offset:64
	s_waitcnt vmcnt(0)
	ds_store_b64 v3, v[1:2]
.LBB21_125:
	s_or_b32 exec_lo, exec_lo, s0
	s_waitcnt lgkmcnt(0)
	s_waitcnt_vscnt null, 0x0
	s_barrier
	buffer_gl0_inv
	s_clause 0x4
	scratch_load_b128 v[48:51], off, off offset:64
	scratch_load_b128 v[52:55], off, off offset:80
	;; [unrolled: 1-line block ×5, first 2 shown]
	v_mov_b32_e32 v1, 0
	ds_load_2addr_b64 v[68:71], v1 offset0:31 offset1:32
	ds_load_2addr_b64 v[72:75], v1 offset0:33 offset1:34
	scratch_load_b128 v[76:79], off, off offset:144
	s_mov_b32 s0, exec_lo
	s_waitcnt vmcnt(5) lgkmcnt(1)
	v_fma_f64 v[50:51], v[50:51], v[68:69], 0
	s_waitcnt vmcnt(4)
	s_delay_alu instid0(VALU_DEP_1) | instskip(SKIP_1) | instid1(VALU_DEP_1)
	v_fma_f64 v[50:51], v[52:53], v[70:71], v[50:51]
	s_waitcnt lgkmcnt(0)
	v_fma_f64 v[54:55], v[54:55], v[72:73], v[50:51]
	scratch_load_b128 v[50:53], off, off offset:160
	s_waitcnt vmcnt(4)
	v_fma_f64 v[72:73], v[56:57], v[74:75], v[54:55]
	ds_load_2addr_b64 v[54:57], v1 offset0:35 offset1:36
	ds_load_2addr_b64 v[68:71], v1 offset0:37 offset1:38
	s_waitcnt lgkmcnt(1)
	v_fma_f64 v[54:55], v[58:59], v[54:55], v[72:73]
	s_waitcnt vmcnt(3)
	s_delay_alu instid0(VALU_DEP_1) | instskip(SKIP_1) | instid1(VALU_DEP_1)
	v_fma_f64 v[54:55], v[60:61], v[56:57], v[54:55]
	s_waitcnt lgkmcnt(0)
	v_fma_f64 v[54:55], v[62:63], v[68:69], v[54:55]
	s_waitcnt vmcnt(2)
	s_delay_alu instid0(VALU_DEP_1)
	v_fma_f64 v[62:63], v[64:65], v[70:71], v[54:55]
	ds_load_2addr_b64 v[54:57], v1 offset0:39 offset1:40
	ds_load_2addr_b64 v[58:61], v1 offset0:41 offset1:42
	s_waitcnt lgkmcnt(1)
	v_fma_f64 v[54:55], v[66:67], v[54:55], v[62:63]
	s_waitcnt vmcnt(1)
	s_delay_alu instid0(VALU_DEP_1) | instskip(SKIP_1) | instid1(VALU_DEP_1)
	v_fma_f64 v[54:55], v[76:77], v[56:57], v[54:55]
	s_waitcnt lgkmcnt(0)
	v_fma_f64 v[54:55], v[78:79], v[58:59], v[54:55]
	s_waitcnt vmcnt(0)
	s_delay_alu instid0(VALU_DEP_1) | instskip(SKIP_3) | instid1(VALU_DEP_1)
	v_fma_f64 v[50:51], v[50:51], v[60:61], v[54:55]
	ds_load_b64 v[54:55], v1 offset:344
	s_waitcnt lgkmcnt(0)
	v_fma_f64 v[50:51], v[52:53], v[54:55], v[50:51]
	v_add_f64 v[48:49], v[48:49], -v[50:51]
	scratch_store_b64 off, v[48:49], off offset:64
	v_cmpx_lt_u32_e32 7, v0
	s_cbranch_execz .LBB21_127
; %bb.126:
	scratch_load_b64 v[48:49], off, off offset:56
	v_mov_b32_e32 v2, v1
	scratch_store_b64 off, v[1:2], off offset:56
	s_waitcnt vmcnt(0)
	ds_store_b64 v3, v[48:49]
.LBB21_127:
	s_or_b32 exec_lo, exec_lo, s0
	s_waitcnt lgkmcnt(0)
	s_waitcnt_vscnt null, 0x0
	s_barrier
	buffer_gl0_inv
	s_clause 0x4
	scratch_load_b128 v[48:51], off, off offset:56
	scratch_load_b128 v[52:55], off, off offset:72
	;; [unrolled: 1-line block ×5, first 2 shown]
	ds_load_b128 v[68:71], v1 offset:240
	ds_load_b128 v[72:75], v1 offset:256
	scratch_load_b128 v[76:79], off, off offset:136
	s_mov_b32 s0, exec_lo
	s_waitcnt vmcnt(5) lgkmcnt(1)
	v_fma_f64 v[50:51], v[50:51], v[68:69], 0
	s_waitcnt vmcnt(4)
	s_delay_alu instid0(VALU_DEP_1) | instskip(SKIP_1) | instid1(VALU_DEP_1)
	v_fma_f64 v[50:51], v[52:53], v[70:71], v[50:51]
	s_waitcnt lgkmcnt(0)
	v_fma_f64 v[54:55], v[54:55], v[72:73], v[50:51]
	scratch_load_b128 v[50:53], off, off offset:152
	s_waitcnt vmcnt(4)
	v_fma_f64 v[72:73], v[56:57], v[74:75], v[54:55]
	ds_load_b128 v[54:57], v1 offset:272
	ds_load_b128 v[68:71], v1 offset:288
	s_waitcnt lgkmcnt(1)
	v_fma_f64 v[54:55], v[58:59], v[54:55], v[72:73]
	scratch_load_b64 v[72:73], off, off offset:168
	s_waitcnt vmcnt(4)
	v_fma_f64 v[54:55], v[60:61], v[56:57], v[54:55]
	s_waitcnt lgkmcnt(0)
	s_delay_alu instid0(VALU_DEP_1) | instskip(SKIP_1) | instid1(VALU_DEP_1)
	v_fma_f64 v[54:55], v[62:63], v[68:69], v[54:55]
	s_waitcnt vmcnt(3)
	v_fma_f64 v[62:63], v[64:65], v[70:71], v[54:55]
	ds_load_b128 v[54:57], v1 offset:304
	ds_load_b128 v[58:61], v1 offset:320
	s_waitcnt lgkmcnt(1)
	v_fma_f64 v[54:55], v[66:67], v[54:55], v[62:63]
	s_waitcnt vmcnt(2)
	s_delay_alu instid0(VALU_DEP_1) | instskip(SKIP_1) | instid1(VALU_DEP_1)
	v_fma_f64 v[54:55], v[76:77], v[56:57], v[54:55]
	s_waitcnt lgkmcnt(0)
	v_fma_f64 v[54:55], v[78:79], v[58:59], v[54:55]
	s_waitcnt vmcnt(1)
	s_delay_alu instid0(VALU_DEP_1) | instskip(SKIP_4) | instid1(VALU_DEP_1)
	v_fma_f64 v[50:51], v[50:51], v[60:61], v[54:55]
	ds_load_b128 v[54:57], v1 offset:336
	s_waitcnt lgkmcnt(0)
	v_fma_f64 v[1:2], v[52:53], v[54:55], v[50:51]
	s_waitcnt vmcnt(0)
	v_fma_f64 v[1:2], v[72:73], v[56:57], v[1:2]
	s_delay_alu instid0(VALU_DEP_1)
	v_add_f64 v[1:2], v[48:49], -v[1:2]
	scratch_store_b64 off, v[1:2], off offset:56
	v_cmpx_lt_u32_e32 6, v0
	s_cbranch_execz .LBB21_129
; %bb.128:
	scratch_load_b64 v[1:2], off, off offset:48
	v_mov_b32_e32 v48, 0
	s_delay_alu instid0(VALU_DEP_1)
	v_mov_b32_e32 v49, v48
	scratch_store_b64 off, v[48:49], off offset:48
	s_waitcnt vmcnt(0)
	ds_store_b64 v3, v[1:2]
.LBB21_129:
	s_or_b32 exec_lo, exec_lo, s0
	s_waitcnt lgkmcnt(0)
	s_waitcnt_vscnt null, 0x0
	s_barrier
	buffer_gl0_inv
	s_clause 0x4
	scratch_load_b128 v[48:51], off, off offset:48
	scratch_load_b128 v[52:55], off, off offset:64
	;; [unrolled: 1-line block ×5, first 2 shown]
	v_mov_b32_e32 v1, 0
	ds_load_2addr_b64 v[68:71], v1 offset0:29 offset1:30
	ds_load_2addr_b64 v[72:75], v1 offset0:31 offset1:32
	scratch_load_b128 v[76:79], off, off offset:128
	s_mov_b32 s0, exec_lo
	s_waitcnt vmcnt(5) lgkmcnt(1)
	v_fma_f64 v[50:51], v[50:51], v[68:69], 0
	s_waitcnt vmcnt(4)
	s_delay_alu instid0(VALU_DEP_1) | instskip(SKIP_1) | instid1(VALU_DEP_1)
	v_fma_f64 v[50:51], v[52:53], v[70:71], v[50:51]
	s_waitcnt lgkmcnt(0)
	v_fma_f64 v[54:55], v[54:55], v[72:73], v[50:51]
	scratch_load_b128 v[50:53], off, off offset:144
	s_waitcnt vmcnt(4)
	v_fma_f64 v[72:73], v[56:57], v[74:75], v[54:55]
	ds_load_2addr_b64 v[54:57], v1 offset0:33 offset1:34
	ds_load_2addr_b64 v[68:71], v1 offset0:35 offset1:36
	s_waitcnt lgkmcnt(1)
	v_fma_f64 v[54:55], v[58:59], v[54:55], v[72:73]
	scratch_load_b128 v[72:75], off, off offset:160
	s_waitcnt vmcnt(4)
	v_fma_f64 v[54:55], v[60:61], v[56:57], v[54:55]
	s_waitcnt lgkmcnt(0)
	s_delay_alu instid0(VALU_DEP_1) | instskip(SKIP_1) | instid1(VALU_DEP_1)
	v_fma_f64 v[54:55], v[62:63], v[68:69], v[54:55]
	s_waitcnt vmcnt(3)
	v_fma_f64 v[62:63], v[64:65], v[70:71], v[54:55]
	ds_load_2addr_b64 v[54:57], v1 offset0:37 offset1:38
	ds_load_2addr_b64 v[58:61], v1 offset0:39 offset1:40
	s_waitcnt lgkmcnt(1)
	v_fma_f64 v[54:55], v[66:67], v[54:55], v[62:63]
	s_waitcnt vmcnt(2)
	s_delay_alu instid0(VALU_DEP_1) | instskip(SKIP_1) | instid1(VALU_DEP_1)
	v_fma_f64 v[54:55], v[76:77], v[56:57], v[54:55]
	s_waitcnt lgkmcnt(0)
	v_fma_f64 v[54:55], v[78:79], v[58:59], v[54:55]
	s_waitcnt vmcnt(1)
	s_delay_alu instid0(VALU_DEP_1)
	v_fma_f64 v[50:51], v[50:51], v[60:61], v[54:55]
	ds_load_2addr_b64 v[54:57], v1 offset0:41 offset1:42
	ds_load_b64 v[58:59], v1 offset:344
	s_waitcnt lgkmcnt(1)
	v_fma_f64 v[50:51], v[52:53], v[54:55], v[50:51]
	s_waitcnt vmcnt(0)
	s_delay_alu instid0(VALU_DEP_1) | instskip(SKIP_1) | instid1(VALU_DEP_1)
	v_fma_f64 v[50:51], v[72:73], v[56:57], v[50:51]
	s_waitcnt lgkmcnt(0)
	v_fma_f64 v[50:51], v[74:75], v[58:59], v[50:51]
	s_delay_alu instid0(VALU_DEP_1)
	v_add_f64 v[48:49], v[48:49], -v[50:51]
	scratch_store_b64 off, v[48:49], off offset:48
	v_cmpx_lt_u32_e32 5, v0
	s_cbranch_execz .LBB21_131
; %bb.130:
	scratch_load_b64 v[48:49], off, off offset:40
	v_mov_b32_e32 v2, v1
	scratch_store_b64 off, v[1:2], off offset:40
	s_waitcnt vmcnt(0)
	ds_store_b64 v3, v[48:49]
.LBB21_131:
	s_or_b32 exec_lo, exec_lo, s0
	s_waitcnt lgkmcnt(0)
	s_waitcnt_vscnt null, 0x0
	s_barrier
	buffer_gl0_inv
	s_clause 0x4
	scratch_load_b128 v[48:51], off, off offset:40
	scratch_load_b128 v[52:55], off, off offset:56
	;; [unrolled: 1-line block ×5, first 2 shown]
	ds_load_b128 v[68:71], v1 offset:224
	ds_load_b128 v[72:75], v1 offset:240
	scratch_load_b128 v[76:79], off, off offset:120
	s_mov_b32 s0, exec_lo
	s_waitcnt vmcnt(5) lgkmcnt(1)
	v_fma_f64 v[50:51], v[50:51], v[68:69], 0
	s_waitcnt vmcnt(4)
	s_delay_alu instid0(VALU_DEP_1) | instskip(SKIP_1) | instid1(VALU_DEP_1)
	v_fma_f64 v[50:51], v[52:53], v[70:71], v[50:51]
	s_waitcnt lgkmcnt(0)
	v_fma_f64 v[54:55], v[54:55], v[72:73], v[50:51]
	scratch_load_b128 v[50:53], off, off offset:136
	s_waitcnt vmcnt(4)
	v_fma_f64 v[72:73], v[56:57], v[74:75], v[54:55]
	ds_load_b128 v[54:57], v1 offset:256
	ds_load_b128 v[68:71], v1 offset:272
	s_waitcnt lgkmcnt(1)
	v_fma_f64 v[54:55], v[58:59], v[54:55], v[72:73]
	scratch_load_b128 v[72:75], off, off offset:152
	s_waitcnt vmcnt(4)
	v_fma_f64 v[54:55], v[60:61], v[56:57], v[54:55]
	s_waitcnt lgkmcnt(0)
	s_delay_alu instid0(VALU_DEP_1)
	v_fma_f64 v[54:55], v[62:63], v[68:69], v[54:55]
	scratch_load_b64 v[62:63], off, off offset:168
	s_waitcnt vmcnt(4)
	v_fma_f64 v[64:65], v[64:65], v[70:71], v[54:55]
	ds_load_b128 v[54:57], v1 offset:288
	ds_load_b128 v[58:61], v1 offset:304
	s_waitcnt lgkmcnt(1)
	v_fma_f64 v[54:55], v[66:67], v[54:55], v[64:65]
	s_waitcnt vmcnt(3)
	s_delay_alu instid0(VALU_DEP_1) | instskip(SKIP_1) | instid1(VALU_DEP_1)
	v_fma_f64 v[54:55], v[76:77], v[56:57], v[54:55]
	s_waitcnt lgkmcnt(0)
	v_fma_f64 v[54:55], v[78:79], v[58:59], v[54:55]
	s_waitcnt vmcnt(2)
	s_delay_alu instid0(VALU_DEP_1)
	v_fma_f64 v[50:51], v[50:51], v[60:61], v[54:55]
	ds_load_b128 v[54:57], v1 offset:320
	ds_load_b128 v[58:61], v1 offset:336
	s_waitcnt lgkmcnt(1)
	v_fma_f64 v[1:2], v[52:53], v[54:55], v[50:51]
	s_waitcnt vmcnt(1)
	s_delay_alu instid0(VALU_DEP_1) | instskip(SKIP_1) | instid1(VALU_DEP_1)
	v_fma_f64 v[1:2], v[72:73], v[56:57], v[1:2]
	s_waitcnt lgkmcnt(0)
	v_fma_f64 v[1:2], v[74:75], v[58:59], v[1:2]
	s_waitcnt vmcnt(0)
	s_delay_alu instid0(VALU_DEP_1) | instskip(NEXT) | instid1(VALU_DEP_1)
	v_fma_f64 v[1:2], v[62:63], v[60:61], v[1:2]
	v_add_f64 v[1:2], v[48:49], -v[1:2]
	scratch_store_b64 off, v[1:2], off offset:40
	v_cmpx_lt_u32_e32 4, v0
	s_cbranch_execz .LBB21_133
; %bb.132:
	scratch_load_b64 v[1:2], off, off offset:32
	v_mov_b32_e32 v48, 0
	s_delay_alu instid0(VALU_DEP_1)
	v_mov_b32_e32 v49, v48
	scratch_store_b64 off, v[48:49], off offset:32
	s_waitcnt vmcnt(0)
	ds_store_b64 v3, v[1:2]
.LBB21_133:
	s_or_b32 exec_lo, exec_lo, s0
	s_waitcnt lgkmcnt(0)
	s_waitcnt_vscnt null, 0x0
	s_barrier
	buffer_gl0_inv
	s_clause 0x4
	scratch_load_b128 v[48:51], off, off offset:32
	scratch_load_b128 v[52:55], off, off offset:48
	scratch_load_b128 v[56:59], off, off offset:64
	scratch_load_b128 v[60:63], off, off offset:80
	scratch_load_b128 v[64:67], off, off offset:96
	v_mov_b32_e32 v1, 0
	ds_load_2addr_b64 v[68:71], v1 offset0:27 offset1:28
	ds_load_2addr_b64 v[72:75], v1 offset0:29 offset1:30
	scratch_load_b128 v[76:79], off, off offset:112
	s_mov_b32 s0, exec_lo
	s_waitcnt vmcnt(5) lgkmcnt(1)
	v_fma_f64 v[50:51], v[50:51], v[68:69], 0
	s_waitcnt vmcnt(4)
	s_delay_alu instid0(VALU_DEP_1) | instskip(SKIP_1) | instid1(VALU_DEP_1)
	v_fma_f64 v[50:51], v[52:53], v[70:71], v[50:51]
	s_waitcnt lgkmcnt(0)
	v_fma_f64 v[54:55], v[54:55], v[72:73], v[50:51]
	scratch_load_b128 v[50:53], off, off offset:128
	s_waitcnt vmcnt(4)
	v_fma_f64 v[72:73], v[56:57], v[74:75], v[54:55]
	ds_load_2addr_b64 v[54:57], v1 offset0:31 offset1:32
	ds_load_2addr_b64 v[68:71], v1 offset0:33 offset1:34
	s_waitcnt lgkmcnt(1)
	v_fma_f64 v[54:55], v[58:59], v[54:55], v[72:73]
	scratch_load_b128 v[72:75], off, off offset:144
	s_waitcnt vmcnt(4)
	v_fma_f64 v[54:55], v[60:61], v[56:57], v[54:55]
	s_waitcnt lgkmcnt(0)
	s_delay_alu instid0(VALU_DEP_1)
	v_fma_f64 v[58:59], v[62:63], v[68:69], v[54:55]
	scratch_load_b128 v[54:57], off, off offset:160
	s_waitcnt vmcnt(4)
	v_fma_f64 v[68:69], v[64:65], v[70:71], v[58:59]
	ds_load_2addr_b64 v[58:61], v1 offset0:35 offset1:36
	ds_load_2addr_b64 v[62:65], v1 offset0:37 offset1:38
	s_waitcnt lgkmcnt(1)
	v_fma_f64 v[58:59], v[66:67], v[58:59], v[68:69]
	s_waitcnt vmcnt(3)
	s_delay_alu instid0(VALU_DEP_1) | instskip(SKIP_1) | instid1(VALU_DEP_1)
	v_fma_f64 v[58:59], v[76:77], v[60:61], v[58:59]
	s_waitcnt lgkmcnt(0)
	v_fma_f64 v[58:59], v[78:79], v[62:63], v[58:59]
	s_waitcnt vmcnt(2)
	s_delay_alu instid0(VALU_DEP_1)
	v_fma_f64 v[50:51], v[50:51], v[64:65], v[58:59]
	ds_load_2addr_b64 v[58:61], v1 offset0:39 offset1:40
	ds_load_2addr_b64 v[62:65], v1 offset0:41 offset1:42
	s_waitcnt lgkmcnt(1)
	v_fma_f64 v[50:51], v[52:53], v[58:59], v[50:51]
	ds_load_b64 v[52:53], v1 offset:344
	s_waitcnt vmcnt(1)
	v_fma_f64 v[50:51], v[72:73], v[60:61], v[50:51]
	s_waitcnt lgkmcnt(1)
	s_delay_alu instid0(VALU_DEP_1) | instskip(SKIP_1) | instid1(VALU_DEP_1)
	v_fma_f64 v[50:51], v[74:75], v[62:63], v[50:51]
	s_waitcnt vmcnt(0)
	v_fma_f64 v[50:51], v[54:55], v[64:65], v[50:51]
	s_waitcnt lgkmcnt(0)
	s_delay_alu instid0(VALU_DEP_1) | instskip(NEXT) | instid1(VALU_DEP_1)
	v_fma_f64 v[50:51], v[56:57], v[52:53], v[50:51]
	v_add_f64 v[48:49], v[48:49], -v[50:51]
	scratch_store_b64 off, v[48:49], off offset:32
	v_cmpx_lt_u32_e32 3, v0
	s_cbranch_execz .LBB21_135
; %bb.134:
	scratch_load_b64 v[48:49], off, off offset:24
	v_mov_b32_e32 v2, v1
	scratch_store_b64 off, v[1:2], off offset:24
	s_waitcnt vmcnt(0)
	ds_store_b64 v3, v[48:49]
.LBB21_135:
	s_or_b32 exec_lo, exec_lo, s0
	s_waitcnt lgkmcnt(0)
	s_waitcnt_vscnt null, 0x0
	s_barrier
	buffer_gl0_inv
	s_clause 0x4
	scratch_load_b128 v[48:51], off, off offset:24
	scratch_load_b128 v[52:55], off, off offset:40
	;; [unrolled: 1-line block ×5, first 2 shown]
	ds_load_b128 v[68:71], v1 offset:208
	ds_load_b128 v[72:75], v1 offset:224
	scratch_load_b128 v[76:79], off, off offset:104
	s_mov_b32 s0, exec_lo
	s_waitcnt vmcnt(5) lgkmcnt(1)
	v_fma_f64 v[50:51], v[50:51], v[68:69], 0
	s_waitcnt vmcnt(4)
	s_delay_alu instid0(VALU_DEP_1) | instskip(SKIP_1) | instid1(VALU_DEP_1)
	v_fma_f64 v[50:51], v[52:53], v[70:71], v[50:51]
	s_waitcnt lgkmcnt(0)
	v_fma_f64 v[54:55], v[54:55], v[72:73], v[50:51]
	scratch_load_b128 v[50:53], off, off offset:120
	s_waitcnt vmcnt(4)
	v_fma_f64 v[72:73], v[56:57], v[74:75], v[54:55]
	ds_load_b128 v[54:57], v1 offset:240
	ds_load_b128 v[68:71], v1 offset:256
	s_waitcnt lgkmcnt(1)
	v_fma_f64 v[54:55], v[58:59], v[54:55], v[72:73]
	scratch_load_b128 v[72:75], off, off offset:136
	s_waitcnt vmcnt(4)
	v_fma_f64 v[54:55], v[60:61], v[56:57], v[54:55]
	s_waitcnt lgkmcnt(0)
	s_delay_alu instid0(VALU_DEP_1)
	v_fma_f64 v[58:59], v[62:63], v[68:69], v[54:55]
	scratch_load_b128 v[54:57], off, off offset:152
	s_waitcnt vmcnt(4)
	v_fma_f64 v[68:69], v[64:65], v[70:71], v[58:59]
	ds_load_b128 v[58:61], v1 offset:272
	ds_load_b128 v[62:65], v1 offset:288
	s_waitcnt lgkmcnt(1)
	v_fma_f64 v[58:59], v[66:67], v[58:59], v[68:69]
	scratch_load_b64 v[66:67], off, off offset:168
	s_waitcnt vmcnt(4)
	v_fma_f64 v[58:59], v[76:77], v[60:61], v[58:59]
	s_waitcnt lgkmcnt(0)
	s_delay_alu instid0(VALU_DEP_1) | instskip(SKIP_1) | instid1(VALU_DEP_1)
	v_fma_f64 v[58:59], v[78:79], v[62:63], v[58:59]
	s_waitcnt vmcnt(3)
	v_fma_f64 v[50:51], v[50:51], v[64:65], v[58:59]
	ds_load_b128 v[58:61], v1 offset:304
	ds_load_b128 v[62:65], v1 offset:320
	s_waitcnt lgkmcnt(1)
	v_fma_f64 v[50:51], v[52:53], v[58:59], v[50:51]
	s_waitcnt vmcnt(2)
	s_delay_alu instid0(VALU_DEP_1) | instskip(SKIP_1) | instid1(VALU_DEP_1)
	v_fma_f64 v[50:51], v[72:73], v[60:61], v[50:51]
	s_waitcnt lgkmcnt(0)
	v_fma_f64 v[50:51], v[74:75], v[62:63], v[50:51]
	s_waitcnt vmcnt(1)
	s_delay_alu instid0(VALU_DEP_1) | instskip(SKIP_4) | instid1(VALU_DEP_1)
	v_fma_f64 v[54:55], v[54:55], v[64:65], v[50:51]
	ds_load_b128 v[50:53], v1 offset:336
	s_waitcnt lgkmcnt(0)
	v_fma_f64 v[1:2], v[56:57], v[50:51], v[54:55]
	s_waitcnt vmcnt(0)
	v_fma_f64 v[1:2], v[66:67], v[52:53], v[1:2]
	s_delay_alu instid0(VALU_DEP_1)
	v_add_f64 v[1:2], v[48:49], -v[1:2]
	scratch_store_b64 off, v[1:2], off offset:24
	v_cmpx_lt_u32_e32 2, v0
	s_cbranch_execz .LBB21_137
; %bb.136:
	scratch_load_b64 v[1:2], off, off offset:16
	v_mov_b32_e32 v48, 0
	s_delay_alu instid0(VALU_DEP_1)
	v_mov_b32_e32 v49, v48
	scratch_store_b64 off, v[48:49], off offset:16
	s_waitcnt vmcnt(0)
	ds_store_b64 v3, v[1:2]
.LBB21_137:
	s_or_b32 exec_lo, exec_lo, s0
	s_waitcnt lgkmcnt(0)
	s_waitcnt_vscnt null, 0x0
	s_barrier
	buffer_gl0_inv
	s_clause 0x4
	scratch_load_b128 v[48:51], off, off offset:16
	scratch_load_b128 v[52:55], off, off offset:32
	;; [unrolled: 1-line block ×5, first 2 shown]
	v_mov_b32_e32 v1, 0
	ds_load_2addr_b64 v[68:71], v1 offset0:25 offset1:26
	ds_load_2addr_b64 v[72:75], v1 offset0:27 offset1:28
	scratch_load_b128 v[76:79], off, off offset:96
	s_mov_b32 s0, exec_lo
	s_waitcnt vmcnt(5) lgkmcnt(1)
	v_fma_f64 v[50:51], v[50:51], v[68:69], 0
	s_waitcnt vmcnt(4)
	s_delay_alu instid0(VALU_DEP_1) | instskip(SKIP_1) | instid1(VALU_DEP_1)
	v_fma_f64 v[50:51], v[52:53], v[70:71], v[50:51]
	s_waitcnt lgkmcnt(0)
	v_fma_f64 v[54:55], v[54:55], v[72:73], v[50:51]
	scratch_load_b128 v[50:53], off, off offset:112
	s_waitcnt vmcnt(4)
	v_fma_f64 v[72:73], v[56:57], v[74:75], v[54:55]
	ds_load_2addr_b64 v[54:57], v1 offset0:29 offset1:30
	ds_load_2addr_b64 v[68:71], v1 offset0:31 offset1:32
	s_waitcnt lgkmcnt(1)
	v_fma_f64 v[54:55], v[58:59], v[54:55], v[72:73]
	scratch_load_b128 v[72:75], off, off offset:128
	s_waitcnt vmcnt(4)
	v_fma_f64 v[54:55], v[60:61], v[56:57], v[54:55]
	s_waitcnt lgkmcnt(0)
	s_delay_alu instid0(VALU_DEP_1)
	v_fma_f64 v[58:59], v[62:63], v[68:69], v[54:55]
	scratch_load_b128 v[54:57], off, off offset:144
	s_waitcnt vmcnt(4)
	v_fma_f64 v[68:69], v[64:65], v[70:71], v[58:59]
	ds_load_2addr_b64 v[58:61], v1 offset0:33 offset1:34
	ds_load_2addr_b64 v[62:65], v1 offset0:35 offset1:36
	s_waitcnt lgkmcnt(1)
	v_fma_f64 v[58:59], v[66:67], v[58:59], v[68:69]
	scratch_load_b128 v[66:69], off, off offset:160
	s_waitcnt vmcnt(4)
	v_fma_f64 v[58:59], v[76:77], v[60:61], v[58:59]
	s_waitcnt lgkmcnt(0)
	s_delay_alu instid0(VALU_DEP_1) | instskip(SKIP_1) | instid1(VALU_DEP_1)
	v_fma_f64 v[58:59], v[78:79], v[62:63], v[58:59]
	s_waitcnt vmcnt(3)
	v_fma_f64 v[50:51], v[50:51], v[64:65], v[58:59]
	ds_load_2addr_b64 v[58:61], v1 offset0:37 offset1:38
	ds_load_2addr_b64 v[62:65], v1 offset0:39 offset1:40
	s_waitcnt lgkmcnt(1)
	v_fma_f64 v[50:51], v[52:53], v[58:59], v[50:51]
	s_waitcnt vmcnt(2)
	s_delay_alu instid0(VALU_DEP_1) | instskip(SKIP_1) | instid1(VALU_DEP_1)
	v_fma_f64 v[50:51], v[72:73], v[60:61], v[50:51]
	s_waitcnt lgkmcnt(0)
	v_fma_f64 v[50:51], v[74:75], v[62:63], v[50:51]
	s_waitcnt vmcnt(1)
	s_delay_alu instid0(VALU_DEP_1)
	v_fma_f64 v[54:55], v[54:55], v[64:65], v[50:51]
	ds_load_2addr_b64 v[50:53], v1 offset0:41 offset1:42
	ds_load_b64 v[58:59], v1 offset:344
	s_waitcnt lgkmcnt(1)
	v_fma_f64 v[50:51], v[56:57], v[50:51], v[54:55]
	s_waitcnt vmcnt(0)
	s_delay_alu instid0(VALU_DEP_1) | instskip(SKIP_1) | instid1(VALU_DEP_1)
	v_fma_f64 v[50:51], v[66:67], v[52:53], v[50:51]
	s_waitcnt lgkmcnt(0)
	v_fma_f64 v[50:51], v[68:69], v[58:59], v[50:51]
	s_delay_alu instid0(VALU_DEP_1)
	v_add_f64 v[48:49], v[48:49], -v[50:51]
	scratch_store_b64 off, v[48:49], off offset:16
	v_cmpx_lt_u32_e32 1, v0
	s_cbranch_execz .LBB21_139
; %bb.138:
	scratch_load_b64 v[48:49], off, off offset:8
	v_mov_b32_e32 v2, v1
	scratch_store_b64 off, v[1:2], off offset:8
	s_waitcnt vmcnt(0)
	ds_store_b64 v3, v[48:49]
.LBB21_139:
	s_or_b32 exec_lo, exec_lo, s0
	s_waitcnt lgkmcnt(0)
	s_waitcnt_vscnt null, 0x0
	s_barrier
	buffer_gl0_inv
	s_clause 0x4
	scratch_load_b128 v[48:51], off, off offset:8
	scratch_load_b128 v[52:55], off, off offset:24
	;; [unrolled: 1-line block ×5, first 2 shown]
	ds_load_b128 v[68:71], v1 offset:192
	ds_load_b128 v[72:75], v1 offset:208
	scratch_load_b128 v[76:79], off, off offset:88
	s_mov_b32 s0, exec_lo
	s_waitcnt vmcnt(5) lgkmcnt(1)
	v_fma_f64 v[50:51], v[50:51], v[68:69], 0
	s_waitcnt vmcnt(4)
	s_delay_alu instid0(VALU_DEP_1) | instskip(SKIP_1) | instid1(VALU_DEP_1)
	v_fma_f64 v[50:51], v[52:53], v[70:71], v[50:51]
	s_waitcnt lgkmcnt(0)
	v_fma_f64 v[54:55], v[54:55], v[72:73], v[50:51]
	scratch_load_b128 v[50:53], off, off offset:104
	s_waitcnt vmcnt(4)
	v_fma_f64 v[72:73], v[56:57], v[74:75], v[54:55]
	ds_load_b128 v[54:57], v1 offset:224
	ds_load_b128 v[68:71], v1 offset:240
	s_waitcnt lgkmcnt(1)
	v_fma_f64 v[54:55], v[58:59], v[54:55], v[72:73]
	scratch_load_b128 v[72:75], off, off offset:120
	s_waitcnt vmcnt(4)
	v_fma_f64 v[54:55], v[60:61], v[56:57], v[54:55]
	s_waitcnt lgkmcnt(0)
	s_delay_alu instid0(VALU_DEP_1)
	v_fma_f64 v[58:59], v[62:63], v[68:69], v[54:55]
	scratch_load_b128 v[54:57], off, off offset:136
	s_waitcnt vmcnt(4)
	v_fma_f64 v[68:69], v[64:65], v[70:71], v[58:59]
	ds_load_b128 v[58:61], v1 offset:256
	ds_load_b128 v[62:65], v1 offset:272
	scratch_load_b64 v[70:71], off, off offset:168
	s_waitcnt lgkmcnt(1)
	v_fma_f64 v[58:59], v[66:67], v[58:59], v[68:69]
	scratch_load_b128 v[66:69], off, off offset:152
	s_waitcnt vmcnt(5)
	v_fma_f64 v[58:59], v[76:77], v[60:61], v[58:59]
	s_waitcnt lgkmcnt(0)
	s_delay_alu instid0(VALU_DEP_1) | instskip(SKIP_1) | instid1(VALU_DEP_1)
	v_fma_f64 v[58:59], v[78:79], v[62:63], v[58:59]
	s_waitcnt vmcnt(4)
	v_fma_f64 v[50:51], v[50:51], v[64:65], v[58:59]
	ds_load_b128 v[58:61], v1 offset:288
	ds_load_b128 v[62:65], v1 offset:304
	s_waitcnt lgkmcnt(1)
	v_fma_f64 v[50:51], v[52:53], v[58:59], v[50:51]
	s_waitcnt vmcnt(3)
	s_delay_alu instid0(VALU_DEP_1) | instskip(SKIP_1) | instid1(VALU_DEP_1)
	v_fma_f64 v[50:51], v[72:73], v[60:61], v[50:51]
	s_waitcnt lgkmcnt(0)
	v_fma_f64 v[50:51], v[74:75], v[62:63], v[50:51]
	s_waitcnt vmcnt(2)
	s_delay_alu instid0(VALU_DEP_1)
	v_fma_f64 v[54:55], v[54:55], v[64:65], v[50:51]
	ds_load_b128 v[50:53], v1 offset:320
	ds_load_b128 v[58:61], v1 offset:336
	s_waitcnt lgkmcnt(1)
	v_fma_f64 v[1:2], v[56:57], v[50:51], v[54:55]
	s_waitcnt vmcnt(0)
	s_delay_alu instid0(VALU_DEP_1) | instskip(SKIP_1) | instid1(VALU_DEP_1)
	v_fma_f64 v[1:2], v[66:67], v[52:53], v[1:2]
	s_waitcnt lgkmcnt(0)
	v_fma_f64 v[1:2], v[68:69], v[58:59], v[1:2]
	s_delay_alu instid0(VALU_DEP_1) | instskip(NEXT) | instid1(VALU_DEP_1)
	v_fma_f64 v[1:2], v[70:71], v[60:61], v[1:2]
	v_add_f64 v[1:2], v[48:49], -v[1:2]
	scratch_store_b64 off, v[1:2], off offset:8
	v_cmpx_ne_u32_e32 0, v0
	s_cbranch_execz .LBB21_141
; %bb.140:
	scratch_load_b64 v[0:1], off, off
	v_mov_b32_e32 v48, 0
	s_delay_alu instid0(VALU_DEP_1)
	v_mov_b32_e32 v49, v48
	scratch_store_b64 off, v[48:49], off
	s_waitcnt vmcnt(0)
	ds_store_b64 v3, v[0:1]
.LBB21_141:
	s_or_b32 exec_lo, exec_lo, s0
	s_waitcnt lgkmcnt(0)
	s_waitcnt_vscnt null, 0x0
	s_barrier
	buffer_gl0_inv
	s_clause 0x4
	scratch_load_b128 v[48:51], off, off
	scratch_load_b128 v[0:3], off, off offset:16
	scratch_load_b128 v[52:55], off, off offset:32
	scratch_load_b128 v[56:59], off, off offset:48
	scratch_load_b128 v[60:63], off, off offset:64
	v_mov_b32_e32 v76, 0
	ds_load_2addr_b64 v[64:67], v76 offset0:23 offset1:24
	ds_load_2addr_b64 v[68:71], v76 offset0:25 offset1:26
	scratch_load_b128 v[72:75], off, off offset:80
	s_and_b32 vcc_lo, exec_lo, s16
	s_waitcnt vmcnt(5) lgkmcnt(1)
	v_fma_f64 v[50:51], v[50:51], v[64:65], 0
	s_waitcnt vmcnt(4)
	s_delay_alu instid0(VALU_DEP_1) | instskip(SKIP_4) | instid1(VALU_DEP_1)
	v_fma_f64 v[0:1], v[0:1], v[66:67], v[50:51]
	scratch_load_b128 v[64:67], off, off offset:96
	s_waitcnt lgkmcnt(0)
	v_fma_f64 v[0:1], v[2:3], v[68:69], v[0:1]
	s_waitcnt vmcnt(4)
	v_fma_f64 v[68:69], v[52:53], v[70:71], v[0:1]
	ds_load_2addr_b64 v[0:3], v76 offset0:27 offset1:28
	ds_load_2addr_b64 v[50:53], v76 offset0:29 offset1:30
	s_waitcnt lgkmcnt(1)
	v_fma_f64 v[0:1], v[54:55], v[0:1], v[68:69]
	scratch_load_b128 v[68:71], off, off offset:112
	s_waitcnt vmcnt(4)
	v_fma_f64 v[0:1], v[56:57], v[2:3], v[0:1]
	scratch_load_b128 v[54:57], off, off offset:128
	s_waitcnt lgkmcnt(0)
	v_fma_f64 v[0:1], v[58:59], v[50:51], v[0:1]
	s_waitcnt vmcnt(4)
	s_delay_alu instid0(VALU_DEP_1)
	v_fma_f64 v[58:59], v[60:61], v[52:53], v[0:1]
	ds_load_2addr_b64 v[0:3], v76 offset0:31 offset1:32
	ds_load_2addr_b64 v[50:53], v76 offset0:33 offset1:34
	s_waitcnt lgkmcnt(1)
	v_fma_f64 v[0:1], v[62:63], v[0:1], v[58:59]
	scratch_load_b128 v[58:61], off, off offset:144
	s_waitcnt vmcnt(4)
	v_fma_f64 v[0:1], v[72:73], v[2:3], v[0:1]
	s_waitcnt lgkmcnt(0)
	s_delay_alu instid0(VALU_DEP_1)
	v_fma_f64 v[50:51], v[74:75], v[50:51], v[0:1]
	scratch_load_b128 v[0:3], off, off offset:160
	s_waitcnt vmcnt(4)
	v_fma_f64 v[72:73], v[64:65], v[52:53], v[50:51]
	ds_load_2addr_b64 v[50:53], v76 offset0:35 offset1:36
	ds_load_2addr_b64 v[62:65], v76 offset0:37 offset1:38
	s_waitcnt lgkmcnt(1)
	v_fma_f64 v[50:51], v[66:67], v[50:51], v[72:73]
	s_waitcnt vmcnt(3)
	s_delay_alu instid0(VALU_DEP_1) | instskip(SKIP_1) | instid1(VALU_DEP_1)
	v_fma_f64 v[50:51], v[68:69], v[52:53], v[50:51]
	s_waitcnt lgkmcnt(0)
	v_fma_f64 v[50:51], v[70:71], v[62:63], v[50:51]
	s_waitcnt vmcnt(2)
	s_delay_alu instid0(VALU_DEP_1)
	v_fma_f64 v[54:55], v[54:55], v[64:65], v[50:51]
	ds_load_2addr_b64 v[50:53], v76 offset0:39 offset1:40
	ds_load_2addr_b64 v[62:65], v76 offset0:41 offset1:42
	s_waitcnt lgkmcnt(1)
	v_fma_f64 v[50:51], v[56:57], v[50:51], v[54:55]
	s_waitcnt vmcnt(1)
	s_delay_alu instid0(VALU_DEP_1) | instskip(SKIP_4) | instid1(VALU_DEP_1)
	v_fma_f64 v[50:51], v[58:59], v[52:53], v[50:51]
	ds_load_b64 v[52:53], v76 offset:344
	s_waitcnt lgkmcnt(1)
	v_fma_f64 v[50:51], v[60:61], v[62:63], v[50:51]
	s_waitcnt vmcnt(0)
	v_fma_f64 v[50:51], v[0:1], v[64:65], v[50:51]
	s_waitcnt lgkmcnt(0)
	s_delay_alu instid0(VALU_DEP_1) | instskip(NEXT) | instid1(VALU_DEP_1)
	v_fma_f64 v[2:3], v[2:3], v[52:53], v[50:51]
	v_add_f64 v[2:3], v[48:49], -v[2:3]
	scratch_store_b64 off, v[2:3], off
	s_cbranch_vccz .LBB21_185
; %bb.142:
	v_dual_mov_b32 v2, s12 :: v_dual_mov_b32 v3, s13
	s_mov_b32 s0, exec_lo
	flat_load_b32 v2, v[2:3] offset:80
	s_waitcnt vmcnt(0) lgkmcnt(0)
	v_cmpx_ne_u32_e32 21, v2
	s_cbranch_execz .LBB21_144
; %bb.143:
	v_lshl_add_u32 v48, v2, 3, 0
	scratch_load_b64 v[2:3], v48, off offset:-8
	s_waitcnt vmcnt(0)
	scratch_store_b64 off, v[2:3], off offset:160
	scratch_store_b64 v48, v[0:1], off offset:-8
.LBB21_144:
	s_or_b32 exec_lo, exec_lo, s0
	v_dual_mov_b32 v0, s12 :: v_dual_mov_b32 v1, s13
	s_mov_b32 s0, exec_lo
	flat_load_b32 v0, v[0:1] offset:76
	s_waitcnt vmcnt(0) lgkmcnt(0)
	v_cmpx_ne_u32_e32 20, v0
	s_cbranch_execz .LBB21_146
; %bb.145:
	v_lshl_add_u32 v48, v0, 3, 0
	scratch_load_b64 v[0:1], v48, off offset:-8
	scratch_load_b64 v[2:3], off, off offset:152
	s_waitcnt vmcnt(1)
	scratch_store_b64 off, v[0:1], off offset:152
	s_waitcnt vmcnt(0)
	scratch_store_b64 v48, v[2:3], off offset:-8
.LBB21_146:
	s_or_b32 exec_lo, exec_lo, s0
	v_dual_mov_b32 v0, s12 :: v_dual_mov_b32 v1, s13
	s_mov_b32 s0, exec_lo
	flat_load_b32 v0, v[0:1] offset:72
	s_waitcnt vmcnt(0) lgkmcnt(0)
	v_cmpx_ne_u32_e32 19, v0
	s_cbranch_execz .LBB21_148
; %bb.147:
	v_lshl_add_u32 v48, v0, 3, 0
	scratch_load_b64 v[0:1], v48, off offset:-8
	scratch_load_b64 v[2:3], off, off offset:144
	s_waitcnt vmcnt(1)
	scratch_store_b64 off, v[0:1], off offset:144
	s_waitcnt vmcnt(0)
	scratch_store_b64 v48, v[2:3], off offset:-8
.LBB21_148:
	;; [unrolled: 16-line block ×19, first 2 shown]
	s_or_b32 exec_lo, exec_lo, s0
	v_dual_mov_b32 v0, s12 :: v_dual_mov_b32 v1, s13
	s_mov_b32 s0, exec_lo
	flat_load_b32 v0, v[0:1]
	scratch_load_b64 v[2:3], off, off
	s_waitcnt vmcnt(1) lgkmcnt(0)
	v_cmpx_ne_u32_e32 1, v0
	s_cbranch_execz .LBB21_184
; %bb.183:
	v_lshl_add_u32 v48, v0, 3, 0
	scratch_load_b64 v[0:1], v48, off offset:-8
	s_waitcnt vmcnt(0)
	scratch_store_b64 off, v[0:1], off
	scratch_store_b64 v48, v[2:3], off offset:-8
	scratch_load_b64 v[2:3], off, off
.LBB21_184:
	s_or_b32 exec_lo, exec_lo, s0
.LBB21_185:
	s_clause 0xa
	scratch_load_b128 v[48:51], off, off offset:8
	scratch_load_b128 v[52:55], off, off offset:24
	;; [unrolled: 1-line block ×10, first 2 shown]
	scratch_load_b64 v[0:1], off, off offset:168
	s_waitcnt vmcnt(11)
	global_store_b64 v[4:5], v[2:3], off
	s_waitcnt vmcnt(10)
	s_clause 0x1
	global_store_b64 v[6:7], v[48:49], off
	global_store_b64 v[8:9], v[50:51], off
	s_waitcnt vmcnt(9)
	s_clause 0x1
	global_store_b64 v[10:11], v[52:53], off
	global_store_b64 v[12:13], v[54:55], off
	s_waitcnt vmcnt(8)
	s_clause 0x1
	global_store_b64 v[14:15], v[56:57], off
	global_store_b64 v[16:17], v[58:59], off
	s_waitcnt vmcnt(7)
	s_clause 0x1
	global_store_b64 v[18:19], v[60:61], off
	global_store_b64 v[20:21], v[62:63], off
	s_waitcnt vmcnt(6)
	s_clause 0x1
	global_store_b64 v[22:23], v[64:65], off
	global_store_b64 v[24:25], v[66:67], off
	s_waitcnt vmcnt(5)
	s_clause 0x1
	global_store_b64 v[26:27], v[68:69], off
	global_store_b64 v[28:29], v[70:71], off
	s_waitcnt vmcnt(4)
	s_clause 0x1
	global_store_b64 v[30:31], v[72:73], off
	global_store_b64 v[32:33], v[74:75], off
	s_waitcnt vmcnt(3)
	s_clause 0x1
	global_store_b64 v[34:35], v[76:77], off
	global_store_b64 v[36:37], v[78:79], off
	s_waitcnt vmcnt(2)
	s_clause 0x1
	global_store_b64 v[38:39], v[80:81], off
	global_store_b64 v[40:41], v[82:83], off
	s_waitcnt vmcnt(1)
	s_clause 0x1
	global_store_b64 v[42:43], v[84:85], off
	global_store_b64 v[44:45], v[86:87], off
	s_waitcnt vmcnt(0)
	global_store_b64 v[46:47], v[0:1], off
	s_endpgm
	.section	.rodata,"a",@progbits
	.p2align	6, 0x0
	.amdhsa_kernel _ZN9rocsolver6v33100L18getri_kernel_smallILi22EdPdEEvT1_iilPiilS4_bb
		.amdhsa_group_segment_fixed_size 360
		.amdhsa_private_segment_fixed_size 192
		.amdhsa_kernarg_size 60
		.amdhsa_user_sgpr_count 15
		.amdhsa_user_sgpr_dispatch_ptr 0
		.amdhsa_user_sgpr_queue_ptr 0
		.amdhsa_user_sgpr_kernarg_segment_ptr 1
		.amdhsa_user_sgpr_dispatch_id 0
		.amdhsa_user_sgpr_private_segment_size 0
		.amdhsa_wavefront_size32 1
		.amdhsa_uses_dynamic_stack 0
		.amdhsa_enable_private_segment 1
		.amdhsa_system_sgpr_workgroup_id_x 1
		.amdhsa_system_sgpr_workgroup_id_y 0
		.amdhsa_system_sgpr_workgroup_id_z 0
		.amdhsa_system_sgpr_workgroup_info 0
		.amdhsa_system_vgpr_workitem_id 0
		.amdhsa_next_free_vgpr 92
		.amdhsa_next_free_sgpr 18
		.amdhsa_reserve_vcc 1
		.amdhsa_float_round_mode_32 0
		.amdhsa_float_round_mode_16_64 0
		.amdhsa_float_denorm_mode_32 3
		.amdhsa_float_denorm_mode_16_64 3
		.amdhsa_dx10_clamp 1
		.amdhsa_ieee_mode 1
		.amdhsa_fp16_overflow 0
		.amdhsa_workgroup_processor_mode 1
		.amdhsa_memory_ordered 1
		.amdhsa_forward_progress 0
		.amdhsa_shared_vgpr_count 0
		.amdhsa_exception_fp_ieee_invalid_op 0
		.amdhsa_exception_fp_denorm_src 0
		.amdhsa_exception_fp_ieee_div_zero 0
		.amdhsa_exception_fp_ieee_overflow 0
		.amdhsa_exception_fp_ieee_underflow 0
		.amdhsa_exception_fp_ieee_inexact 0
		.amdhsa_exception_int_div_zero 0
	.end_amdhsa_kernel
	.section	.text._ZN9rocsolver6v33100L18getri_kernel_smallILi22EdPdEEvT1_iilPiilS4_bb,"axG",@progbits,_ZN9rocsolver6v33100L18getri_kernel_smallILi22EdPdEEvT1_iilPiilS4_bb,comdat
.Lfunc_end21:
	.size	_ZN9rocsolver6v33100L18getri_kernel_smallILi22EdPdEEvT1_iilPiilS4_bb, .Lfunc_end21-_ZN9rocsolver6v33100L18getri_kernel_smallILi22EdPdEEvT1_iilPiilS4_bb
                                        ; -- End function
	.section	.AMDGPU.csdata,"",@progbits
; Kernel info:
; codeLenInByte = 14860
; NumSgprs: 20
; NumVgprs: 92
; ScratchSize: 192
; MemoryBound: 0
; FloatMode: 240
; IeeeMode: 1
; LDSByteSize: 360 bytes/workgroup (compile time only)
; SGPRBlocks: 2
; VGPRBlocks: 11
; NumSGPRsForWavesPerEU: 20
; NumVGPRsForWavesPerEU: 92
; Occupancy: 16
; WaveLimiterHint : 1
; COMPUTE_PGM_RSRC2:SCRATCH_EN: 1
; COMPUTE_PGM_RSRC2:USER_SGPR: 15
; COMPUTE_PGM_RSRC2:TRAP_HANDLER: 0
; COMPUTE_PGM_RSRC2:TGID_X_EN: 1
; COMPUTE_PGM_RSRC2:TGID_Y_EN: 0
; COMPUTE_PGM_RSRC2:TGID_Z_EN: 0
; COMPUTE_PGM_RSRC2:TIDIG_COMP_CNT: 0
	.section	.text._ZN9rocsolver6v33100L18getri_kernel_smallILi23EdPdEEvT1_iilPiilS4_bb,"axG",@progbits,_ZN9rocsolver6v33100L18getri_kernel_smallILi23EdPdEEvT1_iilPiilS4_bb,comdat
	.globl	_ZN9rocsolver6v33100L18getri_kernel_smallILi23EdPdEEvT1_iilPiilS4_bb ; -- Begin function _ZN9rocsolver6v33100L18getri_kernel_smallILi23EdPdEEvT1_iilPiilS4_bb
	.p2align	8
	.type	_ZN9rocsolver6v33100L18getri_kernel_smallILi23EdPdEEvT1_iilPiilS4_bb,@function
_ZN9rocsolver6v33100L18getri_kernel_smallILi23EdPdEEvT1_iilPiilS4_bb: ; @_ZN9rocsolver6v33100L18getri_kernel_smallILi23EdPdEEvT1_iilPiilS4_bb
; %bb.0:
	s_mov_b32 s2, exec_lo
	v_cmpx_gt_u32_e32 23, v0
	s_cbranch_execz .LBB22_102
; %bb.1:
	s_clause 0x2
	s_load_b32 s17, s[0:1], 0x38
	s_load_b128 s[8:11], s[0:1], 0x10
	s_load_b128 s[4:7], s[0:1], 0x28
	s_mov_b32 s14, s15
                                        ; implicit-def: $sgpr12_sgpr13
	s_waitcnt lgkmcnt(0)
	s_bitcmp1_b32 s17, 8
	s_cselect_b32 s16, -1, 0
	s_bfe_u32 s2, s17, 0x10008
	s_ashr_i32 s15, s15, 31
	s_cmp_eq_u32 s2, 0
	s_cbranch_scc1 .LBB22_3
; %bb.2:
	s_load_b32 s2, s[0:1], 0x20
	s_mul_i32 s3, s14, s5
	s_mul_hi_u32 s5, s14, s4
	s_mul_i32 s12, s15, s4
	s_add_i32 s3, s5, s3
	s_mul_i32 s4, s14, s4
	s_add_i32 s5, s3, s12
	s_delay_alu instid0(SALU_CYCLE_1)
	s_lshl_b64 s[4:5], s[4:5], 2
	s_waitcnt lgkmcnt(0)
	s_ashr_i32 s3, s2, 31
	s_add_u32 s4, s10, s4
	s_addc_u32 s5, s11, s5
	s_lshl_b64 s[2:3], s[2:3], 2
	s_delay_alu instid0(SALU_CYCLE_1)
	s_add_u32 s12, s4, s2
	s_addc_u32 s13, s5, s3
.LBB22_3:
	s_load_b128 s[0:3], s[0:1], 0x0
	s_mul_i32 s4, s14, s9
	s_mul_hi_u32 s5, s14, s8
	s_mul_i32 s9, s15, s8
	s_add_i32 s5, s5, s4
	s_mul_i32 s4, s14, s8
	s_add_i32 s5, s5, s9
	v_lshlrev_b32_e32 v3, 3, v0
	s_lshl_b64 s[4:5], s[4:5], 3
	s_waitcnt lgkmcnt(0)
	s_ashr_i32 s9, s2, 31
	s_mov_b32 s8, s2
	s_add_u32 s2, s0, s4
	s_addc_u32 s5, s1, s5
	s_lshl_b64 s[0:1], s[8:9], 3
	s_mov_b32 s4, s3
	s_add_u32 s0, s2, s0
	s_addc_u32 s1, s5, s1
	v_add_co_u32 v4, s2, s0, v3
	s_ashr_i32 s5, s3, 31
	v_add_co_ci_u32_e64 v5, null, s1, 0, s2
	s_lshl_b64 s[4:5], s[4:5], 3
	v_add3_u32 v1, s3, s3, v0
	v_add_co_u32 v6, vcc_lo, v4, s4
	s_delay_alu instid0(VALU_DEP_3)
	v_add_co_ci_u32_e32 v7, vcc_lo, s5, v5, vcc_lo
	s_clause 0x1
	global_load_b64 v[50:51], v3, s[0:1]
	global_load_b64 v[52:53], v[6:7], off
	v_add_nc_u32_e32 v8, s3, v1
	v_ashrrev_i32_e32 v2, 31, v1
	s_bitcmp0_b32 s17, 0
	s_delay_alu instid0(VALU_DEP_2) | instskip(SKIP_1) | instid1(VALU_DEP_3)
	v_add_nc_u32_e32 v10, s3, v8
	v_ashrrev_i32_e32 v9, 31, v8
	v_lshlrev_b64 v[1:2], 3, v[1:2]
	s_delay_alu instid0(VALU_DEP_3) | instskip(SKIP_1) | instid1(VALU_DEP_4)
	v_add_nc_u32_e32 v14, s3, v10
	v_ashrrev_i32_e32 v11, 31, v10
	v_lshlrev_b64 v[12:13], 3, v[8:9]
	s_delay_alu instid0(VALU_DEP_4) | instskip(NEXT) | instid1(VALU_DEP_4)
	v_add_co_u32 v8, vcc_lo, s0, v1
	v_add_nc_u32_e32 v16, s3, v14
	v_add_co_ci_u32_e32 v9, vcc_lo, s1, v2, vcc_lo
	v_lshlrev_b64 v[1:2], 3, v[10:11]
	v_ashrrev_i32_e32 v15, 31, v14
	s_delay_alu instid0(VALU_DEP_4) | instskip(SKIP_3) | instid1(VALU_DEP_4)
	v_add_nc_u32_e32 v18, s3, v16
	v_add_co_u32 v10, vcc_lo, s0, v12
	v_ashrrev_i32_e32 v17, 31, v16
	v_add_co_ci_u32_e32 v11, vcc_lo, s1, v13, vcc_lo
	v_add_nc_u32_e32 v20, s3, v18
	v_lshlrev_b64 v[14:15], 3, v[14:15]
	v_add_co_u32 v12, vcc_lo, s0, v1
	v_add_co_ci_u32_e32 v13, vcc_lo, s1, v2, vcc_lo
	s_delay_alu instid0(VALU_DEP_4) | instskip(SKIP_3) | instid1(VALU_DEP_4)
	v_add_nc_u32_e32 v22, s3, v20
	v_lshlrev_b64 v[1:2], 3, v[16:17]
	v_ashrrev_i32_e32 v19, 31, v18
	v_add_co_u32 v14, vcc_lo, s0, v14
	v_add_nc_u32_e32 v24, s3, v22
	v_ashrrev_i32_e32 v21, 31, v20
	v_add_co_ci_u32_e32 v15, vcc_lo, s1, v15, vcc_lo
	v_lshlrev_b64 v[18:19], 3, v[18:19]
	s_delay_alu instid0(VALU_DEP_4) | instskip(SKIP_2) | instid1(VALU_DEP_3)
	v_add_nc_u32_e32 v26, s3, v24
	v_add_co_u32 v16, vcc_lo, s0, v1
	v_add_co_ci_u32_e32 v17, vcc_lo, s1, v2, vcc_lo
	v_add_nc_u32_e32 v28, s3, v26
	v_lshlrev_b64 v[1:2], 3, v[20:21]
	v_ashrrev_i32_e32 v23, 31, v22
	v_add_co_u32 v18, vcc_lo, s0, v18
	s_delay_alu instid0(VALU_DEP_4) | instskip(SKIP_3) | instid1(VALU_DEP_4)
	v_add_nc_u32_e32 v30, s3, v28
	v_ashrrev_i32_e32 v25, 31, v24
	v_add_co_ci_u32_e32 v19, vcc_lo, s1, v19, vcc_lo
	v_lshlrev_b64 v[22:23], 3, v[22:23]
	v_add_nc_u32_e32 v32, s3, v30
	v_add_co_u32 v20, vcc_lo, s0, v1
	v_add_co_ci_u32_e32 v21, vcc_lo, s1, v2, vcc_lo
	s_delay_alu instid0(VALU_DEP_3)
	v_add_nc_u32_e32 v34, s3, v32
	v_lshlrev_b64 v[1:2], 3, v[24:25]
	v_ashrrev_i32_e32 v27, 31, v26
	v_add_co_u32 v22, vcc_lo, s0, v22
	v_ashrrev_i32_e32 v29, 31, v28
	v_add_nc_u32_e32 v36, s3, v34
	v_add_co_ci_u32_e32 v23, vcc_lo, s1, v23, vcc_lo
	v_lshlrev_b64 v[26:27], 3, v[26:27]
	v_add_co_u32 v24, vcc_lo, s0, v1
	v_add_co_ci_u32_e32 v25, vcc_lo, s1, v2, vcc_lo
	v_lshlrev_b64 v[1:2], 3, v[28:29]
	v_ashrrev_i32_e32 v31, 31, v30
	v_add_nc_u32_e32 v38, s3, v36
	v_add_co_u32 v26, vcc_lo, s0, v26
	v_ashrrev_i32_e32 v33, 31, v32
	v_add_co_ci_u32_e32 v27, vcc_lo, s1, v27, vcc_lo
	v_lshlrev_b64 v[30:31], 3, v[30:31]
	v_add_nc_u32_e32 v40, s3, v38
	v_add_co_u32 v28, vcc_lo, s0, v1
	v_add_co_ci_u32_e32 v29, vcc_lo, s1, v2, vcc_lo
	v_lshlrev_b64 v[1:2], 3, v[32:33]
	v_ashrrev_i32_e32 v35, 31, v34
	v_add_nc_u32_e32 v42, s3, v40
	v_add_co_u32 v30, vcc_lo, s0, v30
	v_ashrrev_i32_e32 v37, 31, v36
	v_add_co_ci_u32_e32 v31, vcc_lo, s1, v31, vcc_lo
	v_lshlrev_b64 v[34:35], 3, v[34:35]
	v_add_co_u32 v32, vcc_lo, s0, v1
	v_add_nc_u32_e32 v44, s3, v42
	v_add_co_ci_u32_e32 v33, vcc_lo, s1, v2, vcc_lo
	v_lshlrev_b64 v[1:2], 3, v[36:37]
	v_ashrrev_i32_e32 v39, 31, v38
	v_add_co_u32 v34, vcc_lo, s0, v34
	v_ashrrev_i32_e32 v41, 31, v40
	v_add_nc_u32_e32 v46, s3, v44
	v_add_co_ci_u32_e32 v35, vcc_lo, s1, v35, vcc_lo
	v_lshlrev_b64 v[38:39], 3, v[38:39]
	v_add_co_u32 v36, vcc_lo, s0, v1
	v_ashrrev_i32_e32 v43, 31, v42
	v_add_co_ci_u32_e32 v37, vcc_lo, s1, v2, vcc_lo
	v_lshlrev_b64 v[1:2], 3, v[40:41]
	v_add_nc_u32_e32 v48, s3, v46
	v_add_co_u32 v38, vcc_lo, s0, v38
	v_lshlrev_b64 v[42:43], 3, v[42:43]
	v_ashrrev_i32_e32 v45, 31, v44
	v_add_co_ci_u32_e32 v39, vcc_lo, s1, v39, vcc_lo
	v_add_co_u32 v40, vcc_lo, s0, v1
	v_ashrrev_i32_e32 v49, 31, v48
	v_add_co_ci_u32_e32 v41, vcc_lo, s1, v2, vcc_lo
	v_lshlrev_b64 v[1:2], 3, v[44:45]
	v_ashrrev_i32_e32 v47, 31, v46
	v_add_co_u32 v44, vcc_lo, s0, v42
	v_add_co_ci_u32_e32 v45, vcc_lo, s1, v43, vcc_lo
	v_lshlrev_b64 v[42:43], 3, v[48:49]
	s_delay_alu instid0(VALU_DEP_4) | instskip(SKIP_2) | instid1(VALU_DEP_4)
	v_lshlrev_b64 v[46:47], 3, v[46:47]
	v_add_co_u32 v48, vcc_lo, s0, v1
	v_add_co_ci_u32_e32 v49, vcc_lo, s1, v2, vcc_lo
	v_add_co_u32 v42, vcc_lo, s0, v42
	v_add_co_ci_u32_e32 v43, vcc_lo, s1, v43, vcc_lo
	;; [unrolled: 2-line block ×3, first 2 shown]
	s_clause 0x12
	global_load_b64 v[54:55], v[8:9], off
	global_load_b64 v[56:57], v[10:11], off
	;; [unrolled: 1-line block ×19, first 2 shown]
	s_mov_b32 s1, -1
	s_waitcnt vmcnt(19)
	scratch_store_b128 off, v[50:53], off
	s_clause 0x1
	global_load_b64 v[52:53], v[46:47], off
	global_load_b64 v[50:51], v[48:49], off
	s_waitcnt vmcnt(19)
	scratch_store_b128 off, v[54:57], off offset:16
	s_waitcnt vmcnt(17)
	scratch_store_b128 off, v[58:61], off offset:32
	;; [unrolled: 2-line block ×9, first 2 shown]
	s_waitcnt vmcnt(0)
	s_clause 0x1
	scratch_store_b128 off, v[50:53], off offset:160
	scratch_store_b64 off, v[1:2], off offset:176
	s_cbranch_scc1 .LBB22_100
; %bb.4:
	v_cmp_eq_u32_e64 s0, 0, v0
	s_delay_alu instid0(VALU_DEP_1)
	s_and_saveexec_b32 s1, s0
	s_cbranch_execz .LBB22_6
; %bb.5:
	v_mov_b32_e32 v1, 0
	ds_store_b32 v1, v1 offset:184
.LBB22_6:
	s_or_b32 exec_lo, exec_lo, s1
	s_waitcnt lgkmcnt(0)
	s_waitcnt_vscnt null, 0x0
	s_barrier
	buffer_gl0_inv
	scratch_load_b64 v[1:2], v3, off
	s_mov_b32 s2, exec_lo
	s_waitcnt vmcnt(0)
	v_cmpx_eq_f64_e32 0, v[1:2]
	s_cbranch_execz .LBB22_10
; %bb.7:
	v_mov_b32_e32 v1, 0
	s_mov_b32 s3, 0
	ds_load_b32 v2, v1 offset:184
	s_waitcnt lgkmcnt(0)
	v_readfirstlane_b32 s1, v2
	v_add_nc_u32_e32 v2, 1, v0
	s_delay_alu instid0(VALU_DEP_2) | instskip(NEXT) | instid1(VALU_DEP_1)
	s_cmp_eq_u32 s1, 0
	v_cmp_gt_i32_e32 vcc_lo, s1, v2
	s_cselect_b32 s4, -1, 0
	s_delay_alu instid0(SALU_CYCLE_1) | instskip(NEXT) | instid1(SALU_CYCLE_1)
	s_or_b32 s4, s4, vcc_lo
	s_and_b32 exec_lo, exec_lo, s4
	s_cbranch_execz .LBB22_10
; %bb.8:
	v_mov_b32_e32 v50, s1
.LBB22_9:                               ; =>This Inner Loop Header: Depth=1
	ds_cmpstore_rtn_b32 v50, v1, v2, v50 offset:184
	s_waitcnt lgkmcnt(0)
	v_cmp_ne_u32_e32 vcc_lo, 0, v50
	v_cmp_le_i32_e64 s1, v50, v2
	s_delay_alu instid0(VALU_DEP_1) | instskip(NEXT) | instid1(SALU_CYCLE_1)
	s_and_b32 s1, vcc_lo, s1
	s_and_b32 s1, exec_lo, s1
	s_delay_alu instid0(SALU_CYCLE_1) | instskip(NEXT) | instid1(SALU_CYCLE_1)
	s_or_b32 s3, s1, s3
	s_and_not1_b32 exec_lo, exec_lo, s3
	s_cbranch_execnz .LBB22_9
.LBB22_10:
	s_or_b32 exec_lo, exec_lo, s2
	v_mov_b32_e32 v1, 0
	s_barrier
	buffer_gl0_inv
	ds_load_b32 v2, v1 offset:184
	s_and_saveexec_b32 s1, s0
	s_cbranch_execz .LBB22_12
; %bb.11:
	s_lshl_b64 s[2:3], s[14:15], 2
	s_delay_alu instid0(SALU_CYCLE_1)
	s_add_u32 s2, s6, s2
	s_addc_u32 s3, s7, s3
	s_waitcnt lgkmcnt(0)
	global_store_b32 v1, v2, s[2:3]
.LBB22_12:
	s_or_b32 exec_lo, exec_lo, s1
	s_waitcnt lgkmcnt(0)
	v_cmp_ne_u32_e32 vcc_lo, 0, v2
	s_mov_b32 s1, 0
	s_cbranch_vccnz .LBB22_100
; %bb.13:
	v_add_nc_u32_e32 v50, 0, v3
	scratch_load_b64 v[1:2], v50, off
	s_waitcnt vmcnt(0)
	v_div_scale_f64 v[51:52], null, v[1:2], v[1:2], 1.0
	v_div_scale_f64 v[57:58], vcc_lo, 1.0, v[1:2], 1.0
	s_delay_alu instid0(VALU_DEP_2) | instskip(SKIP_2) | instid1(VALU_DEP_1)
	v_rcp_f64_e32 v[53:54], v[51:52]
	s_waitcnt_depctr 0xfff
	v_fma_f64 v[55:56], -v[51:52], v[53:54], 1.0
	v_fma_f64 v[53:54], v[53:54], v[55:56], v[53:54]
	s_delay_alu instid0(VALU_DEP_1) | instskip(NEXT) | instid1(VALU_DEP_1)
	v_fma_f64 v[55:56], -v[51:52], v[53:54], 1.0
	v_fma_f64 v[53:54], v[53:54], v[55:56], v[53:54]
	s_delay_alu instid0(VALU_DEP_1) | instskip(NEXT) | instid1(VALU_DEP_1)
	v_mul_f64 v[55:56], v[57:58], v[53:54]
	v_fma_f64 v[51:52], -v[51:52], v[55:56], v[57:58]
	s_delay_alu instid0(VALU_DEP_1) | instskip(NEXT) | instid1(VALU_DEP_1)
	v_div_fmas_f64 v[51:52], v[51:52], v[53:54], v[55:56]
	v_div_fixup_f64 v[1:2], v[51:52], v[1:2], 1.0
	v_add_nc_u32_e32 v51, 0xc0, v3
	scratch_store_b64 v50, v[1:2], off
	scratch_load_b64 v[52:53], off, off offset:8
	v_xor_b32_e32 v2, 0x80000000, v2
	s_waitcnt vmcnt(0)
	ds_store_2addr_b64 v3, v[1:2], v[52:53] offset1:24
	s_waitcnt lgkmcnt(0)
	s_waitcnt_vscnt null, 0x0
	s_barrier
	buffer_gl0_inv
	s_and_saveexec_b32 s1, s0
	s_cbranch_execz .LBB22_15
; %bb.14:
	scratch_load_b64 v[1:2], v50, off
	ds_load_b64 v[52:53], v51
	s_waitcnt vmcnt(0) lgkmcnt(0)
	v_fma_f64 v[1:2], v[1:2], v[52:53], 0
	v_mov_b32_e32 v52, 0
	ds_load_b64 v[52:53], v52 offset:8
	s_waitcnt lgkmcnt(0)
	v_mul_f64 v[1:2], v[1:2], v[52:53]
	scratch_store_b64 off, v[1:2], off offset:8
.LBB22_15:
	s_or_b32 exec_lo, exec_lo, s1
	s_waitcnt_vscnt null, 0x0
	s_barrier
	buffer_gl0_inv
	scratch_load_b64 v[1:2], off, off offset:16
	s_mov_b32 s1, exec_lo
	s_waitcnt vmcnt(0)
	ds_store_b64 v51, v[1:2]
	s_waitcnt lgkmcnt(0)
	s_barrier
	buffer_gl0_inv
	v_cmpx_gt_u32_e32 2, v0
	s_cbranch_execz .LBB22_19
; %bb.16:
	scratch_load_b64 v[1:2], v50, off
	ds_load_b64 v[52:53], v51
	s_waitcnt vmcnt(0) lgkmcnt(0)
	v_fma_f64 v[1:2], v[1:2], v[52:53], 0
	s_and_saveexec_b32 s2, s0
	s_cbranch_execz .LBB22_18
; %bb.17:
	scratch_load_b64 v[52:53], off, off offset:8
	v_mov_b32_e32 v54, 0
	ds_load_b64 v[54:55], v54 offset:200
	s_waitcnt vmcnt(0) lgkmcnt(0)
	v_fma_f64 v[1:2], v[52:53], v[54:55], v[1:2]
.LBB22_18:
	s_or_b32 exec_lo, exec_lo, s2
	v_mov_b32_e32 v52, 0
	ds_load_b64 v[52:53], v52 offset:16
	s_waitcnt lgkmcnt(0)
	v_mul_f64 v[1:2], v[1:2], v[52:53]
	scratch_store_b64 off, v[1:2], off offset:16
.LBB22_19:
	s_or_b32 exec_lo, exec_lo, s1
	s_waitcnt_vscnt null, 0x0
	s_barrier
	buffer_gl0_inv
	scratch_load_b64 v[1:2], off, off offset:24
	v_add_nc_u32_e32 v52, -1, v0
	s_mov_b32 s0, exec_lo
	s_waitcnt vmcnt(0)
	ds_store_b64 v51, v[1:2]
	s_waitcnt lgkmcnt(0)
	s_barrier
	buffer_gl0_inv
	v_cmpx_gt_u32_e32 3, v0
	s_cbranch_execz .LBB22_23
; %bb.20:
	v_dual_mov_b32 v1, 0 :: v_dual_add_nc_u32 v54, 0xc0, v3
	v_dual_mov_b32 v2, 0 :: v_dual_add_nc_u32 v53, -1, v0
	v_add_nc_u32_e32 v55, 0, v3
	s_mov_b32 s1, 0
.LBB22_21:                              ; =>This Inner Loop Header: Depth=1
	scratch_load_b64 v[56:57], v55, off
	ds_load_b64 v[58:59], v54
	v_add_nc_u32_e32 v53, 1, v53
	v_add_nc_u32_e32 v54, 8, v54
	v_add_nc_u32_e32 v55, 8, v55
	s_delay_alu instid0(VALU_DEP_3)
	v_cmp_lt_u32_e32 vcc_lo, 1, v53
	s_or_b32 s1, vcc_lo, s1
	s_waitcnt vmcnt(0) lgkmcnt(0)
	v_fma_f64 v[1:2], v[56:57], v[58:59], v[1:2]
	s_and_not1_b32 exec_lo, exec_lo, s1
	s_cbranch_execnz .LBB22_21
; %bb.22:
	s_or_b32 exec_lo, exec_lo, s1
	v_mov_b32_e32 v53, 0
	ds_load_b64 v[53:54], v53 offset:24
	s_waitcnt lgkmcnt(0)
	v_mul_f64 v[1:2], v[1:2], v[53:54]
	scratch_store_b64 off, v[1:2], off offset:24
.LBB22_23:
	s_or_b32 exec_lo, exec_lo, s0
	s_waitcnt_vscnt null, 0x0
	s_barrier
	buffer_gl0_inv
	scratch_load_b64 v[1:2], off, off offset:32
	s_mov_b32 s0, exec_lo
	s_waitcnt vmcnt(0)
	ds_store_b64 v51, v[1:2]
	s_waitcnt lgkmcnt(0)
	s_barrier
	buffer_gl0_inv
	v_cmpx_gt_u32_e32 4, v0
	s_cbranch_execz .LBB22_27
; %bb.24:
	v_dual_mov_b32 v1, 0 :: v_dual_add_nc_u32 v54, 0xc0, v3
	v_dual_mov_b32 v2, 0 :: v_dual_add_nc_u32 v53, -1, v0
	v_add_nc_u32_e32 v55, 0, v3
	s_mov_b32 s1, 0
.LBB22_25:                              ; =>This Inner Loop Header: Depth=1
	scratch_load_b64 v[56:57], v55, off
	ds_load_b64 v[58:59], v54
	v_add_nc_u32_e32 v53, 1, v53
	v_add_nc_u32_e32 v54, 8, v54
	v_add_nc_u32_e32 v55, 8, v55
	s_delay_alu instid0(VALU_DEP_3)
	v_cmp_lt_u32_e32 vcc_lo, 2, v53
	s_or_b32 s1, vcc_lo, s1
	s_waitcnt vmcnt(0) lgkmcnt(0)
	v_fma_f64 v[1:2], v[56:57], v[58:59], v[1:2]
	s_and_not1_b32 exec_lo, exec_lo, s1
	s_cbranch_execnz .LBB22_25
; %bb.26:
	s_or_b32 exec_lo, exec_lo, s1
	v_mov_b32_e32 v53, 0
	ds_load_b64 v[53:54], v53 offset:32
	s_waitcnt lgkmcnt(0)
	v_mul_f64 v[1:2], v[1:2], v[53:54]
	scratch_store_b64 off, v[1:2], off offset:32
.LBB22_27:
	s_or_b32 exec_lo, exec_lo, s0
	s_waitcnt_vscnt null, 0x0
	s_barrier
	buffer_gl0_inv
	scratch_load_b64 v[1:2], off, off offset:40
	;; [unrolled: 39-line block ×19, first 2 shown]
	s_mov_b32 s0, exec_lo
	s_waitcnt vmcnt(0)
	ds_store_b64 v51, v[1:2]
	s_waitcnt lgkmcnt(0)
	s_barrier
	buffer_gl0_inv
	v_cmpx_ne_u32_e32 22, v0
	s_cbranch_execz .LBB22_99
; %bb.96:
	v_mov_b32_e32 v1, 0
	v_mov_b32_e32 v2, 0
	s_mov_b32 s1, 0
.LBB22_97:                              ; =>This Inner Loop Header: Depth=1
	scratch_load_b64 v[53:54], v50, off
	ds_load_b64 v[55:56], v51
	v_add_nc_u32_e32 v52, 1, v52
	v_add_nc_u32_e32 v51, 8, v51
	;; [unrolled: 1-line block ×3, first 2 shown]
	s_delay_alu instid0(VALU_DEP_3)
	v_cmp_lt_u32_e32 vcc_lo, 20, v52
	s_or_b32 s1, vcc_lo, s1
	s_waitcnt vmcnt(0) lgkmcnt(0)
	v_fma_f64 v[1:2], v[53:54], v[55:56], v[1:2]
	s_and_not1_b32 exec_lo, exec_lo, s1
	s_cbranch_execnz .LBB22_97
; %bb.98:
	s_or_b32 exec_lo, exec_lo, s1
	v_mov_b32_e32 v3, 0
	ds_load_b64 v[50:51], v3 offset:176
	s_waitcnt lgkmcnt(0)
	v_mul_f64 v[1:2], v[1:2], v[50:51]
	scratch_store_b64 off, v[1:2], off offset:176
.LBB22_99:
	s_or_b32 exec_lo, exec_lo, s0
	s_mov_b32 s1, -1
	s_waitcnt_vscnt null, 0x0
	s_barrier
	buffer_gl0_inv
.LBB22_100:
	s_and_b32 vcc_lo, exec_lo, s1
	s_cbranch_vccz .LBB22_102
; %bb.101:
	s_lshl_b64 s[0:1], s[14:15], 2
	v_mov_b32_e32 v1, 0
	s_add_u32 s0, s6, s0
	s_addc_u32 s1, s7, s1
	global_load_b32 v1, v1, s[0:1]
	s_waitcnt vmcnt(0)
	v_cmp_ne_u32_e32 vcc_lo, 0, v1
	s_cbranch_vccz .LBB22_103
.LBB22_102:
	s_endpgm
.LBB22_103:
	v_lshl_add_u32 v3, v0, 3, 0xc0
	s_mov_b32 s0, exec_lo
	v_cmpx_eq_u32_e32 22, v0
	s_cbranch_execz .LBB22_105
; %bb.104:
	scratch_load_b64 v[1:2], off, off offset:168
	v_mov_b32_e32 v50, 0
	s_delay_alu instid0(VALU_DEP_1)
	v_mov_b32_e32 v51, v50
	scratch_store_b64 off, v[50:51], off offset:168
	s_waitcnt vmcnt(0)
	ds_store_b64 v3, v[1:2]
.LBB22_105:
	s_or_b32 exec_lo, exec_lo, s0
	s_waitcnt lgkmcnt(0)
	s_waitcnt_vscnt null, 0x0
	s_barrier
	buffer_gl0_inv
	scratch_load_b128 v[50:53], off, off offset:168
	v_mov_b32_e32 v1, 0
	s_mov_b32 s0, exec_lo
	ds_load_b64 v[54:55], v1 offset:368
	s_waitcnt vmcnt(0) lgkmcnt(0)
	v_fma_f64 v[52:53], v[52:53], v[54:55], 0
	s_delay_alu instid0(VALU_DEP_1)
	v_add_f64 v[50:51], v[50:51], -v[52:53]
	scratch_store_b64 off, v[50:51], off offset:168
	v_cmpx_lt_u32_e32 20, v0
	s_cbranch_execz .LBB22_107
; %bb.106:
	scratch_load_b64 v[50:51], off, off offset:160
	v_mov_b32_e32 v2, v1
	scratch_store_b64 off, v[1:2], off offset:160
	s_waitcnt vmcnt(0)
	ds_store_b64 v3, v[50:51]
.LBB22_107:
	s_or_b32 exec_lo, exec_lo, s0
	s_waitcnt lgkmcnt(0)
	s_waitcnt_vscnt null, 0x0
	s_barrier
	buffer_gl0_inv
	s_clause 0x1
	scratch_load_b128 v[50:53], off, off offset:160
	scratch_load_b64 v[58:59], off, off offset:176
	ds_load_2addr_b64 v[54:57], v1 offset0:45 offset1:46
	s_mov_b32 s0, exec_lo
	s_waitcnt vmcnt(1) lgkmcnt(0)
	v_fma_f64 v[1:2], v[52:53], v[54:55], 0
	s_waitcnt vmcnt(0)
	s_delay_alu instid0(VALU_DEP_1) | instskip(NEXT) | instid1(VALU_DEP_1)
	v_fma_f64 v[1:2], v[58:59], v[56:57], v[1:2]
	v_add_f64 v[1:2], v[50:51], -v[1:2]
	scratch_store_b64 off, v[1:2], off offset:160
	v_cmpx_lt_u32_e32 19, v0
	s_cbranch_execz .LBB22_109
; %bb.108:
	scratch_load_b64 v[1:2], off, off offset:152
	v_mov_b32_e32 v50, 0
	s_delay_alu instid0(VALU_DEP_1)
	v_mov_b32_e32 v51, v50
	scratch_store_b64 off, v[50:51], off offset:152
	s_waitcnt vmcnt(0)
	ds_store_b64 v3, v[1:2]
.LBB22_109:
	s_or_b32 exec_lo, exec_lo, s0
	s_waitcnt lgkmcnt(0)
	s_waitcnt_vscnt null, 0x0
	s_barrier
	buffer_gl0_inv
	s_clause 0x1
	scratch_load_b128 v[50:53], off, off offset:152
	scratch_load_b128 v[54:57], off, off offset:168
	v_mov_b32_e32 v1, 0
	ds_load_b128 v[58:61], v1 offset:352
	ds_load_b64 v[62:63], v1 offset:368
	s_mov_b32 s0, exec_lo
	s_waitcnt vmcnt(1) lgkmcnt(1)
	v_fma_f64 v[52:53], v[52:53], v[58:59], 0
	s_waitcnt vmcnt(0)
	s_delay_alu instid0(VALU_DEP_1) | instskip(SKIP_1) | instid1(VALU_DEP_1)
	v_fma_f64 v[52:53], v[54:55], v[60:61], v[52:53]
	s_waitcnt lgkmcnt(0)
	v_fma_f64 v[52:53], v[56:57], v[62:63], v[52:53]
	s_delay_alu instid0(VALU_DEP_1)
	v_add_f64 v[50:51], v[50:51], -v[52:53]
	scratch_store_b64 off, v[50:51], off offset:152
	v_cmpx_lt_u32_e32 18, v0
	s_cbranch_execz .LBB22_111
; %bb.110:
	scratch_load_b64 v[50:51], off, off offset:144
	v_mov_b32_e32 v2, v1
	scratch_store_b64 off, v[1:2], off offset:144
	s_waitcnt vmcnt(0)
	ds_store_b64 v3, v[50:51]
.LBB22_111:
	s_or_b32 exec_lo, exec_lo, s0
	s_waitcnt lgkmcnt(0)
	s_waitcnt_vscnt null, 0x0
	s_barrier
	buffer_gl0_inv
	s_clause 0x2
	scratch_load_b128 v[50:53], off, off offset:144
	scratch_load_b128 v[54:57], off, off offset:160
	scratch_load_b64 v[66:67], off, off offset:176
	ds_load_2addr_b64 v[58:61], v1 offset0:43 offset1:44
	ds_load_2addr_b64 v[62:65], v1 offset0:45 offset1:46
	s_mov_b32 s0, exec_lo
	s_waitcnt vmcnt(2) lgkmcnt(1)
	v_fma_f64 v[1:2], v[52:53], v[58:59], 0
	s_waitcnt vmcnt(1)
	s_delay_alu instid0(VALU_DEP_1) | instskip(SKIP_1) | instid1(VALU_DEP_1)
	v_fma_f64 v[1:2], v[54:55], v[60:61], v[1:2]
	s_waitcnt lgkmcnt(0)
	v_fma_f64 v[1:2], v[56:57], v[62:63], v[1:2]
	s_waitcnt vmcnt(0)
	s_delay_alu instid0(VALU_DEP_1) | instskip(NEXT) | instid1(VALU_DEP_1)
	v_fma_f64 v[1:2], v[66:67], v[64:65], v[1:2]
	v_add_f64 v[1:2], v[50:51], -v[1:2]
	scratch_store_b64 off, v[1:2], off offset:144
	v_cmpx_lt_u32_e32 17, v0
	s_cbranch_execz .LBB22_113
; %bb.112:
	scratch_load_b64 v[1:2], off, off offset:136
	v_mov_b32_e32 v50, 0
	s_delay_alu instid0(VALU_DEP_1)
	v_mov_b32_e32 v51, v50
	scratch_store_b64 off, v[50:51], off offset:136
	s_waitcnt vmcnt(0)
	ds_store_b64 v3, v[1:2]
.LBB22_113:
	s_or_b32 exec_lo, exec_lo, s0
	s_waitcnt lgkmcnt(0)
	s_waitcnt_vscnt null, 0x0
	s_barrier
	buffer_gl0_inv
	s_clause 0x2
	scratch_load_b128 v[50:53], off, off offset:136
	scratch_load_b128 v[54:57], off, off offset:152
	;; [unrolled: 1-line block ×3, first 2 shown]
	v_mov_b32_e32 v1, 0
	ds_load_b128 v[62:65], v1 offset:336
	ds_load_b128 v[66:69], v1 offset:352
	s_mov_b32 s0, exec_lo
	s_waitcnt vmcnt(2) lgkmcnt(1)
	v_fma_f64 v[52:53], v[52:53], v[62:63], 0
	s_waitcnt vmcnt(1)
	s_delay_alu instid0(VALU_DEP_1) | instskip(SKIP_4) | instid1(VALU_DEP_1)
	v_fma_f64 v[52:53], v[54:55], v[64:65], v[52:53]
	ds_load_b64 v[54:55], v1 offset:368
	s_waitcnt lgkmcnt(1)
	v_fma_f64 v[52:53], v[56:57], v[66:67], v[52:53]
	s_waitcnt vmcnt(0)
	v_fma_f64 v[52:53], v[58:59], v[68:69], v[52:53]
	s_waitcnt lgkmcnt(0)
	s_delay_alu instid0(VALU_DEP_1) | instskip(NEXT) | instid1(VALU_DEP_1)
	v_fma_f64 v[52:53], v[60:61], v[54:55], v[52:53]
	v_add_f64 v[50:51], v[50:51], -v[52:53]
	scratch_store_b64 off, v[50:51], off offset:136
	v_cmpx_lt_u32_e32 16, v0
	s_cbranch_execz .LBB22_115
; %bb.114:
	scratch_load_b64 v[50:51], off, off offset:128
	v_mov_b32_e32 v2, v1
	scratch_store_b64 off, v[1:2], off offset:128
	s_waitcnt vmcnt(0)
	ds_store_b64 v3, v[50:51]
.LBB22_115:
	s_or_b32 exec_lo, exec_lo, s0
	s_waitcnt lgkmcnt(0)
	s_waitcnt_vscnt null, 0x0
	s_barrier
	buffer_gl0_inv
	s_clause 0x3
	scratch_load_b128 v[50:53], off, off offset:128
	scratch_load_b128 v[54:57], off, off offset:144
	;; [unrolled: 1-line block ×3, first 2 shown]
	scratch_load_b64 v[70:71], off, off offset:176
	ds_load_2addr_b64 v[62:65], v1 offset0:41 offset1:42
	ds_load_2addr_b64 v[66:69], v1 offset0:43 offset1:44
	s_mov_b32 s0, exec_lo
	s_waitcnt vmcnt(3) lgkmcnt(1)
	v_fma_f64 v[52:53], v[52:53], v[62:63], 0
	s_waitcnt vmcnt(2)
	s_delay_alu instid0(VALU_DEP_1) | instskip(SKIP_1) | instid1(VALU_DEP_1)
	v_fma_f64 v[52:53], v[54:55], v[64:65], v[52:53]
	s_waitcnt lgkmcnt(0)
	v_fma_f64 v[52:53], v[56:57], v[66:67], v[52:53]
	s_waitcnt vmcnt(1)
	s_delay_alu instid0(VALU_DEP_1) | instskip(SKIP_4) | instid1(VALU_DEP_1)
	v_fma_f64 v[56:57], v[58:59], v[68:69], v[52:53]
	ds_load_2addr_b64 v[52:55], v1 offset0:45 offset1:46
	s_waitcnt lgkmcnt(0)
	v_fma_f64 v[1:2], v[60:61], v[52:53], v[56:57]
	s_waitcnt vmcnt(0)
	v_fma_f64 v[1:2], v[70:71], v[54:55], v[1:2]
	s_delay_alu instid0(VALU_DEP_1)
	v_add_f64 v[1:2], v[50:51], -v[1:2]
	scratch_store_b64 off, v[1:2], off offset:128
	v_cmpx_lt_u32_e32 15, v0
	s_cbranch_execz .LBB22_117
; %bb.116:
	scratch_load_b64 v[1:2], off, off offset:120
	v_mov_b32_e32 v50, 0
	s_delay_alu instid0(VALU_DEP_1)
	v_mov_b32_e32 v51, v50
	scratch_store_b64 off, v[50:51], off offset:120
	s_waitcnt vmcnt(0)
	ds_store_b64 v3, v[1:2]
.LBB22_117:
	s_or_b32 exec_lo, exec_lo, s0
	s_waitcnt lgkmcnt(0)
	s_waitcnt_vscnt null, 0x0
	s_barrier
	buffer_gl0_inv
	s_clause 0x3
	scratch_load_b128 v[50:53], off, off offset:120
	scratch_load_b128 v[54:57], off, off offset:136
	;; [unrolled: 1-line block ×4, first 2 shown]
	v_mov_b32_e32 v1, 0
	ds_load_b128 v[66:69], v1 offset:320
	ds_load_b128 v[70:73], v1 offset:336
	s_mov_b32 s0, exec_lo
	s_waitcnt vmcnt(3) lgkmcnt(1)
	v_fma_f64 v[52:53], v[52:53], v[66:67], 0
	s_waitcnt vmcnt(2)
	s_delay_alu instid0(VALU_DEP_1) | instskip(SKIP_1) | instid1(VALU_DEP_1)
	v_fma_f64 v[52:53], v[54:55], v[68:69], v[52:53]
	s_waitcnt lgkmcnt(0)
	v_fma_f64 v[52:53], v[56:57], v[70:71], v[52:53]
	s_waitcnt vmcnt(1)
	s_delay_alu instid0(VALU_DEP_1)
	v_fma_f64 v[56:57], v[58:59], v[72:73], v[52:53]
	ds_load_b128 v[52:55], v1 offset:352
	ds_load_b64 v[58:59], v1 offset:368
	s_waitcnt lgkmcnt(1)
	v_fma_f64 v[52:53], v[60:61], v[52:53], v[56:57]
	s_waitcnt vmcnt(0)
	s_delay_alu instid0(VALU_DEP_1) | instskip(SKIP_1) | instid1(VALU_DEP_1)
	v_fma_f64 v[52:53], v[62:63], v[54:55], v[52:53]
	s_waitcnt lgkmcnt(0)
	v_fma_f64 v[52:53], v[64:65], v[58:59], v[52:53]
	s_delay_alu instid0(VALU_DEP_1)
	v_add_f64 v[50:51], v[50:51], -v[52:53]
	scratch_store_b64 off, v[50:51], off offset:120
	v_cmpx_lt_u32_e32 14, v0
	s_cbranch_execz .LBB22_119
; %bb.118:
	scratch_load_b64 v[50:51], off, off offset:112
	v_mov_b32_e32 v2, v1
	scratch_store_b64 off, v[1:2], off offset:112
	s_waitcnt vmcnt(0)
	ds_store_b64 v3, v[50:51]
.LBB22_119:
	s_or_b32 exec_lo, exec_lo, s0
	s_waitcnt lgkmcnt(0)
	s_waitcnt_vscnt null, 0x0
	s_barrier
	buffer_gl0_inv
	s_clause 0x4
	scratch_load_b128 v[50:53], off, off offset:112
	scratch_load_b128 v[54:57], off, off offset:128
	;; [unrolled: 1-line block ×4, first 2 shown]
	scratch_load_b64 v[74:75], off, off offset:176
	ds_load_2addr_b64 v[66:69], v1 offset0:39 offset1:40
	ds_load_2addr_b64 v[70:73], v1 offset0:41 offset1:42
	s_mov_b32 s0, exec_lo
	s_waitcnt vmcnt(4) lgkmcnt(1)
	v_fma_f64 v[52:53], v[52:53], v[66:67], 0
	s_waitcnt vmcnt(3)
	s_delay_alu instid0(VALU_DEP_1) | instskip(SKIP_1) | instid1(VALU_DEP_1)
	v_fma_f64 v[52:53], v[54:55], v[68:69], v[52:53]
	s_waitcnt lgkmcnt(0)
	v_fma_f64 v[52:53], v[56:57], v[70:71], v[52:53]
	s_waitcnt vmcnt(2)
	s_delay_alu instid0(VALU_DEP_1)
	v_fma_f64 v[66:67], v[58:59], v[72:73], v[52:53]
	ds_load_2addr_b64 v[52:55], v1 offset0:43 offset1:44
	ds_load_2addr_b64 v[56:59], v1 offset0:45 offset1:46
	s_waitcnt lgkmcnt(1)
	v_fma_f64 v[1:2], v[60:61], v[52:53], v[66:67]
	s_waitcnt vmcnt(1)
	s_delay_alu instid0(VALU_DEP_1) | instskip(SKIP_1) | instid1(VALU_DEP_1)
	v_fma_f64 v[1:2], v[62:63], v[54:55], v[1:2]
	s_waitcnt lgkmcnt(0)
	v_fma_f64 v[1:2], v[64:65], v[56:57], v[1:2]
	s_waitcnt vmcnt(0)
	s_delay_alu instid0(VALU_DEP_1) | instskip(NEXT) | instid1(VALU_DEP_1)
	v_fma_f64 v[1:2], v[74:75], v[58:59], v[1:2]
	v_add_f64 v[1:2], v[50:51], -v[1:2]
	scratch_store_b64 off, v[1:2], off offset:112
	v_cmpx_lt_u32_e32 13, v0
	s_cbranch_execz .LBB22_121
; %bb.120:
	scratch_load_b64 v[1:2], off, off offset:104
	v_mov_b32_e32 v50, 0
	s_delay_alu instid0(VALU_DEP_1)
	v_mov_b32_e32 v51, v50
	scratch_store_b64 off, v[50:51], off offset:104
	s_waitcnt vmcnt(0)
	ds_store_b64 v3, v[1:2]
.LBB22_121:
	s_or_b32 exec_lo, exec_lo, s0
	s_waitcnt lgkmcnt(0)
	s_waitcnt_vscnt null, 0x0
	s_barrier
	buffer_gl0_inv
	s_clause 0x4
	scratch_load_b128 v[50:53], off, off offset:104
	scratch_load_b128 v[54:57], off, off offset:120
	;; [unrolled: 1-line block ×5, first 2 shown]
	v_mov_b32_e32 v1, 0
	ds_load_b128 v[70:73], v1 offset:304
	ds_load_b128 v[74:77], v1 offset:320
	s_mov_b32 s0, exec_lo
	s_waitcnt vmcnt(4) lgkmcnt(1)
	v_fma_f64 v[52:53], v[52:53], v[70:71], 0
	s_waitcnt vmcnt(3)
	s_delay_alu instid0(VALU_DEP_1) | instskip(SKIP_1) | instid1(VALU_DEP_1)
	v_fma_f64 v[52:53], v[54:55], v[72:73], v[52:53]
	s_waitcnt lgkmcnt(0)
	v_fma_f64 v[52:53], v[56:57], v[74:75], v[52:53]
	s_waitcnt vmcnt(2)
	s_delay_alu instid0(VALU_DEP_1)
	v_fma_f64 v[70:71], v[58:59], v[76:77], v[52:53]
	ds_load_b128 v[52:55], v1 offset:336
	ds_load_b128 v[56:59], v1 offset:352
	s_waitcnt lgkmcnt(1)
	v_fma_f64 v[52:53], v[60:61], v[52:53], v[70:71]
	s_waitcnt vmcnt(1)
	s_delay_alu instid0(VALU_DEP_1) | instskip(SKIP_4) | instid1(VALU_DEP_1)
	v_fma_f64 v[52:53], v[62:63], v[54:55], v[52:53]
	ds_load_b64 v[54:55], v1 offset:368
	s_waitcnt lgkmcnt(1)
	v_fma_f64 v[52:53], v[64:65], v[56:57], v[52:53]
	s_waitcnt vmcnt(0)
	v_fma_f64 v[52:53], v[66:67], v[58:59], v[52:53]
	s_waitcnt lgkmcnt(0)
	s_delay_alu instid0(VALU_DEP_1) | instskip(NEXT) | instid1(VALU_DEP_1)
	v_fma_f64 v[52:53], v[68:69], v[54:55], v[52:53]
	v_add_f64 v[50:51], v[50:51], -v[52:53]
	scratch_store_b64 off, v[50:51], off offset:104
	v_cmpx_lt_u32_e32 12, v0
	s_cbranch_execz .LBB22_123
; %bb.122:
	scratch_load_b64 v[50:51], off, off offset:96
	v_mov_b32_e32 v2, v1
	scratch_store_b64 off, v[1:2], off offset:96
	s_waitcnt vmcnt(0)
	ds_store_b64 v3, v[50:51]
.LBB22_123:
	s_or_b32 exec_lo, exec_lo, s0
	s_waitcnt lgkmcnt(0)
	s_waitcnt_vscnt null, 0x0
	s_barrier
	buffer_gl0_inv
	s_clause 0x4
	scratch_load_b128 v[50:53], off, off offset:96
	scratch_load_b128 v[54:57], off, off offset:112
	;; [unrolled: 1-line block ×5, first 2 shown]
	ds_load_2addr_b64 v[70:73], v1 offset0:37 offset1:38
	ds_load_2addr_b64 v[74:77], v1 offset0:39 offset1:40
	s_mov_b32 s0, exec_lo
	s_waitcnt vmcnt(4) lgkmcnt(1)
	v_fma_f64 v[52:53], v[52:53], v[70:71], 0
	scratch_load_b64 v[70:71], off, off offset:176
	s_waitcnt vmcnt(4)
	v_fma_f64 v[52:53], v[54:55], v[72:73], v[52:53]
	s_waitcnt lgkmcnt(0)
	s_delay_alu instid0(VALU_DEP_1) | instskip(SKIP_1) | instid1(VALU_DEP_1)
	v_fma_f64 v[52:53], v[56:57], v[74:75], v[52:53]
	s_waitcnt vmcnt(3)
	v_fma_f64 v[72:73], v[58:59], v[76:77], v[52:53]
	ds_load_2addr_b64 v[52:55], v1 offset0:41 offset1:42
	ds_load_2addr_b64 v[56:59], v1 offset0:43 offset1:44
	s_waitcnt lgkmcnt(1)
	v_fma_f64 v[52:53], v[60:61], v[52:53], v[72:73]
	s_waitcnt vmcnt(2)
	s_delay_alu instid0(VALU_DEP_1) | instskip(SKIP_1) | instid1(VALU_DEP_1)
	v_fma_f64 v[52:53], v[62:63], v[54:55], v[52:53]
	s_waitcnt lgkmcnt(0)
	v_fma_f64 v[52:53], v[64:65], v[56:57], v[52:53]
	s_waitcnt vmcnt(1)
	s_delay_alu instid0(VALU_DEP_1) | instskip(SKIP_4) | instid1(VALU_DEP_1)
	v_fma_f64 v[56:57], v[66:67], v[58:59], v[52:53]
	ds_load_2addr_b64 v[52:55], v1 offset0:45 offset1:46
	s_waitcnt lgkmcnt(0)
	v_fma_f64 v[1:2], v[68:69], v[52:53], v[56:57]
	s_waitcnt vmcnt(0)
	v_fma_f64 v[1:2], v[70:71], v[54:55], v[1:2]
	s_delay_alu instid0(VALU_DEP_1)
	v_add_f64 v[1:2], v[50:51], -v[1:2]
	scratch_store_b64 off, v[1:2], off offset:96
	v_cmpx_lt_u32_e32 11, v0
	s_cbranch_execz .LBB22_125
; %bb.124:
	scratch_load_b64 v[1:2], off, off offset:88
	v_mov_b32_e32 v50, 0
	s_delay_alu instid0(VALU_DEP_1)
	v_mov_b32_e32 v51, v50
	scratch_store_b64 off, v[50:51], off offset:88
	s_waitcnt vmcnt(0)
	ds_store_b64 v3, v[1:2]
.LBB22_125:
	s_or_b32 exec_lo, exec_lo, s0
	s_waitcnt lgkmcnt(0)
	s_waitcnt_vscnt null, 0x0
	s_barrier
	buffer_gl0_inv
	s_clause 0x4
	scratch_load_b128 v[50:53], off, off offset:88
	scratch_load_b128 v[54:57], off, off offset:104
	;; [unrolled: 1-line block ×5, first 2 shown]
	v_mov_b32_e32 v1, 0
	ds_load_b128 v[70:73], v1 offset:288
	ds_load_b128 v[74:77], v1 offset:304
	scratch_load_b128 v[78:81], off, off offset:168
	s_mov_b32 s0, exec_lo
	s_waitcnt vmcnt(5) lgkmcnt(1)
	v_fma_f64 v[52:53], v[52:53], v[70:71], 0
	s_waitcnt vmcnt(4)
	s_delay_alu instid0(VALU_DEP_1) | instskip(SKIP_1) | instid1(VALU_DEP_1)
	v_fma_f64 v[52:53], v[54:55], v[72:73], v[52:53]
	s_waitcnt lgkmcnt(0)
	v_fma_f64 v[52:53], v[56:57], v[74:75], v[52:53]
	s_waitcnt vmcnt(3)
	s_delay_alu instid0(VALU_DEP_1)
	v_fma_f64 v[70:71], v[58:59], v[76:77], v[52:53]
	ds_load_b128 v[52:55], v1 offset:320
	ds_load_b128 v[56:59], v1 offset:336
	s_waitcnt lgkmcnt(1)
	v_fma_f64 v[52:53], v[60:61], v[52:53], v[70:71]
	s_waitcnt vmcnt(2)
	s_delay_alu instid0(VALU_DEP_1) | instskip(SKIP_1) | instid1(VALU_DEP_1)
	v_fma_f64 v[52:53], v[62:63], v[54:55], v[52:53]
	s_waitcnt lgkmcnt(0)
	v_fma_f64 v[52:53], v[64:65], v[56:57], v[52:53]
	s_waitcnt vmcnt(1)
	s_delay_alu instid0(VALU_DEP_1)
	v_fma_f64 v[56:57], v[66:67], v[58:59], v[52:53]
	ds_load_b128 v[52:55], v1 offset:352
	ds_load_b64 v[58:59], v1 offset:368
	s_waitcnt lgkmcnt(1)
	v_fma_f64 v[52:53], v[68:69], v[52:53], v[56:57]
	s_waitcnt vmcnt(0)
	s_delay_alu instid0(VALU_DEP_1) | instskip(SKIP_1) | instid1(VALU_DEP_1)
	v_fma_f64 v[52:53], v[78:79], v[54:55], v[52:53]
	s_waitcnt lgkmcnt(0)
	v_fma_f64 v[52:53], v[80:81], v[58:59], v[52:53]
	s_delay_alu instid0(VALU_DEP_1)
	v_add_f64 v[50:51], v[50:51], -v[52:53]
	scratch_store_b64 off, v[50:51], off offset:88
	v_cmpx_lt_u32_e32 10, v0
	s_cbranch_execz .LBB22_127
; %bb.126:
	scratch_load_b64 v[50:51], off, off offset:80
	v_mov_b32_e32 v2, v1
	scratch_store_b64 off, v[1:2], off offset:80
	s_waitcnt vmcnt(0)
	ds_store_b64 v3, v[50:51]
.LBB22_127:
	s_or_b32 exec_lo, exec_lo, s0
	s_waitcnt lgkmcnt(0)
	s_waitcnt_vscnt null, 0x0
	s_barrier
	buffer_gl0_inv
	s_clause 0x4
	scratch_load_b128 v[50:53], off, off offset:80
	scratch_load_b128 v[54:57], off, off offset:96
	;; [unrolled: 1-line block ×5, first 2 shown]
	ds_load_2addr_b64 v[70:73], v1 offset0:35 offset1:36
	ds_load_2addr_b64 v[74:77], v1 offset0:37 offset1:38
	scratch_load_b128 v[78:81], off, off offset:160
	s_mov_b32 s0, exec_lo
	s_waitcnt vmcnt(5) lgkmcnt(1)
	v_fma_f64 v[52:53], v[52:53], v[70:71], 0
	scratch_load_b64 v[70:71], off, off offset:176
	s_waitcnt vmcnt(5)
	v_fma_f64 v[52:53], v[54:55], v[72:73], v[52:53]
	s_waitcnt lgkmcnt(0)
	s_delay_alu instid0(VALU_DEP_1) | instskip(SKIP_1) | instid1(VALU_DEP_1)
	v_fma_f64 v[52:53], v[56:57], v[74:75], v[52:53]
	s_waitcnt vmcnt(4)
	v_fma_f64 v[72:73], v[58:59], v[76:77], v[52:53]
	ds_load_2addr_b64 v[52:55], v1 offset0:39 offset1:40
	ds_load_2addr_b64 v[56:59], v1 offset0:41 offset1:42
	s_waitcnt lgkmcnt(1)
	v_fma_f64 v[52:53], v[60:61], v[52:53], v[72:73]
	s_waitcnt vmcnt(3)
	s_delay_alu instid0(VALU_DEP_1) | instskip(SKIP_1) | instid1(VALU_DEP_1)
	v_fma_f64 v[52:53], v[62:63], v[54:55], v[52:53]
	s_waitcnt lgkmcnt(0)
	v_fma_f64 v[52:53], v[64:65], v[56:57], v[52:53]
	s_waitcnt vmcnt(2)
	s_delay_alu instid0(VALU_DEP_1)
	v_fma_f64 v[60:61], v[66:67], v[58:59], v[52:53]
	ds_load_2addr_b64 v[52:55], v1 offset0:43 offset1:44
	ds_load_2addr_b64 v[56:59], v1 offset0:45 offset1:46
	s_waitcnt lgkmcnt(1)
	v_fma_f64 v[1:2], v[68:69], v[52:53], v[60:61]
	s_waitcnt vmcnt(1)
	s_delay_alu instid0(VALU_DEP_1) | instskip(SKIP_1) | instid1(VALU_DEP_1)
	v_fma_f64 v[1:2], v[78:79], v[54:55], v[1:2]
	s_waitcnt lgkmcnt(0)
	v_fma_f64 v[1:2], v[80:81], v[56:57], v[1:2]
	s_waitcnt vmcnt(0)
	s_delay_alu instid0(VALU_DEP_1) | instskip(NEXT) | instid1(VALU_DEP_1)
	v_fma_f64 v[1:2], v[70:71], v[58:59], v[1:2]
	v_add_f64 v[1:2], v[50:51], -v[1:2]
	scratch_store_b64 off, v[1:2], off offset:80
	v_cmpx_lt_u32_e32 9, v0
	s_cbranch_execz .LBB22_129
; %bb.128:
	scratch_load_b64 v[1:2], off, off offset:72
	v_mov_b32_e32 v50, 0
	s_delay_alu instid0(VALU_DEP_1)
	v_mov_b32_e32 v51, v50
	scratch_store_b64 off, v[50:51], off offset:72
	s_waitcnt vmcnt(0)
	ds_store_b64 v3, v[1:2]
.LBB22_129:
	s_or_b32 exec_lo, exec_lo, s0
	s_waitcnt lgkmcnt(0)
	s_waitcnt_vscnt null, 0x0
	s_barrier
	buffer_gl0_inv
	s_clause 0x4
	scratch_load_b128 v[50:53], off, off offset:72
	scratch_load_b128 v[54:57], off, off offset:88
	;; [unrolled: 1-line block ×5, first 2 shown]
	v_mov_b32_e32 v1, 0
	ds_load_b128 v[70:73], v1 offset:272
	ds_load_b128 v[74:77], v1 offset:288
	scratch_load_b128 v[78:81], off, off offset:152
	s_mov_b32 s0, exec_lo
	s_waitcnt vmcnt(5) lgkmcnt(1)
	v_fma_f64 v[52:53], v[52:53], v[70:71], 0
	s_waitcnt vmcnt(4)
	s_delay_alu instid0(VALU_DEP_1) | instskip(SKIP_1) | instid1(VALU_DEP_1)
	v_fma_f64 v[52:53], v[54:55], v[72:73], v[52:53]
	s_waitcnt lgkmcnt(0)
	v_fma_f64 v[56:57], v[56:57], v[74:75], v[52:53]
	scratch_load_b128 v[52:55], off, off offset:168
	s_waitcnt vmcnt(4)
	v_fma_f64 v[74:75], v[58:59], v[76:77], v[56:57]
	ds_load_b128 v[56:59], v1 offset:304
	ds_load_b128 v[70:73], v1 offset:320
	s_waitcnt lgkmcnt(1)
	v_fma_f64 v[56:57], v[60:61], v[56:57], v[74:75]
	s_waitcnt vmcnt(3)
	s_delay_alu instid0(VALU_DEP_1) | instskip(SKIP_1) | instid1(VALU_DEP_1)
	v_fma_f64 v[56:57], v[62:63], v[58:59], v[56:57]
	s_waitcnt lgkmcnt(0)
	v_fma_f64 v[56:57], v[64:65], v[70:71], v[56:57]
	s_waitcnt vmcnt(2)
	s_delay_alu instid0(VALU_DEP_1)
	v_fma_f64 v[64:65], v[66:67], v[72:73], v[56:57]
	ds_load_b128 v[56:59], v1 offset:336
	ds_load_b128 v[60:63], v1 offset:352
	s_waitcnt lgkmcnt(1)
	v_fma_f64 v[56:57], v[68:69], v[56:57], v[64:65]
	s_waitcnt vmcnt(1)
	s_delay_alu instid0(VALU_DEP_1) | instskip(SKIP_1) | instid1(VALU_DEP_1)
	v_fma_f64 v[56:57], v[78:79], v[58:59], v[56:57]
	s_waitcnt lgkmcnt(0)
	v_fma_f64 v[56:57], v[80:81], v[60:61], v[56:57]
	s_waitcnt vmcnt(0)
	s_delay_alu instid0(VALU_DEP_1) | instskip(SKIP_3) | instid1(VALU_DEP_1)
	v_fma_f64 v[52:53], v[52:53], v[62:63], v[56:57]
	ds_load_b64 v[56:57], v1 offset:368
	s_waitcnt lgkmcnt(0)
	v_fma_f64 v[52:53], v[54:55], v[56:57], v[52:53]
	v_add_f64 v[50:51], v[50:51], -v[52:53]
	scratch_store_b64 off, v[50:51], off offset:72
	v_cmpx_lt_u32_e32 8, v0
	s_cbranch_execz .LBB22_131
; %bb.130:
	scratch_load_b64 v[50:51], off, off offset:64
	v_mov_b32_e32 v2, v1
	scratch_store_b64 off, v[1:2], off offset:64
	s_waitcnt vmcnt(0)
	ds_store_b64 v3, v[50:51]
.LBB22_131:
	s_or_b32 exec_lo, exec_lo, s0
	s_waitcnt lgkmcnt(0)
	s_waitcnt_vscnt null, 0x0
	s_barrier
	buffer_gl0_inv
	s_clause 0x4
	scratch_load_b128 v[50:53], off, off offset:64
	scratch_load_b128 v[54:57], off, off offset:80
	;; [unrolled: 1-line block ×5, first 2 shown]
	ds_load_2addr_b64 v[70:73], v1 offset0:33 offset1:34
	ds_load_2addr_b64 v[74:77], v1 offset0:35 offset1:36
	scratch_load_b128 v[78:81], off, off offset:144
	s_mov_b32 s0, exec_lo
	s_waitcnt vmcnt(5) lgkmcnt(1)
	v_fma_f64 v[52:53], v[52:53], v[70:71], 0
	s_waitcnt vmcnt(4)
	s_delay_alu instid0(VALU_DEP_1) | instskip(SKIP_1) | instid1(VALU_DEP_1)
	v_fma_f64 v[52:53], v[54:55], v[72:73], v[52:53]
	s_waitcnt lgkmcnt(0)
	v_fma_f64 v[56:57], v[56:57], v[74:75], v[52:53]
	scratch_load_b128 v[52:55], off, off offset:160
	s_waitcnt vmcnt(4)
	v_fma_f64 v[74:75], v[58:59], v[76:77], v[56:57]
	ds_load_2addr_b64 v[56:59], v1 offset0:37 offset1:38
	ds_load_2addr_b64 v[70:73], v1 offset0:39 offset1:40
	s_waitcnt lgkmcnt(1)
	v_fma_f64 v[56:57], v[60:61], v[56:57], v[74:75]
	scratch_load_b64 v[74:75], off, off offset:176
	s_waitcnt vmcnt(4)
	v_fma_f64 v[56:57], v[62:63], v[58:59], v[56:57]
	s_waitcnt lgkmcnt(0)
	s_delay_alu instid0(VALU_DEP_1) | instskip(SKIP_1) | instid1(VALU_DEP_1)
	v_fma_f64 v[56:57], v[64:65], v[70:71], v[56:57]
	s_waitcnt vmcnt(3)
	v_fma_f64 v[64:65], v[66:67], v[72:73], v[56:57]
	ds_load_2addr_b64 v[56:59], v1 offset0:41 offset1:42
	ds_load_2addr_b64 v[60:63], v1 offset0:43 offset1:44
	s_waitcnt lgkmcnt(1)
	v_fma_f64 v[56:57], v[68:69], v[56:57], v[64:65]
	s_waitcnt vmcnt(2)
	s_delay_alu instid0(VALU_DEP_1) | instskip(SKIP_1) | instid1(VALU_DEP_1)
	v_fma_f64 v[56:57], v[78:79], v[58:59], v[56:57]
	s_waitcnt lgkmcnt(0)
	v_fma_f64 v[56:57], v[80:81], v[60:61], v[56:57]
	s_waitcnt vmcnt(1)
	s_delay_alu instid0(VALU_DEP_1) | instskip(SKIP_4) | instid1(VALU_DEP_1)
	v_fma_f64 v[52:53], v[52:53], v[62:63], v[56:57]
	ds_load_2addr_b64 v[56:59], v1 offset0:45 offset1:46
	s_waitcnt lgkmcnt(0)
	v_fma_f64 v[1:2], v[54:55], v[56:57], v[52:53]
	s_waitcnt vmcnt(0)
	v_fma_f64 v[1:2], v[74:75], v[58:59], v[1:2]
	s_delay_alu instid0(VALU_DEP_1)
	v_add_f64 v[1:2], v[50:51], -v[1:2]
	scratch_store_b64 off, v[1:2], off offset:64
	v_cmpx_lt_u32_e32 7, v0
	s_cbranch_execz .LBB22_133
; %bb.132:
	scratch_load_b64 v[1:2], off, off offset:56
	v_mov_b32_e32 v50, 0
	s_delay_alu instid0(VALU_DEP_1)
	v_mov_b32_e32 v51, v50
	scratch_store_b64 off, v[50:51], off offset:56
	s_waitcnt vmcnt(0)
	ds_store_b64 v3, v[1:2]
.LBB22_133:
	s_or_b32 exec_lo, exec_lo, s0
	s_waitcnt lgkmcnt(0)
	s_waitcnt_vscnt null, 0x0
	s_barrier
	buffer_gl0_inv
	s_clause 0x4
	scratch_load_b128 v[50:53], off, off offset:56
	scratch_load_b128 v[54:57], off, off offset:72
	;; [unrolled: 1-line block ×5, first 2 shown]
	v_mov_b32_e32 v1, 0
	ds_load_b128 v[70:73], v1 offset:256
	ds_load_b128 v[74:77], v1 offset:272
	scratch_load_b128 v[78:81], off, off offset:136
	s_mov_b32 s0, exec_lo
	s_waitcnt vmcnt(5) lgkmcnt(1)
	v_fma_f64 v[52:53], v[52:53], v[70:71], 0
	s_waitcnt vmcnt(4)
	s_delay_alu instid0(VALU_DEP_1) | instskip(SKIP_1) | instid1(VALU_DEP_1)
	v_fma_f64 v[52:53], v[54:55], v[72:73], v[52:53]
	s_waitcnt lgkmcnt(0)
	v_fma_f64 v[56:57], v[56:57], v[74:75], v[52:53]
	scratch_load_b128 v[52:55], off, off offset:152
	s_waitcnt vmcnt(4)
	v_fma_f64 v[74:75], v[58:59], v[76:77], v[56:57]
	ds_load_b128 v[56:59], v1 offset:288
	ds_load_b128 v[70:73], v1 offset:304
	s_waitcnt lgkmcnt(1)
	v_fma_f64 v[56:57], v[60:61], v[56:57], v[74:75]
	scratch_load_b128 v[74:77], off, off offset:168
	s_waitcnt vmcnt(4)
	v_fma_f64 v[56:57], v[62:63], v[58:59], v[56:57]
	s_waitcnt lgkmcnt(0)
	s_delay_alu instid0(VALU_DEP_1) | instskip(SKIP_1) | instid1(VALU_DEP_1)
	v_fma_f64 v[56:57], v[64:65], v[70:71], v[56:57]
	s_waitcnt vmcnt(3)
	v_fma_f64 v[64:65], v[66:67], v[72:73], v[56:57]
	ds_load_b128 v[56:59], v1 offset:320
	ds_load_b128 v[60:63], v1 offset:336
	s_waitcnt lgkmcnt(1)
	v_fma_f64 v[56:57], v[68:69], v[56:57], v[64:65]
	s_waitcnt vmcnt(2)
	s_delay_alu instid0(VALU_DEP_1) | instskip(SKIP_1) | instid1(VALU_DEP_1)
	v_fma_f64 v[56:57], v[78:79], v[58:59], v[56:57]
	s_waitcnt lgkmcnt(0)
	v_fma_f64 v[56:57], v[80:81], v[60:61], v[56:57]
	s_waitcnt vmcnt(1)
	s_delay_alu instid0(VALU_DEP_1)
	v_fma_f64 v[52:53], v[52:53], v[62:63], v[56:57]
	ds_load_b128 v[56:59], v1 offset:352
	ds_load_b64 v[60:61], v1 offset:368
	s_waitcnt lgkmcnt(1)
	v_fma_f64 v[52:53], v[54:55], v[56:57], v[52:53]
	s_waitcnt vmcnt(0)
	s_delay_alu instid0(VALU_DEP_1) | instskip(SKIP_1) | instid1(VALU_DEP_1)
	v_fma_f64 v[52:53], v[74:75], v[58:59], v[52:53]
	s_waitcnt lgkmcnt(0)
	v_fma_f64 v[52:53], v[76:77], v[60:61], v[52:53]
	s_delay_alu instid0(VALU_DEP_1)
	v_add_f64 v[50:51], v[50:51], -v[52:53]
	scratch_store_b64 off, v[50:51], off offset:56
	v_cmpx_lt_u32_e32 6, v0
	s_cbranch_execz .LBB22_135
; %bb.134:
	scratch_load_b64 v[50:51], off, off offset:48
	v_mov_b32_e32 v2, v1
	scratch_store_b64 off, v[1:2], off offset:48
	s_waitcnt vmcnt(0)
	ds_store_b64 v3, v[50:51]
.LBB22_135:
	s_or_b32 exec_lo, exec_lo, s0
	s_waitcnt lgkmcnt(0)
	s_waitcnt_vscnt null, 0x0
	s_barrier
	buffer_gl0_inv
	s_clause 0x4
	scratch_load_b128 v[50:53], off, off offset:48
	scratch_load_b128 v[54:57], off, off offset:64
	scratch_load_b128 v[58:61], off, off offset:80
	scratch_load_b128 v[62:65], off, off offset:96
	scratch_load_b128 v[66:69], off, off offset:112
	ds_load_2addr_b64 v[70:73], v1 offset0:31 offset1:32
	ds_load_2addr_b64 v[74:77], v1 offset0:33 offset1:34
	scratch_load_b128 v[78:81], off, off offset:128
	s_mov_b32 s0, exec_lo
	s_waitcnt vmcnt(5) lgkmcnt(1)
	v_fma_f64 v[52:53], v[52:53], v[70:71], 0
	s_waitcnt vmcnt(4)
	s_delay_alu instid0(VALU_DEP_1) | instskip(SKIP_1) | instid1(VALU_DEP_1)
	v_fma_f64 v[52:53], v[54:55], v[72:73], v[52:53]
	s_waitcnt lgkmcnt(0)
	v_fma_f64 v[56:57], v[56:57], v[74:75], v[52:53]
	scratch_load_b128 v[52:55], off, off offset:144
	s_waitcnt vmcnt(4)
	v_fma_f64 v[74:75], v[58:59], v[76:77], v[56:57]
	ds_load_2addr_b64 v[56:59], v1 offset0:35 offset1:36
	ds_load_2addr_b64 v[70:73], v1 offset0:37 offset1:38
	s_waitcnt lgkmcnt(1)
	v_fma_f64 v[56:57], v[60:61], v[56:57], v[74:75]
	scratch_load_b128 v[74:77], off, off offset:160
	s_waitcnt vmcnt(4)
	v_fma_f64 v[56:57], v[62:63], v[58:59], v[56:57]
	s_waitcnt lgkmcnt(0)
	s_delay_alu instid0(VALU_DEP_1)
	v_fma_f64 v[56:57], v[64:65], v[70:71], v[56:57]
	scratch_load_b64 v[64:65], off, off offset:176
	s_waitcnt vmcnt(4)
	v_fma_f64 v[66:67], v[66:67], v[72:73], v[56:57]
	ds_load_2addr_b64 v[56:59], v1 offset0:39 offset1:40
	ds_load_2addr_b64 v[60:63], v1 offset0:41 offset1:42
	s_waitcnt lgkmcnt(1)
	v_fma_f64 v[56:57], v[68:69], v[56:57], v[66:67]
	s_waitcnt vmcnt(3)
	s_delay_alu instid0(VALU_DEP_1) | instskip(SKIP_1) | instid1(VALU_DEP_1)
	v_fma_f64 v[56:57], v[78:79], v[58:59], v[56:57]
	s_waitcnt lgkmcnt(0)
	v_fma_f64 v[56:57], v[80:81], v[60:61], v[56:57]
	s_waitcnt vmcnt(2)
	s_delay_alu instid0(VALU_DEP_1)
	v_fma_f64 v[52:53], v[52:53], v[62:63], v[56:57]
	ds_load_2addr_b64 v[56:59], v1 offset0:43 offset1:44
	ds_load_2addr_b64 v[60:63], v1 offset0:45 offset1:46
	s_waitcnt lgkmcnt(1)
	v_fma_f64 v[1:2], v[54:55], v[56:57], v[52:53]
	s_waitcnt vmcnt(1)
	s_delay_alu instid0(VALU_DEP_1) | instskip(SKIP_1) | instid1(VALU_DEP_1)
	v_fma_f64 v[1:2], v[74:75], v[58:59], v[1:2]
	s_waitcnt lgkmcnt(0)
	v_fma_f64 v[1:2], v[76:77], v[60:61], v[1:2]
	s_waitcnt vmcnt(0)
	s_delay_alu instid0(VALU_DEP_1) | instskip(NEXT) | instid1(VALU_DEP_1)
	v_fma_f64 v[1:2], v[64:65], v[62:63], v[1:2]
	v_add_f64 v[1:2], v[50:51], -v[1:2]
	scratch_store_b64 off, v[1:2], off offset:48
	v_cmpx_lt_u32_e32 5, v0
	s_cbranch_execz .LBB22_137
; %bb.136:
	scratch_load_b64 v[1:2], off, off offset:40
	v_mov_b32_e32 v50, 0
	s_delay_alu instid0(VALU_DEP_1)
	v_mov_b32_e32 v51, v50
	scratch_store_b64 off, v[50:51], off offset:40
	s_waitcnt vmcnt(0)
	ds_store_b64 v3, v[1:2]
.LBB22_137:
	s_or_b32 exec_lo, exec_lo, s0
	s_waitcnt lgkmcnt(0)
	s_waitcnt_vscnt null, 0x0
	s_barrier
	buffer_gl0_inv
	s_clause 0x4
	scratch_load_b128 v[50:53], off, off offset:40
	scratch_load_b128 v[54:57], off, off offset:56
	;; [unrolled: 1-line block ×5, first 2 shown]
	v_mov_b32_e32 v1, 0
	ds_load_b128 v[70:73], v1 offset:240
	ds_load_b128 v[74:77], v1 offset:256
	scratch_load_b128 v[78:81], off, off offset:120
	s_mov_b32 s0, exec_lo
	s_waitcnt vmcnt(5) lgkmcnt(1)
	v_fma_f64 v[52:53], v[52:53], v[70:71], 0
	s_waitcnt vmcnt(4)
	s_delay_alu instid0(VALU_DEP_1) | instskip(SKIP_1) | instid1(VALU_DEP_1)
	v_fma_f64 v[52:53], v[54:55], v[72:73], v[52:53]
	s_waitcnt lgkmcnt(0)
	v_fma_f64 v[56:57], v[56:57], v[74:75], v[52:53]
	scratch_load_b128 v[52:55], off, off offset:136
	s_waitcnt vmcnt(4)
	v_fma_f64 v[74:75], v[58:59], v[76:77], v[56:57]
	ds_load_b128 v[56:59], v1 offset:272
	ds_load_b128 v[70:73], v1 offset:288
	s_waitcnt lgkmcnt(1)
	v_fma_f64 v[56:57], v[60:61], v[56:57], v[74:75]
	scratch_load_b128 v[74:77], off, off offset:152
	s_waitcnt vmcnt(4)
	v_fma_f64 v[56:57], v[62:63], v[58:59], v[56:57]
	s_waitcnt lgkmcnt(0)
	s_delay_alu instid0(VALU_DEP_1)
	v_fma_f64 v[60:61], v[64:65], v[70:71], v[56:57]
	scratch_load_b128 v[56:59], off, off offset:168
	s_waitcnt vmcnt(4)
	v_fma_f64 v[70:71], v[66:67], v[72:73], v[60:61]
	ds_load_b128 v[60:63], v1 offset:304
	ds_load_b128 v[64:67], v1 offset:320
	s_waitcnt lgkmcnt(1)
	v_fma_f64 v[60:61], v[68:69], v[60:61], v[70:71]
	s_waitcnt vmcnt(3)
	s_delay_alu instid0(VALU_DEP_1) | instskip(SKIP_1) | instid1(VALU_DEP_1)
	v_fma_f64 v[60:61], v[78:79], v[62:63], v[60:61]
	s_waitcnt lgkmcnt(0)
	v_fma_f64 v[60:61], v[80:81], v[64:65], v[60:61]
	s_waitcnt vmcnt(2)
	s_delay_alu instid0(VALU_DEP_1)
	v_fma_f64 v[52:53], v[52:53], v[66:67], v[60:61]
	ds_load_b128 v[60:63], v1 offset:336
	ds_load_b128 v[64:67], v1 offset:352
	s_waitcnt lgkmcnt(1)
	v_fma_f64 v[52:53], v[54:55], v[60:61], v[52:53]
	ds_load_b64 v[54:55], v1 offset:368
	s_waitcnt vmcnt(1)
	v_fma_f64 v[52:53], v[74:75], v[62:63], v[52:53]
	s_waitcnt lgkmcnt(1)
	s_delay_alu instid0(VALU_DEP_1) | instskip(SKIP_1) | instid1(VALU_DEP_1)
	v_fma_f64 v[52:53], v[76:77], v[64:65], v[52:53]
	s_waitcnt vmcnt(0)
	v_fma_f64 v[52:53], v[56:57], v[66:67], v[52:53]
	s_waitcnt lgkmcnt(0)
	s_delay_alu instid0(VALU_DEP_1) | instskip(NEXT) | instid1(VALU_DEP_1)
	v_fma_f64 v[52:53], v[58:59], v[54:55], v[52:53]
	v_add_f64 v[50:51], v[50:51], -v[52:53]
	scratch_store_b64 off, v[50:51], off offset:40
	v_cmpx_lt_u32_e32 4, v0
	s_cbranch_execz .LBB22_139
; %bb.138:
	scratch_load_b64 v[50:51], off, off offset:32
	v_mov_b32_e32 v2, v1
	scratch_store_b64 off, v[1:2], off offset:32
	s_waitcnt vmcnt(0)
	ds_store_b64 v3, v[50:51]
.LBB22_139:
	s_or_b32 exec_lo, exec_lo, s0
	s_waitcnt lgkmcnt(0)
	s_waitcnt_vscnt null, 0x0
	s_barrier
	buffer_gl0_inv
	s_clause 0x4
	scratch_load_b128 v[50:53], off, off offset:32
	scratch_load_b128 v[54:57], off, off offset:48
	;; [unrolled: 1-line block ×5, first 2 shown]
	ds_load_2addr_b64 v[70:73], v1 offset0:29 offset1:30
	ds_load_2addr_b64 v[74:77], v1 offset0:31 offset1:32
	scratch_load_b128 v[78:81], off, off offset:112
	s_mov_b32 s0, exec_lo
	s_waitcnt vmcnt(5) lgkmcnt(1)
	v_fma_f64 v[52:53], v[52:53], v[70:71], 0
	s_waitcnt vmcnt(4)
	s_delay_alu instid0(VALU_DEP_1) | instskip(SKIP_1) | instid1(VALU_DEP_1)
	v_fma_f64 v[52:53], v[54:55], v[72:73], v[52:53]
	s_waitcnt lgkmcnt(0)
	v_fma_f64 v[56:57], v[56:57], v[74:75], v[52:53]
	scratch_load_b128 v[52:55], off, off offset:128
	s_waitcnt vmcnt(4)
	v_fma_f64 v[74:75], v[58:59], v[76:77], v[56:57]
	ds_load_2addr_b64 v[56:59], v1 offset0:33 offset1:34
	ds_load_2addr_b64 v[70:73], v1 offset0:35 offset1:36
	s_waitcnt lgkmcnt(1)
	v_fma_f64 v[56:57], v[60:61], v[56:57], v[74:75]
	scratch_load_b128 v[74:77], off, off offset:144
	s_waitcnt vmcnt(4)
	v_fma_f64 v[56:57], v[62:63], v[58:59], v[56:57]
	s_waitcnt lgkmcnt(0)
	s_delay_alu instid0(VALU_DEP_1)
	v_fma_f64 v[60:61], v[64:65], v[70:71], v[56:57]
	scratch_load_b128 v[56:59], off, off offset:160
	s_waitcnt vmcnt(4)
	v_fma_f64 v[70:71], v[66:67], v[72:73], v[60:61]
	ds_load_2addr_b64 v[60:63], v1 offset0:37 offset1:38
	ds_load_2addr_b64 v[64:67], v1 offset0:39 offset1:40
	s_waitcnt lgkmcnt(1)
	v_fma_f64 v[60:61], v[68:69], v[60:61], v[70:71]
	scratch_load_b64 v[68:69], off, off offset:176
	s_waitcnt vmcnt(4)
	v_fma_f64 v[60:61], v[78:79], v[62:63], v[60:61]
	s_waitcnt lgkmcnt(0)
	s_delay_alu instid0(VALU_DEP_1) | instskip(SKIP_1) | instid1(VALU_DEP_1)
	v_fma_f64 v[60:61], v[80:81], v[64:65], v[60:61]
	s_waitcnt vmcnt(3)
	v_fma_f64 v[52:53], v[52:53], v[66:67], v[60:61]
	ds_load_2addr_b64 v[60:63], v1 offset0:41 offset1:42
	ds_load_2addr_b64 v[64:67], v1 offset0:43 offset1:44
	s_waitcnt lgkmcnt(1)
	v_fma_f64 v[52:53], v[54:55], v[60:61], v[52:53]
	s_waitcnt vmcnt(2)
	s_delay_alu instid0(VALU_DEP_1) | instskip(SKIP_1) | instid1(VALU_DEP_1)
	v_fma_f64 v[52:53], v[74:75], v[62:63], v[52:53]
	s_waitcnt lgkmcnt(0)
	v_fma_f64 v[52:53], v[76:77], v[64:65], v[52:53]
	s_waitcnt vmcnt(1)
	s_delay_alu instid0(VALU_DEP_1) | instskip(SKIP_4) | instid1(VALU_DEP_1)
	v_fma_f64 v[56:57], v[56:57], v[66:67], v[52:53]
	ds_load_2addr_b64 v[52:55], v1 offset0:45 offset1:46
	s_waitcnt lgkmcnt(0)
	v_fma_f64 v[1:2], v[58:59], v[52:53], v[56:57]
	s_waitcnt vmcnt(0)
	v_fma_f64 v[1:2], v[68:69], v[54:55], v[1:2]
	s_delay_alu instid0(VALU_DEP_1)
	v_add_f64 v[1:2], v[50:51], -v[1:2]
	scratch_store_b64 off, v[1:2], off offset:32
	v_cmpx_lt_u32_e32 3, v0
	s_cbranch_execz .LBB22_141
; %bb.140:
	scratch_load_b64 v[1:2], off, off offset:24
	v_mov_b32_e32 v50, 0
	s_delay_alu instid0(VALU_DEP_1)
	v_mov_b32_e32 v51, v50
	scratch_store_b64 off, v[50:51], off offset:24
	s_waitcnt vmcnt(0)
	ds_store_b64 v3, v[1:2]
.LBB22_141:
	s_or_b32 exec_lo, exec_lo, s0
	s_waitcnt lgkmcnt(0)
	s_waitcnt_vscnt null, 0x0
	s_barrier
	buffer_gl0_inv
	s_clause 0x4
	scratch_load_b128 v[50:53], off, off offset:24
	scratch_load_b128 v[54:57], off, off offset:40
	;; [unrolled: 1-line block ×5, first 2 shown]
	v_mov_b32_e32 v1, 0
	ds_load_b128 v[70:73], v1 offset:224
	ds_load_b128 v[74:77], v1 offset:240
	scratch_load_b128 v[78:81], off, off offset:104
	s_mov_b32 s0, exec_lo
	s_waitcnt vmcnt(5) lgkmcnt(1)
	v_fma_f64 v[52:53], v[52:53], v[70:71], 0
	s_waitcnt vmcnt(4)
	s_delay_alu instid0(VALU_DEP_1) | instskip(SKIP_1) | instid1(VALU_DEP_1)
	v_fma_f64 v[52:53], v[54:55], v[72:73], v[52:53]
	s_waitcnt lgkmcnt(0)
	v_fma_f64 v[56:57], v[56:57], v[74:75], v[52:53]
	scratch_load_b128 v[52:55], off, off offset:120
	s_waitcnt vmcnt(4)
	v_fma_f64 v[74:75], v[58:59], v[76:77], v[56:57]
	ds_load_b128 v[56:59], v1 offset:256
	ds_load_b128 v[70:73], v1 offset:272
	s_waitcnt lgkmcnt(1)
	v_fma_f64 v[56:57], v[60:61], v[56:57], v[74:75]
	scratch_load_b128 v[74:77], off, off offset:136
	s_waitcnt vmcnt(4)
	v_fma_f64 v[56:57], v[62:63], v[58:59], v[56:57]
	s_waitcnt lgkmcnt(0)
	s_delay_alu instid0(VALU_DEP_1)
	v_fma_f64 v[60:61], v[64:65], v[70:71], v[56:57]
	scratch_load_b128 v[56:59], off, off offset:152
	s_waitcnt vmcnt(4)
	v_fma_f64 v[70:71], v[66:67], v[72:73], v[60:61]
	ds_load_b128 v[60:63], v1 offset:288
	ds_load_b128 v[64:67], v1 offset:304
	s_waitcnt lgkmcnt(1)
	v_fma_f64 v[60:61], v[68:69], v[60:61], v[70:71]
	scratch_load_b128 v[68:71], off, off offset:168
	s_waitcnt vmcnt(4)
	v_fma_f64 v[60:61], v[78:79], v[62:63], v[60:61]
	s_waitcnt lgkmcnt(0)
	s_delay_alu instid0(VALU_DEP_1) | instskip(SKIP_1) | instid1(VALU_DEP_1)
	v_fma_f64 v[60:61], v[80:81], v[64:65], v[60:61]
	s_waitcnt vmcnt(3)
	v_fma_f64 v[52:53], v[52:53], v[66:67], v[60:61]
	ds_load_b128 v[60:63], v1 offset:320
	ds_load_b128 v[64:67], v1 offset:336
	s_waitcnt lgkmcnt(1)
	v_fma_f64 v[52:53], v[54:55], v[60:61], v[52:53]
	s_waitcnt vmcnt(2)
	s_delay_alu instid0(VALU_DEP_1) | instskip(SKIP_1) | instid1(VALU_DEP_1)
	v_fma_f64 v[52:53], v[74:75], v[62:63], v[52:53]
	s_waitcnt lgkmcnt(0)
	v_fma_f64 v[52:53], v[76:77], v[64:65], v[52:53]
	s_waitcnt vmcnt(1)
	s_delay_alu instid0(VALU_DEP_1)
	v_fma_f64 v[56:57], v[56:57], v[66:67], v[52:53]
	ds_load_b128 v[52:55], v1 offset:352
	ds_load_b64 v[60:61], v1 offset:368
	s_waitcnt lgkmcnt(1)
	v_fma_f64 v[52:53], v[58:59], v[52:53], v[56:57]
	s_waitcnt vmcnt(0)
	s_delay_alu instid0(VALU_DEP_1) | instskip(SKIP_1) | instid1(VALU_DEP_1)
	v_fma_f64 v[52:53], v[68:69], v[54:55], v[52:53]
	s_waitcnt lgkmcnt(0)
	v_fma_f64 v[52:53], v[70:71], v[60:61], v[52:53]
	s_delay_alu instid0(VALU_DEP_1)
	v_add_f64 v[50:51], v[50:51], -v[52:53]
	scratch_store_b64 off, v[50:51], off offset:24
	v_cmpx_lt_u32_e32 2, v0
	s_cbranch_execz .LBB22_143
; %bb.142:
	scratch_load_b64 v[50:51], off, off offset:16
	v_mov_b32_e32 v2, v1
	scratch_store_b64 off, v[1:2], off offset:16
	s_waitcnt vmcnt(0)
	ds_store_b64 v3, v[50:51]
.LBB22_143:
	s_or_b32 exec_lo, exec_lo, s0
	s_waitcnt lgkmcnt(0)
	s_waitcnt_vscnt null, 0x0
	s_barrier
	buffer_gl0_inv
	s_clause 0x4
	scratch_load_b128 v[50:53], off, off offset:16
	scratch_load_b128 v[54:57], off, off offset:32
	;; [unrolled: 1-line block ×5, first 2 shown]
	ds_load_2addr_b64 v[70:73], v1 offset0:27 offset1:28
	ds_load_2addr_b64 v[74:77], v1 offset0:29 offset1:30
	scratch_load_b128 v[78:81], off, off offset:96
	s_mov_b32 s0, exec_lo
	s_waitcnt vmcnt(5) lgkmcnt(1)
	v_fma_f64 v[52:53], v[52:53], v[70:71], 0
	s_waitcnt vmcnt(4)
	s_delay_alu instid0(VALU_DEP_1) | instskip(SKIP_1) | instid1(VALU_DEP_1)
	v_fma_f64 v[52:53], v[54:55], v[72:73], v[52:53]
	s_waitcnt lgkmcnt(0)
	v_fma_f64 v[56:57], v[56:57], v[74:75], v[52:53]
	scratch_load_b128 v[52:55], off, off offset:112
	s_waitcnt vmcnt(4)
	v_fma_f64 v[74:75], v[58:59], v[76:77], v[56:57]
	ds_load_2addr_b64 v[56:59], v1 offset0:31 offset1:32
	ds_load_2addr_b64 v[70:73], v1 offset0:33 offset1:34
	s_waitcnt lgkmcnt(1)
	v_fma_f64 v[56:57], v[60:61], v[56:57], v[74:75]
	scratch_load_b128 v[74:77], off, off offset:128
	s_waitcnt vmcnt(4)
	v_fma_f64 v[56:57], v[62:63], v[58:59], v[56:57]
	s_waitcnt lgkmcnt(0)
	s_delay_alu instid0(VALU_DEP_1)
	v_fma_f64 v[60:61], v[64:65], v[70:71], v[56:57]
	scratch_load_b128 v[56:59], off, off offset:144
	s_waitcnt vmcnt(4)
	v_fma_f64 v[70:71], v[66:67], v[72:73], v[60:61]
	ds_load_2addr_b64 v[60:63], v1 offset0:35 offset1:36
	ds_load_2addr_b64 v[64:67], v1 offset0:37 offset1:38
	scratch_load_b64 v[72:73], off, off offset:176
	s_waitcnt lgkmcnt(1)
	v_fma_f64 v[60:61], v[68:69], v[60:61], v[70:71]
	scratch_load_b128 v[68:71], off, off offset:160
	s_waitcnt vmcnt(5)
	v_fma_f64 v[60:61], v[78:79], v[62:63], v[60:61]
	s_waitcnt lgkmcnt(0)
	s_delay_alu instid0(VALU_DEP_1) | instskip(SKIP_1) | instid1(VALU_DEP_1)
	v_fma_f64 v[60:61], v[80:81], v[64:65], v[60:61]
	s_waitcnt vmcnt(4)
	v_fma_f64 v[52:53], v[52:53], v[66:67], v[60:61]
	ds_load_2addr_b64 v[60:63], v1 offset0:39 offset1:40
	ds_load_2addr_b64 v[64:67], v1 offset0:41 offset1:42
	s_waitcnt lgkmcnt(1)
	v_fma_f64 v[52:53], v[54:55], v[60:61], v[52:53]
	s_waitcnt vmcnt(3)
	s_delay_alu instid0(VALU_DEP_1) | instskip(SKIP_1) | instid1(VALU_DEP_1)
	v_fma_f64 v[52:53], v[74:75], v[62:63], v[52:53]
	s_waitcnt lgkmcnt(0)
	v_fma_f64 v[52:53], v[76:77], v[64:65], v[52:53]
	s_waitcnt vmcnt(2)
	s_delay_alu instid0(VALU_DEP_1)
	v_fma_f64 v[56:57], v[56:57], v[66:67], v[52:53]
	ds_load_2addr_b64 v[52:55], v1 offset0:43 offset1:44
	ds_load_2addr_b64 v[60:63], v1 offset0:45 offset1:46
	s_waitcnt lgkmcnt(1)
	v_fma_f64 v[1:2], v[58:59], v[52:53], v[56:57]
	s_waitcnt vmcnt(0)
	s_delay_alu instid0(VALU_DEP_1) | instskip(SKIP_1) | instid1(VALU_DEP_1)
	v_fma_f64 v[1:2], v[68:69], v[54:55], v[1:2]
	s_waitcnt lgkmcnt(0)
	v_fma_f64 v[1:2], v[70:71], v[60:61], v[1:2]
	s_delay_alu instid0(VALU_DEP_1) | instskip(NEXT) | instid1(VALU_DEP_1)
	v_fma_f64 v[1:2], v[72:73], v[62:63], v[1:2]
	v_add_f64 v[1:2], v[50:51], -v[1:2]
	scratch_store_b64 off, v[1:2], off offset:16
	v_cmpx_lt_u32_e32 1, v0
	s_cbranch_execz .LBB22_145
; %bb.144:
	scratch_load_b64 v[1:2], off, off offset:8
	v_mov_b32_e32 v50, 0
	s_delay_alu instid0(VALU_DEP_1)
	v_mov_b32_e32 v51, v50
	scratch_store_b64 off, v[50:51], off offset:8
	s_waitcnt vmcnt(0)
	ds_store_b64 v3, v[1:2]
.LBB22_145:
	s_or_b32 exec_lo, exec_lo, s0
	s_waitcnt lgkmcnt(0)
	s_waitcnt_vscnt null, 0x0
	s_barrier
	buffer_gl0_inv
	s_clause 0x4
	scratch_load_b128 v[51:54], off, off offset:8
	scratch_load_b128 v[55:58], off, off offset:24
	;; [unrolled: 1-line block ×5, first 2 shown]
	v_mov_b32_e32 v50, 0
	ds_load_b128 v[71:74], v50 offset:208
	ds_load_b128 v[75:78], v50 offset:224
	scratch_load_b128 v[79:82], off, off offset:88
	s_mov_b32 s0, exec_lo
	s_waitcnt vmcnt(5) lgkmcnt(1)
	v_fma_f64 v[1:2], v[53:54], v[71:72], 0
	s_waitcnt vmcnt(4)
	s_delay_alu instid0(VALU_DEP_1) | instskip(SKIP_4) | instid1(VALU_DEP_1)
	v_fma_f64 v[1:2], v[55:56], v[73:74], v[1:2]
	scratch_load_b128 v[53:56], off, off offset:104
	s_waitcnt lgkmcnt(0)
	v_fma_f64 v[1:2], v[57:58], v[75:76], v[1:2]
	s_waitcnt vmcnt(4)
	v_fma_f64 v[1:2], v[59:60], v[77:78], v[1:2]
	ds_load_b128 v[57:60], v50 offset:240
	ds_load_b128 v[71:74], v50 offset:256
	scratch_load_b128 v[75:78], off, off offset:120
	s_waitcnt lgkmcnt(1)
	v_fma_f64 v[1:2], v[61:62], v[57:58], v[1:2]
	s_waitcnt vmcnt(4)
	s_delay_alu instid0(VALU_DEP_1) | instskip(SKIP_4) | instid1(VALU_DEP_1)
	v_fma_f64 v[1:2], v[63:64], v[59:60], v[1:2]
	scratch_load_b128 v[57:60], off, off offset:136
	s_waitcnt lgkmcnt(0)
	v_fma_f64 v[1:2], v[65:66], v[71:72], v[1:2]
	s_waitcnt vmcnt(4)
	v_fma_f64 v[1:2], v[67:68], v[73:74], v[1:2]
	ds_load_b128 v[61:64], v50 offset:272
	ds_load_b128 v[65:68], v50 offset:288
	s_waitcnt lgkmcnt(1)
	v_fma_f64 v[1:2], v[69:70], v[61:62], v[1:2]
	scratch_load_b128 v[69:72], off, off offset:152
	s_waitcnt vmcnt(4)
	v_fma_f64 v[1:2], v[79:80], v[63:64], v[1:2]
	scratch_load_b128 v[61:64], off, off offset:168
	s_waitcnt lgkmcnt(0)
	v_fma_f64 v[1:2], v[81:82], v[65:66], v[1:2]
	s_waitcnt vmcnt(4)
	s_delay_alu instid0(VALU_DEP_1)
	v_fma_f64 v[1:2], v[53:54], v[67:68], v[1:2]
	ds_load_b128 v[65:68], v50 offset:304
	ds_load_b128 v[79:82], v50 offset:320
	s_waitcnt lgkmcnt(1)
	v_fma_f64 v[1:2], v[55:56], v[65:66], v[1:2]
	s_waitcnt vmcnt(3)
	s_delay_alu instid0(VALU_DEP_1)
	v_fma_f64 v[1:2], v[75:76], v[67:68], v[1:2]
	ds_load_b128 v[53:56], v50 offset:336
	ds_load_b128 v[65:68], v50 offset:352
	s_waitcnt lgkmcnt(2)
	v_fma_f64 v[1:2], v[77:78], v[79:80], v[1:2]
	s_waitcnt vmcnt(2)
	s_delay_alu instid0(VALU_DEP_1) | instskip(SKIP_1) | instid1(VALU_DEP_1)
	v_fma_f64 v[1:2], v[57:58], v[81:82], v[1:2]
	s_waitcnt lgkmcnt(1)
	v_fma_f64 v[1:2], v[59:60], v[53:54], v[1:2]
	ds_load_b64 v[53:54], v50 offset:368
	s_waitcnt vmcnt(1)
	v_fma_f64 v[1:2], v[69:70], v[55:56], v[1:2]
	s_waitcnt lgkmcnt(1)
	s_delay_alu instid0(VALU_DEP_1) | instskip(SKIP_1) | instid1(VALU_DEP_1)
	v_fma_f64 v[1:2], v[71:72], v[65:66], v[1:2]
	s_waitcnt vmcnt(0)
	v_fma_f64 v[1:2], v[61:62], v[67:68], v[1:2]
	s_waitcnt lgkmcnt(0)
	s_delay_alu instid0(VALU_DEP_1) | instskip(NEXT) | instid1(VALU_DEP_1)
	v_fma_f64 v[1:2], v[63:64], v[53:54], v[1:2]
	v_add_f64 v[1:2], v[51:52], -v[1:2]
	scratch_store_b64 off, v[1:2], off offset:8
	v_cmpx_ne_u32_e32 0, v0
	s_cbranch_execz .LBB22_147
; %bb.146:
	scratch_load_b64 v[0:1], off, off
	v_mov_b32_e32 v51, v50
	scratch_store_b64 off, v[50:51], off
	s_waitcnt vmcnt(0)
	ds_store_b64 v3, v[0:1]
.LBB22_147:
	s_or_b32 exec_lo, exec_lo, s0
	s_waitcnt lgkmcnt(0)
	s_waitcnt_vscnt null, 0x0
	s_barrier
	buffer_gl0_inv
	s_clause 0x4
	scratch_load_b128 v[51:54], off, off
	scratch_load_b128 v[0:3], off, off offset:16
	scratch_load_b128 v[55:58], off, off offset:32
	;; [unrolled: 1-line block ×4, first 2 shown]
	ds_load_2addr_b64 v[67:70], v50 offset0:25 offset1:26
	ds_load_2addr_b64 v[71:74], v50 offset0:27 offset1:28
	scratch_load_b128 v[75:78], off, off offset:80
	s_and_b32 vcc_lo, exec_lo, s16
	s_waitcnt vmcnt(5) lgkmcnt(1)
	v_fma_f64 v[53:54], v[53:54], v[67:68], 0
	s_waitcnt vmcnt(4)
	s_delay_alu instid0(VALU_DEP_1) | instskip(SKIP_4) | instid1(VALU_DEP_1)
	v_fma_f64 v[0:1], v[0:1], v[69:70], v[53:54]
	scratch_load_b128 v[67:70], off, off offset:96
	s_waitcnt lgkmcnt(0)
	v_fma_f64 v[0:1], v[2:3], v[71:72], v[0:1]
	s_waitcnt vmcnt(4)
	v_fma_f64 v[71:72], v[55:56], v[73:74], v[0:1]
	ds_load_2addr_b64 v[0:3], v50 offset0:29 offset1:30
	ds_load_2addr_b64 v[53:56], v50 offset0:31 offset1:32
	s_waitcnt lgkmcnt(1)
	v_fma_f64 v[0:1], v[57:58], v[0:1], v[71:72]
	scratch_load_b128 v[71:74], off, off offset:112
	s_waitcnt vmcnt(4)
	v_fma_f64 v[0:1], v[59:60], v[2:3], v[0:1]
	scratch_load_b128 v[57:60], off, off offset:128
	s_waitcnt lgkmcnt(0)
	v_fma_f64 v[0:1], v[61:62], v[53:54], v[0:1]
	s_waitcnt vmcnt(4)
	s_delay_alu instid0(VALU_DEP_1)
	v_fma_f64 v[61:62], v[63:64], v[55:56], v[0:1]
	ds_load_2addr_b64 v[0:3], v50 offset0:33 offset1:34
	ds_load_2addr_b64 v[53:56], v50 offset0:35 offset1:36
	s_waitcnt lgkmcnt(1)
	v_fma_f64 v[0:1], v[65:66], v[0:1], v[61:62]
	scratch_load_b128 v[61:64], off, off offset:144
	s_waitcnt vmcnt(4)
	v_fma_f64 v[0:1], v[75:76], v[2:3], v[0:1]
	s_waitcnt lgkmcnt(0)
	s_delay_alu instid0(VALU_DEP_1)
	v_fma_f64 v[53:54], v[77:78], v[53:54], v[0:1]
	scratch_load_b128 v[0:3], off, off offset:160
	s_waitcnt vmcnt(4)
	v_fma_f64 v[75:76], v[67:68], v[55:56], v[53:54]
	ds_load_2addr_b64 v[53:56], v50 offset0:37 offset1:38
	ds_load_2addr_b64 v[65:68], v50 offset0:39 offset1:40
	s_waitcnt lgkmcnt(1)
	v_fma_f64 v[53:54], v[69:70], v[53:54], v[75:76]
	scratch_load_b64 v[69:70], off, off offset:176
	s_waitcnt vmcnt(4)
	v_fma_f64 v[53:54], v[71:72], v[55:56], v[53:54]
	s_waitcnt lgkmcnt(0)
	s_delay_alu instid0(VALU_DEP_1) | instskip(SKIP_1) | instid1(VALU_DEP_1)
	v_fma_f64 v[53:54], v[73:74], v[65:66], v[53:54]
	s_waitcnt vmcnt(3)
	v_fma_f64 v[57:58], v[57:58], v[67:68], v[53:54]
	ds_load_2addr_b64 v[53:56], v50 offset0:41 offset1:42
	ds_load_2addr_b64 v[65:68], v50 offset0:43 offset1:44
	s_waitcnt lgkmcnt(1)
	v_fma_f64 v[53:54], v[59:60], v[53:54], v[57:58]
	s_waitcnt vmcnt(2)
	s_delay_alu instid0(VALU_DEP_1) | instskip(SKIP_1) | instid1(VALU_DEP_1)
	v_fma_f64 v[53:54], v[61:62], v[55:56], v[53:54]
	s_waitcnt lgkmcnt(0)
	v_fma_f64 v[53:54], v[63:64], v[65:66], v[53:54]
	s_waitcnt vmcnt(1)
	s_delay_alu instid0(VALU_DEP_1) | instskip(SKIP_4) | instid1(VALU_DEP_1)
	v_fma_f64 v[0:1], v[0:1], v[67:68], v[53:54]
	ds_load_2addr_b64 v[53:56], v50 offset0:45 offset1:46
	s_waitcnt lgkmcnt(0)
	v_fma_f64 v[0:1], v[2:3], v[53:54], v[0:1]
	s_waitcnt vmcnt(0)
	v_fma_f64 v[0:1], v[69:70], v[55:56], v[0:1]
	s_delay_alu instid0(VALU_DEP_1)
	v_add_f64 v[0:1], v[51:52], -v[0:1]
	scratch_store_b64 off, v[0:1], off
	s_cbranch_vccz .LBB22_193
; %bb.148:
	v_dual_mov_b32 v0, s12 :: v_dual_mov_b32 v1, s13
	s_mov_b32 s0, exec_lo
	flat_load_b32 v0, v[0:1] offset:84
	s_waitcnt vmcnt(0) lgkmcnt(0)
	v_cmpx_ne_u32_e32 22, v0
	s_cbranch_execz .LBB22_150
; %bb.149:
	v_lshl_add_u32 v50, v0, 3, 0
	scratch_load_b64 v[0:1], v50, off offset:-8
	s_waitcnt vmcnt(0)
	scratch_store_b64 off, v[0:1], off offset:168
	scratch_store_b64 v50, v[2:3], off offset:-8
.LBB22_150:
	s_or_b32 exec_lo, exec_lo, s0
	v_dual_mov_b32 v0, s12 :: v_dual_mov_b32 v1, s13
	s_mov_b32 s0, exec_lo
	flat_load_b32 v0, v[0:1] offset:80
	s_waitcnt vmcnt(0) lgkmcnt(0)
	v_cmpx_ne_u32_e32 21, v0
	s_cbranch_execz .LBB22_152
; %bb.151:
	v_lshl_add_u32 v50, v0, 3, 0
	scratch_load_b64 v[0:1], v50, off offset:-8
	scratch_load_b64 v[2:3], off, off offset:160
	s_waitcnt vmcnt(1)
	scratch_store_b64 off, v[0:1], off offset:160
	s_waitcnt vmcnt(0)
	scratch_store_b64 v50, v[2:3], off offset:-8
.LBB22_152:
	s_or_b32 exec_lo, exec_lo, s0
	v_dual_mov_b32 v0, s12 :: v_dual_mov_b32 v1, s13
	s_mov_b32 s0, exec_lo
	flat_load_b32 v0, v[0:1] offset:76
	s_waitcnt vmcnt(0) lgkmcnt(0)
	v_cmpx_ne_u32_e32 20, v0
	s_cbranch_execz .LBB22_154
; %bb.153:
	v_lshl_add_u32 v50, v0, 3, 0
	scratch_load_b64 v[0:1], v50, off offset:-8
	scratch_load_b64 v[2:3], off, off offset:152
	s_waitcnt vmcnt(1)
	scratch_store_b64 off, v[0:1], off offset:152
	s_waitcnt vmcnt(0)
	scratch_store_b64 v50, v[2:3], off offset:-8
.LBB22_154:
	;; [unrolled: 16-line block ×20, first 2 shown]
	s_or_b32 exec_lo, exec_lo, s0
	v_dual_mov_b32 v0, s12 :: v_dual_mov_b32 v1, s13
	s_mov_b32 s0, exec_lo
	flat_load_b32 v2, v[0:1]
	scratch_load_b64 v[0:1], off, off
	s_waitcnt vmcnt(1) lgkmcnt(0)
	v_cmpx_ne_u32_e32 1, v2
	s_cbranch_execz .LBB22_192
; %bb.191:
	v_lshl_add_u32 v50, v2, 3, 0
	scratch_load_b64 v[2:3], v50, off offset:-8
	s_waitcnt vmcnt(0)
	scratch_store_b64 off, v[2:3], off
	scratch_store_b64 v50, v[0:1], off offset:-8
	scratch_load_b64 v[0:1], off, off
.LBB22_192:
	s_or_b32 exec_lo, exec_lo, s0
.LBB22_193:
	s_clause 0xa
	scratch_load_b128 v[50:53], off, off offset:8
	scratch_load_b128 v[54:57], off, off offset:24
	;; [unrolled: 1-line block ×11, first 2 shown]
	s_waitcnt vmcnt(11)
	global_store_b64 v[4:5], v[0:1], off
	s_waitcnt vmcnt(10)
	s_clause 0x1
	global_store_b64 v[6:7], v[50:51], off
	global_store_b64 v[8:9], v[52:53], off
	s_waitcnt vmcnt(9)
	s_clause 0x1
	global_store_b64 v[10:11], v[54:55], off
	;; [unrolled: 4-line block ×11, first 2 shown]
	global_store_b64 v[42:43], v[92:93], off
	s_endpgm
	.section	.rodata,"a",@progbits
	.p2align	6, 0x0
	.amdhsa_kernel _ZN9rocsolver6v33100L18getri_kernel_smallILi23EdPdEEvT1_iilPiilS4_bb
		.amdhsa_group_segment_fixed_size 376
		.amdhsa_private_segment_fixed_size 192
		.amdhsa_kernarg_size 60
		.amdhsa_user_sgpr_count 15
		.amdhsa_user_sgpr_dispatch_ptr 0
		.amdhsa_user_sgpr_queue_ptr 0
		.amdhsa_user_sgpr_kernarg_segment_ptr 1
		.amdhsa_user_sgpr_dispatch_id 0
		.amdhsa_user_sgpr_private_segment_size 0
		.amdhsa_wavefront_size32 1
		.amdhsa_uses_dynamic_stack 0
		.amdhsa_enable_private_segment 1
		.amdhsa_system_sgpr_workgroup_id_x 1
		.amdhsa_system_sgpr_workgroup_id_y 0
		.amdhsa_system_sgpr_workgroup_id_z 0
		.amdhsa_system_sgpr_workgroup_info 0
		.amdhsa_system_vgpr_workitem_id 0
		.amdhsa_next_free_vgpr 94
		.amdhsa_next_free_sgpr 18
		.amdhsa_reserve_vcc 1
		.amdhsa_float_round_mode_32 0
		.amdhsa_float_round_mode_16_64 0
		.amdhsa_float_denorm_mode_32 3
		.amdhsa_float_denorm_mode_16_64 3
		.amdhsa_dx10_clamp 1
		.amdhsa_ieee_mode 1
		.amdhsa_fp16_overflow 0
		.amdhsa_workgroup_processor_mode 1
		.amdhsa_memory_ordered 1
		.amdhsa_forward_progress 0
		.amdhsa_shared_vgpr_count 0
		.amdhsa_exception_fp_ieee_invalid_op 0
		.amdhsa_exception_fp_denorm_src 0
		.amdhsa_exception_fp_ieee_div_zero 0
		.amdhsa_exception_fp_ieee_overflow 0
		.amdhsa_exception_fp_ieee_underflow 0
		.amdhsa_exception_fp_ieee_inexact 0
		.amdhsa_exception_int_div_zero 0
	.end_amdhsa_kernel
	.section	.text._ZN9rocsolver6v33100L18getri_kernel_smallILi23EdPdEEvT1_iilPiilS4_bb,"axG",@progbits,_ZN9rocsolver6v33100L18getri_kernel_smallILi23EdPdEEvT1_iilPiilS4_bb,comdat
.Lfunc_end22:
	.size	_ZN9rocsolver6v33100L18getri_kernel_smallILi23EdPdEEvT1_iilPiilS4_bb, .Lfunc_end22-_ZN9rocsolver6v33100L18getri_kernel_smallILi23EdPdEEvT1_iilPiilS4_bb
                                        ; -- End function
	.section	.AMDGPU.csdata,"",@progbits
; Kernel info:
; codeLenInByte = 15776
; NumSgprs: 20
; NumVgprs: 94
; ScratchSize: 192
; MemoryBound: 0
; FloatMode: 240
; IeeeMode: 1
; LDSByteSize: 376 bytes/workgroup (compile time only)
; SGPRBlocks: 2
; VGPRBlocks: 11
; NumSGPRsForWavesPerEU: 20
; NumVGPRsForWavesPerEU: 94
; Occupancy: 16
; WaveLimiterHint : 1
; COMPUTE_PGM_RSRC2:SCRATCH_EN: 1
; COMPUTE_PGM_RSRC2:USER_SGPR: 15
; COMPUTE_PGM_RSRC2:TRAP_HANDLER: 0
; COMPUTE_PGM_RSRC2:TGID_X_EN: 1
; COMPUTE_PGM_RSRC2:TGID_Y_EN: 0
; COMPUTE_PGM_RSRC2:TGID_Z_EN: 0
; COMPUTE_PGM_RSRC2:TIDIG_COMP_CNT: 0
	.section	.text._ZN9rocsolver6v33100L18getri_kernel_smallILi24EdPdEEvT1_iilPiilS4_bb,"axG",@progbits,_ZN9rocsolver6v33100L18getri_kernel_smallILi24EdPdEEvT1_iilPiilS4_bb,comdat
	.globl	_ZN9rocsolver6v33100L18getri_kernel_smallILi24EdPdEEvT1_iilPiilS4_bb ; -- Begin function _ZN9rocsolver6v33100L18getri_kernel_smallILi24EdPdEEvT1_iilPiilS4_bb
	.p2align	8
	.type	_ZN9rocsolver6v33100L18getri_kernel_smallILi24EdPdEEvT1_iilPiilS4_bb,@function
_ZN9rocsolver6v33100L18getri_kernel_smallILi24EdPdEEvT1_iilPiilS4_bb: ; @_ZN9rocsolver6v33100L18getri_kernel_smallILi24EdPdEEvT1_iilPiilS4_bb
; %bb.0:
	s_mov_b32 s2, exec_lo
	v_cmpx_gt_u32_e32 24, v0
	s_cbranch_execz .LBB23_106
; %bb.1:
	s_clause 0x2
	s_load_b32 s17, s[0:1], 0x38
	s_load_b128 s[8:11], s[0:1], 0x10
	s_load_b128 s[4:7], s[0:1], 0x28
	s_mov_b32 s14, s15
                                        ; implicit-def: $sgpr12_sgpr13
	s_waitcnt lgkmcnt(0)
	s_bitcmp1_b32 s17, 8
	s_cselect_b32 s16, -1, 0
	s_bfe_u32 s2, s17, 0x10008
	s_ashr_i32 s15, s15, 31
	s_cmp_eq_u32 s2, 0
	s_cbranch_scc1 .LBB23_3
; %bb.2:
	s_load_b32 s2, s[0:1], 0x20
	s_mul_i32 s3, s14, s5
	s_mul_hi_u32 s5, s14, s4
	s_mul_i32 s12, s15, s4
	s_add_i32 s3, s5, s3
	s_mul_i32 s4, s14, s4
	s_add_i32 s5, s3, s12
	s_delay_alu instid0(SALU_CYCLE_1)
	s_lshl_b64 s[4:5], s[4:5], 2
	s_waitcnt lgkmcnt(0)
	s_ashr_i32 s3, s2, 31
	s_add_u32 s4, s10, s4
	s_addc_u32 s5, s11, s5
	s_lshl_b64 s[2:3], s[2:3], 2
	s_delay_alu instid0(SALU_CYCLE_1)
	s_add_u32 s12, s4, s2
	s_addc_u32 s13, s5, s3
.LBB23_3:
	s_load_b128 s[0:3], s[0:1], 0x0
	s_mul_i32 s4, s14, s9
	s_mul_hi_u32 s5, s14, s8
	s_mul_i32 s9, s15, s8
	s_add_i32 s5, s5, s4
	s_mul_i32 s4, s14, s8
	s_add_i32 s5, s5, s9
	v_lshlrev_b32_e32 v3, 3, v0
	s_lshl_b64 s[4:5], s[4:5], 3
	s_waitcnt lgkmcnt(0)
	v_add3_u32 v1, s3, s3, v0
	s_ashr_i32 s9, s2, 31
	s_mov_b32 s8, s2
	s_add_u32 s2, s0, s4
	s_addc_u32 s5, s1, s5
	v_add_nc_u32_e32 v12, s3, v1
	s_lshl_b64 s[0:1], s[8:9], 3
	v_ashrrev_i32_e32 v2, 31, v1
	s_add_u32 s0, s2, s0
	s_addc_u32 s1, s5, s1
	v_add_co_u32 v10, s2, s0, v3
	v_ashrrev_i32_e32 v13, 31, v12
	s_mov_b32 s4, s3
	s_ashr_i32 s5, s3, 31
	v_add_co_ci_u32_e64 v11, null, s1, 0, s2
	v_lshlrev_b64 v[1:2], 3, v[1:2]
	s_lshl_b64 s[4:5], s[4:5], 3
	v_lshlrev_b64 v[8:9], 3, v[12:13]
	v_add_co_u32 v4, vcc_lo, v10, s4
	v_add_co_ci_u32_e32 v5, vcc_lo, s5, v11, vcc_lo
	s_delay_alu instid0(VALU_DEP_4)
	v_add_co_u32 v6, vcc_lo, s0, v1
	v_add_co_ci_u32_e32 v7, vcc_lo, s1, v2, vcc_lo
	v_add_co_u32 v8, vcc_lo, s0, v8
	v_add_co_ci_u32_e32 v9, vcc_lo, s1, v9, vcc_lo
	s_clause 0x3
	global_load_b64 v[52:53], v3, s[0:1]
	global_load_b64 v[54:55], v[4:5], off
	global_load_b64 v[56:57], v[6:7], off
	global_load_b64 v[58:59], v[8:9], off
	v_add_nc_u32_e32 v1, s3, v12
	s_bitcmp0_b32 s17, 0
	s_delay_alu instid0(VALU_DEP_1) | instskip(SKIP_1) | instid1(VALU_DEP_2)
	v_add_nc_u32_e32 v14, s3, v1
	v_ashrrev_i32_e32 v2, 31, v1
	v_add_nc_u32_e32 v16, s3, v14
	s_delay_alu instid0(VALU_DEP_2) | instskip(SKIP_1) | instid1(VALU_DEP_3)
	v_lshlrev_b64 v[1:2], 3, v[1:2]
	v_ashrrev_i32_e32 v15, 31, v14
	v_add_nc_u32_e32 v18, s3, v16
	v_ashrrev_i32_e32 v17, 31, v16
	s_delay_alu instid0(VALU_DEP_4) | instskip(SKIP_1) | instid1(VALU_DEP_4)
	v_add_co_u32 v12, vcc_lo, s0, v1
	v_add_co_ci_u32_e32 v13, vcc_lo, s1, v2, vcc_lo
	v_add_nc_u32_e32 v20, s3, v18
	v_lshlrev_b64 v[1:2], 3, v[14:15]
	v_ashrrev_i32_e32 v19, 31, v18
	v_lshlrev_b64 v[16:17], 3, v[16:17]
	global_load_b64 v[60:61], v[12:13], off
	v_add_nc_u32_e32 v22, s3, v20
	v_ashrrev_i32_e32 v21, 31, v20
	v_add_co_u32 v14, vcc_lo, s0, v1
	v_add_co_ci_u32_e32 v15, vcc_lo, s1, v2, vcc_lo
	s_delay_alu instid0(VALU_DEP_4) | instskip(SKIP_3) | instid1(VALU_DEP_4)
	v_add_nc_u32_e32 v24, s3, v22
	v_lshlrev_b64 v[1:2], 3, v[18:19]
	v_add_co_u32 v16, vcc_lo, s0, v16
	v_ashrrev_i32_e32 v23, 31, v22
	v_add_nc_u32_e32 v26, s3, v24
	v_add_co_ci_u32_e32 v17, vcc_lo, s1, v17, vcc_lo
	v_lshlrev_b64 v[20:21], 3, v[20:21]
	v_add_co_u32 v18, vcc_lo, s0, v1
	s_delay_alu instid0(VALU_DEP_4) | instskip(SKIP_3) | instid1(VALU_DEP_4)
	v_add_nc_u32_e32 v28, s3, v26
	v_add_co_ci_u32_e32 v19, vcc_lo, s1, v2, vcc_lo
	v_lshlrev_b64 v[1:2], 3, v[22:23]
	v_ashrrev_i32_e32 v25, 31, v24
	v_add_nc_u32_e32 v30, s3, v28
	v_add_co_u32 v20, vcc_lo, s0, v20
	v_ashrrev_i32_e32 v27, 31, v26
	v_add_co_ci_u32_e32 v21, vcc_lo, s1, v21, vcc_lo
	s_delay_alu instid0(VALU_DEP_4) | instskip(SKIP_3) | instid1(VALU_DEP_4)
	v_add_nc_u32_e32 v32, s3, v30
	v_lshlrev_b64 v[24:25], 3, v[24:25]
	v_add_co_u32 v22, vcc_lo, s0, v1
	v_add_co_ci_u32_e32 v23, vcc_lo, s1, v2, vcc_lo
	v_add_nc_u32_e32 v34, s3, v32
	v_lshlrev_b64 v[1:2], 3, v[26:27]
	v_ashrrev_i32_e32 v29, 31, v28
	v_add_co_u32 v24, vcc_lo, s0, v24
	s_delay_alu instid0(VALU_DEP_4) | instskip(SKIP_3) | instid1(VALU_DEP_4)
	v_add_nc_u32_e32 v36, s3, v34
	v_ashrrev_i32_e32 v31, 31, v30
	v_add_co_ci_u32_e32 v25, vcc_lo, s1, v25, vcc_lo
	v_lshlrev_b64 v[28:29], 3, v[28:29]
	v_add_nc_u32_e32 v38, s3, v36
	v_add_co_u32 v26, vcc_lo, s0, v1
	v_add_co_ci_u32_e32 v27, vcc_lo, s1, v2, vcc_lo
	v_lshlrev_b64 v[1:2], 3, v[30:31]
	v_ashrrev_i32_e32 v33, 31, v32
	v_add_nc_u32_e32 v40, s3, v38
	v_add_co_u32 v28, vcc_lo, s0, v28
	v_ashrrev_i32_e32 v35, 31, v34
	v_add_co_ci_u32_e32 v29, vcc_lo, s1, v29, vcc_lo
	v_lshlrev_b64 v[32:33], 3, v[32:33]
	v_add_nc_u32_e32 v42, s3, v40
	v_add_co_u32 v30, vcc_lo, s0, v1
	v_add_co_ci_u32_e32 v31, vcc_lo, s1, v2, vcc_lo
	v_lshlrev_b64 v[1:2], 3, v[34:35]
	v_ashrrev_i32_e32 v37, 31, v36
	v_add_nc_u32_e32 v44, s3, v42
	v_add_co_u32 v32, vcc_lo, s0, v32
	v_ashrrev_i32_e32 v39, 31, v38
	v_add_co_ci_u32_e32 v33, vcc_lo, s1, v33, vcc_lo
	v_lshlrev_b64 v[36:37], 3, v[36:37]
	v_add_co_u32 v34, vcc_lo, s0, v1
	v_add_nc_u32_e32 v46, s3, v44
	v_add_co_ci_u32_e32 v35, vcc_lo, s1, v2, vcc_lo
	v_lshlrev_b64 v[1:2], 3, v[38:39]
	v_ashrrev_i32_e32 v41, 31, v40
	v_add_co_u32 v36, vcc_lo, s0, v36
	v_ashrrev_i32_e32 v43, 31, v42
	v_add_nc_u32_e32 v48, s3, v46
	v_add_co_ci_u32_e32 v37, vcc_lo, s1, v37, vcc_lo
	v_lshlrev_b64 v[40:41], 3, v[40:41]
	v_add_co_u32 v38, vcc_lo, s0, v1
	v_add_co_ci_u32_e32 v39, vcc_lo, s1, v2, vcc_lo
	v_lshlrev_b64 v[1:2], 3, v[42:43]
	v_ashrrev_i32_e32 v45, 31, v44
	v_add_nc_u32_e32 v50, s3, v48
	v_add_co_u32 v40, vcc_lo, s0, v40
	v_ashrrev_i32_e32 v47, 31, v46
	v_add_co_ci_u32_e32 v41, vcc_lo, s1, v41, vcc_lo
	v_lshlrev_b64 v[44:45], 3, v[44:45]
	v_add_co_u32 v42, vcc_lo, s0, v1
	v_ashrrev_i32_e32 v49, 31, v48
	v_ashrrev_i32_e32 v51, 31, v50
	v_add_co_ci_u32_e32 v43, vcc_lo, s1, v2, vcc_lo
	v_lshlrev_b64 v[1:2], 3, v[46:47]
	v_add_co_u32 v44, vcc_lo, s0, v44
	v_lshlrev_b64 v[86:87], 3, v[48:49]
	v_lshlrev_b64 v[48:49], 3, v[50:51]
	v_add_co_ci_u32_e32 v45, vcc_lo, s1, v45, vcc_lo
	v_add_co_u32 v46, vcc_lo, s0, v1
	v_add_co_ci_u32_e32 v47, vcc_lo, s1, v2, vcc_lo
	s_delay_alu instid0(VALU_DEP_4)
	v_add_co_u32 v48, vcc_lo, s0, v48
	v_add_co_ci_u32_e32 v49, vcc_lo, s1, v49, vcc_lo
	v_add_co_u32 v50, vcc_lo, s0, v86
	v_add_co_ci_u32_e32 v51, vcc_lo, s1, v87, vcc_lo
	s_clause 0xc
	global_load_b64 v[62:63], v[14:15], off
	global_load_b64 v[64:65], v[16:17], off
	;; [unrolled: 1-line block ×13, first 2 shown]
	s_mov_b32 s1, -1
	s_waitcnt vmcnt(16)
	scratch_store_b128 off, v[52:55], off
	s_clause 0x2
	global_load_b64 v[86:87], v[38:39], off
	global_load_b64 v[52:53], v[40:41], off
	;; [unrolled: 1-line block ×3, first 2 shown]
	s_waitcnt vmcnt(17)
	scratch_store_b128 off, v[56:59], off offset:16
	s_clause 0x2
	global_load_b64 v[56:57], v[44:45], off
	global_load_b64 v[58:59], v[46:47], off
	global_load_b64 v[88:89], v[50:51], off
	s_waitcnt vmcnt(18)
	scratch_store_b128 off, v[60:63], off offset:32
	s_waitcnt vmcnt(16)
	scratch_store_b128 off, v[64:67], off offset:48
	;; [unrolled: 2-line block ×10, first 2 shown]
	s_cbranch_scc1 .LBB23_104
; %bb.4:
	v_cmp_eq_u32_e64 s0, 0, v0
	s_delay_alu instid0(VALU_DEP_1)
	s_and_saveexec_b32 s1, s0
	s_cbranch_execz .LBB23_6
; %bb.5:
	v_mov_b32_e32 v1, 0
	ds_store_b32 v1, v1 offset:384
.LBB23_6:
	s_or_b32 exec_lo, exec_lo, s1
	s_waitcnt lgkmcnt(0)
	s_waitcnt_vscnt null, 0x0
	s_barrier
	buffer_gl0_inv
	scratch_load_b64 v[1:2], v3, off
	s_mov_b32 s2, exec_lo
	s_waitcnt vmcnt(0)
	v_cmpx_eq_f64_e32 0, v[1:2]
	s_cbranch_execz .LBB23_10
; %bb.7:
	v_mov_b32_e32 v1, 0
	s_mov_b32 s3, 0
	ds_load_b32 v2, v1 offset:384
	s_waitcnt lgkmcnt(0)
	v_readfirstlane_b32 s1, v2
	v_add_nc_u32_e32 v2, 1, v0
	s_delay_alu instid0(VALU_DEP_2) | instskip(NEXT) | instid1(VALU_DEP_1)
	s_cmp_eq_u32 s1, 0
	v_cmp_gt_i32_e32 vcc_lo, s1, v2
	s_cselect_b32 s4, -1, 0
	s_delay_alu instid0(SALU_CYCLE_1) | instskip(NEXT) | instid1(SALU_CYCLE_1)
	s_or_b32 s4, s4, vcc_lo
	s_and_b32 exec_lo, exec_lo, s4
	s_cbranch_execz .LBB23_10
; %bb.8:
	v_mov_b32_e32 v52, s1
.LBB23_9:                               ; =>This Inner Loop Header: Depth=1
	ds_cmpstore_rtn_b32 v52, v1, v2, v52 offset:384
	s_waitcnt lgkmcnt(0)
	v_cmp_ne_u32_e32 vcc_lo, 0, v52
	v_cmp_le_i32_e64 s1, v52, v2
	s_delay_alu instid0(VALU_DEP_1) | instskip(NEXT) | instid1(SALU_CYCLE_1)
	s_and_b32 s1, vcc_lo, s1
	s_and_b32 s1, exec_lo, s1
	s_delay_alu instid0(SALU_CYCLE_1) | instskip(NEXT) | instid1(SALU_CYCLE_1)
	s_or_b32 s3, s1, s3
	s_and_not1_b32 exec_lo, exec_lo, s3
	s_cbranch_execnz .LBB23_9
.LBB23_10:
	s_or_b32 exec_lo, exec_lo, s2
	v_mov_b32_e32 v1, 0
	s_barrier
	buffer_gl0_inv
	ds_load_b32 v2, v1 offset:384
	s_and_saveexec_b32 s1, s0
	s_cbranch_execz .LBB23_12
; %bb.11:
	s_lshl_b64 s[2:3], s[14:15], 2
	s_delay_alu instid0(SALU_CYCLE_1)
	s_add_u32 s2, s6, s2
	s_addc_u32 s3, s7, s3
	s_waitcnt lgkmcnt(0)
	global_store_b32 v1, v2, s[2:3]
.LBB23_12:
	s_or_b32 exec_lo, exec_lo, s1
	s_waitcnt lgkmcnt(0)
	v_cmp_ne_u32_e32 vcc_lo, 0, v2
	s_mov_b32 s1, 0
	s_cbranch_vccnz .LBB23_104
; %bb.13:
	v_add_nc_u32_e32 v52, 0, v3
	scratch_load_b64 v[1:2], v52, off
	s_waitcnt vmcnt(0)
	v_div_scale_f64 v[53:54], null, v[1:2], v[1:2], 1.0
	v_div_scale_f64 v[59:60], vcc_lo, 1.0, v[1:2], 1.0
	s_delay_alu instid0(VALU_DEP_2) | instskip(SKIP_2) | instid1(VALU_DEP_1)
	v_rcp_f64_e32 v[55:56], v[53:54]
	s_waitcnt_depctr 0xfff
	v_fma_f64 v[57:58], -v[53:54], v[55:56], 1.0
	v_fma_f64 v[55:56], v[55:56], v[57:58], v[55:56]
	s_delay_alu instid0(VALU_DEP_1) | instskip(NEXT) | instid1(VALU_DEP_1)
	v_fma_f64 v[57:58], -v[53:54], v[55:56], 1.0
	v_fma_f64 v[55:56], v[55:56], v[57:58], v[55:56]
	s_delay_alu instid0(VALU_DEP_1) | instskip(NEXT) | instid1(VALU_DEP_1)
	v_mul_f64 v[57:58], v[59:60], v[55:56]
	v_fma_f64 v[53:54], -v[53:54], v[57:58], v[59:60]
	s_delay_alu instid0(VALU_DEP_1) | instskip(NEXT) | instid1(VALU_DEP_1)
	v_div_fmas_f64 v[53:54], v[53:54], v[55:56], v[57:58]
	v_div_fixup_f64 v[1:2], v[53:54], v[1:2], 1.0
	v_add_nc_u32_e32 v53, 0xc0, v3
	scratch_store_b64 v52, v[1:2], off
	scratch_load_b64 v[54:55], off, off offset:8
	v_xor_b32_e32 v2, 0x80000000, v2
	s_waitcnt vmcnt(0)
	ds_store_2addr_b64 v3, v[1:2], v[54:55] offset1:24
	s_waitcnt lgkmcnt(0)
	s_waitcnt_vscnt null, 0x0
	s_barrier
	buffer_gl0_inv
	s_and_saveexec_b32 s1, s0
	s_cbranch_execz .LBB23_15
; %bb.14:
	scratch_load_b64 v[1:2], v52, off
	ds_load_b64 v[54:55], v53
	s_waitcnt vmcnt(0) lgkmcnt(0)
	v_fma_f64 v[1:2], v[1:2], v[54:55], 0
	v_mov_b32_e32 v54, 0
	ds_load_b64 v[54:55], v54 offset:8
	s_waitcnt lgkmcnt(0)
	v_mul_f64 v[1:2], v[1:2], v[54:55]
	scratch_store_b64 off, v[1:2], off offset:8
.LBB23_15:
	s_or_b32 exec_lo, exec_lo, s1
	s_waitcnt_vscnt null, 0x0
	s_barrier
	buffer_gl0_inv
	scratch_load_b64 v[1:2], off, off offset:16
	s_mov_b32 s1, exec_lo
	s_waitcnt vmcnt(0)
	ds_store_b64 v53, v[1:2]
	s_waitcnt lgkmcnt(0)
	s_barrier
	buffer_gl0_inv
	v_cmpx_gt_u32_e32 2, v0
	s_cbranch_execz .LBB23_19
; %bb.16:
	scratch_load_b64 v[1:2], v52, off
	ds_load_b64 v[54:55], v53
	s_waitcnt vmcnt(0) lgkmcnt(0)
	v_fma_f64 v[1:2], v[1:2], v[54:55], 0
	s_and_saveexec_b32 s2, s0
	s_cbranch_execz .LBB23_18
; %bb.17:
	scratch_load_b64 v[54:55], off, off offset:8
	v_mov_b32_e32 v56, 0
	ds_load_b64 v[56:57], v56 offset:200
	s_waitcnt vmcnt(0) lgkmcnt(0)
	v_fma_f64 v[1:2], v[54:55], v[56:57], v[1:2]
.LBB23_18:
	s_or_b32 exec_lo, exec_lo, s2
	v_mov_b32_e32 v54, 0
	ds_load_b64 v[54:55], v54 offset:16
	s_waitcnt lgkmcnt(0)
	v_mul_f64 v[1:2], v[1:2], v[54:55]
	scratch_store_b64 off, v[1:2], off offset:16
.LBB23_19:
	s_or_b32 exec_lo, exec_lo, s1
	s_waitcnt_vscnt null, 0x0
	s_barrier
	buffer_gl0_inv
	scratch_load_b64 v[1:2], off, off offset:24
	v_add_nc_u32_e32 v54, -1, v0
	s_mov_b32 s0, exec_lo
	s_waitcnt vmcnt(0)
	ds_store_b64 v53, v[1:2]
	s_waitcnt lgkmcnt(0)
	s_barrier
	buffer_gl0_inv
	v_cmpx_gt_u32_e32 3, v0
	s_cbranch_execz .LBB23_23
; %bb.20:
	v_dual_mov_b32 v1, 0 :: v_dual_add_nc_u32 v56, 0xc0, v3
	v_dual_mov_b32 v2, 0 :: v_dual_add_nc_u32 v55, -1, v0
	v_add_nc_u32_e32 v57, 0, v3
	s_mov_b32 s1, 0
.LBB23_21:                              ; =>This Inner Loop Header: Depth=1
	scratch_load_b64 v[58:59], v57, off
	ds_load_b64 v[60:61], v56
	v_add_nc_u32_e32 v55, 1, v55
	v_add_nc_u32_e32 v56, 8, v56
	v_add_nc_u32_e32 v57, 8, v57
	s_delay_alu instid0(VALU_DEP_3)
	v_cmp_lt_u32_e32 vcc_lo, 1, v55
	s_or_b32 s1, vcc_lo, s1
	s_waitcnt vmcnt(0) lgkmcnt(0)
	v_fma_f64 v[1:2], v[58:59], v[60:61], v[1:2]
	s_and_not1_b32 exec_lo, exec_lo, s1
	s_cbranch_execnz .LBB23_21
; %bb.22:
	s_or_b32 exec_lo, exec_lo, s1
	v_mov_b32_e32 v55, 0
	ds_load_b64 v[55:56], v55 offset:24
	s_waitcnt lgkmcnt(0)
	v_mul_f64 v[1:2], v[1:2], v[55:56]
	scratch_store_b64 off, v[1:2], off offset:24
.LBB23_23:
	s_or_b32 exec_lo, exec_lo, s0
	s_waitcnt_vscnt null, 0x0
	s_barrier
	buffer_gl0_inv
	scratch_load_b64 v[1:2], off, off offset:32
	s_mov_b32 s0, exec_lo
	s_waitcnt vmcnt(0)
	ds_store_b64 v53, v[1:2]
	s_waitcnt lgkmcnt(0)
	s_barrier
	buffer_gl0_inv
	v_cmpx_gt_u32_e32 4, v0
	s_cbranch_execz .LBB23_27
; %bb.24:
	v_dual_mov_b32 v1, 0 :: v_dual_add_nc_u32 v56, 0xc0, v3
	v_dual_mov_b32 v2, 0 :: v_dual_add_nc_u32 v55, -1, v0
	v_add_nc_u32_e32 v57, 0, v3
	s_mov_b32 s1, 0
.LBB23_25:                              ; =>This Inner Loop Header: Depth=1
	scratch_load_b64 v[58:59], v57, off
	ds_load_b64 v[60:61], v56
	v_add_nc_u32_e32 v55, 1, v55
	v_add_nc_u32_e32 v56, 8, v56
	v_add_nc_u32_e32 v57, 8, v57
	s_delay_alu instid0(VALU_DEP_3)
	v_cmp_lt_u32_e32 vcc_lo, 2, v55
	s_or_b32 s1, vcc_lo, s1
	s_waitcnt vmcnt(0) lgkmcnt(0)
	v_fma_f64 v[1:2], v[58:59], v[60:61], v[1:2]
	s_and_not1_b32 exec_lo, exec_lo, s1
	s_cbranch_execnz .LBB23_25
; %bb.26:
	s_or_b32 exec_lo, exec_lo, s1
	v_mov_b32_e32 v55, 0
	ds_load_b64 v[55:56], v55 offset:32
	s_waitcnt lgkmcnt(0)
	v_mul_f64 v[1:2], v[1:2], v[55:56]
	scratch_store_b64 off, v[1:2], off offset:32
.LBB23_27:
	s_or_b32 exec_lo, exec_lo, s0
	s_waitcnt_vscnt null, 0x0
	s_barrier
	buffer_gl0_inv
	scratch_load_b64 v[1:2], off, off offset:40
	;; [unrolled: 39-line block ×20, first 2 shown]
	s_mov_b32 s0, exec_lo
	s_waitcnt vmcnt(0)
	ds_store_b64 v53, v[1:2]
	s_waitcnt lgkmcnt(0)
	s_barrier
	buffer_gl0_inv
	v_cmpx_ne_u32_e32 23, v0
	s_cbranch_execz .LBB23_103
; %bb.100:
	v_mov_b32_e32 v1, 0
	v_mov_b32_e32 v2, 0
	s_mov_b32 s1, 0
.LBB23_101:                             ; =>This Inner Loop Header: Depth=1
	scratch_load_b64 v[55:56], v52, off
	ds_load_b64 v[57:58], v53
	v_add_nc_u32_e32 v54, 1, v54
	v_add_nc_u32_e32 v53, 8, v53
	v_add_nc_u32_e32 v52, 8, v52
	s_delay_alu instid0(VALU_DEP_3)
	v_cmp_lt_u32_e32 vcc_lo, 21, v54
	s_or_b32 s1, vcc_lo, s1
	s_waitcnt vmcnt(0) lgkmcnt(0)
	v_fma_f64 v[1:2], v[55:56], v[57:58], v[1:2]
	s_and_not1_b32 exec_lo, exec_lo, s1
	s_cbranch_execnz .LBB23_101
; %bb.102:
	s_or_b32 exec_lo, exec_lo, s1
	v_mov_b32_e32 v3, 0
	ds_load_b64 v[52:53], v3 offset:184
	s_waitcnt lgkmcnt(0)
	v_mul_f64 v[1:2], v[1:2], v[52:53]
	scratch_store_b64 off, v[1:2], off offset:184
.LBB23_103:
	s_or_b32 exec_lo, exec_lo, s0
	s_mov_b32 s1, -1
	s_waitcnt_vscnt null, 0x0
	s_barrier
	buffer_gl0_inv
.LBB23_104:
	s_and_b32 vcc_lo, exec_lo, s1
	s_cbranch_vccz .LBB23_106
; %bb.105:
	s_lshl_b64 s[0:1], s[14:15], 2
	v_mov_b32_e32 v1, 0
	s_add_u32 s0, s6, s0
	s_addc_u32 s1, s7, s1
	global_load_b32 v1, v1, s[0:1]
	s_waitcnt vmcnt(0)
	v_cmp_ne_u32_e32 vcc_lo, 0, v1
	s_cbranch_vccz .LBB23_107
.LBB23_106:
	s_endpgm
.LBB23_107:
	v_lshl_add_u32 v3, v0, 3, 0xc0
	s_mov_b32 s0, exec_lo
	v_cmpx_eq_u32_e32 23, v0
	s_cbranch_execz .LBB23_109
; %bb.108:
	scratch_load_b64 v[1:2], off, off offset:176
	v_mov_b32_e32 v52, 0
	s_delay_alu instid0(VALU_DEP_1)
	v_mov_b32_e32 v53, v52
	scratch_store_b64 off, v[52:53], off offset:176
	s_waitcnt vmcnt(0)
	ds_store_b64 v3, v[1:2]
.LBB23_109:
	s_or_b32 exec_lo, exec_lo, s0
	s_waitcnt lgkmcnt(0)
	s_waitcnt_vscnt null, 0x0
	s_barrier
	buffer_gl0_inv
	scratch_load_b128 v[52:55], off, off offset:176
	v_mov_b32_e32 v1, 0
	s_mov_b32 s0, exec_lo
	ds_load_b64 v[56:57], v1 offset:376
	s_waitcnt vmcnt(0) lgkmcnt(0)
	v_fma_f64 v[54:55], v[54:55], v[56:57], 0
	s_delay_alu instid0(VALU_DEP_1)
	v_add_f64 v[52:53], v[52:53], -v[54:55]
	scratch_store_b64 off, v[52:53], off offset:176
	v_cmpx_lt_u32_e32 21, v0
	s_cbranch_execz .LBB23_111
; %bb.110:
	scratch_load_b64 v[52:53], off, off offset:168
	v_mov_b32_e32 v2, v1
	scratch_store_b64 off, v[1:2], off offset:168
	s_waitcnt vmcnt(0)
	ds_store_b64 v3, v[52:53]
.LBB23_111:
	s_or_b32 exec_lo, exec_lo, s0
	s_waitcnt lgkmcnt(0)
	s_waitcnt_vscnt null, 0x0
	s_barrier
	buffer_gl0_inv
	s_clause 0x1
	scratch_load_b128 v[52:55], off, off offset:168
	scratch_load_b64 v[60:61], off, off offset:184
	ds_load_b128 v[56:59], v1 offset:368
	s_mov_b32 s0, exec_lo
	s_waitcnt vmcnt(1) lgkmcnt(0)
	v_fma_f64 v[1:2], v[54:55], v[56:57], 0
	s_waitcnt vmcnt(0)
	s_delay_alu instid0(VALU_DEP_1) | instskip(NEXT) | instid1(VALU_DEP_1)
	v_fma_f64 v[1:2], v[60:61], v[58:59], v[1:2]
	v_add_f64 v[1:2], v[52:53], -v[1:2]
	scratch_store_b64 off, v[1:2], off offset:168
	v_cmpx_lt_u32_e32 20, v0
	s_cbranch_execz .LBB23_113
; %bb.112:
	scratch_load_b64 v[1:2], off, off offset:160
	v_mov_b32_e32 v52, 0
	s_delay_alu instid0(VALU_DEP_1)
	v_mov_b32_e32 v53, v52
	scratch_store_b64 off, v[52:53], off offset:160
	s_waitcnt vmcnt(0)
	ds_store_b64 v3, v[1:2]
.LBB23_113:
	s_or_b32 exec_lo, exec_lo, s0
	s_waitcnt lgkmcnt(0)
	s_waitcnt_vscnt null, 0x0
	s_barrier
	buffer_gl0_inv
	s_clause 0x1
	scratch_load_b128 v[52:55], off, off offset:160
	scratch_load_b128 v[56:59], off, off offset:176
	v_mov_b32_e32 v1, 0
	ds_load_2addr_b64 v[60:63], v1 offset0:45 offset1:46
	ds_load_b64 v[64:65], v1 offset:376
	s_mov_b32 s0, exec_lo
	s_waitcnt vmcnt(1) lgkmcnt(1)
	v_fma_f64 v[54:55], v[54:55], v[60:61], 0
	s_waitcnt vmcnt(0)
	s_delay_alu instid0(VALU_DEP_1) | instskip(SKIP_1) | instid1(VALU_DEP_1)
	v_fma_f64 v[54:55], v[56:57], v[62:63], v[54:55]
	s_waitcnt lgkmcnt(0)
	v_fma_f64 v[54:55], v[58:59], v[64:65], v[54:55]
	s_delay_alu instid0(VALU_DEP_1)
	v_add_f64 v[52:53], v[52:53], -v[54:55]
	scratch_store_b64 off, v[52:53], off offset:160
	v_cmpx_lt_u32_e32 19, v0
	s_cbranch_execz .LBB23_115
; %bb.114:
	scratch_load_b64 v[52:53], off, off offset:152
	v_mov_b32_e32 v2, v1
	scratch_store_b64 off, v[1:2], off offset:152
	s_waitcnt vmcnt(0)
	ds_store_b64 v3, v[52:53]
.LBB23_115:
	s_or_b32 exec_lo, exec_lo, s0
	s_waitcnt lgkmcnt(0)
	s_waitcnt_vscnt null, 0x0
	s_barrier
	buffer_gl0_inv
	s_clause 0x2
	scratch_load_b128 v[52:55], off, off offset:152
	scratch_load_b128 v[56:59], off, off offset:168
	scratch_load_b64 v[68:69], off, off offset:184
	ds_load_b128 v[60:63], v1 offset:352
	ds_load_b128 v[64:67], v1 offset:368
	s_mov_b32 s0, exec_lo
	s_waitcnt vmcnt(2) lgkmcnt(1)
	v_fma_f64 v[1:2], v[54:55], v[60:61], 0
	s_waitcnt vmcnt(1)
	s_delay_alu instid0(VALU_DEP_1) | instskip(SKIP_1) | instid1(VALU_DEP_1)
	v_fma_f64 v[1:2], v[56:57], v[62:63], v[1:2]
	s_waitcnt lgkmcnt(0)
	v_fma_f64 v[1:2], v[58:59], v[64:65], v[1:2]
	s_waitcnt vmcnt(0)
	s_delay_alu instid0(VALU_DEP_1) | instskip(NEXT) | instid1(VALU_DEP_1)
	v_fma_f64 v[1:2], v[68:69], v[66:67], v[1:2]
	v_add_f64 v[1:2], v[52:53], -v[1:2]
	scratch_store_b64 off, v[1:2], off offset:152
	v_cmpx_lt_u32_e32 18, v0
	s_cbranch_execz .LBB23_117
; %bb.116:
	scratch_load_b64 v[1:2], off, off offset:144
	v_mov_b32_e32 v52, 0
	s_delay_alu instid0(VALU_DEP_1)
	v_mov_b32_e32 v53, v52
	scratch_store_b64 off, v[52:53], off offset:144
	s_waitcnt vmcnt(0)
	ds_store_b64 v3, v[1:2]
.LBB23_117:
	s_or_b32 exec_lo, exec_lo, s0
	s_waitcnt lgkmcnt(0)
	s_waitcnt_vscnt null, 0x0
	s_barrier
	buffer_gl0_inv
	s_clause 0x2
	scratch_load_b128 v[52:55], off, off offset:144
	scratch_load_b128 v[56:59], off, off offset:160
	;; [unrolled: 1-line block ×3, first 2 shown]
	v_mov_b32_e32 v1, 0
	ds_load_2addr_b64 v[64:67], v1 offset0:43 offset1:44
	ds_load_2addr_b64 v[68:71], v1 offset0:45 offset1:46
	s_mov_b32 s0, exec_lo
	s_waitcnt vmcnt(2) lgkmcnt(1)
	v_fma_f64 v[54:55], v[54:55], v[64:65], 0
	s_waitcnt vmcnt(1)
	s_delay_alu instid0(VALU_DEP_1) | instskip(SKIP_4) | instid1(VALU_DEP_1)
	v_fma_f64 v[54:55], v[56:57], v[66:67], v[54:55]
	ds_load_b64 v[56:57], v1 offset:376
	s_waitcnt lgkmcnt(1)
	v_fma_f64 v[54:55], v[58:59], v[68:69], v[54:55]
	s_waitcnt vmcnt(0)
	v_fma_f64 v[54:55], v[60:61], v[70:71], v[54:55]
	s_waitcnt lgkmcnt(0)
	s_delay_alu instid0(VALU_DEP_1) | instskip(NEXT) | instid1(VALU_DEP_1)
	v_fma_f64 v[54:55], v[62:63], v[56:57], v[54:55]
	v_add_f64 v[52:53], v[52:53], -v[54:55]
	scratch_store_b64 off, v[52:53], off offset:144
	v_cmpx_lt_u32_e32 17, v0
	s_cbranch_execz .LBB23_119
; %bb.118:
	scratch_load_b64 v[52:53], off, off offset:136
	v_mov_b32_e32 v2, v1
	scratch_store_b64 off, v[1:2], off offset:136
	s_waitcnt vmcnt(0)
	ds_store_b64 v3, v[52:53]
.LBB23_119:
	s_or_b32 exec_lo, exec_lo, s0
	s_waitcnt lgkmcnt(0)
	s_waitcnt_vscnt null, 0x0
	s_barrier
	buffer_gl0_inv
	s_clause 0x3
	scratch_load_b128 v[52:55], off, off offset:136
	scratch_load_b128 v[56:59], off, off offset:152
	;; [unrolled: 1-line block ×3, first 2 shown]
	scratch_load_b64 v[72:73], off, off offset:184
	ds_load_b128 v[64:67], v1 offset:336
	ds_load_b128 v[68:71], v1 offset:352
	s_mov_b32 s0, exec_lo
	s_waitcnt vmcnt(3) lgkmcnt(1)
	v_fma_f64 v[54:55], v[54:55], v[64:65], 0
	s_waitcnt vmcnt(2)
	s_delay_alu instid0(VALU_DEP_1) | instskip(SKIP_1) | instid1(VALU_DEP_1)
	v_fma_f64 v[54:55], v[56:57], v[66:67], v[54:55]
	s_waitcnt lgkmcnt(0)
	v_fma_f64 v[54:55], v[58:59], v[68:69], v[54:55]
	s_waitcnt vmcnt(1)
	s_delay_alu instid0(VALU_DEP_1) | instskip(SKIP_4) | instid1(VALU_DEP_1)
	v_fma_f64 v[58:59], v[60:61], v[70:71], v[54:55]
	ds_load_b128 v[54:57], v1 offset:368
	s_waitcnt lgkmcnt(0)
	v_fma_f64 v[1:2], v[62:63], v[54:55], v[58:59]
	s_waitcnt vmcnt(0)
	v_fma_f64 v[1:2], v[72:73], v[56:57], v[1:2]
	s_delay_alu instid0(VALU_DEP_1)
	v_add_f64 v[1:2], v[52:53], -v[1:2]
	scratch_store_b64 off, v[1:2], off offset:136
	v_cmpx_lt_u32_e32 16, v0
	s_cbranch_execz .LBB23_121
; %bb.120:
	scratch_load_b64 v[1:2], off, off offset:128
	v_mov_b32_e32 v52, 0
	s_delay_alu instid0(VALU_DEP_1)
	v_mov_b32_e32 v53, v52
	scratch_store_b64 off, v[52:53], off offset:128
	s_waitcnt vmcnt(0)
	ds_store_b64 v3, v[1:2]
.LBB23_121:
	s_or_b32 exec_lo, exec_lo, s0
	s_waitcnt lgkmcnt(0)
	s_waitcnt_vscnt null, 0x0
	s_barrier
	buffer_gl0_inv
	s_clause 0x3
	scratch_load_b128 v[52:55], off, off offset:128
	scratch_load_b128 v[56:59], off, off offset:144
	scratch_load_b128 v[60:63], off, off offset:160
	scratch_load_b128 v[64:67], off, off offset:176
	v_mov_b32_e32 v1, 0
	ds_load_2addr_b64 v[68:71], v1 offset0:41 offset1:42
	ds_load_2addr_b64 v[72:75], v1 offset0:43 offset1:44
	s_mov_b32 s0, exec_lo
	s_waitcnt vmcnt(3) lgkmcnt(1)
	v_fma_f64 v[54:55], v[54:55], v[68:69], 0
	s_waitcnt vmcnt(2)
	s_delay_alu instid0(VALU_DEP_1) | instskip(SKIP_1) | instid1(VALU_DEP_1)
	v_fma_f64 v[54:55], v[56:57], v[70:71], v[54:55]
	s_waitcnt lgkmcnt(0)
	v_fma_f64 v[54:55], v[58:59], v[72:73], v[54:55]
	s_waitcnt vmcnt(1)
	s_delay_alu instid0(VALU_DEP_1)
	v_fma_f64 v[58:59], v[60:61], v[74:75], v[54:55]
	ds_load_2addr_b64 v[54:57], v1 offset0:45 offset1:46
	ds_load_b64 v[60:61], v1 offset:376
	s_waitcnt lgkmcnt(1)
	v_fma_f64 v[54:55], v[62:63], v[54:55], v[58:59]
	s_waitcnt vmcnt(0)
	s_delay_alu instid0(VALU_DEP_1) | instskip(SKIP_1) | instid1(VALU_DEP_1)
	v_fma_f64 v[54:55], v[64:65], v[56:57], v[54:55]
	s_waitcnt lgkmcnt(0)
	v_fma_f64 v[54:55], v[66:67], v[60:61], v[54:55]
	s_delay_alu instid0(VALU_DEP_1)
	v_add_f64 v[52:53], v[52:53], -v[54:55]
	scratch_store_b64 off, v[52:53], off offset:128
	v_cmpx_lt_u32_e32 15, v0
	s_cbranch_execz .LBB23_123
; %bb.122:
	scratch_load_b64 v[52:53], off, off offset:120
	v_mov_b32_e32 v2, v1
	scratch_store_b64 off, v[1:2], off offset:120
	s_waitcnt vmcnt(0)
	ds_store_b64 v3, v[52:53]
.LBB23_123:
	s_or_b32 exec_lo, exec_lo, s0
	s_waitcnt lgkmcnt(0)
	s_waitcnt_vscnt null, 0x0
	s_barrier
	buffer_gl0_inv
	s_clause 0x4
	scratch_load_b128 v[52:55], off, off offset:120
	scratch_load_b128 v[56:59], off, off offset:136
	;; [unrolled: 1-line block ×4, first 2 shown]
	scratch_load_b64 v[76:77], off, off offset:184
	ds_load_b128 v[68:71], v1 offset:320
	ds_load_b128 v[72:75], v1 offset:336
	s_mov_b32 s0, exec_lo
	s_waitcnt vmcnt(4) lgkmcnt(1)
	v_fma_f64 v[54:55], v[54:55], v[68:69], 0
	s_waitcnt vmcnt(3)
	s_delay_alu instid0(VALU_DEP_1) | instskip(SKIP_1) | instid1(VALU_DEP_1)
	v_fma_f64 v[54:55], v[56:57], v[70:71], v[54:55]
	s_waitcnt lgkmcnt(0)
	v_fma_f64 v[54:55], v[58:59], v[72:73], v[54:55]
	s_waitcnt vmcnt(2)
	s_delay_alu instid0(VALU_DEP_1)
	v_fma_f64 v[68:69], v[60:61], v[74:75], v[54:55]
	ds_load_b128 v[54:57], v1 offset:352
	ds_load_b128 v[58:61], v1 offset:368
	s_waitcnt lgkmcnt(1)
	v_fma_f64 v[1:2], v[62:63], v[54:55], v[68:69]
	s_waitcnt vmcnt(1)
	s_delay_alu instid0(VALU_DEP_1) | instskip(SKIP_1) | instid1(VALU_DEP_1)
	v_fma_f64 v[1:2], v[64:65], v[56:57], v[1:2]
	s_waitcnt lgkmcnt(0)
	v_fma_f64 v[1:2], v[66:67], v[58:59], v[1:2]
	s_waitcnt vmcnt(0)
	s_delay_alu instid0(VALU_DEP_1) | instskip(NEXT) | instid1(VALU_DEP_1)
	v_fma_f64 v[1:2], v[76:77], v[60:61], v[1:2]
	v_add_f64 v[1:2], v[52:53], -v[1:2]
	scratch_store_b64 off, v[1:2], off offset:120
	v_cmpx_lt_u32_e32 14, v0
	s_cbranch_execz .LBB23_125
; %bb.124:
	scratch_load_b64 v[1:2], off, off offset:112
	v_mov_b32_e32 v52, 0
	s_delay_alu instid0(VALU_DEP_1)
	v_mov_b32_e32 v53, v52
	scratch_store_b64 off, v[52:53], off offset:112
	s_waitcnt vmcnt(0)
	ds_store_b64 v3, v[1:2]
.LBB23_125:
	s_or_b32 exec_lo, exec_lo, s0
	s_waitcnt lgkmcnt(0)
	s_waitcnt_vscnt null, 0x0
	s_barrier
	buffer_gl0_inv
	s_clause 0x4
	scratch_load_b128 v[52:55], off, off offset:112
	scratch_load_b128 v[56:59], off, off offset:128
	;; [unrolled: 1-line block ×5, first 2 shown]
	v_mov_b32_e32 v1, 0
	ds_load_2addr_b64 v[72:75], v1 offset0:39 offset1:40
	ds_load_2addr_b64 v[76:79], v1 offset0:41 offset1:42
	s_mov_b32 s0, exec_lo
	s_waitcnt vmcnt(4) lgkmcnt(1)
	v_fma_f64 v[54:55], v[54:55], v[72:73], 0
	s_waitcnt vmcnt(3)
	s_delay_alu instid0(VALU_DEP_1) | instskip(SKIP_1) | instid1(VALU_DEP_1)
	v_fma_f64 v[54:55], v[56:57], v[74:75], v[54:55]
	s_waitcnt lgkmcnt(0)
	v_fma_f64 v[54:55], v[58:59], v[76:77], v[54:55]
	s_waitcnt vmcnt(2)
	s_delay_alu instid0(VALU_DEP_1)
	v_fma_f64 v[72:73], v[60:61], v[78:79], v[54:55]
	ds_load_2addr_b64 v[54:57], v1 offset0:43 offset1:44
	ds_load_2addr_b64 v[58:61], v1 offset0:45 offset1:46
	s_waitcnt lgkmcnt(1)
	v_fma_f64 v[54:55], v[62:63], v[54:55], v[72:73]
	s_waitcnt vmcnt(1)
	s_delay_alu instid0(VALU_DEP_1) | instskip(SKIP_4) | instid1(VALU_DEP_1)
	v_fma_f64 v[54:55], v[64:65], v[56:57], v[54:55]
	ds_load_b64 v[56:57], v1 offset:376
	s_waitcnt lgkmcnt(1)
	v_fma_f64 v[54:55], v[66:67], v[58:59], v[54:55]
	s_waitcnt vmcnt(0)
	v_fma_f64 v[54:55], v[68:69], v[60:61], v[54:55]
	s_waitcnt lgkmcnt(0)
	s_delay_alu instid0(VALU_DEP_1) | instskip(NEXT) | instid1(VALU_DEP_1)
	v_fma_f64 v[54:55], v[70:71], v[56:57], v[54:55]
	v_add_f64 v[52:53], v[52:53], -v[54:55]
	scratch_store_b64 off, v[52:53], off offset:112
	v_cmpx_lt_u32_e32 13, v0
	s_cbranch_execz .LBB23_127
; %bb.126:
	scratch_load_b64 v[52:53], off, off offset:104
	v_mov_b32_e32 v2, v1
	scratch_store_b64 off, v[1:2], off offset:104
	s_waitcnt vmcnt(0)
	ds_store_b64 v3, v[52:53]
.LBB23_127:
	s_or_b32 exec_lo, exec_lo, s0
	s_waitcnt lgkmcnt(0)
	s_waitcnt_vscnt null, 0x0
	s_barrier
	buffer_gl0_inv
	s_clause 0x4
	scratch_load_b128 v[52:55], off, off offset:104
	scratch_load_b128 v[56:59], off, off offset:120
	;; [unrolled: 1-line block ×5, first 2 shown]
	ds_load_b128 v[72:75], v1 offset:304
	ds_load_b128 v[76:79], v1 offset:320
	s_mov_b32 s0, exec_lo
	s_waitcnt vmcnt(4) lgkmcnt(1)
	v_fma_f64 v[54:55], v[54:55], v[72:73], 0
	scratch_load_b64 v[72:73], off, off offset:184
	s_waitcnt vmcnt(4)
	v_fma_f64 v[54:55], v[56:57], v[74:75], v[54:55]
	s_waitcnt lgkmcnt(0)
	s_delay_alu instid0(VALU_DEP_1) | instskip(SKIP_1) | instid1(VALU_DEP_1)
	v_fma_f64 v[54:55], v[58:59], v[76:77], v[54:55]
	s_waitcnt vmcnt(3)
	v_fma_f64 v[74:75], v[60:61], v[78:79], v[54:55]
	ds_load_b128 v[54:57], v1 offset:336
	ds_load_b128 v[58:61], v1 offset:352
	s_waitcnt lgkmcnt(1)
	v_fma_f64 v[54:55], v[62:63], v[54:55], v[74:75]
	s_waitcnt vmcnt(2)
	s_delay_alu instid0(VALU_DEP_1) | instskip(SKIP_1) | instid1(VALU_DEP_1)
	v_fma_f64 v[54:55], v[64:65], v[56:57], v[54:55]
	s_waitcnt lgkmcnt(0)
	v_fma_f64 v[54:55], v[66:67], v[58:59], v[54:55]
	s_waitcnt vmcnt(1)
	s_delay_alu instid0(VALU_DEP_1) | instskip(SKIP_4) | instid1(VALU_DEP_1)
	v_fma_f64 v[58:59], v[68:69], v[60:61], v[54:55]
	ds_load_b128 v[54:57], v1 offset:368
	s_waitcnt lgkmcnt(0)
	v_fma_f64 v[1:2], v[70:71], v[54:55], v[58:59]
	s_waitcnt vmcnt(0)
	v_fma_f64 v[1:2], v[72:73], v[56:57], v[1:2]
	s_delay_alu instid0(VALU_DEP_1)
	v_add_f64 v[1:2], v[52:53], -v[1:2]
	scratch_store_b64 off, v[1:2], off offset:104
	v_cmpx_lt_u32_e32 12, v0
	s_cbranch_execz .LBB23_129
; %bb.128:
	scratch_load_b64 v[1:2], off, off offset:96
	v_mov_b32_e32 v52, 0
	s_delay_alu instid0(VALU_DEP_1)
	v_mov_b32_e32 v53, v52
	scratch_store_b64 off, v[52:53], off offset:96
	s_waitcnt vmcnt(0)
	ds_store_b64 v3, v[1:2]
.LBB23_129:
	s_or_b32 exec_lo, exec_lo, s0
	s_waitcnt lgkmcnt(0)
	s_waitcnt_vscnt null, 0x0
	s_barrier
	buffer_gl0_inv
	s_clause 0x4
	scratch_load_b128 v[52:55], off, off offset:96
	scratch_load_b128 v[56:59], off, off offset:112
	;; [unrolled: 1-line block ×5, first 2 shown]
	v_mov_b32_e32 v1, 0
	ds_load_2addr_b64 v[72:75], v1 offset0:37 offset1:38
	ds_load_2addr_b64 v[76:79], v1 offset0:39 offset1:40
	scratch_load_b128 v[80:83], off, off offset:176
	s_mov_b32 s0, exec_lo
	s_waitcnt vmcnt(5) lgkmcnt(1)
	v_fma_f64 v[54:55], v[54:55], v[72:73], 0
	s_waitcnt vmcnt(4)
	s_delay_alu instid0(VALU_DEP_1) | instskip(SKIP_1) | instid1(VALU_DEP_1)
	v_fma_f64 v[54:55], v[56:57], v[74:75], v[54:55]
	s_waitcnt lgkmcnt(0)
	v_fma_f64 v[54:55], v[58:59], v[76:77], v[54:55]
	s_waitcnt vmcnt(3)
	s_delay_alu instid0(VALU_DEP_1)
	v_fma_f64 v[72:73], v[60:61], v[78:79], v[54:55]
	ds_load_2addr_b64 v[54:57], v1 offset0:41 offset1:42
	ds_load_2addr_b64 v[58:61], v1 offset0:43 offset1:44
	s_waitcnt lgkmcnt(1)
	v_fma_f64 v[54:55], v[62:63], v[54:55], v[72:73]
	s_waitcnt vmcnt(2)
	s_delay_alu instid0(VALU_DEP_1) | instskip(SKIP_1) | instid1(VALU_DEP_1)
	v_fma_f64 v[54:55], v[64:65], v[56:57], v[54:55]
	s_waitcnt lgkmcnt(0)
	v_fma_f64 v[54:55], v[66:67], v[58:59], v[54:55]
	s_waitcnt vmcnt(1)
	s_delay_alu instid0(VALU_DEP_1)
	v_fma_f64 v[58:59], v[68:69], v[60:61], v[54:55]
	ds_load_2addr_b64 v[54:57], v1 offset0:45 offset1:46
	ds_load_b64 v[60:61], v1 offset:376
	s_waitcnt lgkmcnt(1)
	v_fma_f64 v[54:55], v[70:71], v[54:55], v[58:59]
	s_waitcnt vmcnt(0)
	s_delay_alu instid0(VALU_DEP_1) | instskip(SKIP_1) | instid1(VALU_DEP_1)
	v_fma_f64 v[54:55], v[80:81], v[56:57], v[54:55]
	s_waitcnt lgkmcnt(0)
	v_fma_f64 v[54:55], v[82:83], v[60:61], v[54:55]
	s_delay_alu instid0(VALU_DEP_1)
	v_add_f64 v[52:53], v[52:53], -v[54:55]
	scratch_store_b64 off, v[52:53], off offset:96
	v_cmpx_lt_u32_e32 11, v0
	s_cbranch_execz .LBB23_131
; %bb.130:
	scratch_load_b64 v[52:53], off, off offset:88
	v_mov_b32_e32 v2, v1
	scratch_store_b64 off, v[1:2], off offset:88
	s_waitcnt vmcnt(0)
	ds_store_b64 v3, v[52:53]
.LBB23_131:
	s_or_b32 exec_lo, exec_lo, s0
	s_waitcnt lgkmcnt(0)
	s_waitcnt_vscnt null, 0x0
	s_barrier
	buffer_gl0_inv
	s_clause 0x4
	scratch_load_b128 v[52:55], off, off offset:88
	scratch_load_b128 v[56:59], off, off offset:104
	;; [unrolled: 1-line block ×5, first 2 shown]
	ds_load_b128 v[72:75], v1 offset:288
	ds_load_b128 v[76:79], v1 offset:304
	scratch_load_b128 v[80:83], off, off offset:168
	s_mov_b32 s0, exec_lo
	s_waitcnt vmcnt(5) lgkmcnt(1)
	v_fma_f64 v[54:55], v[54:55], v[72:73], 0
	scratch_load_b64 v[72:73], off, off offset:184
	s_waitcnt vmcnt(5)
	v_fma_f64 v[54:55], v[56:57], v[74:75], v[54:55]
	s_waitcnt lgkmcnt(0)
	s_delay_alu instid0(VALU_DEP_1) | instskip(SKIP_1) | instid1(VALU_DEP_1)
	v_fma_f64 v[54:55], v[58:59], v[76:77], v[54:55]
	s_waitcnt vmcnt(4)
	v_fma_f64 v[74:75], v[60:61], v[78:79], v[54:55]
	ds_load_b128 v[54:57], v1 offset:320
	ds_load_b128 v[58:61], v1 offset:336
	s_waitcnt lgkmcnt(1)
	v_fma_f64 v[54:55], v[62:63], v[54:55], v[74:75]
	s_waitcnt vmcnt(3)
	s_delay_alu instid0(VALU_DEP_1) | instskip(SKIP_1) | instid1(VALU_DEP_1)
	v_fma_f64 v[54:55], v[64:65], v[56:57], v[54:55]
	s_waitcnt lgkmcnt(0)
	v_fma_f64 v[54:55], v[66:67], v[58:59], v[54:55]
	s_waitcnt vmcnt(2)
	s_delay_alu instid0(VALU_DEP_1)
	v_fma_f64 v[62:63], v[68:69], v[60:61], v[54:55]
	ds_load_b128 v[54:57], v1 offset:352
	ds_load_b128 v[58:61], v1 offset:368
	s_waitcnt lgkmcnt(1)
	v_fma_f64 v[1:2], v[70:71], v[54:55], v[62:63]
	s_waitcnt vmcnt(1)
	s_delay_alu instid0(VALU_DEP_1) | instskip(SKIP_1) | instid1(VALU_DEP_1)
	v_fma_f64 v[1:2], v[80:81], v[56:57], v[1:2]
	s_waitcnt lgkmcnt(0)
	v_fma_f64 v[1:2], v[82:83], v[58:59], v[1:2]
	s_waitcnt vmcnt(0)
	s_delay_alu instid0(VALU_DEP_1) | instskip(NEXT) | instid1(VALU_DEP_1)
	v_fma_f64 v[1:2], v[72:73], v[60:61], v[1:2]
	v_add_f64 v[1:2], v[52:53], -v[1:2]
	scratch_store_b64 off, v[1:2], off offset:88
	v_cmpx_lt_u32_e32 10, v0
	s_cbranch_execz .LBB23_133
; %bb.132:
	scratch_load_b64 v[1:2], off, off offset:80
	v_mov_b32_e32 v52, 0
	s_delay_alu instid0(VALU_DEP_1)
	v_mov_b32_e32 v53, v52
	scratch_store_b64 off, v[52:53], off offset:80
	s_waitcnt vmcnt(0)
	ds_store_b64 v3, v[1:2]
.LBB23_133:
	s_or_b32 exec_lo, exec_lo, s0
	s_waitcnt lgkmcnt(0)
	s_waitcnt_vscnt null, 0x0
	s_barrier
	buffer_gl0_inv
	s_clause 0x4
	scratch_load_b128 v[52:55], off, off offset:80
	scratch_load_b128 v[56:59], off, off offset:96
	;; [unrolled: 1-line block ×5, first 2 shown]
	v_mov_b32_e32 v1, 0
	ds_load_2addr_b64 v[72:75], v1 offset0:35 offset1:36
	ds_load_2addr_b64 v[76:79], v1 offset0:37 offset1:38
	scratch_load_b128 v[80:83], off, off offset:160
	s_mov_b32 s0, exec_lo
	s_waitcnt vmcnt(5) lgkmcnt(1)
	v_fma_f64 v[54:55], v[54:55], v[72:73], 0
	s_waitcnt vmcnt(4)
	s_delay_alu instid0(VALU_DEP_1) | instskip(SKIP_1) | instid1(VALU_DEP_1)
	v_fma_f64 v[54:55], v[56:57], v[74:75], v[54:55]
	s_waitcnt lgkmcnt(0)
	v_fma_f64 v[58:59], v[58:59], v[76:77], v[54:55]
	scratch_load_b128 v[54:57], off, off offset:176
	s_waitcnt vmcnt(4)
	v_fma_f64 v[76:77], v[60:61], v[78:79], v[58:59]
	ds_load_2addr_b64 v[58:61], v1 offset0:39 offset1:40
	ds_load_2addr_b64 v[72:75], v1 offset0:41 offset1:42
	s_waitcnt lgkmcnt(1)
	v_fma_f64 v[58:59], v[62:63], v[58:59], v[76:77]
	s_waitcnt vmcnt(3)
	s_delay_alu instid0(VALU_DEP_1) | instskip(SKIP_1) | instid1(VALU_DEP_1)
	v_fma_f64 v[58:59], v[64:65], v[60:61], v[58:59]
	s_waitcnt lgkmcnt(0)
	v_fma_f64 v[58:59], v[66:67], v[72:73], v[58:59]
	s_waitcnt vmcnt(2)
	s_delay_alu instid0(VALU_DEP_1)
	v_fma_f64 v[66:67], v[68:69], v[74:75], v[58:59]
	ds_load_2addr_b64 v[58:61], v1 offset0:43 offset1:44
	ds_load_2addr_b64 v[62:65], v1 offset0:45 offset1:46
	s_waitcnt lgkmcnt(1)
	v_fma_f64 v[58:59], v[70:71], v[58:59], v[66:67]
	s_waitcnt vmcnt(1)
	s_delay_alu instid0(VALU_DEP_1) | instskip(SKIP_1) | instid1(VALU_DEP_1)
	v_fma_f64 v[58:59], v[80:81], v[60:61], v[58:59]
	s_waitcnt lgkmcnt(0)
	v_fma_f64 v[58:59], v[82:83], v[62:63], v[58:59]
	s_waitcnt vmcnt(0)
	s_delay_alu instid0(VALU_DEP_1) | instskip(SKIP_3) | instid1(VALU_DEP_1)
	v_fma_f64 v[54:55], v[54:55], v[64:65], v[58:59]
	ds_load_b64 v[58:59], v1 offset:376
	s_waitcnt lgkmcnt(0)
	v_fma_f64 v[54:55], v[56:57], v[58:59], v[54:55]
	v_add_f64 v[52:53], v[52:53], -v[54:55]
	scratch_store_b64 off, v[52:53], off offset:80
	v_cmpx_lt_u32_e32 9, v0
	s_cbranch_execz .LBB23_135
; %bb.134:
	scratch_load_b64 v[52:53], off, off offset:72
	v_mov_b32_e32 v2, v1
	scratch_store_b64 off, v[1:2], off offset:72
	s_waitcnt vmcnt(0)
	ds_store_b64 v3, v[52:53]
.LBB23_135:
	s_or_b32 exec_lo, exec_lo, s0
	s_waitcnt lgkmcnt(0)
	s_waitcnt_vscnt null, 0x0
	s_barrier
	buffer_gl0_inv
	s_clause 0x4
	scratch_load_b128 v[52:55], off, off offset:72
	scratch_load_b128 v[56:59], off, off offset:88
	scratch_load_b128 v[60:63], off, off offset:104
	scratch_load_b128 v[64:67], off, off offset:120
	scratch_load_b128 v[68:71], off, off offset:136
	ds_load_b128 v[72:75], v1 offset:272
	ds_load_b128 v[76:79], v1 offset:288
	scratch_load_b128 v[80:83], off, off offset:152
	s_mov_b32 s0, exec_lo
	s_waitcnt vmcnt(5) lgkmcnt(1)
	v_fma_f64 v[54:55], v[54:55], v[72:73], 0
	s_waitcnt vmcnt(4)
	s_delay_alu instid0(VALU_DEP_1) | instskip(SKIP_1) | instid1(VALU_DEP_1)
	v_fma_f64 v[54:55], v[56:57], v[74:75], v[54:55]
	s_waitcnt lgkmcnt(0)
	v_fma_f64 v[58:59], v[58:59], v[76:77], v[54:55]
	scratch_load_b128 v[54:57], off, off offset:168
	s_waitcnt vmcnt(4)
	v_fma_f64 v[76:77], v[60:61], v[78:79], v[58:59]
	ds_load_b128 v[58:61], v1 offset:304
	ds_load_b128 v[72:75], v1 offset:320
	s_waitcnt lgkmcnt(1)
	v_fma_f64 v[58:59], v[62:63], v[58:59], v[76:77]
	scratch_load_b64 v[76:77], off, off offset:184
	s_waitcnt vmcnt(4)
	v_fma_f64 v[58:59], v[64:65], v[60:61], v[58:59]
	s_waitcnt lgkmcnt(0)
	s_delay_alu instid0(VALU_DEP_1) | instskip(SKIP_1) | instid1(VALU_DEP_1)
	v_fma_f64 v[58:59], v[66:67], v[72:73], v[58:59]
	s_waitcnt vmcnt(3)
	v_fma_f64 v[66:67], v[68:69], v[74:75], v[58:59]
	ds_load_b128 v[58:61], v1 offset:336
	ds_load_b128 v[62:65], v1 offset:352
	s_waitcnt lgkmcnt(1)
	v_fma_f64 v[58:59], v[70:71], v[58:59], v[66:67]
	s_waitcnt vmcnt(2)
	s_delay_alu instid0(VALU_DEP_1) | instskip(SKIP_1) | instid1(VALU_DEP_1)
	v_fma_f64 v[58:59], v[80:81], v[60:61], v[58:59]
	s_waitcnt lgkmcnt(0)
	v_fma_f64 v[58:59], v[82:83], v[62:63], v[58:59]
	s_waitcnt vmcnt(1)
	s_delay_alu instid0(VALU_DEP_1) | instskip(SKIP_4) | instid1(VALU_DEP_1)
	v_fma_f64 v[54:55], v[54:55], v[64:65], v[58:59]
	ds_load_b128 v[58:61], v1 offset:368
	s_waitcnt lgkmcnt(0)
	v_fma_f64 v[1:2], v[56:57], v[58:59], v[54:55]
	s_waitcnt vmcnt(0)
	v_fma_f64 v[1:2], v[76:77], v[60:61], v[1:2]
	s_delay_alu instid0(VALU_DEP_1)
	v_add_f64 v[1:2], v[52:53], -v[1:2]
	scratch_store_b64 off, v[1:2], off offset:72
	v_cmpx_lt_u32_e32 8, v0
	s_cbranch_execz .LBB23_137
; %bb.136:
	scratch_load_b64 v[1:2], off, off offset:64
	v_mov_b32_e32 v52, 0
	s_delay_alu instid0(VALU_DEP_1)
	v_mov_b32_e32 v53, v52
	scratch_store_b64 off, v[52:53], off offset:64
	s_waitcnt vmcnt(0)
	ds_store_b64 v3, v[1:2]
.LBB23_137:
	s_or_b32 exec_lo, exec_lo, s0
	s_waitcnt lgkmcnt(0)
	s_waitcnt_vscnt null, 0x0
	s_barrier
	buffer_gl0_inv
	s_clause 0x4
	scratch_load_b128 v[52:55], off, off offset:64
	scratch_load_b128 v[56:59], off, off offset:80
	;; [unrolled: 1-line block ×5, first 2 shown]
	v_mov_b32_e32 v1, 0
	ds_load_2addr_b64 v[72:75], v1 offset0:33 offset1:34
	ds_load_2addr_b64 v[76:79], v1 offset0:35 offset1:36
	scratch_load_b128 v[80:83], off, off offset:144
	s_mov_b32 s0, exec_lo
	s_waitcnt vmcnt(5) lgkmcnt(1)
	v_fma_f64 v[54:55], v[54:55], v[72:73], 0
	s_waitcnt vmcnt(4)
	s_delay_alu instid0(VALU_DEP_1) | instskip(SKIP_1) | instid1(VALU_DEP_1)
	v_fma_f64 v[54:55], v[56:57], v[74:75], v[54:55]
	s_waitcnt lgkmcnt(0)
	v_fma_f64 v[58:59], v[58:59], v[76:77], v[54:55]
	scratch_load_b128 v[54:57], off, off offset:160
	s_waitcnt vmcnt(4)
	v_fma_f64 v[76:77], v[60:61], v[78:79], v[58:59]
	ds_load_2addr_b64 v[58:61], v1 offset0:37 offset1:38
	ds_load_2addr_b64 v[72:75], v1 offset0:39 offset1:40
	s_waitcnt lgkmcnt(1)
	v_fma_f64 v[58:59], v[62:63], v[58:59], v[76:77]
	scratch_load_b128 v[76:79], off, off offset:176
	s_waitcnt vmcnt(4)
	v_fma_f64 v[58:59], v[64:65], v[60:61], v[58:59]
	s_waitcnt lgkmcnt(0)
	s_delay_alu instid0(VALU_DEP_1) | instskip(SKIP_1) | instid1(VALU_DEP_1)
	v_fma_f64 v[58:59], v[66:67], v[72:73], v[58:59]
	s_waitcnt vmcnt(3)
	v_fma_f64 v[66:67], v[68:69], v[74:75], v[58:59]
	ds_load_2addr_b64 v[58:61], v1 offset0:41 offset1:42
	ds_load_2addr_b64 v[62:65], v1 offset0:43 offset1:44
	s_waitcnt lgkmcnt(1)
	v_fma_f64 v[58:59], v[70:71], v[58:59], v[66:67]
	s_waitcnt vmcnt(2)
	s_delay_alu instid0(VALU_DEP_1) | instskip(SKIP_1) | instid1(VALU_DEP_1)
	v_fma_f64 v[58:59], v[80:81], v[60:61], v[58:59]
	s_waitcnt lgkmcnt(0)
	v_fma_f64 v[58:59], v[82:83], v[62:63], v[58:59]
	s_waitcnt vmcnt(1)
	s_delay_alu instid0(VALU_DEP_1)
	v_fma_f64 v[54:55], v[54:55], v[64:65], v[58:59]
	ds_load_2addr_b64 v[58:61], v1 offset0:45 offset1:46
	ds_load_b64 v[62:63], v1 offset:376
	s_waitcnt lgkmcnt(1)
	v_fma_f64 v[54:55], v[56:57], v[58:59], v[54:55]
	s_waitcnt vmcnt(0)
	s_delay_alu instid0(VALU_DEP_1) | instskip(SKIP_1) | instid1(VALU_DEP_1)
	v_fma_f64 v[54:55], v[76:77], v[60:61], v[54:55]
	s_waitcnt lgkmcnt(0)
	v_fma_f64 v[54:55], v[78:79], v[62:63], v[54:55]
	s_delay_alu instid0(VALU_DEP_1)
	v_add_f64 v[52:53], v[52:53], -v[54:55]
	scratch_store_b64 off, v[52:53], off offset:64
	v_cmpx_lt_u32_e32 7, v0
	s_cbranch_execz .LBB23_139
; %bb.138:
	scratch_load_b64 v[52:53], off, off offset:56
	v_mov_b32_e32 v2, v1
	scratch_store_b64 off, v[1:2], off offset:56
	s_waitcnt vmcnt(0)
	ds_store_b64 v3, v[52:53]
.LBB23_139:
	s_or_b32 exec_lo, exec_lo, s0
	s_waitcnt lgkmcnt(0)
	s_waitcnt_vscnt null, 0x0
	s_barrier
	buffer_gl0_inv
	s_clause 0x4
	scratch_load_b128 v[52:55], off, off offset:56
	scratch_load_b128 v[56:59], off, off offset:72
	;; [unrolled: 1-line block ×5, first 2 shown]
	ds_load_b128 v[72:75], v1 offset:256
	ds_load_b128 v[76:79], v1 offset:272
	scratch_load_b128 v[80:83], off, off offset:136
	s_mov_b32 s0, exec_lo
	s_waitcnt vmcnt(5) lgkmcnt(1)
	v_fma_f64 v[54:55], v[54:55], v[72:73], 0
	s_waitcnt vmcnt(4)
	s_delay_alu instid0(VALU_DEP_1) | instskip(SKIP_1) | instid1(VALU_DEP_1)
	v_fma_f64 v[54:55], v[56:57], v[74:75], v[54:55]
	s_waitcnt lgkmcnt(0)
	v_fma_f64 v[58:59], v[58:59], v[76:77], v[54:55]
	scratch_load_b128 v[54:57], off, off offset:152
	s_waitcnt vmcnt(4)
	v_fma_f64 v[76:77], v[60:61], v[78:79], v[58:59]
	ds_load_b128 v[58:61], v1 offset:288
	ds_load_b128 v[72:75], v1 offset:304
	s_waitcnt lgkmcnt(1)
	v_fma_f64 v[58:59], v[62:63], v[58:59], v[76:77]
	scratch_load_b128 v[76:79], off, off offset:168
	s_waitcnt vmcnt(4)
	v_fma_f64 v[58:59], v[64:65], v[60:61], v[58:59]
	s_waitcnt lgkmcnt(0)
	s_delay_alu instid0(VALU_DEP_1)
	v_fma_f64 v[58:59], v[66:67], v[72:73], v[58:59]
	scratch_load_b64 v[66:67], off, off offset:184
	s_waitcnt vmcnt(4)
	v_fma_f64 v[68:69], v[68:69], v[74:75], v[58:59]
	ds_load_b128 v[58:61], v1 offset:320
	ds_load_b128 v[62:65], v1 offset:336
	s_waitcnt lgkmcnt(1)
	v_fma_f64 v[58:59], v[70:71], v[58:59], v[68:69]
	s_waitcnt vmcnt(3)
	s_delay_alu instid0(VALU_DEP_1) | instskip(SKIP_1) | instid1(VALU_DEP_1)
	v_fma_f64 v[58:59], v[80:81], v[60:61], v[58:59]
	s_waitcnt lgkmcnt(0)
	v_fma_f64 v[58:59], v[82:83], v[62:63], v[58:59]
	s_waitcnt vmcnt(2)
	s_delay_alu instid0(VALU_DEP_1)
	v_fma_f64 v[54:55], v[54:55], v[64:65], v[58:59]
	ds_load_b128 v[58:61], v1 offset:352
	ds_load_b128 v[62:65], v1 offset:368
	s_waitcnt lgkmcnt(1)
	v_fma_f64 v[1:2], v[56:57], v[58:59], v[54:55]
	s_waitcnt vmcnt(1)
	s_delay_alu instid0(VALU_DEP_1) | instskip(SKIP_1) | instid1(VALU_DEP_1)
	v_fma_f64 v[1:2], v[76:77], v[60:61], v[1:2]
	s_waitcnt lgkmcnt(0)
	v_fma_f64 v[1:2], v[78:79], v[62:63], v[1:2]
	s_waitcnt vmcnt(0)
	s_delay_alu instid0(VALU_DEP_1) | instskip(NEXT) | instid1(VALU_DEP_1)
	v_fma_f64 v[1:2], v[66:67], v[64:65], v[1:2]
	v_add_f64 v[1:2], v[52:53], -v[1:2]
	scratch_store_b64 off, v[1:2], off offset:56
	v_cmpx_lt_u32_e32 6, v0
	s_cbranch_execz .LBB23_141
; %bb.140:
	scratch_load_b64 v[1:2], off, off offset:48
	v_mov_b32_e32 v52, 0
	s_delay_alu instid0(VALU_DEP_1)
	v_mov_b32_e32 v53, v52
	scratch_store_b64 off, v[52:53], off offset:48
	s_waitcnt vmcnt(0)
	ds_store_b64 v3, v[1:2]
.LBB23_141:
	s_or_b32 exec_lo, exec_lo, s0
	s_waitcnt lgkmcnt(0)
	s_waitcnt_vscnt null, 0x0
	s_barrier
	buffer_gl0_inv
	s_clause 0x4
	scratch_load_b128 v[52:55], off, off offset:48
	scratch_load_b128 v[56:59], off, off offset:64
	;; [unrolled: 1-line block ×5, first 2 shown]
	v_mov_b32_e32 v1, 0
	ds_load_2addr_b64 v[72:75], v1 offset0:31 offset1:32
	ds_load_2addr_b64 v[76:79], v1 offset0:33 offset1:34
	scratch_load_b128 v[80:83], off, off offset:128
	s_mov_b32 s0, exec_lo
	s_waitcnt vmcnt(5) lgkmcnt(1)
	v_fma_f64 v[54:55], v[54:55], v[72:73], 0
	s_waitcnt vmcnt(4)
	s_delay_alu instid0(VALU_DEP_1) | instskip(SKIP_1) | instid1(VALU_DEP_1)
	v_fma_f64 v[54:55], v[56:57], v[74:75], v[54:55]
	s_waitcnt lgkmcnt(0)
	v_fma_f64 v[58:59], v[58:59], v[76:77], v[54:55]
	scratch_load_b128 v[54:57], off, off offset:144
	s_waitcnt vmcnt(4)
	v_fma_f64 v[76:77], v[60:61], v[78:79], v[58:59]
	ds_load_2addr_b64 v[58:61], v1 offset0:35 offset1:36
	ds_load_2addr_b64 v[72:75], v1 offset0:37 offset1:38
	s_waitcnt lgkmcnt(1)
	v_fma_f64 v[58:59], v[62:63], v[58:59], v[76:77]
	scratch_load_b128 v[76:79], off, off offset:160
	s_waitcnt vmcnt(4)
	v_fma_f64 v[58:59], v[64:65], v[60:61], v[58:59]
	s_waitcnt lgkmcnt(0)
	s_delay_alu instid0(VALU_DEP_1)
	v_fma_f64 v[62:63], v[66:67], v[72:73], v[58:59]
	scratch_load_b128 v[58:61], off, off offset:176
	s_waitcnt vmcnt(4)
	v_fma_f64 v[72:73], v[68:69], v[74:75], v[62:63]
	ds_load_2addr_b64 v[62:65], v1 offset0:39 offset1:40
	ds_load_2addr_b64 v[66:69], v1 offset0:41 offset1:42
	s_waitcnt lgkmcnt(1)
	v_fma_f64 v[62:63], v[70:71], v[62:63], v[72:73]
	s_waitcnt vmcnt(3)
	s_delay_alu instid0(VALU_DEP_1) | instskip(SKIP_1) | instid1(VALU_DEP_1)
	v_fma_f64 v[62:63], v[80:81], v[64:65], v[62:63]
	s_waitcnt lgkmcnt(0)
	v_fma_f64 v[62:63], v[82:83], v[66:67], v[62:63]
	s_waitcnt vmcnt(2)
	s_delay_alu instid0(VALU_DEP_1)
	v_fma_f64 v[54:55], v[54:55], v[68:69], v[62:63]
	ds_load_2addr_b64 v[62:65], v1 offset0:43 offset1:44
	ds_load_2addr_b64 v[66:69], v1 offset0:45 offset1:46
	s_waitcnt lgkmcnt(1)
	v_fma_f64 v[54:55], v[56:57], v[62:63], v[54:55]
	ds_load_b64 v[56:57], v1 offset:376
	s_waitcnt vmcnt(1)
	v_fma_f64 v[54:55], v[76:77], v[64:65], v[54:55]
	s_waitcnt lgkmcnt(1)
	s_delay_alu instid0(VALU_DEP_1) | instskip(SKIP_1) | instid1(VALU_DEP_1)
	v_fma_f64 v[54:55], v[78:79], v[66:67], v[54:55]
	s_waitcnt vmcnt(0)
	v_fma_f64 v[54:55], v[58:59], v[68:69], v[54:55]
	s_waitcnt lgkmcnt(0)
	s_delay_alu instid0(VALU_DEP_1) | instskip(NEXT) | instid1(VALU_DEP_1)
	v_fma_f64 v[54:55], v[60:61], v[56:57], v[54:55]
	v_add_f64 v[52:53], v[52:53], -v[54:55]
	scratch_store_b64 off, v[52:53], off offset:48
	v_cmpx_lt_u32_e32 5, v0
	s_cbranch_execz .LBB23_143
; %bb.142:
	scratch_load_b64 v[52:53], off, off offset:40
	v_mov_b32_e32 v2, v1
	scratch_store_b64 off, v[1:2], off offset:40
	s_waitcnt vmcnt(0)
	ds_store_b64 v3, v[52:53]
.LBB23_143:
	s_or_b32 exec_lo, exec_lo, s0
	s_waitcnt lgkmcnt(0)
	s_waitcnt_vscnt null, 0x0
	s_barrier
	buffer_gl0_inv
	s_clause 0x4
	scratch_load_b128 v[52:55], off, off offset:40
	scratch_load_b128 v[56:59], off, off offset:56
	;; [unrolled: 1-line block ×5, first 2 shown]
	ds_load_b128 v[72:75], v1 offset:240
	ds_load_b128 v[76:79], v1 offset:256
	scratch_load_b128 v[80:83], off, off offset:120
	s_mov_b32 s0, exec_lo
	s_waitcnt vmcnt(5) lgkmcnt(1)
	v_fma_f64 v[54:55], v[54:55], v[72:73], 0
	s_waitcnt vmcnt(4)
	s_delay_alu instid0(VALU_DEP_1) | instskip(SKIP_1) | instid1(VALU_DEP_1)
	v_fma_f64 v[54:55], v[56:57], v[74:75], v[54:55]
	s_waitcnt lgkmcnt(0)
	v_fma_f64 v[58:59], v[58:59], v[76:77], v[54:55]
	scratch_load_b128 v[54:57], off, off offset:136
	s_waitcnt vmcnt(4)
	v_fma_f64 v[76:77], v[60:61], v[78:79], v[58:59]
	ds_load_b128 v[58:61], v1 offset:272
	ds_load_b128 v[72:75], v1 offset:288
	s_waitcnt lgkmcnt(1)
	v_fma_f64 v[58:59], v[62:63], v[58:59], v[76:77]
	scratch_load_b128 v[76:79], off, off offset:152
	s_waitcnt vmcnt(4)
	v_fma_f64 v[58:59], v[64:65], v[60:61], v[58:59]
	s_waitcnt lgkmcnt(0)
	s_delay_alu instid0(VALU_DEP_1)
	v_fma_f64 v[62:63], v[66:67], v[72:73], v[58:59]
	scratch_load_b128 v[58:61], off, off offset:168
	s_waitcnt vmcnt(4)
	v_fma_f64 v[72:73], v[68:69], v[74:75], v[62:63]
	ds_load_b128 v[62:65], v1 offset:304
	ds_load_b128 v[66:69], v1 offset:320
	s_waitcnt lgkmcnt(1)
	v_fma_f64 v[62:63], v[70:71], v[62:63], v[72:73]
	scratch_load_b64 v[70:71], off, off offset:184
	s_waitcnt vmcnt(4)
	v_fma_f64 v[62:63], v[80:81], v[64:65], v[62:63]
	s_waitcnt lgkmcnt(0)
	s_delay_alu instid0(VALU_DEP_1) | instskip(SKIP_1) | instid1(VALU_DEP_1)
	v_fma_f64 v[62:63], v[82:83], v[66:67], v[62:63]
	s_waitcnt vmcnt(3)
	v_fma_f64 v[54:55], v[54:55], v[68:69], v[62:63]
	ds_load_b128 v[62:65], v1 offset:336
	ds_load_b128 v[66:69], v1 offset:352
	s_waitcnt lgkmcnt(1)
	v_fma_f64 v[54:55], v[56:57], v[62:63], v[54:55]
	s_waitcnt vmcnt(2)
	s_delay_alu instid0(VALU_DEP_1) | instskip(SKIP_1) | instid1(VALU_DEP_1)
	v_fma_f64 v[54:55], v[76:77], v[64:65], v[54:55]
	s_waitcnt lgkmcnt(0)
	v_fma_f64 v[54:55], v[78:79], v[66:67], v[54:55]
	s_waitcnt vmcnt(1)
	s_delay_alu instid0(VALU_DEP_1) | instskip(SKIP_4) | instid1(VALU_DEP_1)
	v_fma_f64 v[58:59], v[58:59], v[68:69], v[54:55]
	ds_load_b128 v[54:57], v1 offset:368
	s_waitcnt lgkmcnt(0)
	v_fma_f64 v[1:2], v[60:61], v[54:55], v[58:59]
	s_waitcnt vmcnt(0)
	v_fma_f64 v[1:2], v[70:71], v[56:57], v[1:2]
	s_delay_alu instid0(VALU_DEP_1)
	v_add_f64 v[1:2], v[52:53], -v[1:2]
	scratch_store_b64 off, v[1:2], off offset:40
	v_cmpx_lt_u32_e32 4, v0
	s_cbranch_execz .LBB23_145
; %bb.144:
	scratch_load_b64 v[1:2], off, off offset:32
	v_mov_b32_e32 v52, 0
	s_delay_alu instid0(VALU_DEP_1)
	v_mov_b32_e32 v53, v52
	scratch_store_b64 off, v[52:53], off offset:32
	s_waitcnt vmcnt(0)
	ds_store_b64 v3, v[1:2]
.LBB23_145:
	s_or_b32 exec_lo, exec_lo, s0
	s_waitcnt lgkmcnt(0)
	s_waitcnt_vscnt null, 0x0
	s_barrier
	buffer_gl0_inv
	s_clause 0x4
	scratch_load_b128 v[52:55], off, off offset:32
	scratch_load_b128 v[56:59], off, off offset:48
	;; [unrolled: 1-line block ×5, first 2 shown]
	v_mov_b32_e32 v1, 0
	ds_load_2addr_b64 v[72:75], v1 offset0:29 offset1:30
	ds_load_2addr_b64 v[76:79], v1 offset0:31 offset1:32
	scratch_load_b128 v[80:83], off, off offset:112
	s_mov_b32 s0, exec_lo
	s_waitcnt vmcnt(5) lgkmcnt(1)
	v_fma_f64 v[54:55], v[54:55], v[72:73], 0
	s_waitcnt vmcnt(4)
	s_delay_alu instid0(VALU_DEP_1) | instskip(SKIP_1) | instid1(VALU_DEP_1)
	v_fma_f64 v[54:55], v[56:57], v[74:75], v[54:55]
	s_waitcnt lgkmcnt(0)
	v_fma_f64 v[58:59], v[58:59], v[76:77], v[54:55]
	scratch_load_b128 v[54:57], off, off offset:128
	s_waitcnt vmcnt(4)
	v_fma_f64 v[76:77], v[60:61], v[78:79], v[58:59]
	ds_load_2addr_b64 v[58:61], v1 offset0:33 offset1:34
	ds_load_2addr_b64 v[72:75], v1 offset0:35 offset1:36
	s_waitcnt lgkmcnt(1)
	v_fma_f64 v[58:59], v[62:63], v[58:59], v[76:77]
	scratch_load_b128 v[76:79], off, off offset:144
	s_waitcnt vmcnt(4)
	v_fma_f64 v[58:59], v[64:65], v[60:61], v[58:59]
	s_waitcnt lgkmcnt(0)
	s_delay_alu instid0(VALU_DEP_1)
	v_fma_f64 v[62:63], v[66:67], v[72:73], v[58:59]
	scratch_load_b128 v[58:61], off, off offset:160
	s_waitcnt vmcnt(4)
	v_fma_f64 v[72:73], v[68:69], v[74:75], v[62:63]
	ds_load_2addr_b64 v[62:65], v1 offset0:37 offset1:38
	ds_load_2addr_b64 v[66:69], v1 offset0:39 offset1:40
	s_waitcnt lgkmcnt(1)
	v_fma_f64 v[62:63], v[70:71], v[62:63], v[72:73]
	scratch_load_b128 v[70:73], off, off offset:176
	s_waitcnt vmcnt(4)
	v_fma_f64 v[62:63], v[80:81], v[64:65], v[62:63]
	s_waitcnt lgkmcnt(0)
	s_delay_alu instid0(VALU_DEP_1) | instskip(SKIP_1) | instid1(VALU_DEP_1)
	v_fma_f64 v[62:63], v[82:83], v[66:67], v[62:63]
	s_waitcnt vmcnt(3)
	v_fma_f64 v[54:55], v[54:55], v[68:69], v[62:63]
	ds_load_2addr_b64 v[62:65], v1 offset0:41 offset1:42
	ds_load_2addr_b64 v[66:69], v1 offset0:43 offset1:44
	s_waitcnt lgkmcnt(1)
	v_fma_f64 v[54:55], v[56:57], v[62:63], v[54:55]
	s_waitcnt vmcnt(2)
	s_delay_alu instid0(VALU_DEP_1) | instskip(SKIP_1) | instid1(VALU_DEP_1)
	v_fma_f64 v[54:55], v[76:77], v[64:65], v[54:55]
	s_waitcnt lgkmcnt(0)
	v_fma_f64 v[54:55], v[78:79], v[66:67], v[54:55]
	s_waitcnt vmcnt(1)
	s_delay_alu instid0(VALU_DEP_1)
	v_fma_f64 v[58:59], v[58:59], v[68:69], v[54:55]
	ds_load_2addr_b64 v[54:57], v1 offset0:45 offset1:46
	ds_load_b64 v[62:63], v1 offset:376
	s_waitcnt lgkmcnt(1)
	v_fma_f64 v[54:55], v[60:61], v[54:55], v[58:59]
	s_waitcnt vmcnt(0)
	s_delay_alu instid0(VALU_DEP_1) | instskip(SKIP_1) | instid1(VALU_DEP_1)
	v_fma_f64 v[54:55], v[70:71], v[56:57], v[54:55]
	s_waitcnt lgkmcnt(0)
	v_fma_f64 v[54:55], v[72:73], v[62:63], v[54:55]
	s_delay_alu instid0(VALU_DEP_1)
	v_add_f64 v[52:53], v[52:53], -v[54:55]
	scratch_store_b64 off, v[52:53], off offset:32
	v_cmpx_lt_u32_e32 3, v0
	s_cbranch_execz .LBB23_147
; %bb.146:
	scratch_load_b64 v[52:53], off, off offset:24
	v_mov_b32_e32 v2, v1
	scratch_store_b64 off, v[1:2], off offset:24
	s_waitcnt vmcnt(0)
	ds_store_b64 v3, v[52:53]
.LBB23_147:
	s_or_b32 exec_lo, exec_lo, s0
	s_waitcnt lgkmcnt(0)
	s_waitcnt_vscnt null, 0x0
	s_barrier
	buffer_gl0_inv
	s_clause 0x4
	scratch_load_b128 v[52:55], off, off offset:24
	scratch_load_b128 v[56:59], off, off offset:40
	;; [unrolled: 1-line block ×5, first 2 shown]
	ds_load_b128 v[72:75], v1 offset:224
	ds_load_b128 v[76:79], v1 offset:240
	scratch_load_b128 v[80:83], off, off offset:104
	s_mov_b32 s0, exec_lo
	s_waitcnt vmcnt(5) lgkmcnt(1)
	v_fma_f64 v[54:55], v[54:55], v[72:73], 0
	s_waitcnt vmcnt(4)
	s_delay_alu instid0(VALU_DEP_1) | instskip(SKIP_1) | instid1(VALU_DEP_1)
	v_fma_f64 v[54:55], v[56:57], v[74:75], v[54:55]
	s_waitcnt lgkmcnt(0)
	v_fma_f64 v[58:59], v[58:59], v[76:77], v[54:55]
	scratch_load_b128 v[54:57], off, off offset:120
	s_waitcnt vmcnt(4)
	v_fma_f64 v[76:77], v[60:61], v[78:79], v[58:59]
	ds_load_b128 v[58:61], v1 offset:256
	ds_load_b128 v[72:75], v1 offset:272
	s_waitcnt lgkmcnt(1)
	v_fma_f64 v[58:59], v[62:63], v[58:59], v[76:77]
	scratch_load_b128 v[76:79], off, off offset:136
	s_waitcnt vmcnt(4)
	v_fma_f64 v[58:59], v[64:65], v[60:61], v[58:59]
	s_waitcnt lgkmcnt(0)
	s_delay_alu instid0(VALU_DEP_1)
	v_fma_f64 v[62:63], v[66:67], v[72:73], v[58:59]
	scratch_load_b128 v[58:61], off, off offset:152
	s_waitcnt vmcnt(4)
	v_fma_f64 v[72:73], v[68:69], v[74:75], v[62:63]
	ds_load_b128 v[62:65], v1 offset:288
	ds_load_b128 v[66:69], v1 offset:304
	scratch_load_b64 v[74:75], off, off offset:184
	s_waitcnt lgkmcnt(1)
	v_fma_f64 v[62:63], v[70:71], v[62:63], v[72:73]
	scratch_load_b128 v[70:73], off, off offset:168
	s_waitcnt vmcnt(5)
	v_fma_f64 v[62:63], v[80:81], v[64:65], v[62:63]
	s_waitcnt lgkmcnt(0)
	s_delay_alu instid0(VALU_DEP_1) | instskip(SKIP_1) | instid1(VALU_DEP_1)
	v_fma_f64 v[62:63], v[82:83], v[66:67], v[62:63]
	s_waitcnt vmcnt(4)
	v_fma_f64 v[54:55], v[54:55], v[68:69], v[62:63]
	ds_load_b128 v[62:65], v1 offset:320
	ds_load_b128 v[66:69], v1 offset:336
	s_waitcnt lgkmcnt(1)
	v_fma_f64 v[54:55], v[56:57], v[62:63], v[54:55]
	s_waitcnt vmcnt(3)
	s_delay_alu instid0(VALU_DEP_1) | instskip(SKIP_1) | instid1(VALU_DEP_1)
	v_fma_f64 v[54:55], v[76:77], v[64:65], v[54:55]
	s_waitcnt lgkmcnt(0)
	v_fma_f64 v[54:55], v[78:79], v[66:67], v[54:55]
	s_waitcnt vmcnt(2)
	s_delay_alu instid0(VALU_DEP_1)
	v_fma_f64 v[58:59], v[58:59], v[68:69], v[54:55]
	ds_load_b128 v[54:57], v1 offset:352
	ds_load_b128 v[62:65], v1 offset:368
	s_waitcnt lgkmcnt(1)
	v_fma_f64 v[1:2], v[60:61], v[54:55], v[58:59]
	s_waitcnt vmcnt(0)
	s_delay_alu instid0(VALU_DEP_1) | instskip(SKIP_1) | instid1(VALU_DEP_1)
	v_fma_f64 v[1:2], v[70:71], v[56:57], v[1:2]
	s_waitcnt lgkmcnt(0)
	v_fma_f64 v[1:2], v[72:73], v[62:63], v[1:2]
	s_delay_alu instid0(VALU_DEP_1) | instskip(NEXT) | instid1(VALU_DEP_1)
	v_fma_f64 v[1:2], v[74:75], v[64:65], v[1:2]
	v_add_f64 v[1:2], v[52:53], -v[1:2]
	scratch_store_b64 off, v[1:2], off offset:24
	v_cmpx_lt_u32_e32 2, v0
	s_cbranch_execz .LBB23_149
; %bb.148:
	scratch_load_b64 v[1:2], off, off offset:16
	v_mov_b32_e32 v52, 0
	s_delay_alu instid0(VALU_DEP_1)
	v_mov_b32_e32 v53, v52
	scratch_store_b64 off, v[52:53], off offset:16
	s_waitcnt vmcnt(0)
	ds_store_b64 v3, v[1:2]
.LBB23_149:
	s_or_b32 exec_lo, exec_lo, s0
	s_waitcnt lgkmcnt(0)
	s_waitcnt_vscnt null, 0x0
	s_barrier
	buffer_gl0_inv
	s_clause 0x4
	scratch_load_b128 v[52:55], off, off offset:16
	scratch_load_b128 v[56:59], off, off offset:32
	;; [unrolled: 1-line block ×5, first 2 shown]
	v_mov_b32_e32 v1, 0
	ds_load_2addr_b64 v[72:75], v1 offset0:27 offset1:28
	ds_load_2addr_b64 v[76:79], v1 offset0:29 offset1:30
	scratch_load_b128 v[80:83], off, off offset:96
	s_mov_b32 s0, exec_lo
	s_waitcnt vmcnt(5) lgkmcnt(1)
	v_fma_f64 v[54:55], v[54:55], v[72:73], 0
	s_waitcnt vmcnt(4)
	s_delay_alu instid0(VALU_DEP_1) | instskip(SKIP_1) | instid1(VALU_DEP_1)
	v_fma_f64 v[54:55], v[56:57], v[74:75], v[54:55]
	s_waitcnt lgkmcnt(0)
	v_fma_f64 v[58:59], v[58:59], v[76:77], v[54:55]
	scratch_load_b128 v[54:57], off, off offset:112
	s_waitcnt vmcnt(4)
	v_fma_f64 v[76:77], v[60:61], v[78:79], v[58:59]
	ds_load_2addr_b64 v[58:61], v1 offset0:31 offset1:32
	ds_load_2addr_b64 v[72:75], v1 offset0:33 offset1:34
	s_waitcnt lgkmcnt(1)
	v_fma_f64 v[58:59], v[62:63], v[58:59], v[76:77]
	scratch_load_b128 v[76:79], off, off offset:128
	s_waitcnt vmcnt(4)
	v_fma_f64 v[58:59], v[64:65], v[60:61], v[58:59]
	s_waitcnt lgkmcnt(0)
	s_delay_alu instid0(VALU_DEP_1)
	v_fma_f64 v[62:63], v[66:67], v[72:73], v[58:59]
	scratch_load_b128 v[58:61], off, off offset:144
	s_waitcnt vmcnt(4)
	v_fma_f64 v[72:73], v[68:69], v[74:75], v[62:63]
	ds_load_2addr_b64 v[62:65], v1 offset0:35 offset1:36
	ds_load_2addr_b64 v[66:69], v1 offset0:37 offset1:38
	s_waitcnt lgkmcnt(1)
	v_fma_f64 v[62:63], v[70:71], v[62:63], v[72:73]
	scratch_load_b128 v[70:73], off, off offset:160
	s_waitcnt vmcnt(4)
	v_fma_f64 v[62:63], v[80:81], v[64:65], v[62:63]
	s_waitcnt lgkmcnt(0)
	s_delay_alu instid0(VALU_DEP_1)
	v_fma_f64 v[66:67], v[82:83], v[66:67], v[62:63]
	scratch_load_b128 v[62:65], off, off offset:176
	s_waitcnt vmcnt(4)
	v_fma_f64 v[54:55], v[54:55], v[68:69], v[66:67]
	ds_load_2addr_b64 v[66:69], v1 offset0:39 offset1:40
	ds_load_2addr_b64 v[80:83], v1 offset0:41 offset1:42
	s_waitcnt lgkmcnt(1)
	v_fma_f64 v[54:55], v[56:57], v[66:67], v[54:55]
	s_waitcnt vmcnt(3)
	s_delay_alu instid0(VALU_DEP_1) | instskip(SKIP_1) | instid1(VALU_DEP_1)
	v_fma_f64 v[54:55], v[76:77], v[68:69], v[54:55]
	s_waitcnt lgkmcnt(0)
	v_fma_f64 v[54:55], v[78:79], v[80:81], v[54:55]
	s_waitcnt vmcnt(2)
	s_delay_alu instid0(VALU_DEP_1)
	v_fma_f64 v[58:59], v[58:59], v[82:83], v[54:55]
	ds_load_2addr_b64 v[54:57], v1 offset0:43 offset1:44
	ds_load_2addr_b64 v[66:69], v1 offset0:45 offset1:46
	s_waitcnt lgkmcnt(1)
	v_fma_f64 v[54:55], v[60:61], v[54:55], v[58:59]
	s_waitcnt vmcnt(1)
	s_delay_alu instid0(VALU_DEP_1) | instskip(SKIP_4) | instid1(VALU_DEP_1)
	v_fma_f64 v[54:55], v[70:71], v[56:57], v[54:55]
	ds_load_b64 v[56:57], v1 offset:376
	s_waitcnt lgkmcnt(1)
	v_fma_f64 v[54:55], v[72:73], v[66:67], v[54:55]
	s_waitcnt vmcnt(0)
	v_fma_f64 v[54:55], v[62:63], v[68:69], v[54:55]
	s_waitcnt lgkmcnt(0)
	s_delay_alu instid0(VALU_DEP_1) | instskip(NEXT) | instid1(VALU_DEP_1)
	v_fma_f64 v[54:55], v[64:65], v[56:57], v[54:55]
	v_add_f64 v[52:53], v[52:53], -v[54:55]
	scratch_store_b64 off, v[52:53], off offset:16
	v_cmpx_lt_u32_e32 1, v0
	s_cbranch_execz .LBB23_151
; %bb.150:
	scratch_load_b64 v[52:53], off, off offset:8
	v_mov_b32_e32 v2, v1
	scratch_store_b64 off, v[1:2], off offset:8
	s_waitcnt vmcnt(0)
	ds_store_b64 v3, v[52:53]
.LBB23_151:
	s_or_b32 exec_lo, exec_lo, s0
	s_waitcnt lgkmcnt(0)
	s_waitcnt_vscnt null, 0x0
	s_barrier
	buffer_gl0_inv
	s_clause 0x4
	scratch_load_b128 v[52:55], off, off offset:8
	scratch_load_b128 v[56:59], off, off offset:24
	;; [unrolled: 1-line block ×5, first 2 shown]
	ds_load_b128 v[72:75], v1 offset:208
	ds_load_b128 v[76:79], v1 offset:224
	scratch_load_b128 v[80:83], off, off offset:88
	s_mov_b32 s0, exec_lo
	s_waitcnt vmcnt(5) lgkmcnt(1)
	v_fma_f64 v[54:55], v[54:55], v[72:73], 0
	s_waitcnt vmcnt(4)
	s_delay_alu instid0(VALU_DEP_1) | instskip(SKIP_1) | instid1(VALU_DEP_1)
	v_fma_f64 v[54:55], v[56:57], v[74:75], v[54:55]
	s_waitcnt lgkmcnt(0)
	v_fma_f64 v[58:59], v[58:59], v[76:77], v[54:55]
	scratch_load_b128 v[54:57], off, off offset:104
	s_waitcnt vmcnt(4)
	v_fma_f64 v[76:77], v[60:61], v[78:79], v[58:59]
	ds_load_b128 v[58:61], v1 offset:240
	ds_load_b128 v[72:75], v1 offset:256
	s_waitcnt lgkmcnt(1)
	v_fma_f64 v[58:59], v[62:63], v[58:59], v[76:77]
	scratch_load_b128 v[76:79], off, off offset:120
	s_waitcnt vmcnt(4)
	v_fma_f64 v[58:59], v[64:65], v[60:61], v[58:59]
	s_waitcnt lgkmcnt(0)
	s_delay_alu instid0(VALU_DEP_1)
	v_fma_f64 v[62:63], v[66:67], v[72:73], v[58:59]
	scratch_load_b128 v[58:61], off, off offset:136
	s_waitcnt vmcnt(4)
	v_fma_f64 v[72:73], v[68:69], v[74:75], v[62:63]
	ds_load_b128 v[62:65], v1 offset:272
	ds_load_b128 v[66:69], v1 offset:288
	s_waitcnt lgkmcnt(1)
	v_fma_f64 v[62:63], v[70:71], v[62:63], v[72:73]
	scratch_load_b128 v[70:73], off, off offset:152
	s_waitcnt vmcnt(4)
	v_fma_f64 v[62:63], v[80:81], v[64:65], v[62:63]
	s_waitcnt lgkmcnt(0)
	s_delay_alu instid0(VALU_DEP_1)
	v_fma_f64 v[66:67], v[82:83], v[66:67], v[62:63]
	scratch_load_b128 v[62:65], off, off offset:168
	s_waitcnt vmcnt(4)
	v_fma_f64 v[54:55], v[54:55], v[68:69], v[66:67]
	ds_load_b128 v[66:69], v1 offset:304
	ds_load_b128 v[80:83], v1 offset:320
	scratch_load_b64 v[74:75], off, off offset:184
	s_waitcnt lgkmcnt(1)
	v_fma_f64 v[54:55], v[56:57], v[66:67], v[54:55]
	s_waitcnt vmcnt(4)
	s_delay_alu instid0(VALU_DEP_1) | instskip(SKIP_1) | instid1(VALU_DEP_1)
	v_fma_f64 v[54:55], v[76:77], v[68:69], v[54:55]
	s_waitcnt lgkmcnt(0)
	v_fma_f64 v[54:55], v[78:79], v[80:81], v[54:55]
	s_waitcnt vmcnt(3)
	s_delay_alu instid0(VALU_DEP_1)
	v_fma_f64 v[58:59], v[58:59], v[82:83], v[54:55]
	ds_load_b128 v[54:57], v1 offset:336
	ds_load_b128 v[66:69], v1 offset:352
	s_waitcnt lgkmcnt(1)
	v_fma_f64 v[54:55], v[60:61], v[54:55], v[58:59]
	s_waitcnt vmcnt(2)
	s_delay_alu instid0(VALU_DEP_1) | instskip(SKIP_1) | instid1(VALU_DEP_1)
	v_fma_f64 v[54:55], v[70:71], v[56:57], v[54:55]
	s_waitcnt lgkmcnt(0)
	v_fma_f64 v[54:55], v[72:73], v[66:67], v[54:55]
	s_waitcnt vmcnt(1)
	s_delay_alu instid0(VALU_DEP_1) | instskip(SKIP_4) | instid1(VALU_DEP_1)
	v_fma_f64 v[58:59], v[62:63], v[68:69], v[54:55]
	ds_load_b128 v[54:57], v1 offset:368
	s_waitcnt lgkmcnt(0)
	v_fma_f64 v[1:2], v[64:65], v[54:55], v[58:59]
	s_waitcnt vmcnt(0)
	v_fma_f64 v[1:2], v[74:75], v[56:57], v[1:2]
	s_delay_alu instid0(VALU_DEP_1)
	v_add_f64 v[1:2], v[52:53], -v[1:2]
	scratch_store_b64 off, v[1:2], off offset:8
	v_cmpx_ne_u32_e32 0, v0
	s_cbranch_execz .LBB23_153
; %bb.152:
	scratch_load_b64 v[0:1], off, off
	v_mov_b32_e32 v52, 0
	s_delay_alu instid0(VALU_DEP_1)
	v_mov_b32_e32 v53, v52
	scratch_store_b64 off, v[52:53], off
	s_waitcnt vmcnt(0)
	ds_store_b64 v3, v[0:1]
.LBB23_153:
	s_or_b32 exec_lo, exec_lo, s0
	s_waitcnt lgkmcnt(0)
	s_waitcnt_vscnt null, 0x0
	s_barrier
	buffer_gl0_inv
	s_clause 0x4
	scratch_load_b128 v[52:55], off, off
	scratch_load_b128 v[0:3], off, off offset:16
	scratch_load_b128 v[56:59], off, off offset:32
	;; [unrolled: 1-line block ×4, first 2 shown]
	v_mov_b32_e32 v80, 0
	ds_load_2addr_b64 v[68:71], v80 offset0:25 offset1:26
	ds_load_2addr_b64 v[72:75], v80 offset0:27 offset1:28
	scratch_load_b128 v[76:79], off, off offset:80
	s_and_b32 vcc_lo, exec_lo, s16
	s_waitcnt vmcnt(5) lgkmcnt(1)
	v_fma_f64 v[54:55], v[54:55], v[68:69], 0
	s_waitcnt vmcnt(4)
	s_delay_alu instid0(VALU_DEP_1) | instskip(SKIP_1) | instid1(VALU_DEP_1)
	v_fma_f64 v[0:1], v[0:1], v[70:71], v[54:55]
	s_waitcnt lgkmcnt(0)
	v_fma_f64 v[54:55], v[2:3], v[72:73], v[0:1]
	scratch_load_b128 v[0:3], off, off offset:96
	s_waitcnt vmcnt(4)
	v_fma_f64 v[72:73], v[56:57], v[74:75], v[54:55]
	ds_load_2addr_b64 v[54:57], v80 offset0:29 offset1:30
	ds_load_2addr_b64 v[68:71], v80 offset0:31 offset1:32
	s_waitcnt lgkmcnt(1)
	v_fma_f64 v[54:55], v[58:59], v[54:55], v[72:73]
	scratch_load_b128 v[72:75], off, off offset:112
	s_waitcnt vmcnt(4)
	v_fma_f64 v[54:55], v[60:61], v[56:57], v[54:55]
	s_waitcnt lgkmcnt(0)
	s_delay_alu instid0(VALU_DEP_1)
	v_fma_f64 v[58:59], v[62:63], v[68:69], v[54:55]
	scratch_load_b128 v[54:57], off, off offset:128
	s_waitcnt vmcnt(4)
	v_fma_f64 v[68:69], v[64:65], v[70:71], v[58:59]
	ds_load_2addr_b64 v[58:61], v80 offset0:33 offset1:34
	ds_load_2addr_b64 v[62:65], v80 offset0:35 offset1:36
	s_waitcnt lgkmcnt(1)
	v_fma_f64 v[58:59], v[66:67], v[58:59], v[68:69]
	scratch_load_b128 v[66:69], off, off offset:144
	s_waitcnt vmcnt(4)
	v_fma_f64 v[58:59], v[76:77], v[60:61], v[58:59]
	s_waitcnt lgkmcnt(0)
	s_delay_alu instid0(VALU_DEP_1)
	v_fma_f64 v[62:63], v[78:79], v[62:63], v[58:59]
	scratch_load_b128 v[58:61], off, off offset:160
	s_waitcnt vmcnt(4)
	v_fma_f64 v[0:1], v[0:1], v[64:65], v[62:63]
	ds_load_2addr_b64 v[62:65], v80 offset0:37 offset1:38
	ds_load_2addr_b64 v[76:79], v80 offset0:39 offset1:40
	s_waitcnt lgkmcnt(1)
	v_fma_f64 v[62:63], v[2:3], v[62:63], v[0:1]
	scratch_load_b128 v[0:3], off, off offset:176
	s_waitcnt vmcnt(4)
	v_fma_f64 v[62:63], v[72:73], v[64:65], v[62:63]
	s_waitcnt lgkmcnt(0)
	s_delay_alu instid0(VALU_DEP_1) | instskip(SKIP_1) | instid1(VALU_DEP_1)
	v_fma_f64 v[62:63], v[74:75], v[76:77], v[62:63]
	s_waitcnt vmcnt(3)
	v_fma_f64 v[54:55], v[54:55], v[78:79], v[62:63]
	ds_load_2addr_b64 v[62:65], v80 offset0:41 offset1:42
	ds_load_2addr_b64 v[70:73], v80 offset0:43 offset1:44
	s_waitcnt lgkmcnt(1)
	v_fma_f64 v[54:55], v[56:57], v[62:63], v[54:55]
	s_waitcnt vmcnt(2)
	s_delay_alu instid0(VALU_DEP_1) | instskip(SKIP_1) | instid1(VALU_DEP_1)
	v_fma_f64 v[54:55], v[66:67], v[64:65], v[54:55]
	s_waitcnt lgkmcnt(0)
	v_fma_f64 v[54:55], v[68:69], v[70:71], v[54:55]
	s_waitcnt vmcnt(1)
	s_delay_alu instid0(VALU_DEP_1)
	v_fma_f64 v[58:59], v[58:59], v[72:73], v[54:55]
	ds_load_2addr_b64 v[54:57], v80 offset0:45 offset1:46
	ds_load_b64 v[62:63], v80 offset:376
	s_waitcnt lgkmcnt(1)
	v_fma_f64 v[54:55], v[60:61], v[54:55], v[58:59]
	s_waitcnt vmcnt(0)
	s_delay_alu instid0(VALU_DEP_1) | instskip(SKIP_1) | instid1(VALU_DEP_1)
	v_fma_f64 v[54:55], v[0:1], v[56:57], v[54:55]
	s_waitcnt lgkmcnt(0)
	v_fma_f64 v[2:3], v[2:3], v[62:63], v[54:55]
	s_delay_alu instid0(VALU_DEP_1)
	v_add_f64 v[2:3], v[52:53], -v[2:3]
	scratch_store_b64 off, v[2:3], off
	s_cbranch_vccz .LBB23_201
; %bb.154:
	v_dual_mov_b32 v2, s12 :: v_dual_mov_b32 v3, s13
	s_mov_b32 s0, exec_lo
	flat_load_b32 v2, v[2:3] offset:88
	s_waitcnt vmcnt(0) lgkmcnt(0)
	v_cmpx_ne_u32_e32 23, v2
	s_cbranch_execz .LBB23_156
; %bb.155:
	v_lshl_add_u32 v52, v2, 3, 0
	scratch_load_b64 v[2:3], v52, off offset:-8
	s_waitcnt vmcnt(0)
	scratch_store_b64 off, v[2:3], off offset:176
	scratch_store_b64 v52, v[0:1], off offset:-8
.LBB23_156:
	s_or_b32 exec_lo, exec_lo, s0
	v_dual_mov_b32 v0, s12 :: v_dual_mov_b32 v1, s13
	s_mov_b32 s0, exec_lo
	flat_load_b32 v0, v[0:1] offset:84
	s_waitcnt vmcnt(0) lgkmcnt(0)
	v_cmpx_ne_u32_e32 22, v0
	s_cbranch_execz .LBB23_158
; %bb.157:
	v_lshl_add_u32 v52, v0, 3, 0
	scratch_load_b64 v[0:1], v52, off offset:-8
	scratch_load_b64 v[2:3], off, off offset:168
	s_waitcnt vmcnt(1)
	scratch_store_b64 off, v[0:1], off offset:168
	s_waitcnt vmcnt(0)
	scratch_store_b64 v52, v[2:3], off offset:-8
.LBB23_158:
	s_or_b32 exec_lo, exec_lo, s0
	v_dual_mov_b32 v0, s12 :: v_dual_mov_b32 v1, s13
	s_mov_b32 s0, exec_lo
	flat_load_b32 v0, v[0:1] offset:80
	s_waitcnt vmcnt(0) lgkmcnt(0)
	v_cmpx_ne_u32_e32 21, v0
	s_cbranch_execz .LBB23_160
; %bb.159:
	v_lshl_add_u32 v52, v0, 3, 0
	scratch_load_b64 v[0:1], v52, off offset:-8
	scratch_load_b64 v[2:3], off, off offset:160
	s_waitcnt vmcnt(1)
	scratch_store_b64 off, v[0:1], off offset:160
	s_waitcnt vmcnt(0)
	scratch_store_b64 v52, v[2:3], off offset:-8
.LBB23_160:
	;; [unrolled: 16-line block ×21, first 2 shown]
	s_or_b32 exec_lo, exec_lo, s0
	v_dual_mov_b32 v0, s12 :: v_dual_mov_b32 v1, s13
	s_mov_b32 s0, exec_lo
	flat_load_b32 v0, v[0:1]
	scratch_load_b64 v[2:3], off, off
	s_waitcnt vmcnt(1) lgkmcnt(0)
	v_cmpx_ne_u32_e32 1, v0
	s_cbranch_execz .LBB23_200
; %bb.199:
	v_lshl_add_u32 v52, v0, 3, 0
	scratch_load_b64 v[0:1], v52, off offset:-8
	s_waitcnt vmcnt(0)
	scratch_store_b64 off, v[0:1], off
	scratch_store_b64 v52, v[2:3], off offset:-8
	scratch_load_b64 v[2:3], off, off
.LBB23_200:
	s_or_b32 exec_lo, exec_lo, s0
.LBB23_201:
	s_clause 0x9
	scratch_load_b128 v[52:55], off, off offset:8
	scratch_load_b128 v[56:59], off, off offset:24
	;; [unrolled: 1-line block ×10, first 2 shown]
	s_waitcnt vmcnt(10)
	global_store_b64 v[10:11], v[2:3], off
	s_clause 0x1
	scratch_load_b128 v[0:3], off, off offset:168
	scratch_load_b64 v[10:11], off, off offset:184
	s_waitcnt vmcnt(11)
	s_clause 0x1
	global_store_b64 v[4:5], v[52:53], off
	global_store_b64 v[6:7], v[54:55], off
	s_waitcnt vmcnt(10)
	s_clause 0x1
	global_store_b64 v[8:9], v[56:57], off
	global_store_b64 v[12:13], v[58:59], off
	;; [unrolled: 4-line block ×11, first 2 shown]
	s_waitcnt vmcnt(0)
	global_store_b64 v[48:49], v[10:11], off
	s_endpgm
	.section	.rodata,"a",@progbits
	.p2align	6, 0x0
	.amdhsa_kernel _ZN9rocsolver6v33100L18getri_kernel_smallILi24EdPdEEvT1_iilPiilS4_bb
		.amdhsa_group_segment_fixed_size 392
		.amdhsa_private_segment_fixed_size 208
		.amdhsa_kernarg_size 60
		.amdhsa_user_sgpr_count 15
		.amdhsa_user_sgpr_dispatch_ptr 0
		.amdhsa_user_sgpr_queue_ptr 0
		.amdhsa_user_sgpr_kernarg_segment_ptr 1
		.amdhsa_user_sgpr_dispatch_id 0
		.amdhsa_user_sgpr_private_segment_size 0
		.amdhsa_wavefront_size32 1
		.amdhsa_uses_dynamic_stack 0
		.amdhsa_enable_private_segment 1
		.amdhsa_system_sgpr_workgroup_id_x 1
		.amdhsa_system_sgpr_workgroup_id_y 0
		.amdhsa_system_sgpr_workgroup_id_z 0
		.amdhsa_system_sgpr_workgroup_info 0
		.amdhsa_system_vgpr_workitem_id 0
		.amdhsa_next_free_vgpr 92
		.amdhsa_next_free_sgpr 18
		.amdhsa_reserve_vcc 1
		.amdhsa_float_round_mode_32 0
		.amdhsa_float_round_mode_16_64 0
		.amdhsa_float_denorm_mode_32 3
		.amdhsa_float_denorm_mode_16_64 3
		.amdhsa_dx10_clamp 1
		.amdhsa_ieee_mode 1
		.amdhsa_fp16_overflow 0
		.amdhsa_workgroup_processor_mode 1
		.amdhsa_memory_ordered 1
		.amdhsa_forward_progress 0
		.amdhsa_shared_vgpr_count 0
		.amdhsa_exception_fp_ieee_invalid_op 0
		.amdhsa_exception_fp_denorm_src 0
		.amdhsa_exception_fp_ieee_div_zero 0
		.amdhsa_exception_fp_ieee_overflow 0
		.amdhsa_exception_fp_ieee_underflow 0
		.amdhsa_exception_fp_ieee_inexact 0
		.amdhsa_exception_int_div_zero 0
	.end_amdhsa_kernel
	.section	.text._ZN9rocsolver6v33100L18getri_kernel_smallILi24EdPdEEvT1_iilPiilS4_bb,"axG",@progbits,_ZN9rocsolver6v33100L18getri_kernel_smallILi24EdPdEEvT1_iilPiilS4_bb,comdat
.Lfunc_end23:
	.size	_ZN9rocsolver6v33100L18getri_kernel_smallILi24EdPdEEvT1_iilPiilS4_bb, .Lfunc_end23-_ZN9rocsolver6v33100L18getri_kernel_smallILi24EdPdEEvT1_iilPiilS4_bb
                                        ; -- End function
	.section	.AMDGPU.csdata,"",@progbits
; Kernel info:
; codeLenInByte = 16716
; NumSgprs: 20
; NumVgprs: 92
; ScratchSize: 208
; MemoryBound: 0
; FloatMode: 240
; IeeeMode: 1
; LDSByteSize: 392 bytes/workgroup (compile time only)
; SGPRBlocks: 2
; VGPRBlocks: 11
; NumSGPRsForWavesPerEU: 20
; NumVGPRsForWavesPerEU: 92
; Occupancy: 16
; WaveLimiterHint : 1
; COMPUTE_PGM_RSRC2:SCRATCH_EN: 1
; COMPUTE_PGM_RSRC2:USER_SGPR: 15
; COMPUTE_PGM_RSRC2:TRAP_HANDLER: 0
; COMPUTE_PGM_RSRC2:TGID_X_EN: 1
; COMPUTE_PGM_RSRC2:TGID_Y_EN: 0
; COMPUTE_PGM_RSRC2:TGID_Z_EN: 0
; COMPUTE_PGM_RSRC2:TIDIG_COMP_CNT: 0
	.section	.text._ZN9rocsolver6v33100L18getri_kernel_smallILi25EdPdEEvT1_iilPiilS4_bb,"axG",@progbits,_ZN9rocsolver6v33100L18getri_kernel_smallILi25EdPdEEvT1_iilPiilS4_bb,comdat
	.globl	_ZN9rocsolver6v33100L18getri_kernel_smallILi25EdPdEEvT1_iilPiilS4_bb ; -- Begin function _ZN9rocsolver6v33100L18getri_kernel_smallILi25EdPdEEvT1_iilPiilS4_bb
	.p2align	8
	.type	_ZN9rocsolver6v33100L18getri_kernel_smallILi25EdPdEEvT1_iilPiilS4_bb,@function
_ZN9rocsolver6v33100L18getri_kernel_smallILi25EdPdEEvT1_iilPiilS4_bb: ; @_ZN9rocsolver6v33100L18getri_kernel_smallILi25EdPdEEvT1_iilPiilS4_bb
; %bb.0:
	s_mov_b32 s2, exec_lo
	v_cmpx_gt_u32_e32 25, v0
	s_cbranch_execz .LBB24_110
; %bb.1:
	s_clause 0x2
	s_load_b32 s17, s[0:1], 0x38
	s_load_b128 s[8:11], s[0:1], 0x10
	s_load_b128 s[4:7], s[0:1], 0x28
	s_mov_b32 s14, s15
                                        ; implicit-def: $sgpr12_sgpr13
	s_waitcnt lgkmcnt(0)
	s_bitcmp1_b32 s17, 8
	s_cselect_b32 s16, -1, 0
	s_bfe_u32 s2, s17, 0x10008
	s_ashr_i32 s15, s15, 31
	s_cmp_eq_u32 s2, 0
	s_cbranch_scc1 .LBB24_3
; %bb.2:
	s_load_b32 s2, s[0:1], 0x20
	s_mul_i32 s3, s14, s5
	s_mul_hi_u32 s5, s14, s4
	s_mul_i32 s12, s15, s4
	s_add_i32 s3, s5, s3
	s_mul_i32 s4, s14, s4
	s_add_i32 s5, s3, s12
	s_delay_alu instid0(SALU_CYCLE_1)
	s_lshl_b64 s[4:5], s[4:5], 2
	s_waitcnt lgkmcnt(0)
	s_ashr_i32 s3, s2, 31
	s_add_u32 s4, s10, s4
	s_addc_u32 s5, s11, s5
	s_lshl_b64 s[2:3], s[2:3], 2
	s_delay_alu instid0(SALU_CYCLE_1)
	s_add_u32 s12, s4, s2
	s_addc_u32 s13, s5, s3
.LBB24_3:
	s_load_b128 s[0:3], s[0:1], 0x0
	s_mul_i32 s4, s14, s9
	s_mul_hi_u32 s5, s14, s8
	s_mul_i32 s9, s15, s8
	s_add_i32 s5, s5, s4
	s_mul_i32 s4, s14, s8
	s_add_i32 s5, s5, s9
	v_lshlrev_b32_e32 v3, 3, v0
	s_lshl_b64 s[4:5], s[4:5], 3
	s_waitcnt lgkmcnt(0)
	v_add3_u32 v1, s3, s3, v0
	s_ashr_i32 s9, s2, 31
	s_mov_b32 s8, s2
	s_add_u32 s2, s0, s4
	s_addc_u32 s5, s1, s5
	v_add_nc_u32_e32 v6, s3, v1
	s_lshl_b64 s[0:1], s[8:9], 3
	v_ashrrev_i32_e32 v2, 31, v1
	s_add_u32 s0, s2, s0
	s_addc_u32 s1, s5, s1
	v_add_nc_u32_e32 v10, s3, v6
	v_add_co_u32 v4, s2, s0, v3
	s_mov_b32 s4, s3
	s_ashr_i32 s5, s3, 31
	v_add_co_ci_u32_e64 v5, null, s1, 0, s2
	v_ashrrev_i32_e32 v7, 31, v6
	v_lshlrev_b64 v[1:2], 3, v[1:2]
	s_lshl_b64 s[4:5], s[4:5], 3
	v_add_nc_u32_e32 v16, s3, v10
	v_add_co_u32 v8, vcc_lo, v4, s4
	v_ashrrev_i32_e32 v11, 31, v10
	v_add_co_ci_u32_e32 v9, vcc_lo, s5, v5, vcc_lo
	v_lshlrev_b64 v[6:7], 3, v[6:7]
	v_add_co_u32 v14, vcc_lo, s0, v1
	v_ashrrev_i32_e32 v17, 31, v16
	v_add_co_ci_u32_e32 v15, vcc_lo, s1, v2, vcc_lo
	v_lshlrev_b64 v[1:2], 3, v[10:11]
	v_add_co_u32 v6, vcc_lo, s0, v6
	s_delay_alu instid0(VALU_DEP_4) | instskip(SKIP_1) | instid1(VALU_DEP_4)
	v_lshlrev_b64 v[12:13], 3, v[16:17]
	v_add_co_ci_u32_e32 v7, vcc_lo, s1, v7, vcc_lo
	v_add_co_u32 v10, vcc_lo, s0, v1
	v_add_co_ci_u32_e32 v11, vcc_lo, s1, v2, vcc_lo
	s_delay_alu instid0(VALU_DEP_4)
	v_add_co_u32 v12, vcc_lo, s0, v12
	s_clause 0x1
	global_load_b64 v[54:55], v3, s[0:1]
	global_load_b64 v[56:57], v[8:9], off
	v_add_co_ci_u32_e32 v13, vcc_lo, s1, v13, vcc_lo
	s_clause 0x3
	global_load_b64 v[58:59], v[14:15], off
	global_load_b64 v[60:61], v[6:7], off
	;; [unrolled: 1-line block ×4, first 2 shown]
	v_add_nc_u32_e32 v1, s3, v16
	s_bitcmp0_b32 s17, 0
	s_delay_alu instid0(VALU_DEP_1) | instskip(SKIP_1) | instid1(VALU_DEP_2)
	v_add_nc_u32_e32 v16, s3, v1
	v_ashrrev_i32_e32 v2, 31, v1
	v_add_nc_u32_e32 v18, s3, v16
	v_ashrrev_i32_e32 v17, 31, v16
	s_delay_alu instid0(VALU_DEP_3) | instskip(NEXT) | instid1(VALU_DEP_3)
	v_lshlrev_b64 v[1:2], 3, v[1:2]
	v_add_nc_u32_e32 v22, s3, v18
	v_ashrrev_i32_e32 v19, 31, v18
	s_delay_alu instid0(VALU_DEP_4) | instskip(NEXT) | instid1(VALU_DEP_4)
	v_lshlrev_b64 v[20:21], 3, v[16:17]
	v_add_co_u32 v16, vcc_lo, s0, v1
	s_delay_alu instid0(VALU_DEP_4) | instskip(SKIP_3) | instid1(VALU_DEP_4)
	v_add_nc_u32_e32 v24, s3, v22
	v_add_co_ci_u32_e32 v17, vcc_lo, s1, v2, vcc_lo
	v_lshlrev_b64 v[1:2], 3, v[18:19]
	v_ashrrev_i32_e32 v23, 31, v22
	v_add_nc_u32_e32 v26, s3, v24
	v_add_co_u32 v18, vcc_lo, s0, v20
	v_ashrrev_i32_e32 v25, 31, v24
	v_add_co_ci_u32_e32 v19, vcc_lo, s1, v21, vcc_lo
	s_delay_alu instid0(VALU_DEP_4) | instskip(SKIP_3) | instid1(VALU_DEP_4)
	v_add_nc_u32_e32 v28, s3, v26
	v_lshlrev_b64 v[22:23], 3, v[22:23]
	v_add_co_u32 v20, vcc_lo, s0, v1
	v_add_co_ci_u32_e32 v21, vcc_lo, s1, v2, vcc_lo
	v_add_nc_u32_e32 v30, s3, v28
	v_lshlrev_b64 v[1:2], 3, v[24:25]
	v_ashrrev_i32_e32 v27, 31, v26
	v_add_co_u32 v22, vcc_lo, s0, v22
	s_delay_alu instid0(VALU_DEP_4) | instskip(SKIP_3) | instid1(VALU_DEP_4)
	v_add_nc_u32_e32 v32, s3, v30
	v_ashrrev_i32_e32 v29, 31, v28
	v_add_co_ci_u32_e32 v23, vcc_lo, s1, v23, vcc_lo
	v_lshlrev_b64 v[26:27], 3, v[26:27]
	v_add_nc_u32_e32 v34, s3, v32
	v_add_co_u32 v24, vcc_lo, s0, v1
	v_add_co_ci_u32_e32 v25, vcc_lo, s1, v2, vcc_lo
	s_delay_alu instid0(VALU_DEP_3)
	v_add_nc_u32_e32 v36, s3, v34
	v_lshlrev_b64 v[1:2], 3, v[28:29]
	v_ashrrev_i32_e32 v31, 31, v30
	v_add_co_u32 v26, vcc_lo, s0, v26
	v_ashrrev_i32_e32 v33, 31, v32
	v_add_nc_u32_e32 v38, s3, v36
	v_add_co_ci_u32_e32 v27, vcc_lo, s1, v27, vcc_lo
	v_lshlrev_b64 v[30:31], 3, v[30:31]
	v_add_co_u32 v28, vcc_lo, s0, v1
	v_add_co_ci_u32_e32 v29, vcc_lo, s1, v2, vcc_lo
	v_lshlrev_b64 v[1:2], 3, v[32:33]
	v_ashrrev_i32_e32 v35, 31, v34
	v_add_nc_u32_e32 v40, s3, v38
	v_add_co_u32 v30, vcc_lo, s0, v30
	v_ashrrev_i32_e32 v37, 31, v36
	v_add_co_ci_u32_e32 v31, vcc_lo, s1, v31, vcc_lo
	v_lshlrev_b64 v[34:35], 3, v[34:35]
	v_add_nc_u32_e32 v42, s3, v40
	v_add_co_u32 v32, vcc_lo, s0, v1
	v_add_co_ci_u32_e32 v33, vcc_lo, s1, v2, vcc_lo
	v_lshlrev_b64 v[1:2], 3, v[36:37]
	v_ashrrev_i32_e32 v39, 31, v38
	v_add_nc_u32_e32 v44, s3, v42
	v_add_co_u32 v34, vcc_lo, s0, v34
	v_ashrrev_i32_e32 v41, 31, v40
	v_add_co_ci_u32_e32 v35, vcc_lo, s1, v35, vcc_lo
	v_lshlrev_b64 v[38:39], 3, v[38:39]
	v_add_co_u32 v36, vcc_lo, s0, v1
	v_add_nc_u32_e32 v46, s3, v44
	v_add_co_ci_u32_e32 v37, vcc_lo, s1, v2, vcc_lo
	v_lshlrev_b64 v[1:2], 3, v[40:41]
	v_ashrrev_i32_e32 v43, 31, v42
	v_add_co_u32 v38, vcc_lo, s0, v38
	v_ashrrev_i32_e32 v45, 31, v44
	v_add_nc_u32_e32 v48, s3, v46
	v_add_co_ci_u32_e32 v39, vcc_lo, s1, v39, vcc_lo
	v_lshlrev_b64 v[42:43], 3, v[42:43]
	v_add_co_u32 v40, vcc_lo, s0, v1
	v_add_co_ci_u32_e32 v41, vcc_lo, s1, v2, vcc_lo
	v_lshlrev_b64 v[1:2], 3, v[44:45]
	v_ashrrev_i32_e32 v47, 31, v46
	v_add_nc_u32_e32 v50, s3, v48
	v_add_co_u32 v42, vcc_lo, s0, v42
	v_ashrrev_i32_e32 v49, 31, v48
	v_add_co_ci_u32_e32 v43, vcc_lo, s1, v43, vcc_lo
	v_lshlrev_b64 v[46:47], 3, v[46:47]
	v_add_co_u32 v44, vcc_lo, s0, v1
	v_add_nc_u32_e32 v88, s3, v50
	v_add_co_ci_u32_e32 v45, vcc_lo, s1, v2, vcc_lo
	v_lshlrev_b64 v[1:2], 3, v[48:49]
	v_ashrrev_i32_e32 v51, 31, v50
	v_add_co_u32 v48, vcc_lo, s0, v46
	v_ashrrev_i32_e32 v89, 31, v88
	v_add_co_ci_u32_e32 v49, vcc_lo, s1, v47, vcc_lo
	s_delay_alu instid0(VALU_DEP_4) | instskip(SKIP_3) | instid1(VALU_DEP_4)
	v_lshlrev_b64 v[46:47], 3, v[50:51]
	v_add_co_u32 v52, vcc_lo, s0, v1
	v_add_co_ci_u32_e32 v53, vcc_lo, s1, v2, vcc_lo
	v_lshlrev_b64 v[1:2], 3, v[88:89]
	v_add_co_u32 v46, vcc_lo, s0, v46
	v_add_co_ci_u32_e32 v47, vcc_lo, s1, v47, vcc_lo
	s_clause 0x2
	global_load_b64 v[66:67], v[16:17], off
	global_load_b64 v[68:69], v[18:19], off
	;; [unrolled: 1-line block ×3, first 2 shown]
	v_add_co_u32 v50, vcc_lo, s0, v1
	v_add_co_ci_u32_e32 v51, vcc_lo, s1, v2, vcc_lo
	s_clause 0x7
	global_load_b64 v[72:73], v[22:23], off
	global_load_b64 v[74:75], v[24:25], off
	;; [unrolled: 1-line block ×8, first 2 shown]
	s_mov_b32 s1, -1
	s_waitcnt vmcnt(15)
	scratch_store_b128 off, v[54:57], off
	s_clause 0x3
	global_load_b64 v[88:89], v[38:39], off
	global_load_b64 v[54:55], v[40:41], off
	;; [unrolled: 1-line block ×4, first 2 shown]
	s_waitcnt vmcnt(17)
	scratch_store_b128 off, v[58:61], off offset:16
	s_clause 0x3
	global_load_b64 v[92:93], v[48:49], off
	global_load_b64 v[58:59], v[52:53], off
	;; [unrolled: 1-line block ×4, first 2 shown]
	s_waitcnt vmcnt(19)
	scratch_store_b128 off, v[62:65], off offset:32
	s_waitcnt vmcnt(17)
	scratch_store_b128 off, v[66:69], off offset:48
	;; [unrolled: 2-line block ×10, first 2 shown]
	s_waitcnt vmcnt(0)
	scratch_store_b64 off, v[1:2], off offset:192
	s_cbranch_scc1 .LBB24_108
; %bb.4:
	v_cmp_eq_u32_e64 s0, 0, v0
	s_delay_alu instid0(VALU_DEP_1)
	s_and_saveexec_b32 s1, s0
	s_cbranch_execz .LBB24_6
; %bb.5:
	v_mov_b32_e32 v1, 0
	ds_store_b32 v1, v1 offset:200
.LBB24_6:
	s_or_b32 exec_lo, exec_lo, s1
	s_waitcnt lgkmcnt(0)
	s_waitcnt_vscnt null, 0x0
	s_barrier
	buffer_gl0_inv
	scratch_load_b64 v[1:2], v3, off
	s_mov_b32 s2, exec_lo
	s_waitcnt vmcnt(0)
	v_cmpx_eq_f64_e32 0, v[1:2]
	s_cbranch_execz .LBB24_10
; %bb.7:
	v_mov_b32_e32 v1, 0
	s_mov_b32 s3, 0
	ds_load_b32 v2, v1 offset:200
	s_waitcnt lgkmcnt(0)
	v_readfirstlane_b32 s1, v2
	v_add_nc_u32_e32 v2, 1, v0
	s_delay_alu instid0(VALU_DEP_2) | instskip(NEXT) | instid1(VALU_DEP_1)
	s_cmp_eq_u32 s1, 0
	v_cmp_gt_i32_e32 vcc_lo, s1, v2
	s_cselect_b32 s4, -1, 0
	s_delay_alu instid0(SALU_CYCLE_1) | instskip(NEXT) | instid1(SALU_CYCLE_1)
	s_or_b32 s4, s4, vcc_lo
	s_and_b32 exec_lo, exec_lo, s4
	s_cbranch_execz .LBB24_10
; %bb.8:
	v_mov_b32_e32 v54, s1
.LBB24_9:                               ; =>This Inner Loop Header: Depth=1
	ds_cmpstore_rtn_b32 v54, v1, v2, v54 offset:200
	s_waitcnt lgkmcnt(0)
	v_cmp_ne_u32_e32 vcc_lo, 0, v54
	v_cmp_le_i32_e64 s1, v54, v2
	s_delay_alu instid0(VALU_DEP_1) | instskip(NEXT) | instid1(SALU_CYCLE_1)
	s_and_b32 s1, vcc_lo, s1
	s_and_b32 s1, exec_lo, s1
	s_delay_alu instid0(SALU_CYCLE_1) | instskip(NEXT) | instid1(SALU_CYCLE_1)
	s_or_b32 s3, s1, s3
	s_and_not1_b32 exec_lo, exec_lo, s3
	s_cbranch_execnz .LBB24_9
.LBB24_10:
	s_or_b32 exec_lo, exec_lo, s2
	v_mov_b32_e32 v1, 0
	s_barrier
	buffer_gl0_inv
	ds_load_b32 v2, v1 offset:200
	s_and_saveexec_b32 s1, s0
	s_cbranch_execz .LBB24_12
; %bb.11:
	s_lshl_b64 s[2:3], s[14:15], 2
	s_delay_alu instid0(SALU_CYCLE_1)
	s_add_u32 s2, s6, s2
	s_addc_u32 s3, s7, s3
	s_waitcnt lgkmcnt(0)
	global_store_b32 v1, v2, s[2:3]
.LBB24_12:
	s_or_b32 exec_lo, exec_lo, s1
	s_waitcnt lgkmcnt(0)
	v_cmp_ne_u32_e32 vcc_lo, 0, v2
	s_mov_b32 s1, 0
	s_cbranch_vccnz .LBB24_108
; %bb.13:
	v_add_nc_u32_e32 v54, 0, v3
	scratch_load_b64 v[1:2], v54, off
	s_waitcnt vmcnt(0)
	v_div_scale_f64 v[55:56], null, v[1:2], v[1:2], 1.0
	v_div_scale_f64 v[61:62], vcc_lo, 1.0, v[1:2], 1.0
	s_delay_alu instid0(VALU_DEP_2) | instskip(SKIP_2) | instid1(VALU_DEP_1)
	v_rcp_f64_e32 v[57:58], v[55:56]
	s_waitcnt_depctr 0xfff
	v_fma_f64 v[59:60], -v[55:56], v[57:58], 1.0
	v_fma_f64 v[57:58], v[57:58], v[59:60], v[57:58]
	s_delay_alu instid0(VALU_DEP_1) | instskip(NEXT) | instid1(VALU_DEP_1)
	v_fma_f64 v[59:60], -v[55:56], v[57:58], 1.0
	v_fma_f64 v[57:58], v[57:58], v[59:60], v[57:58]
	s_delay_alu instid0(VALU_DEP_1) | instskip(NEXT) | instid1(VALU_DEP_1)
	v_mul_f64 v[59:60], v[61:62], v[57:58]
	v_fma_f64 v[55:56], -v[55:56], v[59:60], v[61:62]
	s_delay_alu instid0(VALU_DEP_1) | instskip(NEXT) | instid1(VALU_DEP_1)
	v_div_fmas_f64 v[55:56], v[55:56], v[57:58], v[59:60]
	v_div_fixup_f64 v[1:2], v[55:56], v[1:2], 1.0
	v_add_nc_u32_e32 v55, 0xd0, v3
	scratch_store_b64 v54, v[1:2], off
	scratch_load_b64 v[56:57], off, off offset:8
	v_xor_b32_e32 v2, 0x80000000, v2
	s_waitcnt vmcnt(0)
	ds_store_2addr_b64 v3, v[1:2], v[56:57] offset1:26
	s_waitcnt lgkmcnt(0)
	s_waitcnt_vscnt null, 0x0
	s_barrier
	buffer_gl0_inv
	s_and_saveexec_b32 s1, s0
	s_cbranch_execz .LBB24_15
; %bb.14:
	scratch_load_b64 v[1:2], v54, off
	ds_load_b64 v[56:57], v55
	s_waitcnt vmcnt(0) lgkmcnt(0)
	v_fma_f64 v[1:2], v[1:2], v[56:57], 0
	v_mov_b32_e32 v56, 0
	ds_load_b64 v[56:57], v56 offset:8
	s_waitcnt lgkmcnt(0)
	v_mul_f64 v[1:2], v[1:2], v[56:57]
	scratch_store_b64 off, v[1:2], off offset:8
.LBB24_15:
	s_or_b32 exec_lo, exec_lo, s1
	s_waitcnt_vscnt null, 0x0
	s_barrier
	buffer_gl0_inv
	scratch_load_b64 v[1:2], off, off offset:16
	s_mov_b32 s1, exec_lo
	s_waitcnt vmcnt(0)
	ds_store_b64 v55, v[1:2]
	s_waitcnt lgkmcnt(0)
	s_barrier
	buffer_gl0_inv
	v_cmpx_gt_u32_e32 2, v0
	s_cbranch_execz .LBB24_19
; %bb.16:
	scratch_load_b64 v[1:2], v54, off
	ds_load_b64 v[56:57], v55
	s_waitcnt vmcnt(0) lgkmcnt(0)
	v_fma_f64 v[1:2], v[1:2], v[56:57], 0
	s_and_saveexec_b32 s2, s0
	s_cbranch_execz .LBB24_18
; %bb.17:
	scratch_load_b64 v[56:57], off, off offset:8
	v_mov_b32_e32 v58, 0
	ds_load_b64 v[58:59], v58 offset:216
	s_waitcnt vmcnt(0) lgkmcnt(0)
	v_fma_f64 v[1:2], v[56:57], v[58:59], v[1:2]
.LBB24_18:
	s_or_b32 exec_lo, exec_lo, s2
	v_mov_b32_e32 v56, 0
	ds_load_b64 v[56:57], v56 offset:16
	s_waitcnt lgkmcnt(0)
	v_mul_f64 v[1:2], v[1:2], v[56:57]
	scratch_store_b64 off, v[1:2], off offset:16
.LBB24_19:
	s_or_b32 exec_lo, exec_lo, s1
	s_waitcnt_vscnt null, 0x0
	s_barrier
	buffer_gl0_inv
	scratch_load_b64 v[1:2], off, off offset:24
	v_add_nc_u32_e32 v56, -1, v0
	s_mov_b32 s0, exec_lo
	s_waitcnt vmcnt(0)
	ds_store_b64 v55, v[1:2]
	s_waitcnt lgkmcnt(0)
	s_barrier
	buffer_gl0_inv
	v_cmpx_gt_u32_e32 3, v0
	s_cbranch_execz .LBB24_23
; %bb.20:
	v_dual_mov_b32 v1, 0 :: v_dual_add_nc_u32 v58, 0xd0, v3
	v_dual_mov_b32 v2, 0 :: v_dual_add_nc_u32 v57, -1, v0
	v_add_nc_u32_e32 v59, 0, v3
	s_mov_b32 s1, 0
.LBB24_21:                              ; =>This Inner Loop Header: Depth=1
	scratch_load_b64 v[60:61], v59, off
	ds_load_b64 v[62:63], v58
	v_add_nc_u32_e32 v57, 1, v57
	v_add_nc_u32_e32 v58, 8, v58
	v_add_nc_u32_e32 v59, 8, v59
	s_delay_alu instid0(VALU_DEP_3)
	v_cmp_lt_u32_e32 vcc_lo, 1, v57
	s_or_b32 s1, vcc_lo, s1
	s_waitcnt vmcnt(0) lgkmcnt(0)
	v_fma_f64 v[1:2], v[60:61], v[62:63], v[1:2]
	s_and_not1_b32 exec_lo, exec_lo, s1
	s_cbranch_execnz .LBB24_21
; %bb.22:
	s_or_b32 exec_lo, exec_lo, s1
	v_mov_b32_e32 v57, 0
	ds_load_b64 v[57:58], v57 offset:24
	s_waitcnt lgkmcnt(0)
	v_mul_f64 v[1:2], v[1:2], v[57:58]
	scratch_store_b64 off, v[1:2], off offset:24
.LBB24_23:
	s_or_b32 exec_lo, exec_lo, s0
	s_waitcnt_vscnt null, 0x0
	s_barrier
	buffer_gl0_inv
	scratch_load_b64 v[1:2], off, off offset:32
	s_mov_b32 s0, exec_lo
	s_waitcnt vmcnt(0)
	ds_store_b64 v55, v[1:2]
	s_waitcnt lgkmcnt(0)
	s_barrier
	buffer_gl0_inv
	v_cmpx_gt_u32_e32 4, v0
	s_cbranch_execz .LBB24_27
; %bb.24:
	v_dual_mov_b32 v1, 0 :: v_dual_add_nc_u32 v58, 0xd0, v3
	v_dual_mov_b32 v2, 0 :: v_dual_add_nc_u32 v57, -1, v0
	v_add_nc_u32_e32 v59, 0, v3
	s_mov_b32 s1, 0
.LBB24_25:                              ; =>This Inner Loop Header: Depth=1
	scratch_load_b64 v[60:61], v59, off
	ds_load_b64 v[62:63], v58
	v_add_nc_u32_e32 v57, 1, v57
	v_add_nc_u32_e32 v58, 8, v58
	v_add_nc_u32_e32 v59, 8, v59
	s_delay_alu instid0(VALU_DEP_3)
	v_cmp_lt_u32_e32 vcc_lo, 2, v57
	s_or_b32 s1, vcc_lo, s1
	s_waitcnt vmcnt(0) lgkmcnt(0)
	v_fma_f64 v[1:2], v[60:61], v[62:63], v[1:2]
	s_and_not1_b32 exec_lo, exec_lo, s1
	s_cbranch_execnz .LBB24_25
; %bb.26:
	s_or_b32 exec_lo, exec_lo, s1
	v_mov_b32_e32 v57, 0
	ds_load_b64 v[57:58], v57 offset:32
	s_waitcnt lgkmcnt(0)
	v_mul_f64 v[1:2], v[1:2], v[57:58]
	scratch_store_b64 off, v[1:2], off offset:32
.LBB24_27:
	s_or_b32 exec_lo, exec_lo, s0
	s_waitcnt_vscnt null, 0x0
	s_barrier
	buffer_gl0_inv
	scratch_load_b64 v[1:2], off, off offset:40
	s_mov_b32 s0, exec_lo
	s_waitcnt vmcnt(0)
	ds_store_b64 v55, v[1:2]
	s_waitcnt lgkmcnt(0)
	s_barrier
	buffer_gl0_inv
	v_cmpx_gt_u32_e32 5, v0
	s_cbranch_execz .LBB24_31
; %bb.28:
	v_dual_mov_b32 v1, 0 :: v_dual_add_nc_u32 v58, 0xd0, v3
	v_dual_mov_b32 v2, 0 :: v_dual_add_nc_u32 v57, -1, v0
	v_add_nc_u32_e32 v59, 0, v3
	s_mov_b32 s1, 0
.LBB24_29:                              ; =>This Inner Loop Header: Depth=1
	scratch_load_b64 v[60:61], v59, off
	ds_load_b64 v[62:63], v58
	v_add_nc_u32_e32 v57, 1, v57
	v_add_nc_u32_e32 v58, 8, v58
	v_add_nc_u32_e32 v59, 8, v59
	s_delay_alu instid0(VALU_DEP_3)
	v_cmp_lt_u32_e32 vcc_lo, 3, v57
	s_or_b32 s1, vcc_lo, s1
	s_waitcnt vmcnt(0) lgkmcnt(0)
	v_fma_f64 v[1:2], v[60:61], v[62:63], v[1:2]
	s_and_not1_b32 exec_lo, exec_lo, s1
	s_cbranch_execnz .LBB24_29
; %bb.30:
	s_or_b32 exec_lo, exec_lo, s1
	v_mov_b32_e32 v57, 0
	ds_load_b64 v[57:58], v57 offset:40
	s_waitcnt lgkmcnt(0)
	v_mul_f64 v[1:2], v[1:2], v[57:58]
	scratch_store_b64 off, v[1:2], off offset:40
.LBB24_31:
	s_or_b32 exec_lo, exec_lo, s0
	s_waitcnt_vscnt null, 0x0
	s_barrier
	buffer_gl0_inv
	scratch_load_b64 v[1:2], off, off offset:48
	s_mov_b32 s0, exec_lo
	s_waitcnt vmcnt(0)
	ds_store_b64 v55, v[1:2]
	s_waitcnt lgkmcnt(0)
	s_barrier
	buffer_gl0_inv
	v_cmpx_gt_u32_e32 6, v0
	s_cbranch_execz .LBB24_35
; %bb.32:
	v_dual_mov_b32 v1, 0 :: v_dual_add_nc_u32 v58, 0xd0, v3
	v_dual_mov_b32 v2, 0 :: v_dual_add_nc_u32 v57, -1, v0
	v_add_nc_u32_e32 v59, 0, v3
	s_mov_b32 s1, 0
.LBB24_33:                              ; =>This Inner Loop Header: Depth=1
	scratch_load_b64 v[60:61], v59, off
	ds_load_b64 v[62:63], v58
	v_add_nc_u32_e32 v57, 1, v57
	v_add_nc_u32_e32 v58, 8, v58
	v_add_nc_u32_e32 v59, 8, v59
	s_delay_alu instid0(VALU_DEP_3)
	v_cmp_lt_u32_e32 vcc_lo, 4, v57
	s_or_b32 s1, vcc_lo, s1
	s_waitcnt vmcnt(0) lgkmcnt(0)
	v_fma_f64 v[1:2], v[60:61], v[62:63], v[1:2]
	s_and_not1_b32 exec_lo, exec_lo, s1
	s_cbranch_execnz .LBB24_33
; %bb.34:
	s_or_b32 exec_lo, exec_lo, s1
	v_mov_b32_e32 v57, 0
	ds_load_b64 v[57:58], v57 offset:48
	s_waitcnt lgkmcnt(0)
	v_mul_f64 v[1:2], v[1:2], v[57:58]
	scratch_store_b64 off, v[1:2], off offset:48
.LBB24_35:
	s_or_b32 exec_lo, exec_lo, s0
	s_waitcnt_vscnt null, 0x0
	s_barrier
	buffer_gl0_inv
	scratch_load_b64 v[1:2], off, off offset:56
	s_mov_b32 s0, exec_lo
	s_waitcnt vmcnt(0)
	ds_store_b64 v55, v[1:2]
	s_waitcnt lgkmcnt(0)
	s_barrier
	buffer_gl0_inv
	v_cmpx_gt_u32_e32 7, v0
	s_cbranch_execz .LBB24_39
; %bb.36:
	v_dual_mov_b32 v1, 0 :: v_dual_add_nc_u32 v58, 0xd0, v3
	v_dual_mov_b32 v2, 0 :: v_dual_add_nc_u32 v57, -1, v0
	v_add_nc_u32_e32 v59, 0, v3
	s_mov_b32 s1, 0
.LBB24_37:                              ; =>This Inner Loop Header: Depth=1
	scratch_load_b64 v[60:61], v59, off
	ds_load_b64 v[62:63], v58
	v_add_nc_u32_e32 v57, 1, v57
	v_add_nc_u32_e32 v58, 8, v58
	v_add_nc_u32_e32 v59, 8, v59
	s_delay_alu instid0(VALU_DEP_3)
	v_cmp_lt_u32_e32 vcc_lo, 5, v57
	s_or_b32 s1, vcc_lo, s1
	s_waitcnt vmcnt(0) lgkmcnt(0)
	v_fma_f64 v[1:2], v[60:61], v[62:63], v[1:2]
	s_and_not1_b32 exec_lo, exec_lo, s1
	s_cbranch_execnz .LBB24_37
; %bb.38:
	s_or_b32 exec_lo, exec_lo, s1
	v_mov_b32_e32 v57, 0
	ds_load_b64 v[57:58], v57 offset:56
	s_waitcnt lgkmcnt(0)
	v_mul_f64 v[1:2], v[1:2], v[57:58]
	scratch_store_b64 off, v[1:2], off offset:56
.LBB24_39:
	s_or_b32 exec_lo, exec_lo, s0
	s_waitcnt_vscnt null, 0x0
	s_barrier
	buffer_gl0_inv
	scratch_load_b64 v[1:2], off, off offset:64
	s_mov_b32 s0, exec_lo
	s_waitcnt vmcnt(0)
	ds_store_b64 v55, v[1:2]
	s_waitcnt lgkmcnt(0)
	s_barrier
	buffer_gl0_inv
	v_cmpx_gt_u32_e32 8, v0
	s_cbranch_execz .LBB24_43
; %bb.40:
	v_dual_mov_b32 v1, 0 :: v_dual_add_nc_u32 v58, 0xd0, v3
	v_dual_mov_b32 v2, 0 :: v_dual_add_nc_u32 v57, -1, v0
	v_add_nc_u32_e32 v59, 0, v3
	s_mov_b32 s1, 0
.LBB24_41:                              ; =>This Inner Loop Header: Depth=1
	scratch_load_b64 v[60:61], v59, off
	ds_load_b64 v[62:63], v58
	v_add_nc_u32_e32 v57, 1, v57
	v_add_nc_u32_e32 v58, 8, v58
	v_add_nc_u32_e32 v59, 8, v59
	s_delay_alu instid0(VALU_DEP_3)
	v_cmp_lt_u32_e32 vcc_lo, 6, v57
	s_or_b32 s1, vcc_lo, s1
	s_waitcnt vmcnt(0) lgkmcnt(0)
	v_fma_f64 v[1:2], v[60:61], v[62:63], v[1:2]
	s_and_not1_b32 exec_lo, exec_lo, s1
	s_cbranch_execnz .LBB24_41
; %bb.42:
	s_or_b32 exec_lo, exec_lo, s1
	v_mov_b32_e32 v57, 0
	ds_load_b64 v[57:58], v57 offset:64
	s_waitcnt lgkmcnt(0)
	v_mul_f64 v[1:2], v[1:2], v[57:58]
	scratch_store_b64 off, v[1:2], off offset:64
.LBB24_43:
	s_or_b32 exec_lo, exec_lo, s0
	s_waitcnt_vscnt null, 0x0
	s_barrier
	buffer_gl0_inv
	scratch_load_b64 v[1:2], off, off offset:72
	s_mov_b32 s0, exec_lo
	s_waitcnt vmcnt(0)
	ds_store_b64 v55, v[1:2]
	s_waitcnt lgkmcnt(0)
	s_barrier
	buffer_gl0_inv
	v_cmpx_gt_u32_e32 9, v0
	s_cbranch_execz .LBB24_47
; %bb.44:
	v_dual_mov_b32 v1, 0 :: v_dual_add_nc_u32 v58, 0xd0, v3
	v_dual_mov_b32 v2, 0 :: v_dual_add_nc_u32 v57, -1, v0
	v_add_nc_u32_e32 v59, 0, v3
	s_mov_b32 s1, 0
.LBB24_45:                              ; =>This Inner Loop Header: Depth=1
	scratch_load_b64 v[60:61], v59, off
	ds_load_b64 v[62:63], v58
	v_add_nc_u32_e32 v57, 1, v57
	v_add_nc_u32_e32 v58, 8, v58
	v_add_nc_u32_e32 v59, 8, v59
	s_delay_alu instid0(VALU_DEP_3)
	v_cmp_lt_u32_e32 vcc_lo, 7, v57
	s_or_b32 s1, vcc_lo, s1
	s_waitcnt vmcnt(0) lgkmcnt(0)
	v_fma_f64 v[1:2], v[60:61], v[62:63], v[1:2]
	s_and_not1_b32 exec_lo, exec_lo, s1
	s_cbranch_execnz .LBB24_45
; %bb.46:
	s_or_b32 exec_lo, exec_lo, s1
	v_mov_b32_e32 v57, 0
	ds_load_b64 v[57:58], v57 offset:72
	s_waitcnt lgkmcnt(0)
	v_mul_f64 v[1:2], v[1:2], v[57:58]
	scratch_store_b64 off, v[1:2], off offset:72
.LBB24_47:
	s_or_b32 exec_lo, exec_lo, s0
	s_waitcnt_vscnt null, 0x0
	s_barrier
	buffer_gl0_inv
	scratch_load_b64 v[1:2], off, off offset:80
	s_mov_b32 s0, exec_lo
	s_waitcnt vmcnt(0)
	ds_store_b64 v55, v[1:2]
	s_waitcnt lgkmcnt(0)
	s_barrier
	buffer_gl0_inv
	v_cmpx_gt_u32_e32 10, v0
	s_cbranch_execz .LBB24_51
; %bb.48:
	v_dual_mov_b32 v1, 0 :: v_dual_add_nc_u32 v58, 0xd0, v3
	v_dual_mov_b32 v2, 0 :: v_dual_add_nc_u32 v57, -1, v0
	v_add_nc_u32_e32 v59, 0, v3
	s_mov_b32 s1, 0
.LBB24_49:                              ; =>This Inner Loop Header: Depth=1
	scratch_load_b64 v[60:61], v59, off
	ds_load_b64 v[62:63], v58
	v_add_nc_u32_e32 v57, 1, v57
	v_add_nc_u32_e32 v58, 8, v58
	v_add_nc_u32_e32 v59, 8, v59
	s_delay_alu instid0(VALU_DEP_3)
	v_cmp_lt_u32_e32 vcc_lo, 8, v57
	s_or_b32 s1, vcc_lo, s1
	s_waitcnt vmcnt(0) lgkmcnt(0)
	v_fma_f64 v[1:2], v[60:61], v[62:63], v[1:2]
	s_and_not1_b32 exec_lo, exec_lo, s1
	s_cbranch_execnz .LBB24_49
; %bb.50:
	s_or_b32 exec_lo, exec_lo, s1
	v_mov_b32_e32 v57, 0
	ds_load_b64 v[57:58], v57 offset:80
	s_waitcnt lgkmcnt(0)
	v_mul_f64 v[1:2], v[1:2], v[57:58]
	scratch_store_b64 off, v[1:2], off offset:80
.LBB24_51:
	s_or_b32 exec_lo, exec_lo, s0
	s_waitcnt_vscnt null, 0x0
	s_barrier
	buffer_gl0_inv
	scratch_load_b64 v[1:2], off, off offset:88
	s_mov_b32 s0, exec_lo
	s_waitcnt vmcnt(0)
	ds_store_b64 v55, v[1:2]
	s_waitcnt lgkmcnt(0)
	s_barrier
	buffer_gl0_inv
	v_cmpx_gt_u32_e32 11, v0
	s_cbranch_execz .LBB24_55
; %bb.52:
	v_dual_mov_b32 v1, 0 :: v_dual_add_nc_u32 v58, 0xd0, v3
	v_dual_mov_b32 v2, 0 :: v_dual_add_nc_u32 v57, -1, v0
	v_add_nc_u32_e32 v59, 0, v3
	s_mov_b32 s1, 0
.LBB24_53:                              ; =>This Inner Loop Header: Depth=1
	scratch_load_b64 v[60:61], v59, off
	ds_load_b64 v[62:63], v58
	v_add_nc_u32_e32 v57, 1, v57
	v_add_nc_u32_e32 v58, 8, v58
	v_add_nc_u32_e32 v59, 8, v59
	s_delay_alu instid0(VALU_DEP_3)
	v_cmp_lt_u32_e32 vcc_lo, 9, v57
	s_or_b32 s1, vcc_lo, s1
	s_waitcnt vmcnt(0) lgkmcnt(0)
	v_fma_f64 v[1:2], v[60:61], v[62:63], v[1:2]
	s_and_not1_b32 exec_lo, exec_lo, s1
	s_cbranch_execnz .LBB24_53
; %bb.54:
	s_or_b32 exec_lo, exec_lo, s1
	v_mov_b32_e32 v57, 0
	ds_load_b64 v[57:58], v57 offset:88
	s_waitcnt lgkmcnt(0)
	v_mul_f64 v[1:2], v[1:2], v[57:58]
	scratch_store_b64 off, v[1:2], off offset:88
.LBB24_55:
	s_or_b32 exec_lo, exec_lo, s0
	s_waitcnt_vscnt null, 0x0
	s_barrier
	buffer_gl0_inv
	scratch_load_b64 v[1:2], off, off offset:96
	s_mov_b32 s0, exec_lo
	s_waitcnt vmcnt(0)
	ds_store_b64 v55, v[1:2]
	s_waitcnt lgkmcnt(0)
	s_barrier
	buffer_gl0_inv
	v_cmpx_gt_u32_e32 12, v0
	s_cbranch_execz .LBB24_59
; %bb.56:
	v_dual_mov_b32 v1, 0 :: v_dual_add_nc_u32 v58, 0xd0, v3
	v_dual_mov_b32 v2, 0 :: v_dual_add_nc_u32 v57, -1, v0
	v_add_nc_u32_e32 v59, 0, v3
	s_mov_b32 s1, 0
.LBB24_57:                              ; =>This Inner Loop Header: Depth=1
	scratch_load_b64 v[60:61], v59, off
	ds_load_b64 v[62:63], v58
	v_add_nc_u32_e32 v57, 1, v57
	v_add_nc_u32_e32 v58, 8, v58
	v_add_nc_u32_e32 v59, 8, v59
	s_delay_alu instid0(VALU_DEP_3)
	v_cmp_lt_u32_e32 vcc_lo, 10, v57
	s_or_b32 s1, vcc_lo, s1
	s_waitcnt vmcnt(0) lgkmcnt(0)
	v_fma_f64 v[1:2], v[60:61], v[62:63], v[1:2]
	s_and_not1_b32 exec_lo, exec_lo, s1
	s_cbranch_execnz .LBB24_57
; %bb.58:
	s_or_b32 exec_lo, exec_lo, s1
	v_mov_b32_e32 v57, 0
	ds_load_b64 v[57:58], v57 offset:96
	s_waitcnt lgkmcnt(0)
	v_mul_f64 v[1:2], v[1:2], v[57:58]
	scratch_store_b64 off, v[1:2], off offset:96
.LBB24_59:
	s_or_b32 exec_lo, exec_lo, s0
	s_waitcnt_vscnt null, 0x0
	s_barrier
	buffer_gl0_inv
	scratch_load_b64 v[1:2], off, off offset:104
	s_mov_b32 s0, exec_lo
	s_waitcnt vmcnt(0)
	ds_store_b64 v55, v[1:2]
	s_waitcnt lgkmcnt(0)
	s_barrier
	buffer_gl0_inv
	v_cmpx_gt_u32_e32 13, v0
	s_cbranch_execz .LBB24_63
; %bb.60:
	v_dual_mov_b32 v1, 0 :: v_dual_add_nc_u32 v58, 0xd0, v3
	v_dual_mov_b32 v2, 0 :: v_dual_add_nc_u32 v57, -1, v0
	v_add_nc_u32_e32 v59, 0, v3
	s_mov_b32 s1, 0
.LBB24_61:                              ; =>This Inner Loop Header: Depth=1
	scratch_load_b64 v[60:61], v59, off
	ds_load_b64 v[62:63], v58
	v_add_nc_u32_e32 v57, 1, v57
	v_add_nc_u32_e32 v58, 8, v58
	v_add_nc_u32_e32 v59, 8, v59
	s_delay_alu instid0(VALU_DEP_3)
	v_cmp_lt_u32_e32 vcc_lo, 11, v57
	s_or_b32 s1, vcc_lo, s1
	s_waitcnt vmcnt(0) lgkmcnt(0)
	v_fma_f64 v[1:2], v[60:61], v[62:63], v[1:2]
	s_and_not1_b32 exec_lo, exec_lo, s1
	s_cbranch_execnz .LBB24_61
; %bb.62:
	s_or_b32 exec_lo, exec_lo, s1
	v_mov_b32_e32 v57, 0
	ds_load_b64 v[57:58], v57 offset:104
	s_waitcnt lgkmcnt(0)
	v_mul_f64 v[1:2], v[1:2], v[57:58]
	scratch_store_b64 off, v[1:2], off offset:104
.LBB24_63:
	s_or_b32 exec_lo, exec_lo, s0
	s_waitcnt_vscnt null, 0x0
	s_barrier
	buffer_gl0_inv
	scratch_load_b64 v[1:2], off, off offset:112
	s_mov_b32 s0, exec_lo
	s_waitcnt vmcnt(0)
	ds_store_b64 v55, v[1:2]
	s_waitcnt lgkmcnt(0)
	s_barrier
	buffer_gl0_inv
	v_cmpx_gt_u32_e32 14, v0
	s_cbranch_execz .LBB24_67
; %bb.64:
	v_dual_mov_b32 v1, 0 :: v_dual_add_nc_u32 v58, 0xd0, v3
	v_dual_mov_b32 v2, 0 :: v_dual_add_nc_u32 v57, -1, v0
	v_add_nc_u32_e32 v59, 0, v3
	s_mov_b32 s1, 0
.LBB24_65:                              ; =>This Inner Loop Header: Depth=1
	scratch_load_b64 v[60:61], v59, off
	ds_load_b64 v[62:63], v58
	v_add_nc_u32_e32 v57, 1, v57
	v_add_nc_u32_e32 v58, 8, v58
	v_add_nc_u32_e32 v59, 8, v59
	s_delay_alu instid0(VALU_DEP_3)
	v_cmp_lt_u32_e32 vcc_lo, 12, v57
	s_or_b32 s1, vcc_lo, s1
	s_waitcnt vmcnt(0) lgkmcnt(0)
	v_fma_f64 v[1:2], v[60:61], v[62:63], v[1:2]
	s_and_not1_b32 exec_lo, exec_lo, s1
	s_cbranch_execnz .LBB24_65
; %bb.66:
	s_or_b32 exec_lo, exec_lo, s1
	v_mov_b32_e32 v57, 0
	ds_load_b64 v[57:58], v57 offset:112
	s_waitcnt lgkmcnt(0)
	v_mul_f64 v[1:2], v[1:2], v[57:58]
	scratch_store_b64 off, v[1:2], off offset:112
.LBB24_67:
	s_or_b32 exec_lo, exec_lo, s0
	s_waitcnt_vscnt null, 0x0
	s_barrier
	buffer_gl0_inv
	scratch_load_b64 v[1:2], off, off offset:120
	s_mov_b32 s0, exec_lo
	s_waitcnt vmcnt(0)
	ds_store_b64 v55, v[1:2]
	s_waitcnt lgkmcnt(0)
	s_barrier
	buffer_gl0_inv
	v_cmpx_gt_u32_e32 15, v0
	s_cbranch_execz .LBB24_71
; %bb.68:
	v_dual_mov_b32 v1, 0 :: v_dual_add_nc_u32 v58, 0xd0, v3
	v_dual_mov_b32 v2, 0 :: v_dual_add_nc_u32 v57, -1, v0
	v_add_nc_u32_e32 v59, 0, v3
	s_mov_b32 s1, 0
.LBB24_69:                              ; =>This Inner Loop Header: Depth=1
	scratch_load_b64 v[60:61], v59, off
	ds_load_b64 v[62:63], v58
	v_add_nc_u32_e32 v57, 1, v57
	v_add_nc_u32_e32 v58, 8, v58
	v_add_nc_u32_e32 v59, 8, v59
	s_delay_alu instid0(VALU_DEP_3)
	v_cmp_lt_u32_e32 vcc_lo, 13, v57
	s_or_b32 s1, vcc_lo, s1
	s_waitcnt vmcnt(0) lgkmcnt(0)
	v_fma_f64 v[1:2], v[60:61], v[62:63], v[1:2]
	s_and_not1_b32 exec_lo, exec_lo, s1
	s_cbranch_execnz .LBB24_69
; %bb.70:
	s_or_b32 exec_lo, exec_lo, s1
	v_mov_b32_e32 v57, 0
	ds_load_b64 v[57:58], v57 offset:120
	s_waitcnt lgkmcnt(0)
	v_mul_f64 v[1:2], v[1:2], v[57:58]
	scratch_store_b64 off, v[1:2], off offset:120
.LBB24_71:
	s_or_b32 exec_lo, exec_lo, s0
	s_waitcnt_vscnt null, 0x0
	s_barrier
	buffer_gl0_inv
	scratch_load_b64 v[1:2], off, off offset:128
	s_mov_b32 s0, exec_lo
	s_waitcnt vmcnt(0)
	ds_store_b64 v55, v[1:2]
	s_waitcnt lgkmcnt(0)
	s_barrier
	buffer_gl0_inv
	v_cmpx_gt_u32_e32 16, v0
	s_cbranch_execz .LBB24_75
; %bb.72:
	v_dual_mov_b32 v1, 0 :: v_dual_add_nc_u32 v58, 0xd0, v3
	v_dual_mov_b32 v2, 0 :: v_dual_add_nc_u32 v57, -1, v0
	v_add_nc_u32_e32 v59, 0, v3
	s_mov_b32 s1, 0
.LBB24_73:                              ; =>This Inner Loop Header: Depth=1
	scratch_load_b64 v[60:61], v59, off
	ds_load_b64 v[62:63], v58
	v_add_nc_u32_e32 v57, 1, v57
	v_add_nc_u32_e32 v58, 8, v58
	v_add_nc_u32_e32 v59, 8, v59
	s_delay_alu instid0(VALU_DEP_3)
	v_cmp_lt_u32_e32 vcc_lo, 14, v57
	s_or_b32 s1, vcc_lo, s1
	s_waitcnt vmcnt(0) lgkmcnt(0)
	v_fma_f64 v[1:2], v[60:61], v[62:63], v[1:2]
	s_and_not1_b32 exec_lo, exec_lo, s1
	s_cbranch_execnz .LBB24_73
; %bb.74:
	s_or_b32 exec_lo, exec_lo, s1
	v_mov_b32_e32 v57, 0
	ds_load_b64 v[57:58], v57 offset:128
	s_waitcnt lgkmcnt(0)
	v_mul_f64 v[1:2], v[1:2], v[57:58]
	scratch_store_b64 off, v[1:2], off offset:128
.LBB24_75:
	s_or_b32 exec_lo, exec_lo, s0
	s_waitcnt_vscnt null, 0x0
	s_barrier
	buffer_gl0_inv
	scratch_load_b64 v[1:2], off, off offset:136
	s_mov_b32 s0, exec_lo
	s_waitcnt vmcnt(0)
	ds_store_b64 v55, v[1:2]
	s_waitcnt lgkmcnt(0)
	s_barrier
	buffer_gl0_inv
	v_cmpx_gt_u32_e32 17, v0
	s_cbranch_execz .LBB24_79
; %bb.76:
	v_dual_mov_b32 v1, 0 :: v_dual_add_nc_u32 v58, 0xd0, v3
	v_dual_mov_b32 v2, 0 :: v_dual_add_nc_u32 v57, -1, v0
	v_add_nc_u32_e32 v59, 0, v3
	s_mov_b32 s1, 0
.LBB24_77:                              ; =>This Inner Loop Header: Depth=1
	scratch_load_b64 v[60:61], v59, off
	ds_load_b64 v[62:63], v58
	v_add_nc_u32_e32 v57, 1, v57
	v_add_nc_u32_e32 v58, 8, v58
	v_add_nc_u32_e32 v59, 8, v59
	s_delay_alu instid0(VALU_DEP_3)
	v_cmp_lt_u32_e32 vcc_lo, 15, v57
	s_or_b32 s1, vcc_lo, s1
	s_waitcnt vmcnt(0) lgkmcnt(0)
	v_fma_f64 v[1:2], v[60:61], v[62:63], v[1:2]
	s_and_not1_b32 exec_lo, exec_lo, s1
	s_cbranch_execnz .LBB24_77
; %bb.78:
	s_or_b32 exec_lo, exec_lo, s1
	v_mov_b32_e32 v57, 0
	ds_load_b64 v[57:58], v57 offset:136
	s_waitcnt lgkmcnt(0)
	v_mul_f64 v[1:2], v[1:2], v[57:58]
	scratch_store_b64 off, v[1:2], off offset:136
.LBB24_79:
	s_or_b32 exec_lo, exec_lo, s0
	s_waitcnt_vscnt null, 0x0
	s_barrier
	buffer_gl0_inv
	scratch_load_b64 v[1:2], off, off offset:144
	s_mov_b32 s0, exec_lo
	s_waitcnt vmcnt(0)
	ds_store_b64 v55, v[1:2]
	s_waitcnt lgkmcnt(0)
	s_barrier
	buffer_gl0_inv
	v_cmpx_gt_u32_e32 18, v0
	s_cbranch_execz .LBB24_83
; %bb.80:
	v_dual_mov_b32 v1, 0 :: v_dual_add_nc_u32 v58, 0xd0, v3
	v_dual_mov_b32 v2, 0 :: v_dual_add_nc_u32 v57, -1, v0
	v_add_nc_u32_e32 v59, 0, v3
	s_mov_b32 s1, 0
.LBB24_81:                              ; =>This Inner Loop Header: Depth=1
	scratch_load_b64 v[60:61], v59, off
	ds_load_b64 v[62:63], v58
	v_add_nc_u32_e32 v57, 1, v57
	v_add_nc_u32_e32 v58, 8, v58
	v_add_nc_u32_e32 v59, 8, v59
	s_delay_alu instid0(VALU_DEP_3)
	v_cmp_lt_u32_e32 vcc_lo, 16, v57
	s_or_b32 s1, vcc_lo, s1
	s_waitcnt vmcnt(0) lgkmcnt(0)
	v_fma_f64 v[1:2], v[60:61], v[62:63], v[1:2]
	s_and_not1_b32 exec_lo, exec_lo, s1
	s_cbranch_execnz .LBB24_81
; %bb.82:
	s_or_b32 exec_lo, exec_lo, s1
	v_mov_b32_e32 v57, 0
	ds_load_b64 v[57:58], v57 offset:144
	s_waitcnt lgkmcnt(0)
	v_mul_f64 v[1:2], v[1:2], v[57:58]
	scratch_store_b64 off, v[1:2], off offset:144
.LBB24_83:
	s_or_b32 exec_lo, exec_lo, s0
	s_waitcnt_vscnt null, 0x0
	s_barrier
	buffer_gl0_inv
	scratch_load_b64 v[1:2], off, off offset:152
	s_mov_b32 s0, exec_lo
	s_waitcnt vmcnt(0)
	ds_store_b64 v55, v[1:2]
	s_waitcnt lgkmcnt(0)
	s_barrier
	buffer_gl0_inv
	v_cmpx_gt_u32_e32 19, v0
	s_cbranch_execz .LBB24_87
; %bb.84:
	v_dual_mov_b32 v1, 0 :: v_dual_add_nc_u32 v58, 0xd0, v3
	v_dual_mov_b32 v2, 0 :: v_dual_add_nc_u32 v57, -1, v0
	v_add_nc_u32_e32 v59, 0, v3
	s_mov_b32 s1, 0
.LBB24_85:                              ; =>This Inner Loop Header: Depth=1
	scratch_load_b64 v[60:61], v59, off
	ds_load_b64 v[62:63], v58
	v_add_nc_u32_e32 v57, 1, v57
	v_add_nc_u32_e32 v58, 8, v58
	v_add_nc_u32_e32 v59, 8, v59
	s_delay_alu instid0(VALU_DEP_3)
	v_cmp_lt_u32_e32 vcc_lo, 17, v57
	s_or_b32 s1, vcc_lo, s1
	s_waitcnt vmcnt(0) lgkmcnt(0)
	v_fma_f64 v[1:2], v[60:61], v[62:63], v[1:2]
	s_and_not1_b32 exec_lo, exec_lo, s1
	s_cbranch_execnz .LBB24_85
; %bb.86:
	s_or_b32 exec_lo, exec_lo, s1
	v_mov_b32_e32 v57, 0
	ds_load_b64 v[57:58], v57 offset:152
	s_waitcnt lgkmcnt(0)
	v_mul_f64 v[1:2], v[1:2], v[57:58]
	scratch_store_b64 off, v[1:2], off offset:152
.LBB24_87:
	s_or_b32 exec_lo, exec_lo, s0
	s_waitcnt_vscnt null, 0x0
	s_barrier
	buffer_gl0_inv
	scratch_load_b64 v[1:2], off, off offset:160
	s_mov_b32 s0, exec_lo
	s_waitcnt vmcnt(0)
	ds_store_b64 v55, v[1:2]
	s_waitcnt lgkmcnt(0)
	s_barrier
	buffer_gl0_inv
	v_cmpx_gt_u32_e32 20, v0
	s_cbranch_execz .LBB24_91
; %bb.88:
	v_dual_mov_b32 v1, 0 :: v_dual_add_nc_u32 v58, 0xd0, v3
	v_dual_mov_b32 v2, 0 :: v_dual_add_nc_u32 v57, -1, v0
	v_add_nc_u32_e32 v59, 0, v3
	s_mov_b32 s1, 0
.LBB24_89:                              ; =>This Inner Loop Header: Depth=1
	scratch_load_b64 v[60:61], v59, off
	ds_load_b64 v[62:63], v58
	v_add_nc_u32_e32 v57, 1, v57
	v_add_nc_u32_e32 v58, 8, v58
	v_add_nc_u32_e32 v59, 8, v59
	s_delay_alu instid0(VALU_DEP_3)
	v_cmp_lt_u32_e32 vcc_lo, 18, v57
	s_or_b32 s1, vcc_lo, s1
	s_waitcnt vmcnt(0) lgkmcnt(0)
	v_fma_f64 v[1:2], v[60:61], v[62:63], v[1:2]
	s_and_not1_b32 exec_lo, exec_lo, s1
	s_cbranch_execnz .LBB24_89
; %bb.90:
	s_or_b32 exec_lo, exec_lo, s1
	v_mov_b32_e32 v57, 0
	ds_load_b64 v[57:58], v57 offset:160
	s_waitcnt lgkmcnt(0)
	v_mul_f64 v[1:2], v[1:2], v[57:58]
	scratch_store_b64 off, v[1:2], off offset:160
.LBB24_91:
	s_or_b32 exec_lo, exec_lo, s0
	s_waitcnt_vscnt null, 0x0
	s_barrier
	buffer_gl0_inv
	scratch_load_b64 v[1:2], off, off offset:168
	s_mov_b32 s0, exec_lo
	s_waitcnt vmcnt(0)
	ds_store_b64 v55, v[1:2]
	s_waitcnt lgkmcnt(0)
	s_barrier
	buffer_gl0_inv
	v_cmpx_gt_u32_e32 21, v0
	s_cbranch_execz .LBB24_95
; %bb.92:
	v_dual_mov_b32 v1, 0 :: v_dual_add_nc_u32 v58, 0xd0, v3
	v_dual_mov_b32 v2, 0 :: v_dual_add_nc_u32 v57, -1, v0
	v_add_nc_u32_e32 v59, 0, v3
	s_mov_b32 s1, 0
.LBB24_93:                              ; =>This Inner Loop Header: Depth=1
	scratch_load_b64 v[60:61], v59, off
	ds_load_b64 v[62:63], v58
	v_add_nc_u32_e32 v57, 1, v57
	v_add_nc_u32_e32 v58, 8, v58
	v_add_nc_u32_e32 v59, 8, v59
	s_delay_alu instid0(VALU_DEP_3)
	v_cmp_lt_u32_e32 vcc_lo, 19, v57
	s_or_b32 s1, vcc_lo, s1
	s_waitcnt vmcnt(0) lgkmcnt(0)
	v_fma_f64 v[1:2], v[60:61], v[62:63], v[1:2]
	s_and_not1_b32 exec_lo, exec_lo, s1
	s_cbranch_execnz .LBB24_93
; %bb.94:
	s_or_b32 exec_lo, exec_lo, s1
	v_mov_b32_e32 v57, 0
	ds_load_b64 v[57:58], v57 offset:168
	s_waitcnt lgkmcnt(0)
	v_mul_f64 v[1:2], v[1:2], v[57:58]
	scratch_store_b64 off, v[1:2], off offset:168
.LBB24_95:
	s_or_b32 exec_lo, exec_lo, s0
	s_waitcnt_vscnt null, 0x0
	s_barrier
	buffer_gl0_inv
	scratch_load_b64 v[1:2], off, off offset:176
	s_mov_b32 s0, exec_lo
	s_waitcnt vmcnt(0)
	ds_store_b64 v55, v[1:2]
	s_waitcnt lgkmcnt(0)
	s_barrier
	buffer_gl0_inv
	v_cmpx_gt_u32_e32 22, v0
	s_cbranch_execz .LBB24_99
; %bb.96:
	v_dual_mov_b32 v1, 0 :: v_dual_add_nc_u32 v58, 0xd0, v3
	v_dual_mov_b32 v2, 0 :: v_dual_add_nc_u32 v57, -1, v0
	v_add_nc_u32_e32 v59, 0, v3
	s_mov_b32 s1, 0
.LBB24_97:                              ; =>This Inner Loop Header: Depth=1
	scratch_load_b64 v[60:61], v59, off
	ds_load_b64 v[62:63], v58
	v_add_nc_u32_e32 v57, 1, v57
	v_add_nc_u32_e32 v58, 8, v58
	v_add_nc_u32_e32 v59, 8, v59
	s_delay_alu instid0(VALU_DEP_3)
	v_cmp_lt_u32_e32 vcc_lo, 20, v57
	s_or_b32 s1, vcc_lo, s1
	s_waitcnt vmcnt(0) lgkmcnt(0)
	v_fma_f64 v[1:2], v[60:61], v[62:63], v[1:2]
	s_and_not1_b32 exec_lo, exec_lo, s1
	s_cbranch_execnz .LBB24_97
; %bb.98:
	s_or_b32 exec_lo, exec_lo, s1
	v_mov_b32_e32 v57, 0
	ds_load_b64 v[57:58], v57 offset:176
	s_waitcnt lgkmcnt(0)
	v_mul_f64 v[1:2], v[1:2], v[57:58]
	scratch_store_b64 off, v[1:2], off offset:176
.LBB24_99:
	s_or_b32 exec_lo, exec_lo, s0
	s_waitcnt_vscnt null, 0x0
	s_barrier
	buffer_gl0_inv
	scratch_load_b64 v[1:2], off, off offset:184
	s_mov_b32 s0, exec_lo
	s_waitcnt vmcnt(0)
	ds_store_b64 v55, v[1:2]
	s_waitcnt lgkmcnt(0)
	s_barrier
	buffer_gl0_inv
	v_cmpx_gt_u32_e32 23, v0
	s_cbranch_execz .LBB24_103
; %bb.100:
	v_dual_mov_b32 v1, 0 :: v_dual_add_nc_u32 v58, 0xd0, v3
	v_dual_mov_b32 v2, 0 :: v_dual_add_nc_u32 v57, -1, v0
	v_add_nc_u32_e32 v3, 0, v3
	s_mov_b32 s1, 0
.LBB24_101:                             ; =>This Inner Loop Header: Depth=1
	scratch_load_b64 v[59:60], v3, off
	ds_load_b64 v[61:62], v58
	v_add_nc_u32_e32 v57, 1, v57
	v_add_nc_u32_e32 v58, 8, v58
	;; [unrolled: 1-line block ×3, first 2 shown]
	s_delay_alu instid0(VALU_DEP_3)
	v_cmp_lt_u32_e32 vcc_lo, 21, v57
	s_or_b32 s1, vcc_lo, s1
	s_waitcnt vmcnt(0) lgkmcnt(0)
	v_fma_f64 v[1:2], v[59:60], v[61:62], v[1:2]
	s_and_not1_b32 exec_lo, exec_lo, s1
	s_cbranch_execnz .LBB24_101
; %bb.102:
	s_or_b32 exec_lo, exec_lo, s1
	v_mov_b32_e32 v3, 0
	ds_load_b64 v[57:58], v3 offset:184
	s_waitcnt lgkmcnt(0)
	v_mul_f64 v[1:2], v[1:2], v[57:58]
	scratch_store_b64 off, v[1:2], off offset:184
.LBB24_103:
	s_or_b32 exec_lo, exec_lo, s0
	s_waitcnt_vscnt null, 0x0
	s_barrier
	buffer_gl0_inv
	scratch_load_b64 v[1:2], off, off offset:192
	s_mov_b32 s0, exec_lo
	s_waitcnt vmcnt(0)
	ds_store_b64 v55, v[1:2]
	s_waitcnt lgkmcnt(0)
	s_barrier
	buffer_gl0_inv
	v_cmpx_ne_u32_e32 24, v0
	s_cbranch_execz .LBB24_107
; %bb.104:
	v_mov_b32_e32 v1, 0
	v_mov_b32_e32 v2, 0
	s_mov_b32 s1, 0
.LBB24_105:                             ; =>This Inner Loop Header: Depth=1
	scratch_load_b64 v[57:58], v54, off
	ds_load_b64 v[59:60], v55
	v_add_nc_u32_e32 v56, 1, v56
	v_add_nc_u32_e32 v55, 8, v55
	;; [unrolled: 1-line block ×3, first 2 shown]
	s_delay_alu instid0(VALU_DEP_3)
	v_cmp_lt_u32_e32 vcc_lo, 22, v56
	s_or_b32 s1, vcc_lo, s1
	s_waitcnt vmcnt(0) lgkmcnt(0)
	v_fma_f64 v[1:2], v[57:58], v[59:60], v[1:2]
	s_and_not1_b32 exec_lo, exec_lo, s1
	s_cbranch_execnz .LBB24_105
; %bb.106:
	s_or_b32 exec_lo, exec_lo, s1
	v_mov_b32_e32 v3, 0
	ds_load_b64 v[54:55], v3 offset:192
	s_waitcnt lgkmcnt(0)
	v_mul_f64 v[1:2], v[1:2], v[54:55]
	scratch_store_b64 off, v[1:2], off offset:192
.LBB24_107:
	s_or_b32 exec_lo, exec_lo, s0
	s_mov_b32 s1, -1
	s_waitcnt_vscnt null, 0x0
	s_barrier
	buffer_gl0_inv
.LBB24_108:
	s_and_b32 vcc_lo, exec_lo, s1
	s_cbranch_vccz .LBB24_110
; %bb.109:
	s_lshl_b64 s[0:1], s[14:15], 2
	v_mov_b32_e32 v1, 0
	s_add_u32 s0, s6, s0
	s_addc_u32 s1, s7, s1
	global_load_b32 v1, v1, s[0:1]
	s_waitcnt vmcnt(0)
	v_cmp_ne_u32_e32 vcc_lo, 0, v1
	s_cbranch_vccz .LBB24_111
.LBB24_110:
	s_endpgm
.LBB24_111:
	v_lshl_add_u32 v3, v0, 3, 0xd0
	s_mov_b32 s0, exec_lo
	v_cmpx_eq_u32_e32 24, v0
	s_cbranch_execz .LBB24_113
; %bb.112:
	scratch_load_b64 v[1:2], off, off offset:184
	v_mov_b32_e32 v54, 0
	s_delay_alu instid0(VALU_DEP_1)
	v_mov_b32_e32 v55, v54
	scratch_store_b64 off, v[54:55], off offset:184
	s_waitcnt vmcnt(0)
	ds_store_b64 v3, v[1:2]
.LBB24_113:
	s_or_b32 exec_lo, exec_lo, s0
	s_waitcnt lgkmcnt(0)
	s_waitcnt_vscnt null, 0x0
	s_barrier
	buffer_gl0_inv
	scratch_load_b128 v[54:57], off, off offset:184
	v_mov_b32_e32 v1, 0
	s_mov_b32 s0, exec_lo
	ds_load_b64 v[58:59], v1 offset:400
	s_waitcnt vmcnt(0) lgkmcnt(0)
	v_fma_f64 v[56:57], v[56:57], v[58:59], 0
	s_delay_alu instid0(VALU_DEP_1)
	v_add_f64 v[54:55], v[54:55], -v[56:57]
	scratch_store_b64 off, v[54:55], off offset:184
	v_cmpx_lt_u32_e32 22, v0
	s_cbranch_execz .LBB24_115
; %bb.114:
	scratch_load_b64 v[54:55], off, off offset:176
	v_mov_b32_e32 v2, v1
	scratch_store_b64 off, v[1:2], off offset:176
	s_waitcnt vmcnt(0)
	ds_store_b64 v3, v[54:55]
.LBB24_115:
	s_or_b32 exec_lo, exec_lo, s0
	s_waitcnt lgkmcnt(0)
	s_waitcnt_vscnt null, 0x0
	s_barrier
	buffer_gl0_inv
	s_clause 0x1
	scratch_load_b128 v[54:57], off, off offset:176
	scratch_load_b64 v[62:63], off, off offset:192
	ds_load_2addr_b64 v[58:61], v1 offset0:49 offset1:50
	s_mov_b32 s0, exec_lo
	s_waitcnt vmcnt(1) lgkmcnt(0)
	v_fma_f64 v[1:2], v[56:57], v[58:59], 0
	s_waitcnt vmcnt(0)
	s_delay_alu instid0(VALU_DEP_1) | instskip(NEXT) | instid1(VALU_DEP_1)
	v_fma_f64 v[1:2], v[62:63], v[60:61], v[1:2]
	v_add_f64 v[1:2], v[54:55], -v[1:2]
	scratch_store_b64 off, v[1:2], off offset:176
	v_cmpx_lt_u32_e32 21, v0
	s_cbranch_execz .LBB24_117
; %bb.116:
	scratch_load_b64 v[1:2], off, off offset:168
	v_mov_b32_e32 v54, 0
	s_delay_alu instid0(VALU_DEP_1)
	v_mov_b32_e32 v55, v54
	scratch_store_b64 off, v[54:55], off offset:168
	s_waitcnt vmcnt(0)
	ds_store_b64 v3, v[1:2]
.LBB24_117:
	s_or_b32 exec_lo, exec_lo, s0
	s_waitcnt lgkmcnt(0)
	s_waitcnt_vscnt null, 0x0
	s_barrier
	buffer_gl0_inv
	s_clause 0x1
	scratch_load_b128 v[54:57], off, off offset:168
	scratch_load_b128 v[58:61], off, off offset:184
	v_mov_b32_e32 v1, 0
	ds_load_b128 v[62:65], v1 offset:384
	ds_load_b64 v[66:67], v1 offset:400
	s_mov_b32 s0, exec_lo
	s_waitcnt vmcnt(1) lgkmcnt(1)
	v_fma_f64 v[56:57], v[56:57], v[62:63], 0
	s_waitcnt vmcnt(0)
	s_delay_alu instid0(VALU_DEP_1) | instskip(SKIP_1) | instid1(VALU_DEP_1)
	v_fma_f64 v[56:57], v[58:59], v[64:65], v[56:57]
	s_waitcnt lgkmcnt(0)
	v_fma_f64 v[56:57], v[60:61], v[66:67], v[56:57]
	s_delay_alu instid0(VALU_DEP_1)
	v_add_f64 v[54:55], v[54:55], -v[56:57]
	scratch_store_b64 off, v[54:55], off offset:168
	v_cmpx_lt_u32_e32 20, v0
	s_cbranch_execz .LBB24_119
; %bb.118:
	scratch_load_b64 v[54:55], off, off offset:160
	v_mov_b32_e32 v2, v1
	scratch_store_b64 off, v[1:2], off offset:160
	s_waitcnt vmcnt(0)
	ds_store_b64 v3, v[54:55]
.LBB24_119:
	s_or_b32 exec_lo, exec_lo, s0
	s_waitcnt lgkmcnt(0)
	s_waitcnt_vscnt null, 0x0
	s_barrier
	buffer_gl0_inv
	s_clause 0x2
	scratch_load_b128 v[54:57], off, off offset:160
	scratch_load_b128 v[58:61], off, off offset:176
	scratch_load_b64 v[70:71], off, off offset:192
	ds_load_2addr_b64 v[62:65], v1 offset0:47 offset1:48
	ds_load_2addr_b64 v[66:69], v1 offset0:49 offset1:50
	s_mov_b32 s0, exec_lo
	s_waitcnt vmcnt(2) lgkmcnt(1)
	v_fma_f64 v[1:2], v[56:57], v[62:63], 0
	s_waitcnt vmcnt(1)
	s_delay_alu instid0(VALU_DEP_1) | instskip(SKIP_1) | instid1(VALU_DEP_1)
	v_fma_f64 v[1:2], v[58:59], v[64:65], v[1:2]
	s_waitcnt lgkmcnt(0)
	v_fma_f64 v[1:2], v[60:61], v[66:67], v[1:2]
	s_waitcnt vmcnt(0)
	s_delay_alu instid0(VALU_DEP_1) | instskip(NEXT) | instid1(VALU_DEP_1)
	v_fma_f64 v[1:2], v[70:71], v[68:69], v[1:2]
	v_add_f64 v[1:2], v[54:55], -v[1:2]
	scratch_store_b64 off, v[1:2], off offset:160
	v_cmpx_lt_u32_e32 19, v0
	s_cbranch_execz .LBB24_121
; %bb.120:
	scratch_load_b64 v[1:2], off, off offset:152
	v_mov_b32_e32 v54, 0
	s_delay_alu instid0(VALU_DEP_1)
	v_mov_b32_e32 v55, v54
	scratch_store_b64 off, v[54:55], off offset:152
	s_waitcnt vmcnt(0)
	ds_store_b64 v3, v[1:2]
.LBB24_121:
	s_or_b32 exec_lo, exec_lo, s0
	s_waitcnt lgkmcnt(0)
	s_waitcnt_vscnt null, 0x0
	s_barrier
	buffer_gl0_inv
	s_clause 0x2
	scratch_load_b128 v[54:57], off, off offset:152
	scratch_load_b128 v[58:61], off, off offset:168
	;; [unrolled: 1-line block ×3, first 2 shown]
	v_mov_b32_e32 v1, 0
	ds_load_b128 v[66:69], v1 offset:368
	ds_load_b128 v[70:73], v1 offset:384
	s_mov_b32 s0, exec_lo
	s_waitcnt vmcnt(2) lgkmcnt(1)
	v_fma_f64 v[56:57], v[56:57], v[66:67], 0
	s_waitcnt vmcnt(1)
	s_delay_alu instid0(VALU_DEP_1) | instskip(SKIP_4) | instid1(VALU_DEP_1)
	v_fma_f64 v[56:57], v[58:59], v[68:69], v[56:57]
	ds_load_b64 v[58:59], v1 offset:400
	s_waitcnt lgkmcnt(1)
	v_fma_f64 v[56:57], v[60:61], v[70:71], v[56:57]
	s_waitcnt vmcnt(0)
	v_fma_f64 v[56:57], v[62:63], v[72:73], v[56:57]
	s_waitcnt lgkmcnt(0)
	s_delay_alu instid0(VALU_DEP_1) | instskip(NEXT) | instid1(VALU_DEP_1)
	v_fma_f64 v[56:57], v[64:65], v[58:59], v[56:57]
	v_add_f64 v[54:55], v[54:55], -v[56:57]
	scratch_store_b64 off, v[54:55], off offset:152
	v_cmpx_lt_u32_e32 18, v0
	s_cbranch_execz .LBB24_123
; %bb.122:
	scratch_load_b64 v[54:55], off, off offset:144
	v_mov_b32_e32 v2, v1
	scratch_store_b64 off, v[1:2], off offset:144
	s_waitcnt vmcnt(0)
	ds_store_b64 v3, v[54:55]
.LBB24_123:
	s_or_b32 exec_lo, exec_lo, s0
	s_waitcnt lgkmcnt(0)
	s_waitcnt_vscnt null, 0x0
	s_barrier
	buffer_gl0_inv
	s_clause 0x3
	scratch_load_b128 v[54:57], off, off offset:144
	scratch_load_b128 v[58:61], off, off offset:160
	;; [unrolled: 1-line block ×3, first 2 shown]
	scratch_load_b64 v[74:75], off, off offset:192
	ds_load_2addr_b64 v[66:69], v1 offset0:45 offset1:46
	ds_load_2addr_b64 v[70:73], v1 offset0:47 offset1:48
	s_mov_b32 s0, exec_lo
	s_waitcnt vmcnt(3) lgkmcnt(1)
	v_fma_f64 v[56:57], v[56:57], v[66:67], 0
	s_waitcnt vmcnt(2)
	s_delay_alu instid0(VALU_DEP_1) | instskip(SKIP_1) | instid1(VALU_DEP_1)
	v_fma_f64 v[56:57], v[58:59], v[68:69], v[56:57]
	s_waitcnt lgkmcnt(0)
	v_fma_f64 v[56:57], v[60:61], v[70:71], v[56:57]
	s_waitcnt vmcnt(1)
	s_delay_alu instid0(VALU_DEP_1) | instskip(SKIP_4) | instid1(VALU_DEP_1)
	v_fma_f64 v[60:61], v[62:63], v[72:73], v[56:57]
	ds_load_2addr_b64 v[56:59], v1 offset0:49 offset1:50
	s_waitcnt lgkmcnt(0)
	v_fma_f64 v[1:2], v[64:65], v[56:57], v[60:61]
	s_waitcnt vmcnt(0)
	v_fma_f64 v[1:2], v[74:75], v[58:59], v[1:2]
	s_delay_alu instid0(VALU_DEP_1)
	v_add_f64 v[1:2], v[54:55], -v[1:2]
	scratch_store_b64 off, v[1:2], off offset:144
	v_cmpx_lt_u32_e32 17, v0
	s_cbranch_execz .LBB24_125
; %bb.124:
	scratch_load_b64 v[1:2], off, off offset:136
	v_mov_b32_e32 v54, 0
	s_delay_alu instid0(VALU_DEP_1)
	v_mov_b32_e32 v55, v54
	scratch_store_b64 off, v[54:55], off offset:136
	s_waitcnt vmcnt(0)
	ds_store_b64 v3, v[1:2]
.LBB24_125:
	s_or_b32 exec_lo, exec_lo, s0
	s_waitcnt lgkmcnt(0)
	s_waitcnt_vscnt null, 0x0
	s_barrier
	buffer_gl0_inv
	s_clause 0x3
	scratch_load_b128 v[54:57], off, off offset:136
	scratch_load_b128 v[58:61], off, off offset:152
	;; [unrolled: 1-line block ×4, first 2 shown]
	v_mov_b32_e32 v1, 0
	ds_load_b128 v[70:73], v1 offset:352
	ds_load_b128 v[74:77], v1 offset:368
	s_mov_b32 s0, exec_lo
	s_waitcnt vmcnt(3) lgkmcnt(1)
	v_fma_f64 v[56:57], v[56:57], v[70:71], 0
	s_waitcnt vmcnt(2)
	s_delay_alu instid0(VALU_DEP_1) | instskip(SKIP_1) | instid1(VALU_DEP_1)
	v_fma_f64 v[56:57], v[58:59], v[72:73], v[56:57]
	s_waitcnt lgkmcnt(0)
	v_fma_f64 v[56:57], v[60:61], v[74:75], v[56:57]
	s_waitcnt vmcnt(1)
	s_delay_alu instid0(VALU_DEP_1)
	v_fma_f64 v[60:61], v[62:63], v[76:77], v[56:57]
	ds_load_b128 v[56:59], v1 offset:384
	ds_load_b64 v[62:63], v1 offset:400
	s_waitcnt lgkmcnt(1)
	v_fma_f64 v[56:57], v[64:65], v[56:57], v[60:61]
	s_waitcnt vmcnt(0)
	s_delay_alu instid0(VALU_DEP_1) | instskip(SKIP_1) | instid1(VALU_DEP_1)
	v_fma_f64 v[56:57], v[66:67], v[58:59], v[56:57]
	s_waitcnt lgkmcnt(0)
	v_fma_f64 v[56:57], v[68:69], v[62:63], v[56:57]
	s_delay_alu instid0(VALU_DEP_1)
	v_add_f64 v[54:55], v[54:55], -v[56:57]
	scratch_store_b64 off, v[54:55], off offset:136
	v_cmpx_lt_u32_e32 16, v0
	s_cbranch_execz .LBB24_127
; %bb.126:
	scratch_load_b64 v[54:55], off, off offset:128
	v_mov_b32_e32 v2, v1
	scratch_store_b64 off, v[1:2], off offset:128
	s_waitcnt vmcnt(0)
	ds_store_b64 v3, v[54:55]
.LBB24_127:
	s_or_b32 exec_lo, exec_lo, s0
	s_waitcnt lgkmcnt(0)
	s_waitcnt_vscnt null, 0x0
	s_barrier
	buffer_gl0_inv
	s_clause 0x4
	scratch_load_b128 v[54:57], off, off offset:128
	scratch_load_b128 v[58:61], off, off offset:144
	;; [unrolled: 1-line block ×4, first 2 shown]
	scratch_load_b64 v[78:79], off, off offset:192
	ds_load_2addr_b64 v[70:73], v1 offset0:43 offset1:44
	ds_load_2addr_b64 v[74:77], v1 offset0:45 offset1:46
	s_mov_b32 s0, exec_lo
	s_waitcnt vmcnt(4) lgkmcnt(1)
	v_fma_f64 v[56:57], v[56:57], v[70:71], 0
	s_waitcnt vmcnt(3)
	s_delay_alu instid0(VALU_DEP_1) | instskip(SKIP_1) | instid1(VALU_DEP_1)
	v_fma_f64 v[56:57], v[58:59], v[72:73], v[56:57]
	s_waitcnt lgkmcnt(0)
	v_fma_f64 v[56:57], v[60:61], v[74:75], v[56:57]
	s_waitcnt vmcnt(2)
	s_delay_alu instid0(VALU_DEP_1)
	v_fma_f64 v[70:71], v[62:63], v[76:77], v[56:57]
	ds_load_2addr_b64 v[56:59], v1 offset0:47 offset1:48
	ds_load_2addr_b64 v[60:63], v1 offset0:49 offset1:50
	s_waitcnt lgkmcnt(1)
	v_fma_f64 v[1:2], v[64:65], v[56:57], v[70:71]
	s_waitcnt vmcnt(1)
	s_delay_alu instid0(VALU_DEP_1) | instskip(SKIP_1) | instid1(VALU_DEP_1)
	v_fma_f64 v[1:2], v[66:67], v[58:59], v[1:2]
	s_waitcnt lgkmcnt(0)
	v_fma_f64 v[1:2], v[68:69], v[60:61], v[1:2]
	s_waitcnt vmcnt(0)
	s_delay_alu instid0(VALU_DEP_1) | instskip(NEXT) | instid1(VALU_DEP_1)
	v_fma_f64 v[1:2], v[78:79], v[62:63], v[1:2]
	v_add_f64 v[1:2], v[54:55], -v[1:2]
	scratch_store_b64 off, v[1:2], off offset:128
	v_cmpx_lt_u32_e32 15, v0
	s_cbranch_execz .LBB24_129
; %bb.128:
	scratch_load_b64 v[1:2], off, off offset:120
	v_mov_b32_e32 v54, 0
	s_delay_alu instid0(VALU_DEP_1)
	v_mov_b32_e32 v55, v54
	scratch_store_b64 off, v[54:55], off offset:120
	s_waitcnt vmcnt(0)
	ds_store_b64 v3, v[1:2]
.LBB24_129:
	s_or_b32 exec_lo, exec_lo, s0
	s_waitcnt lgkmcnt(0)
	s_waitcnt_vscnt null, 0x0
	s_barrier
	buffer_gl0_inv
	s_clause 0x4
	scratch_load_b128 v[54:57], off, off offset:120
	scratch_load_b128 v[58:61], off, off offset:136
	;; [unrolled: 1-line block ×5, first 2 shown]
	v_mov_b32_e32 v1, 0
	ds_load_b128 v[74:77], v1 offset:336
	ds_load_b128 v[78:81], v1 offset:352
	s_mov_b32 s0, exec_lo
	s_waitcnt vmcnt(4) lgkmcnt(1)
	v_fma_f64 v[56:57], v[56:57], v[74:75], 0
	s_waitcnt vmcnt(3)
	s_delay_alu instid0(VALU_DEP_1) | instskip(SKIP_1) | instid1(VALU_DEP_1)
	v_fma_f64 v[56:57], v[58:59], v[76:77], v[56:57]
	s_waitcnt lgkmcnt(0)
	v_fma_f64 v[56:57], v[60:61], v[78:79], v[56:57]
	s_waitcnt vmcnt(2)
	s_delay_alu instid0(VALU_DEP_1)
	v_fma_f64 v[74:75], v[62:63], v[80:81], v[56:57]
	ds_load_b128 v[56:59], v1 offset:368
	ds_load_b128 v[60:63], v1 offset:384
	s_waitcnt lgkmcnt(1)
	v_fma_f64 v[56:57], v[64:65], v[56:57], v[74:75]
	s_waitcnt vmcnt(1)
	s_delay_alu instid0(VALU_DEP_1) | instskip(SKIP_4) | instid1(VALU_DEP_1)
	v_fma_f64 v[56:57], v[66:67], v[58:59], v[56:57]
	ds_load_b64 v[58:59], v1 offset:400
	s_waitcnt lgkmcnt(1)
	v_fma_f64 v[56:57], v[68:69], v[60:61], v[56:57]
	s_waitcnt vmcnt(0)
	v_fma_f64 v[56:57], v[70:71], v[62:63], v[56:57]
	s_waitcnt lgkmcnt(0)
	s_delay_alu instid0(VALU_DEP_1) | instskip(NEXT) | instid1(VALU_DEP_1)
	v_fma_f64 v[56:57], v[72:73], v[58:59], v[56:57]
	v_add_f64 v[54:55], v[54:55], -v[56:57]
	scratch_store_b64 off, v[54:55], off offset:120
	v_cmpx_lt_u32_e32 14, v0
	s_cbranch_execz .LBB24_131
; %bb.130:
	scratch_load_b64 v[54:55], off, off offset:112
	v_mov_b32_e32 v2, v1
	scratch_store_b64 off, v[1:2], off offset:112
	s_waitcnt vmcnt(0)
	ds_store_b64 v3, v[54:55]
.LBB24_131:
	s_or_b32 exec_lo, exec_lo, s0
	s_waitcnt lgkmcnt(0)
	s_waitcnt_vscnt null, 0x0
	s_barrier
	buffer_gl0_inv
	s_clause 0x4
	scratch_load_b128 v[54:57], off, off offset:112
	scratch_load_b128 v[58:61], off, off offset:128
	;; [unrolled: 1-line block ×5, first 2 shown]
	ds_load_2addr_b64 v[74:77], v1 offset0:41 offset1:42
	ds_load_2addr_b64 v[78:81], v1 offset0:43 offset1:44
	s_mov_b32 s0, exec_lo
	s_waitcnt vmcnt(4) lgkmcnt(1)
	v_fma_f64 v[56:57], v[56:57], v[74:75], 0
	scratch_load_b64 v[74:75], off, off offset:192
	s_waitcnt vmcnt(4)
	v_fma_f64 v[56:57], v[58:59], v[76:77], v[56:57]
	s_waitcnt lgkmcnt(0)
	s_delay_alu instid0(VALU_DEP_1) | instskip(SKIP_1) | instid1(VALU_DEP_1)
	v_fma_f64 v[56:57], v[60:61], v[78:79], v[56:57]
	s_waitcnt vmcnt(3)
	v_fma_f64 v[76:77], v[62:63], v[80:81], v[56:57]
	ds_load_2addr_b64 v[56:59], v1 offset0:45 offset1:46
	ds_load_2addr_b64 v[60:63], v1 offset0:47 offset1:48
	s_waitcnt lgkmcnt(1)
	v_fma_f64 v[56:57], v[64:65], v[56:57], v[76:77]
	s_waitcnt vmcnt(2)
	s_delay_alu instid0(VALU_DEP_1) | instskip(SKIP_1) | instid1(VALU_DEP_1)
	v_fma_f64 v[56:57], v[66:67], v[58:59], v[56:57]
	s_waitcnt lgkmcnt(0)
	v_fma_f64 v[56:57], v[68:69], v[60:61], v[56:57]
	s_waitcnt vmcnt(1)
	s_delay_alu instid0(VALU_DEP_1) | instskip(SKIP_4) | instid1(VALU_DEP_1)
	v_fma_f64 v[60:61], v[70:71], v[62:63], v[56:57]
	ds_load_2addr_b64 v[56:59], v1 offset0:49 offset1:50
	s_waitcnt lgkmcnt(0)
	v_fma_f64 v[1:2], v[72:73], v[56:57], v[60:61]
	s_waitcnt vmcnt(0)
	v_fma_f64 v[1:2], v[74:75], v[58:59], v[1:2]
	s_delay_alu instid0(VALU_DEP_1)
	v_add_f64 v[1:2], v[54:55], -v[1:2]
	scratch_store_b64 off, v[1:2], off offset:112
	v_cmpx_lt_u32_e32 13, v0
	s_cbranch_execz .LBB24_133
; %bb.132:
	scratch_load_b64 v[1:2], off, off offset:104
	v_mov_b32_e32 v54, 0
	s_delay_alu instid0(VALU_DEP_1)
	v_mov_b32_e32 v55, v54
	scratch_store_b64 off, v[54:55], off offset:104
	s_waitcnt vmcnt(0)
	ds_store_b64 v3, v[1:2]
.LBB24_133:
	s_or_b32 exec_lo, exec_lo, s0
	s_waitcnt lgkmcnt(0)
	s_waitcnt_vscnt null, 0x0
	s_barrier
	buffer_gl0_inv
	s_clause 0x4
	scratch_load_b128 v[54:57], off, off offset:104
	scratch_load_b128 v[58:61], off, off offset:120
	;; [unrolled: 1-line block ×5, first 2 shown]
	v_mov_b32_e32 v1, 0
	ds_load_b128 v[74:77], v1 offset:320
	ds_load_b128 v[78:81], v1 offset:336
	scratch_load_b128 v[82:85], off, off offset:184
	s_mov_b32 s0, exec_lo
	s_waitcnt vmcnt(5) lgkmcnt(1)
	v_fma_f64 v[56:57], v[56:57], v[74:75], 0
	s_waitcnt vmcnt(4)
	s_delay_alu instid0(VALU_DEP_1) | instskip(SKIP_1) | instid1(VALU_DEP_1)
	v_fma_f64 v[56:57], v[58:59], v[76:77], v[56:57]
	s_waitcnt lgkmcnt(0)
	v_fma_f64 v[56:57], v[60:61], v[78:79], v[56:57]
	s_waitcnt vmcnt(3)
	s_delay_alu instid0(VALU_DEP_1)
	v_fma_f64 v[74:75], v[62:63], v[80:81], v[56:57]
	ds_load_b128 v[56:59], v1 offset:352
	ds_load_b128 v[60:63], v1 offset:368
	s_waitcnt lgkmcnt(1)
	v_fma_f64 v[56:57], v[64:65], v[56:57], v[74:75]
	s_waitcnt vmcnt(2)
	s_delay_alu instid0(VALU_DEP_1) | instskip(SKIP_1) | instid1(VALU_DEP_1)
	v_fma_f64 v[56:57], v[66:67], v[58:59], v[56:57]
	s_waitcnt lgkmcnt(0)
	v_fma_f64 v[56:57], v[68:69], v[60:61], v[56:57]
	s_waitcnt vmcnt(1)
	s_delay_alu instid0(VALU_DEP_1)
	v_fma_f64 v[60:61], v[70:71], v[62:63], v[56:57]
	ds_load_b128 v[56:59], v1 offset:384
	ds_load_b64 v[62:63], v1 offset:400
	s_waitcnt lgkmcnt(1)
	v_fma_f64 v[56:57], v[72:73], v[56:57], v[60:61]
	s_waitcnt vmcnt(0)
	s_delay_alu instid0(VALU_DEP_1) | instskip(SKIP_1) | instid1(VALU_DEP_1)
	v_fma_f64 v[56:57], v[82:83], v[58:59], v[56:57]
	s_waitcnt lgkmcnt(0)
	v_fma_f64 v[56:57], v[84:85], v[62:63], v[56:57]
	s_delay_alu instid0(VALU_DEP_1)
	v_add_f64 v[54:55], v[54:55], -v[56:57]
	scratch_store_b64 off, v[54:55], off offset:104
	v_cmpx_lt_u32_e32 12, v0
	s_cbranch_execz .LBB24_135
; %bb.134:
	scratch_load_b64 v[54:55], off, off offset:96
	v_mov_b32_e32 v2, v1
	scratch_store_b64 off, v[1:2], off offset:96
	s_waitcnt vmcnt(0)
	ds_store_b64 v3, v[54:55]
.LBB24_135:
	s_or_b32 exec_lo, exec_lo, s0
	s_waitcnt lgkmcnt(0)
	s_waitcnt_vscnt null, 0x0
	s_barrier
	buffer_gl0_inv
	s_clause 0x4
	scratch_load_b128 v[54:57], off, off offset:96
	scratch_load_b128 v[58:61], off, off offset:112
	;; [unrolled: 1-line block ×5, first 2 shown]
	ds_load_2addr_b64 v[74:77], v1 offset0:39 offset1:40
	ds_load_2addr_b64 v[78:81], v1 offset0:41 offset1:42
	scratch_load_b128 v[82:85], off, off offset:176
	s_mov_b32 s0, exec_lo
	s_waitcnt vmcnt(5) lgkmcnt(1)
	v_fma_f64 v[56:57], v[56:57], v[74:75], 0
	scratch_load_b64 v[74:75], off, off offset:192
	s_waitcnt vmcnt(5)
	v_fma_f64 v[56:57], v[58:59], v[76:77], v[56:57]
	s_waitcnt lgkmcnt(0)
	s_delay_alu instid0(VALU_DEP_1) | instskip(SKIP_1) | instid1(VALU_DEP_1)
	v_fma_f64 v[56:57], v[60:61], v[78:79], v[56:57]
	s_waitcnt vmcnt(4)
	v_fma_f64 v[76:77], v[62:63], v[80:81], v[56:57]
	ds_load_2addr_b64 v[56:59], v1 offset0:43 offset1:44
	ds_load_2addr_b64 v[60:63], v1 offset0:45 offset1:46
	s_waitcnt lgkmcnt(1)
	v_fma_f64 v[56:57], v[64:65], v[56:57], v[76:77]
	s_waitcnt vmcnt(3)
	s_delay_alu instid0(VALU_DEP_1) | instskip(SKIP_1) | instid1(VALU_DEP_1)
	v_fma_f64 v[56:57], v[66:67], v[58:59], v[56:57]
	s_waitcnt lgkmcnt(0)
	v_fma_f64 v[56:57], v[68:69], v[60:61], v[56:57]
	s_waitcnt vmcnt(2)
	s_delay_alu instid0(VALU_DEP_1)
	v_fma_f64 v[64:65], v[70:71], v[62:63], v[56:57]
	ds_load_2addr_b64 v[56:59], v1 offset0:47 offset1:48
	ds_load_2addr_b64 v[60:63], v1 offset0:49 offset1:50
	s_waitcnt lgkmcnt(1)
	v_fma_f64 v[1:2], v[72:73], v[56:57], v[64:65]
	s_waitcnt vmcnt(1)
	s_delay_alu instid0(VALU_DEP_1) | instskip(SKIP_1) | instid1(VALU_DEP_1)
	v_fma_f64 v[1:2], v[82:83], v[58:59], v[1:2]
	s_waitcnt lgkmcnt(0)
	v_fma_f64 v[1:2], v[84:85], v[60:61], v[1:2]
	s_waitcnt vmcnt(0)
	s_delay_alu instid0(VALU_DEP_1) | instskip(NEXT) | instid1(VALU_DEP_1)
	v_fma_f64 v[1:2], v[74:75], v[62:63], v[1:2]
	v_add_f64 v[1:2], v[54:55], -v[1:2]
	scratch_store_b64 off, v[1:2], off offset:96
	v_cmpx_lt_u32_e32 11, v0
	s_cbranch_execz .LBB24_137
; %bb.136:
	scratch_load_b64 v[1:2], off, off offset:88
	v_mov_b32_e32 v54, 0
	s_delay_alu instid0(VALU_DEP_1)
	v_mov_b32_e32 v55, v54
	scratch_store_b64 off, v[54:55], off offset:88
	s_waitcnt vmcnt(0)
	ds_store_b64 v3, v[1:2]
.LBB24_137:
	s_or_b32 exec_lo, exec_lo, s0
	s_waitcnt lgkmcnt(0)
	s_waitcnt_vscnt null, 0x0
	s_barrier
	buffer_gl0_inv
	s_clause 0x4
	scratch_load_b128 v[54:57], off, off offset:88
	scratch_load_b128 v[58:61], off, off offset:104
	;; [unrolled: 1-line block ×5, first 2 shown]
	v_mov_b32_e32 v1, 0
	ds_load_b128 v[74:77], v1 offset:304
	ds_load_b128 v[78:81], v1 offset:320
	scratch_load_b128 v[82:85], off, off offset:168
	s_mov_b32 s0, exec_lo
	s_waitcnt vmcnt(5) lgkmcnt(1)
	v_fma_f64 v[56:57], v[56:57], v[74:75], 0
	s_waitcnt vmcnt(4)
	s_delay_alu instid0(VALU_DEP_1) | instskip(SKIP_1) | instid1(VALU_DEP_1)
	v_fma_f64 v[56:57], v[58:59], v[76:77], v[56:57]
	s_waitcnt lgkmcnt(0)
	v_fma_f64 v[60:61], v[60:61], v[78:79], v[56:57]
	scratch_load_b128 v[56:59], off, off offset:184
	s_waitcnt vmcnt(4)
	v_fma_f64 v[78:79], v[62:63], v[80:81], v[60:61]
	ds_load_b128 v[60:63], v1 offset:336
	ds_load_b128 v[74:77], v1 offset:352
	s_waitcnt lgkmcnt(1)
	v_fma_f64 v[60:61], v[64:65], v[60:61], v[78:79]
	s_waitcnt vmcnt(3)
	s_delay_alu instid0(VALU_DEP_1) | instskip(SKIP_1) | instid1(VALU_DEP_1)
	v_fma_f64 v[60:61], v[66:67], v[62:63], v[60:61]
	s_waitcnt lgkmcnt(0)
	v_fma_f64 v[60:61], v[68:69], v[74:75], v[60:61]
	s_waitcnt vmcnt(2)
	s_delay_alu instid0(VALU_DEP_1)
	v_fma_f64 v[68:69], v[70:71], v[76:77], v[60:61]
	ds_load_b128 v[60:63], v1 offset:368
	ds_load_b128 v[64:67], v1 offset:384
	s_waitcnt lgkmcnt(1)
	v_fma_f64 v[60:61], v[72:73], v[60:61], v[68:69]
	s_waitcnt vmcnt(1)
	s_delay_alu instid0(VALU_DEP_1) | instskip(SKIP_1) | instid1(VALU_DEP_1)
	v_fma_f64 v[60:61], v[82:83], v[62:63], v[60:61]
	s_waitcnt lgkmcnt(0)
	v_fma_f64 v[60:61], v[84:85], v[64:65], v[60:61]
	s_waitcnt vmcnt(0)
	s_delay_alu instid0(VALU_DEP_1) | instskip(SKIP_3) | instid1(VALU_DEP_1)
	v_fma_f64 v[56:57], v[56:57], v[66:67], v[60:61]
	ds_load_b64 v[60:61], v1 offset:400
	s_waitcnt lgkmcnt(0)
	v_fma_f64 v[56:57], v[58:59], v[60:61], v[56:57]
	v_add_f64 v[54:55], v[54:55], -v[56:57]
	scratch_store_b64 off, v[54:55], off offset:88
	v_cmpx_lt_u32_e32 10, v0
	s_cbranch_execz .LBB24_139
; %bb.138:
	scratch_load_b64 v[54:55], off, off offset:80
	v_mov_b32_e32 v2, v1
	scratch_store_b64 off, v[1:2], off offset:80
	s_waitcnt vmcnt(0)
	ds_store_b64 v3, v[54:55]
.LBB24_139:
	s_or_b32 exec_lo, exec_lo, s0
	s_waitcnt lgkmcnt(0)
	s_waitcnt_vscnt null, 0x0
	s_barrier
	buffer_gl0_inv
	s_clause 0x4
	scratch_load_b128 v[54:57], off, off offset:80
	scratch_load_b128 v[58:61], off, off offset:96
	;; [unrolled: 1-line block ×5, first 2 shown]
	ds_load_2addr_b64 v[74:77], v1 offset0:37 offset1:38
	ds_load_2addr_b64 v[78:81], v1 offset0:39 offset1:40
	scratch_load_b128 v[82:85], off, off offset:160
	s_mov_b32 s0, exec_lo
	s_waitcnt vmcnt(5) lgkmcnt(1)
	v_fma_f64 v[56:57], v[56:57], v[74:75], 0
	s_waitcnt vmcnt(4)
	s_delay_alu instid0(VALU_DEP_1) | instskip(SKIP_1) | instid1(VALU_DEP_1)
	v_fma_f64 v[56:57], v[58:59], v[76:77], v[56:57]
	s_waitcnt lgkmcnt(0)
	v_fma_f64 v[60:61], v[60:61], v[78:79], v[56:57]
	scratch_load_b128 v[56:59], off, off offset:176
	s_waitcnt vmcnt(4)
	v_fma_f64 v[78:79], v[62:63], v[80:81], v[60:61]
	ds_load_2addr_b64 v[60:63], v1 offset0:41 offset1:42
	ds_load_2addr_b64 v[74:77], v1 offset0:43 offset1:44
	s_waitcnt lgkmcnt(1)
	v_fma_f64 v[60:61], v[64:65], v[60:61], v[78:79]
	scratch_load_b64 v[78:79], off, off offset:192
	s_waitcnt vmcnt(4)
	v_fma_f64 v[60:61], v[66:67], v[62:63], v[60:61]
	s_waitcnt lgkmcnt(0)
	s_delay_alu instid0(VALU_DEP_1) | instskip(SKIP_1) | instid1(VALU_DEP_1)
	v_fma_f64 v[60:61], v[68:69], v[74:75], v[60:61]
	s_waitcnt vmcnt(3)
	v_fma_f64 v[68:69], v[70:71], v[76:77], v[60:61]
	ds_load_2addr_b64 v[60:63], v1 offset0:45 offset1:46
	ds_load_2addr_b64 v[64:67], v1 offset0:47 offset1:48
	s_waitcnt lgkmcnt(1)
	v_fma_f64 v[60:61], v[72:73], v[60:61], v[68:69]
	s_waitcnt vmcnt(2)
	s_delay_alu instid0(VALU_DEP_1) | instskip(SKIP_1) | instid1(VALU_DEP_1)
	v_fma_f64 v[60:61], v[82:83], v[62:63], v[60:61]
	s_waitcnt lgkmcnt(0)
	v_fma_f64 v[60:61], v[84:85], v[64:65], v[60:61]
	s_waitcnt vmcnt(1)
	s_delay_alu instid0(VALU_DEP_1) | instskip(SKIP_4) | instid1(VALU_DEP_1)
	v_fma_f64 v[56:57], v[56:57], v[66:67], v[60:61]
	ds_load_2addr_b64 v[60:63], v1 offset0:49 offset1:50
	s_waitcnt lgkmcnt(0)
	v_fma_f64 v[1:2], v[58:59], v[60:61], v[56:57]
	s_waitcnt vmcnt(0)
	v_fma_f64 v[1:2], v[78:79], v[62:63], v[1:2]
	s_delay_alu instid0(VALU_DEP_1)
	v_add_f64 v[1:2], v[54:55], -v[1:2]
	scratch_store_b64 off, v[1:2], off offset:80
	v_cmpx_lt_u32_e32 9, v0
	s_cbranch_execz .LBB24_141
; %bb.140:
	scratch_load_b64 v[1:2], off, off offset:72
	v_mov_b32_e32 v54, 0
	s_delay_alu instid0(VALU_DEP_1)
	v_mov_b32_e32 v55, v54
	scratch_store_b64 off, v[54:55], off offset:72
	s_waitcnt vmcnt(0)
	ds_store_b64 v3, v[1:2]
.LBB24_141:
	s_or_b32 exec_lo, exec_lo, s0
	s_waitcnt lgkmcnt(0)
	s_waitcnt_vscnt null, 0x0
	s_barrier
	buffer_gl0_inv
	s_clause 0x4
	scratch_load_b128 v[54:57], off, off offset:72
	scratch_load_b128 v[58:61], off, off offset:88
	;; [unrolled: 1-line block ×5, first 2 shown]
	v_mov_b32_e32 v1, 0
	ds_load_b128 v[74:77], v1 offset:288
	ds_load_b128 v[78:81], v1 offset:304
	scratch_load_b128 v[82:85], off, off offset:152
	s_mov_b32 s0, exec_lo
	s_waitcnt vmcnt(5) lgkmcnt(1)
	v_fma_f64 v[56:57], v[56:57], v[74:75], 0
	s_waitcnt vmcnt(4)
	s_delay_alu instid0(VALU_DEP_1) | instskip(SKIP_1) | instid1(VALU_DEP_1)
	v_fma_f64 v[56:57], v[58:59], v[76:77], v[56:57]
	s_waitcnt lgkmcnt(0)
	v_fma_f64 v[60:61], v[60:61], v[78:79], v[56:57]
	scratch_load_b128 v[56:59], off, off offset:168
	s_waitcnt vmcnt(4)
	v_fma_f64 v[78:79], v[62:63], v[80:81], v[60:61]
	ds_load_b128 v[60:63], v1 offset:320
	ds_load_b128 v[74:77], v1 offset:336
	s_waitcnt lgkmcnt(1)
	v_fma_f64 v[60:61], v[64:65], v[60:61], v[78:79]
	scratch_load_b128 v[78:81], off, off offset:184
	s_waitcnt vmcnt(4)
	v_fma_f64 v[60:61], v[66:67], v[62:63], v[60:61]
	s_waitcnt lgkmcnt(0)
	s_delay_alu instid0(VALU_DEP_1) | instskip(SKIP_1) | instid1(VALU_DEP_1)
	v_fma_f64 v[60:61], v[68:69], v[74:75], v[60:61]
	s_waitcnt vmcnt(3)
	v_fma_f64 v[68:69], v[70:71], v[76:77], v[60:61]
	ds_load_b128 v[60:63], v1 offset:352
	ds_load_b128 v[64:67], v1 offset:368
	s_waitcnt lgkmcnt(1)
	v_fma_f64 v[60:61], v[72:73], v[60:61], v[68:69]
	s_waitcnt vmcnt(2)
	s_delay_alu instid0(VALU_DEP_1) | instskip(SKIP_1) | instid1(VALU_DEP_1)
	v_fma_f64 v[60:61], v[82:83], v[62:63], v[60:61]
	s_waitcnt lgkmcnt(0)
	v_fma_f64 v[60:61], v[84:85], v[64:65], v[60:61]
	s_waitcnt vmcnt(1)
	s_delay_alu instid0(VALU_DEP_1)
	v_fma_f64 v[56:57], v[56:57], v[66:67], v[60:61]
	ds_load_b128 v[60:63], v1 offset:384
	ds_load_b64 v[64:65], v1 offset:400
	s_waitcnt lgkmcnt(1)
	v_fma_f64 v[56:57], v[58:59], v[60:61], v[56:57]
	s_waitcnt vmcnt(0)
	s_delay_alu instid0(VALU_DEP_1) | instskip(SKIP_1) | instid1(VALU_DEP_1)
	v_fma_f64 v[56:57], v[78:79], v[62:63], v[56:57]
	s_waitcnt lgkmcnt(0)
	v_fma_f64 v[56:57], v[80:81], v[64:65], v[56:57]
	s_delay_alu instid0(VALU_DEP_1)
	v_add_f64 v[54:55], v[54:55], -v[56:57]
	scratch_store_b64 off, v[54:55], off offset:72
	v_cmpx_lt_u32_e32 8, v0
	s_cbranch_execz .LBB24_143
; %bb.142:
	scratch_load_b64 v[54:55], off, off offset:64
	v_mov_b32_e32 v2, v1
	scratch_store_b64 off, v[1:2], off offset:64
	s_waitcnt vmcnt(0)
	ds_store_b64 v3, v[54:55]
.LBB24_143:
	s_or_b32 exec_lo, exec_lo, s0
	s_waitcnt lgkmcnt(0)
	s_waitcnt_vscnt null, 0x0
	s_barrier
	buffer_gl0_inv
	s_clause 0x4
	scratch_load_b128 v[54:57], off, off offset:64
	scratch_load_b128 v[58:61], off, off offset:80
	;; [unrolled: 1-line block ×5, first 2 shown]
	ds_load_2addr_b64 v[74:77], v1 offset0:35 offset1:36
	ds_load_2addr_b64 v[78:81], v1 offset0:37 offset1:38
	scratch_load_b128 v[82:85], off, off offset:144
	s_mov_b32 s0, exec_lo
	s_waitcnt vmcnt(5) lgkmcnt(1)
	v_fma_f64 v[56:57], v[56:57], v[74:75], 0
	s_waitcnt vmcnt(4)
	s_delay_alu instid0(VALU_DEP_1) | instskip(SKIP_1) | instid1(VALU_DEP_1)
	v_fma_f64 v[56:57], v[58:59], v[76:77], v[56:57]
	s_waitcnt lgkmcnt(0)
	v_fma_f64 v[60:61], v[60:61], v[78:79], v[56:57]
	scratch_load_b128 v[56:59], off, off offset:160
	s_waitcnt vmcnt(4)
	v_fma_f64 v[78:79], v[62:63], v[80:81], v[60:61]
	ds_load_2addr_b64 v[60:63], v1 offset0:39 offset1:40
	ds_load_2addr_b64 v[74:77], v1 offset0:41 offset1:42
	s_waitcnt lgkmcnt(1)
	v_fma_f64 v[60:61], v[64:65], v[60:61], v[78:79]
	scratch_load_b128 v[78:81], off, off offset:176
	s_waitcnt vmcnt(4)
	v_fma_f64 v[60:61], v[66:67], v[62:63], v[60:61]
	s_waitcnt lgkmcnt(0)
	s_delay_alu instid0(VALU_DEP_1)
	v_fma_f64 v[60:61], v[68:69], v[74:75], v[60:61]
	scratch_load_b64 v[68:69], off, off offset:192
	s_waitcnt vmcnt(4)
	v_fma_f64 v[70:71], v[70:71], v[76:77], v[60:61]
	ds_load_2addr_b64 v[60:63], v1 offset0:43 offset1:44
	ds_load_2addr_b64 v[64:67], v1 offset0:45 offset1:46
	s_waitcnt lgkmcnt(1)
	v_fma_f64 v[60:61], v[72:73], v[60:61], v[70:71]
	s_waitcnt vmcnt(3)
	s_delay_alu instid0(VALU_DEP_1) | instskip(SKIP_1) | instid1(VALU_DEP_1)
	v_fma_f64 v[60:61], v[82:83], v[62:63], v[60:61]
	s_waitcnt lgkmcnt(0)
	v_fma_f64 v[60:61], v[84:85], v[64:65], v[60:61]
	s_waitcnt vmcnt(2)
	s_delay_alu instid0(VALU_DEP_1)
	v_fma_f64 v[56:57], v[56:57], v[66:67], v[60:61]
	ds_load_2addr_b64 v[60:63], v1 offset0:47 offset1:48
	ds_load_2addr_b64 v[64:67], v1 offset0:49 offset1:50
	s_waitcnt lgkmcnt(1)
	v_fma_f64 v[1:2], v[58:59], v[60:61], v[56:57]
	s_waitcnt vmcnt(1)
	s_delay_alu instid0(VALU_DEP_1) | instskip(SKIP_1) | instid1(VALU_DEP_1)
	v_fma_f64 v[1:2], v[78:79], v[62:63], v[1:2]
	s_waitcnt lgkmcnt(0)
	v_fma_f64 v[1:2], v[80:81], v[64:65], v[1:2]
	s_waitcnt vmcnt(0)
	s_delay_alu instid0(VALU_DEP_1) | instskip(NEXT) | instid1(VALU_DEP_1)
	v_fma_f64 v[1:2], v[68:69], v[66:67], v[1:2]
	v_add_f64 v[1:2], v[54:55], -v[1:2]
	scratch_store_b64 off, v[1:2], off offset:64
	v_cmpx_lt_u32_e32 7, v0
	s_cbranch_execz .LBB24_145
; %bb.144:
	scratch_load_b64 v[1:2], off, off offset:56
	v_mov_b32_e32 v54, 0
	s_delay_alu instid0(VALU_DEP_1)
	v_mov_b32_e32 v55, v54
	scratch_store_b64 off, v[54:55], off offset:56
	s_waitcnt vmcnt(0)
	ds_store_b64 v3, v[1:2]
.LBB24_145:
	s_or_b32 exec_lo, exec_lo, s0
	s_waitcnt lgkmcnt(0)
	s_waitcnt_vscnt null, 0x0
	s_barrier
	buffer_gl0_inv
	s_clause 0x4
	scratch_load_b128 v[54:57], off, off offset:56
	scratch_load_b128 v[58:61], off, off offset:72
	;; [unrolled: 1-line block ×5, first 2 shown]
	v_mov_b32_e32 v1, 0
	ds_load_b128 v[74:77], v1 offset:272
	ds_load_b128 v[78:81], v1 offset:288
	scratch_load_b128 v[82:85], off, off offset:136
	s_mov_b32 s0, exec_lo
	s_waitcnt vmcnt(5) lgkmcnt(1)
	v_fma_f64 v[56:57], v[56:57], v[74:75], 0
	s_waitcnt vmcnt(4)
	s_delay_alu instid0(VALU_DEP_1) | instskip(SKIP_1) | instid1(VALU_DEP_1)
	v_fma_f64 v[56:57], v[58:59], v[76:77], v[56:57]
	s_waitcnt lgkmcnt(0)
	v_fma_f64 v[60:61], v[60:61], v[78:79], v[56:57]
	scratch_load_b128 v[56:59], off, off offset:152
	s_waitcnt vmcnt(4)
	v_fma_f64 v[78:79], v[62:63], v[80:81], v[60:61]
	ds_load_b128 v[60:63], v1 offset:304
	ds_load_b128 v[74:77], v1 offset:320
	s_waitcnt lgkmcnt(1)
	v_fma_f64 v[60:61], v[64:65], v[60:61], v[78:79]
	scratch_load_b128 v[78:81], off, off offset:168
	s_waitcnt vmcnt(4)
	v_fma_f64 v[60:61], v[66:67], v[62:63], v[60:61]
	s_waitcnt lgkmcnt(0)
	s_delay_alu instid0(VALU_DEP_1)
	v_fma_f64 v[64:65], v[68:69], v[74:75], v[60:61]
	scratch_load_b128 v[60:63], off, off offset:184
	s_waitcnt vmcnt(4)
	v_fma_f64 v[74:75], v[70:71], v[76:77], v[64:65]
	ds_load_b128 v[64:67], v1 offset:336
	ds_load_b128 v[68:71], v1 offset:352
	s_waitcnt lgkmcnt(1)
	v_fma_f64 v[64:65], v[72:73], v[64:65], v[74:75]
	s_waitcnt vmcnt(3)
	s_delay_alu instid0(VALU_DEP_1) | instskip(SKIP_1) | instid1(VALU_DEP_1)
	v_fma_f64 v[64:65], v[82:83], v[66:67], v[64:65]
	s_waitcnt lgkmcnt(0)
	v_fma_f64 v[64:65], v[84:85], v[68:69], v[64:65]
	s_waitcnt vmcnt(2)
	s_delay_alu instid0(VALU_DEP_1)
	v_fma_f64 v[56:57], v[56:57], v[70:71], v[64:65]
	ds_load_b128 v[64:67], v1 offset:368
	ds_load_b128 v[68:71], v1 offset:384
	s_waitcnt lgkmcnt(1)
	v_fma_f64 v[56:57], v[58:59], v[64:65], v[56:57]
	ds_load_b64 v[58:59], v1 offset:400
	s_waitcnt vmcnt(1)
	v_fma_f64 v[56:57], v[78:79], v[66:67], v[56:57]
	s_waitcnt lgkmcnt(1)
	s_delay_alu instid0(VALU_DEP_1) | instskip(SKIP_1) | instid1(VALU_DEP_1)
	v_fma_f64 v[56:57], v[80:81], v[68:69], v[56:57]
	s_waitcnt vmcnt(0)
	v_fma_f64 v[56:57], v[60:61], v[70:71], v[56:57]
	s_waitcnt lgkmcnt(0)
	s_delay_alu instid0(VALU_DEP_1) | instskip(NEXT) | instid1(VALU_DEP_1)
	v_fma_f64 v[56:57], v[62:63], v[58:59], v[56:57]
	v_add_f64 v[54:55], v[54:55], -v[56:57]
	scratch_store_b64 off, v[54:55], off offset:56
	v_cmpx_lt_u32_e32 6, v0
	s_cbranch_execz .LBB24_147
; %bb.146:
	scratch_load_b64 v[54:55], off, off offset:48
	v_mov_b32_e32 v2, v1
	scratch_store_b64 off, v[1:2], off offset:48
	s_waitcnt vmcnt(0)
	ds_store_b64 v3, v[54:55]
.LBB24_147:
	s_or_b32 exec_lo, exec_lo, s0
	s_waitcnt lgkmcnt(0)
	s_waitcnt_vscnt null, 0x0
	s_barrier
	buffer_gl0_inv
	s_clause 0x4
	scratch_load_b128 v[54:57], off, off offset:48
	scratch_load_b128 v[58:61], off, off offset:64
	;; [unrolled: 1-line block ×5, first 2 shown]
	ds_load_2addr_b64 v[74:77], v1 offset0:33 offset1:34
	ds_load_2addr_b64 v[78:81], v1 offset0:35 offset1:36
	scratch_load_b128 v[82:85], off, off offset:128
	s_mov_b32 s0, exec_lo
	s_waitcnt vmcnt(5) lgkmcnt(1)
	v_fma_f64 v[56:57], v[56:57], v[74:75], 0
	s_waitcnt vmcnt(4)
	s_delay_alu instid0(VALU_DEP_1) | instskip(SKIP_1) | instid1(VALU_DEP_1)
	v_fma_f64 v[56:57], v[58:59], v[76:77], v[56:57]
	s_waitcnt lgkmcnt(0)
	v_fma_f64 v[60:61], v[60:61], v[78:79], v[56:57]
	scratch_load_b128 v[56:59], off, off offset:144
	s_waitcnt vmcnt(4)
	v_fma_f64 v[78:79], v[62:63], v[80:81], v[60:61]
	ds_load_2addr_b64 v[60:63], v1 offset0:37 offset1:38
	ds_load_2addr_b64 v[74:77], v1 offset0:39 offset1:40
	s_waitcnt lgkmcnt(1)
	v_fma_f64 v[60:61], v[64:65], v[60:61], v[78:79]
	scratch_load_b128 v[78:81], off, off offset:160
	s_waitcnt vmcnt(4)
	v_fma_f64 v[60:61], v[66:67], v[62:63], v[60:61]
	s_waitcnt lgkmcnt(0)
	s_delay_alu instid0(VALU_DEP_1)
	v_fma_f64 v[64:65], v[68:69], v[74:75], v[60:61]
	scratch_load_b128 v[60:63], off, off offset:176
	s_waitcnt vmcnt(4)
	v_fma_f64 v[74:75], v[70:71], v[76:77], v[64:65]
	ds_load_2addr_b64 v[64:67], v1 offset0:41 offset1:42
	ds_load_2addr_b64 v[68:71], v1 offset0:43 offset1:44
	s_waitcnt lgkmcnt(1)
	v_fma_f64 v[64:65], v[72:73], v[64:65], v[74:75]
	scratch_load_b64 v[72:73], off, off offset:192
	s_waitcnt vmcnt(4)
	v_fma_f64 v[64:65], v[82:83], v[66:67], v[64:65]
	s_waitcnt lgkmcnt(0)
	s_delay_alu instid0(VALU_DEP_1) | instskip(SKIP_1) | instid1(VALU_DEP_1)
	v_fma_f64 v[64:65], v[84:85], v[68:69], v[64:65]
	s_waitcnt vmcnt(3)
	v_fma_f64 v[56:57], v[56:57], v[70:71], v[64:65]
	ds_load_2addr_b64 v[64:67], v1 offset0:45 offset1:46
	ds_load_2addr_b64 v[68:71], v1 offset0:47 offset1:48
	s_waitcnt lgkmcnt(1)
	v_fma_f64 v[56:57], v[58:59], v[64:65], v[56:57]
	s_waitcnt vmcnt(2)
	s_delay_alu instid0(VALU_DEP_1) | instskip(SKIP_1) | instid1(VALU_DEP_1)
	v_fma_f64 v[56:57], v[78:79], v[66:67], v[56:57]
	s_waitcnt lgkmcnt(0)
	v_fma_f64 v[56:57], v[80:81], v[68:69], v[56:57]
	s_waitcnt vmcnt(1)
	s_delay_alu instid0(VALU_DEP_1) | instskip(SKIP_4) | instid1(VALU_DEP_1)
	v_fma_f64 v[60:61], v[60:61], v[70:71], v[56:57]
	ds_load_2addr_b64 v[56:59], v1 offset0:49 offset1:50
	s_waitcnt lgkmcnt(0)
	v_fma_f64 v[1:2], v[62:63], v[56:57], v[60:61]
	s_waitcnt vmcnt(0)
	v_fma_f64 v[1:2], v[72:73], v[58:59], v[1:2]
	s_delay_alu instid0(VALU_DEP_1)
	v_add_f64 v[1:2], v[54:55], -v[1:2]
	scratch_store_b64 off, v[1:2], off offset:48
	v_cmpx_lt_u32_e32 5, v0
	s_cbranch_execz .LBB24_149
; %bb.148:
	scratch_load_b64 v[1:2], off, off offset:40
	v_mov_b32_e32 v54, 0
	s_delay_alu instid0(VALU_DEP_1)
	v_mov_b32_e32 v55, v54
	scratch_store_b64 off, v[54:55], off offset:40
	s_waitcnt vmcnt(0)
	ds_store_b64 v3, v[1:2]
.LBB24_149:
	s_or_b32 exec_lo, exec_lo, s0
	s_waitcnt lgkmcnt(0)
	s_waitcnt_vscnt null, 0x0
	s_barrier
	buffer_gl0_inv
	s_clause 0x4
	scratch_load_b128 v[54:57], off, off offset:40
	scratch_load_b128 v[58:61], off, off offset:56
	;; [unrolled: 1-line block ×5, first 2 shown]
	v_mov_b32_e32 v1, 0
	ds_load_b128 v[74:77], v1 offset:256
	ds_load_b128 v[78:81], v1 offset:272
	scratch_load_b128 v[82:85], off, off offset:120
	s_mov_b32 s0, exec_lo
	s_waitcnt vmcnt(5) lgkmcnt(1)
	v_fma_f64 v[56:57], v[56:57], v[74:75], 0
	s_waitcnt vmcnt(4)
	s_delay_alu instid0(VALU_DEP_1) | instskip(SKIP_1) | instid1(VALU_DEP_1)
	v_fma_f64 v[56:57], v[58:59], v[76:77], v[56:57]
	s_waitcnt lgkmcnt(0)
	v_fma_f64 v[60:61], v[60:61], v[78:79], v[56:57]
	scratch_load_b128 v[56:59], off, off offset:136
	s_waitcnt vmcnt(4)
	v_fma_f64 v[78:79], v[62:63], v[80:81], v[60:61]
	ds_load_b128 v[60:63], v1 offset:288
	ds_load_b128 v[74:77], v1 offset:304
	s_waitcnt lgkmcnt(1)
	v_fma_f64 v[60:61], v[64:65], v[60:61], v[78:79]
	scratch_load_b128 v[78:81], off, off offset:152
	s_waitcnt vmcnt(4)
	v_fma_f64 v[60:61], v[66:67], v[62:63], v[60:61]
	s_waitcnt lgkmcnt(0)
	s_delay_alu instid0(VALU_DEP_1)
	v_fma_f64 v[64:65], v[68:69], v[74:75], v[60:61]
	scratch_load_b128 v[60:63], off, off offset:168
	s_waitcnt vmcnt(4)
	v_fma_f64 v[74:75], v[70:71], v[76:77], v[64:65]
	ds_load_b128 v[64:67], v1 offset:320
	ds_load_b128 v[68:71], v1 offset:336
	s_waitcnt lgkmcnt(1)
	v_fma_f64 v[64:65], v[72:73], v[64:65], v[74:75]
	scratch_load_b128 v[72:75], off, off offset:184
	s_waitcnt vmcnt(4)
	v_fma_f64 v[64:65], v[82:83], v[66:67], v[64:65]
	s_waitcnt lgkmcnt(0)
	s_delay_alu instid0(VALU_DEP_1) | instskip(SKIP_1) | instid1(VALU_DEP_1)
	v_fma_f64 v[64:65], v[84:85], v[68:69], v[64:65]
	s_waitcnt vmcnt(3)
	v_fma_f64 v[56:57], v[56:57], v[70:71], v[64:65]
	ds_load_b128 v[64:67], v1 offset:352
	ds_load_b128 v[68:71], v1 offset:368
	s_waitcnt lgkmcnt(1)
	v_fma_f64 v[56:57], v[58:59], v[64:65], v[56:57]
	s_waitcnt vmcnt(2)
	s_delay_alu instid0(VALU_DEP_1) | instskip(SKIP_1) | instid1(VALU_DEP_1)
	v_fma_f64 v[56:57], v[78:79], v[66:67], v[56:57]
	s_waitcnt lgkmcnt(0)
	v_fma_f64 v[56:57], v[80:81], v[68:69], v[56:57]
	s_waitcnt vmcnt(1)
	s_delay_alu instid0(VALU_DEP_1)
	v_fma_f64 v[60:61], v[60:61], v[70:71], v[56:57]
	ds_load_b128 v[56:59], v1 offset:384
	ds_load_b64 v[64:65], v1 offset:400
	s_waitcnt lgkmcnt(1)
	v_fma_f64 v[56:57], v[62:63], v[56:57], v[60:61]
	s_waitcnt vmcnt(0)
	s_delay_alu instid0(VALU_DEP_1) | instskip(SKIP_1) | instid1(VALU_DEP_1)
	v_fma_f64 v[56:57], v[72:73], v[58:59], v[56:57]
	s_waitcnt lgkmcnt(0)
	v_fma_f64 v[56:57], v[74:75], v[64:65], v[56:57]
	s_delay_alu instid0(VALU_DEP_1)
	v_add_f64 v[54:55], v[54:55], -v[56:57]
	scratch_store_b64 off, v[54:55], off offset:40
	v_cmpx_lt_u32_e32 4, v0
	s_cbranch_execz .LBB24_151
; %bb.150:
	scratch_load_b64 v[54:55], off, off offset:32
	v_mov_b32_e32 v2, v1
	scratch_store_b64 off, v[1:2], off offset:32
	s_waitcnt vmcnt(0)
	ds_store_b64 v3, v[54:55]
.LBB24_151:
	s_or_b32 exec_lo, exec_lo, s0
	s_waitcnt lgkmcnt(0)
	s_waitcnt_vscnt null, 0x0
	s_barrier
	buffer_gl0_inv
	s_clause 0x4
	scratch_load_b128 v[54:57], off, off offset:32
	scratch_load_b128 v[58:61], off, off offset:48
	;; [unrolled: 1-line block ×5, first 2 shown]
	ds_load_2addr_b64 v[74:77], v1 offset0:31 offset1:32
	ds_load_2addr_b64 v[78:81], v1 offset0:33 offset1:34
	scratch_load_b128 v[82:85], off, off offset:112
	s_mov_b32 s0, exec_lo
	s_waitcnt vmcnt(5) lgkmcnt(1)
	v_fma_f64 v[56:57], v[56:57], v[74:75], 0
	s_waitcnt vmcnt(4)
	s_delay_alu instid0(VALU_DEP_1) | instskip(SKIP_1) | instid1(VALU_DEP_1)
	v_fma_f64 v[56:57], v[58:59], v[76:77], v[56:57]
	s_waitcnt lgkmcnt(0)
	v_fma_f64 v[60:61], v[60:61], v[78:79], v[56:57]
	scratch_load_b128 v[56:59], off, off offset:128
	s_waitcnt vmcnt(4)
	v_fma_f64 v[78:79], v[62:63], v[80:81], v[60:61]
	ds_load_2addr_b64 v[60:63], v1 offset0:35 offset1:36
	ds_load_2addr_b64 v[74:77], v1 offset0:37 offset1:38
	s_waitcnt lgkmcnt(1)
	v_fma_f64 v[60:61], v[64:65], v[60:61], v[78:79]
	scratch_load_b128 v[78:81], off, off offset:144
	s_waitcnt vmcnt(4)
	v_fma_f64 v[60:61], v[66:67], v[62:63], v[60:61]
	s_waitcnt lgkmcnt(0)
	s_delay_alu instid0(VALU_DEP_1)
	v_fma_f64 v[64:65], v[68:69], v[74:75], v[60:61]
	scratch_load_b128 v[60:63], off, off offset:160
	s_waitcnt vmcnt(4)
	v_fma_f64 v[74:75], v[70:71], v[76:77], v[64:65]
	ds_load_2addr_b64 v[64:67], v1 offset0:39 offset1:40
	ds_load_2addr_b64 v[68:71], v1 offset0:41 offset1:42
	scratch_load_b64 v[76:77], off, off offset:192
	s_waitcnt lgkmcnt(1)
	v_fma_f64 v[64:65], v[72:73], v[64:65], v[74:75]
	scratch_load_b128 v[72:75], off, off offset:176
	s_waitcnt vmcnt(5)
	v_fma_f64 v[64:65], v[82:83], v[66:67], v[64:65]
	s_waitcnt lgkmcnt(0)
	s_delay_alu instid0(VALU_DEP_1) | instskip(SKIP_1) | instid1(VALU_DEP_1)
	v_fma_f64 v[64:65], v[84:85], v[68:69], v[64:65]
	s_waitcnt vmcnt(4)
	v_fma_f64 v[56:57], v[56:57], v[70:71], v[64:65]
	ds_load_2addr_b64 v[64:67], v1 offset0:43 offset1:44
	ds_load_2addr_b64 v[68:71], v1 offset0:45 offset1:46
	s_waitcnt lgkmcnt(1)
	v_fma_f64 v[56:57], v[58:59], v[64:65], v[56:57]
	s_waitcnt vmcnt(3)
	s_delay_alu instid0(VALU_DEP_1) | instskip(SKIP_1) | instid1(VALU_DEP_1)
	v_fma_f64 v[56:57], v[78:79], v[66:67], v[56:57]
	s_waitcnt lgkmcnt(0)
	v_fma_f64 v[56:57], v[80:81], v[68:69], v[56:57]
	s_waitcnt vmcnt(2)
	s_delay_alu instid0(VALU_DEP_1)
	v_fma_f64 v[60:61], v[60:61], v[70:71], v[56:57]
	ds_load_2addr_b64 v[56:59], v1 offset0:47 offset1:48
	ds_load_2addr_b64 v[64:67], v1 offset0:49 offset1:50
	s_waitcnt lgkmcnt(1)
	v_fma_f64 v[1:2], v[62:63], v[56:57], v[60:61]
	s_waitcnt vmcnt(0)
	s_delay_alu instid0(VALU_DEP_1) | instskip(SKIP_1) | instid1(VALU_DEP_1)
	v_fma_f64 v[1:2], v[72:73], v[58:59], v[1:2]
	s_waitcnt lgkmcnt(0)
	v_fma_f64 v[1:2], v[74:75], v[64:65], v[1:2]
	s_delay_alu instid0(VALU_DEP_1) | instskip(NEXT) | instid1(VALU_DEP_1)
	v_fma_f64 v[1:2], v[76:77], v[66:67], v[1:2]
	v_add_f64 v[1:2], v[54:55], -v[1:2]
	scratch_store_b64 off, v[1:2], off offset:32
	v_cmpx_lt_u32_e32 3, v0
	s_cbranch_execz .LBB24_153
; %bb.152:
	scratch_load_b64 v[1:2], off, off offset:24
	v_mov_b32_e32 v54, 0
	s_delay_alu instid0(VALU_DEP_1)
	v_mov_b32_e32 v55, v54
	scratch_store_b64 off, v[54:55], off offset:24
	s_waitcnt vmcnt(0)
	ds_store_b64 v3, v[1:2]
.LBB24_153:
	s_or_b32 exec_lo, exec_lo, s0
	s_waitcnt lgkmcnt(0)
	s_waitcnt_vscnt null, 0x0
	s_barrier
	buffer_gl0_inv
	s_clause 0x4
	scratch_load_b128 v[54:57], off, off offset:24
	scratch_load_b128 v[58:61], off, off offset:40
	;; [unrolled: 1-line block ×5, first 2 shown]
	v_mov_b32_e32 v1, 0
	ds_load_b128 v[74:77], v1 offset:240
	ds_load_b128 v[78:81], v1 offset:256
	scratch_load_b128 v[82:85], off, off offset:104
	s_mov_b32 s0, exec_lo
	s_waitcnt vmcnt(5) lgkmcnt(1)
	v_fma_f64 v[56:57], v[56:57], v[74:75], 0
	s_waitcnt vmcnt(4)
	s_delay_alu instid0(VALU_DEP_1) | instskip(SKIP_1) | instid1(VALU_DEP_1)
	v_fma_f64 v[56:57], v[58:59], v[76:77], v[56:57]
	s_waitcnt lgkmcnt(0)
	v_fma_f64 v[60:61], v[60:61], v[78:79], v[56:57]
	scratch_load_b128 v[56:59], off, off offset:120
	s_waitcnt vmcnt(4)
	v_fma_f64 v[78:79], v[62:63], v[80:81], v[60:61]
	ds_load_b128 v[60:63], v1 offset:272
	ds_load_b128 v[74:77], v1 offset:288
	s_waitcnt lgkmcnt(1)
	v_fma_f64 v[60:61], v[64:65], v[60:61], v[78:79]
	scratch_load_b128 v[78:81], off, off offset:136
	s_waitcnt vmcnt(4)
	v_fma_f64 v[60:61], v[66:67], v[62:63], v[60:61]
	s_waitcnt lgkmcnt(0)
	s_delay_alu instid0(VALU_DEP_1)
	v_fma_f64 v[64:65], v[68:69], v[74:75], v[60:61]
	scratch_load_b128 v[60:63], off, off offset:152
	s_waitcnt vmcnt(4)
	v_fma_f64 v[74:75], v[70:71], v[76:77], v[64:65]
	ds_load_b128 v[64:67], v1 offset:304
	ds_load_b128 v[68:71], v1 offset:320
	s_waitcnt lgkmcnt(1)
	v_fma_f64 v[64:65], v[72:73], v[64:65], v[74:75]
	scratch_load_b128 v[72:75], off, off offset:168
	s_waitcnt vmcnt(4)
	v_fma_f64 v[64:65], v[82:83], v[66:67], v[64:65]
	s_waitcnt lgkmcnt(0)
	s_delay_alu instid0(VALU_DEP_1)
	v_fma_f64 v[68:69], v[84:85], v[68:69], v[64:65]
	scratch_load_b128 v[64:67], off, off offset:184
	s_waitcnt vmcnt(4)
	v_fma_f64 v[56:57], v[56:57], v[70:71], v[68:69]
	ds_load_b128 v[68:71], v1 offset:336
	ds_load_b128 v[82:85], v1 offset:352
	s_waitcnt lgkmcnt(1)
	v_fma_f64 v[56:57], v[58:59], v[68:69], v[56:57]
	s_waitcnt vmcnt(3)
	s_delay_alu instid0(VALU_DEP_1) | instskip(SKIP_1) | instid1(VALU_DEP_1)
	v_fma_f64 v[56:57], v[78:79], v[70:71], v[56:57]
	s_waitcnt lgkmcnt(0)
	v_fma_f64 v[56:57], v[80:81], v[82:83], v[56:57]
	s_waitcnt vmcnt(2)
	s_delay_alu instid0(VALU_DEP_1)
	v_fma_f64 v[60:61], v[60:61], v[84:85], v[56:57]
	ds_load_b128 v[56:59], v1 offset:368
	ds_load_b128 v[68:71], v1 offset:384
	s_waitcnt lgkmcnt(1)
	v_fma_f64 v[56:57], v[62:63], v[56:57], v[60:61]
	s_waitcnt vmcnt(1)
	s_delay_alu instid0(VALU_DEP_1) | instskip(SKIP_4) | instid1(VALU_DEP_1)
	v_fma_f64 v[56:57], v[72:73], v[58:59], v[56:57]
	ds_load_b64 v[58:59], v1 offset:400
	s_waitcnt lgkmcnt(1)
	v_fma_f64 v[56:57], v[74:75], v[68:69], v[56:57]
	s_waitcnt vmcnt(0)
	v_fma_f64 v[56:57], v[64:65], v[70:71], v[56:57]
	s_waitcnt lgkmcnt(0)
	s_delay_alu instid0(VALU_DEP_1) | instskip(NEXT) | instid1(VALU_DEP_1)
	v_fma_f64 v[56:57], v[66:67], v[58:59], v[56:57]
	v_add_f64 v[54:55], v[54:55], -v[56:57]
	scratch_store_b64 off, v[54:55], off offset:24
	v_cmpx_lt_u32_e32 2, v0
	s_cbranch_execz .LBB24_155
; %bb.154:
	scratch_load_b64 v[54:55], off, off offset:16
	v_mov_b32_e32 v2, v1
	scratch_store_b64 off, v[1:2], off offset:16
	s_waitcnt vmcnt(0)
	ds_store_b64 v3, v[54:55]
.LBB24_155:
	s_or_b32 exec_lo, exec_lo, s0
	s_waitcnt lgkmcnt(0)
	s_waitcnt_vscnt null, 0x0
	s_barrier
	buffer_gl0_inv
	s_clause 0x4
	scratch_load_b128 v[54:57], off, off offset:16
	scratch_load_b128 v[58:61], off, off offset:32
	;; [unrolled: 1-line block ×5, first 2 shown]
	ds_load_2addr_b64 v[74:77], v1 offset0:29 offset1:30
	ds_load_2addr_b64 v[78:81], v1 offset0:31 offset1:32
	scratch_load_b128 v[82:85], off, off offset:96
	s_mov_b32 s0, exec_lo
	s_waitcnt vmcnt(5) lgkmcnt(1)
	v_fma_f64 v[56:57], v[56:57], v[74:75], 0
	s_waitcnt vmcnt(4)
	s_delay_alu instid0(VALU_DEP_1) | instskip(SKIP_1) | instid1(VALU_DEP_1)
	v_fma_f64 v[56:57], v[58:59], v[76:77], v[56:57]
	s_waitcnt lgkmcnt(0)
	v_fma_f64 v[60:61], v[60:61], v[78:79], v[56:57]
	scratch_load_b128 v[56:59], off, off offset:112
	s_waitcnt vmcnt(4)
	v_fma_f64 v[78:79], v[62:63], v[80:81], v[60:61]
	ds_load_2addr_b64 v[60:63], v1 offset0:33 offset1:34
	ds_load_2addr_b64 v[74:77], v1 offset0:35 offset1:36
	s_waitcnt lgkmcnt(1)
	v_fma_f64 v[60:61], v[64:65], v[60:61], v[78:79]
	scratch_load_b128 v[78:81], off, off offset:128
	s_waitcnt vmcnt(4)
	v_fma_f64 v[60:61], v[66:67], v[62:63], v[60:61]
	s_waitcnt lgkmcnt(0)
	s_delay_alu instid0(VALU_DEP_1)
	v_fma_f64 v[64:65], v[68:69], v[74:75], v[60:61]
	scratch_load_b128 v[60:63], off, off offset:144
	s_waitcnt vmcnt(4)
	v_fma_f64 v[74:75], v[70:71], v[76:77], v[64:65]
	ds_load_2addr_b64 v[64:67], v1 offset0:37 offset1:38
	ds_load_2addr_b64 v[68:71], v1 offset0:39 offset1:40
	s_waitcnt lgkmcnt(1)
	v_fma_f64 v[64:65], v[72:73], v[64:65], v[74:75]
	scratch_load_b128 v[72:75], off, off offset:160
	s_waitcnt vmcnt(4)
	v_fma_f64 v[64:65], v[82:83], v[66:67], v[64:65]
	s_waitcnt lgkmcnt(0)
	s_delay_alu instid0(VALU_DEP_1)
	v_fma_f64 v[68:69], v[84:85], v[68:69], v[64:65]
	scratch_load_b128 v[64:67], off, off offset:176
	s_waitcnt vmcnt(4)
	v_fma_f64 v[56:57], v[56:57], v[70:71], v[68:69]
	ds_load_2addr_b64 v[68:71], v1 offset0:41 offset1:42
	ds_load_2addr_b64 v[82:85], v1 offset0:43 offset1:44
	scratch_load_b64 v[76:77], off, off offset:192
	s_waitcnt lgkmcnt(1)
	v_fma_f64 v[56:57], v[58:59], v[68:69], v[56:57]
	s_waitcnt vmcnt(4)
	s_delay_alu instid0(VALU_DEP_1) | instskip(SKIP_1) | instid1(VALU_DEP_1)
	v_fma_f64 v[56:57], v[78:79], v[70:71], v[56:57]
	s_waitcnt lgkmcnt(0)
	v_fma_f64 v[56:57], v[80:81], v[82:83], v[56:57]
	s_waitcnt vmcnt(3)
	s_delay_alu instid0(VALU_DEP_1)
	v_fma_f64 v[60:61], v[60:61], v[84:85], v[56:57]
	ds_load_2addr_b64 v[56:59], v1 offset0:45 offset1:46
	ds_load_2addr_b64 v[68:71], v1 offset0:47 offset1:48
	s_waitcnt lgkmcnt(1)
	v_fma_f64 v[56:57], v[62:63], v[56:57], v[60:61]
	s_waitcnt vmcnt(2)
	s_delay_alu instid0(VALU_DEP_1) | instskip(SKIP_1) | instid1(VALU_DEP_1)
	v_fma_f64 v[56:57], v[72:73], v[58:59], v[56:57]
	s_waitcnt lgkmcnt(0)
	v_fma_f64 v[56:57], v[74:75], v[68:69], v[56:57]
	s_waitcnt vmcnt(1)
	s_delay_alu instid0(VALU_DEP_1) | instskip(SKIP_4) | instid1(VALU_DEP_1)
	v_fma_f64 v[60:61], v[64:65], v[70:71], v[56:57]
	ds_load_2addr_b64 v[56:59], v1 offset0:49 offset1:50
	s_waitcnt lgkmcnt(0)
	v_fma_f64 v[1:2], v[66:67], v[56:57], v[60:61]
	s_waitcnt vmcnt(0)
	v_fma_f64 v[1:2], v[76:77], v[58:59], v[1:2]
	s_delay_alu instid0(VALU_DEP_1)
	v_add_f64 v[1:2], v[54:55], -v[1:2]
	scratch_store_b64 off, v[1:2], off offset:16
	v_cmpx_lt_u32_e32 1, v0
	s_cbranch_execz .LBB24_157
; %bb.156:
	scratch_load_b64 v[1:2], off, off offset:8
	v_mov_b32_e32 v54, 0
	s_delay_alu instid0(VALU_DEP_1)
	v_mov_b32_e32 v55, v54
	scratch_store_b64 off, v[54:55], off offset:8
	s_waitcnt vmcnt(0)
	ds_store_b64 v3, v[1:2]
.LBB24_157:
	s_or_b32 exec_lo, exec_lo, s0
	s_waitcnt lgkmcnt(0)
	s_waitcnt_vscnt null, 0x0
	s_barrier
	buffer_gl0_inv
	s_clause 0x4
	scratch_load_b128 v[55:58], off, off offset:8
	scratch_load_b128 v[59:62], off, off offset:24
	;; [unrolled: 1-line block ×5, first 2 shown]
	v_mov_b32_e32 v54, 0
	ds_load_b128 v[75:78], v54 offset:224
	ds_load_b128 v[79:82], v54 offset:240
	scratch_load_b128 v[83:86], off, off offset:88
	s_mov_b32 s0, exec_lo
	s_waitcnt vmcnt(5) lgkmcnt(1)
	v_fma_f64 v[1:2], v[57:58], v[75:76], 0
	s_waitcnt vmcnt(4)
	s_delay_alu instid0(VALU_DEP_1) | instskip(SKIP_4) | instid1(VALU_DEP_1)
	v_fma_f64 v[1:2], v[59:60], v[77:78], v[1:2]
	scratch_load_b128 v[57:60], off, off offset:104
	s_waitcnt lgkmcnt(0)
	v_fma_f64 v[1:2], v[61:62], v[79:80], v[1:2]
	s_waitcnt vmcnt(4)
	v_fma_f64 v[1:2], v[63:64], v[81:82], v[1:2]
	ds_load_b128 v[61:64], v54 offset:256
	ds_load_b128 v[75:78], v54 offset:272
	scratch_load_b128 v[79:82], off, off offset:120
	s_waitcnt lgkmcnt(1)
	v_fma_f64 v[1:2], v[65:66], v[61:62], v[1:2]
	s_waitcnt vmcnt(4)
	s_delay_alu instid0(VALU_DEP_1) | instskip(SKIP_4) | instid1(VALU_DEP_1)
	v_fma_f64 v[1:2], v[67:68], v[63:64], v[1:2]
	scratch_load_b128 v[61:64], off, off offset:136
	s_waitcnt lgkmcnt(0)
	v_fma_f64 v[1:2], v[69:70], v[75:76], v[1:2]
	s_waitcnt vmcnt(4)
	v_fma_f64 v[1:2], v[71:72], v[77:78], v[1:2]
	ds_load_b128 v[65:68], v54 offset:288
	ds_load_b128 v[69:72], v54 offset:304
	s_waitcnt lgkmcnt(1)
	v_fma_f64 v[1:2], v[73:74], v[65:66], v[1:2]
	scratch_load_b128 v[73:76], off, off offset:152
	s_waitcnt vmcnt(4)
	v_fma_f64 v[1:2], v[83:84], v[67:68], v[1:2]
	scratch_load_b128 v[65:68], off, off offset:168
	s_waitcnt lgkmcnt(0)
	v_fma_f64 v[1:2], v[85:86], v[69:70], v[1:2]
	s_waitcnt vmcnt(4)
	s_delay_alu instid0(VALU_DEP_1)
	v_fma_f64 v[1:2], v[57:58], v[71:72], v[1:2]
	ds_load_b128 v[69:72], v54 offset:320
	ds_load_b128 v[83:86], v54 offset:336
	s_waitcnt lgkmcnt(1)
	v_fma_f64 v[1:2], v[59:60], v[69:70], v[1:2]
	scratch_load_b128 v[57:60], off, off offset:184
	s_waitcnt vmcnt(4)
	v_fma_f64 v[1:2], v[79:80], v[71:72], v[1:2]
	ds_load_b128 v[69:72], v54 offset:352
	ds_load_b128 v[77:80], v54 offset:368
	s_waitcnt lgkmcnt(2)
	v_fma_f64 v[1:2], v[81:82], v[83:84], v[1:2]
	s_waitcnt vmcnt(3)
	s_delay_alu instid0(VALU_DEP_1) | instskip(SKIP_1) | instid1(VALU_DEP_1)
	v_fma_f64 v[1:2], v[61:62], v[85:86], v[1:2]
	s_waitcnt lgkmcnt(1)
	v_fma_f64 v[1:2], v[63:64], v[69:70], v[1:2]
	s_waitcnt vmcnt(2)
	s_delay_alu instid0(VALU_DEP_1) | instskip(SKIP_1) | instid1(VALU_DEP_1)
	v_fma_f64 v[1:2], v[73:74], v[71:72], v[1:2]
	s_waitcnt lgkmcnt(0)
	v_fma_f64 v[1:2], v[75:76], v[77:78], v[1:2]
	s_waitcnt vmcnt(1)
	s_delay_alu instid0(VALU_DEP_1)
	v_fma_f64 v[1:2], v[65:66], v[79:80], v[1:2]
	ds_load_b128 v[61:64], v54 offset:384
	ds_load_b64 v[65:66], v54 offset:400
	s_waitcnt lgkmcnt(1)
	v_fma_f64 v[1:2], v[67:68], v[61:62], v[1:2]
	s_waitcnt vmcnt(0)
	s_delay_alu instid0(VALU_DEP_1) | instskip(SKIP_1) | instid1(VALU_DEP_1)
	v_fma_f64 v[1:2], v[57:58], v[63:64], v[1:2]
	s_waitcnt lgkmcnt(0)
	v_fma_f64 v[1:2], v[59:60], v[65:66], v[1:2]
	s_delay_alu instid0(VALU_DEP_1)
	v_add_f64 v[1:2], v[55:56], -v[1:2]
	scratch_store_b64 off, v[1:2], off offset:8
	v_cmpx_ne_u32_e32 0, v0
	s_cbranch_execz .LBB24_159
; %bb.158:
	scratch_load_b64 v[0:1], off, off
	v_mov_b32_e32 v55, v54
	scratch_store_b64 off, v[54:55], off
	s_waitcnt vmcnt(0)
	ds_store_b64 v3, v[0:1]
.LBB24_159:
	s_or_b32 exec_lo, exec_lo, s0
	s_waitcnt lgkmcnt(0)
	s_waitcnt_vscnt null, 0x0
	s_barrier
	buffer_gl0_inv
	s_clause 0x4
	scratch_load_b128 v[55:58], off, off
	scratch_load_b128 v[0:3], off, off offset:16
	scratch_load_b128 v[59:62], off, off offset:32
	;; [unrolled: 1-line block ×4, first 2 shown]
	ds_load_2addr_b64 v[71:74], v54 offset0:27 offset1:28
	ds_load_2addr_b64 v[75:78], v54 offset0:29 offset1:30
	scratch_load_b128 v[79:82], off, off offset:80
	s_and_b32 vcc_lo, exec_lo, s16
	s_waitcnt vmcnt(5) lgkmcnt(1)
	v_fma_f64 v[57:58], v[57:58], v[71:72], 0
	s_waitcnt vmcnt(4)
	s_delay_alu instid0(VALU_DEP_1) | instskip(SKIP_1) | instid1(VALU_DEP_1)
	v_fma_f64 v[0:1], v[0:1], v[73:74], v[57:58]
	s_waitcnt lgkmcnt(0)
	v_fma_f64 v[57:58], v[2:3], v[75:76], v[0:1]
	scratch_load_b128 v[0:3], off, off offset:96
	s_waitcnt vmcnt(4)
	v_fma_f64 v[75:76], v[59:60], v[77:78], v[57:58]
	ds_load_2addr_b64 v[57:60], v54 offset0:31 offset1:32
	ds_load_2addr_b64 v[71:74], v54 offset0:33 offset1:34
	s_waitcnt lgkmcnt(1)
	v_fma_f64 v[57:58], v[61:62], v[57:58], v[75:76]
	scratch_load_b128 v[75:78], off, off offset:112
	s_waitcnt vmcnt(4)
	v_fma_f64 v[57:58], v[63:64], v[59:60], v[57:58]
	s_waitcnt lgkmcnt(0)
	s_delay_alu instid0(VALU_DEP_1)
	v_fma_f64 v[61:62], v[65:66], v[71:72], v[57:58]
	scratch_load_b128 v[57:60], off, off offset:128
	s_waitcnt vmcnt(4)
	v_fma_f64 v[71:72], v[67:68], v[73:74], v[61:62]
	ds_load_2addr_b64 v[61:64], v54 offset0:35 offset1:36
	ds_load_2addr_b64 v[65:68], v54 offset0:37 offset1:38
	s_waitcnt lgkmcnt(1)
	v_fma_f64 v[61:62], v[69:70], v[61:62], v[71:72]
	scratch_load_b128 v[69:72], off, off offset:144
	s_waitcnt vmcnt(4)
	v_fma_f64 v[61:62], v[79:80], v[63:64], v[61:62]
	s_waitcnt lgkmcnt(0)
	s_delay_alu instid0(VALU_DEP_1)
	;; [unrolled: 13-line block ×3, first 2 shown]
	v_fma_f64 v[65:66], v[77:78], v[79:80], v[65:66]
	scratch_load_b64 v[77:78], off, off offset:192
	s_waitcnt vmcnt(4)
	v_fma_f64 v[57:58], v[57:58], v[81:82], v[65:66]
	ds_load_2addr_b64 v[65:68], v54 offset0:43 offset1:44
	ds_load_2addr_b64 v[73:76], v54 offset0:45 offset1:46
	s_waitcnt lgkmcnt(1)
	v_fma_f64 v[57:58], v[59:60], v[65:66], v[57:58]
	s_waitcnt vmcnt(3)
	s_delay_alu instid0(VALU_DEP_1) | instskip(SKIP_1) | instid1(VALU_DEP_1)
	v_fma_f64 v[57:58], v[69:70], v[67:68], v[57:58]
	s_waitcnt lgkmcnt(0)
	v_fma_f64 v[57:58], v[71:72], v[73:74], v[57:58]
	s_waitcnt vmcnt(2)
	s_delay_alu instid0(VALU_DEP_1)
	v_fma_f64 v[61:62], v[61:62], v[75:76], v[57:58]
	ds_load_2addr_b64 v[57:60], v54 offset0:47 offset1:48
	ds_load_2addr_b64 v[65:68], v54 offset0:49 offset1:50
	s_waitcnt lgkmcnt(1)
	v_fma_f64 v[57:58], v[63:64], v[57:58], v[61:62]
	s_waitcnt vmcnt(1)
	s_delay_alu instid0(VALU_DEP_1) | instskip(SKIP_1) | instid1(VALU_DEP_1)
	v_fma_f64 v[0:1], v[0:1], v[59:60], v[57:58]
	s_waitcnt lgkmcnt(0)
	v_fma_f64 v[0:1], v[2:3], v[65:66], v[0:1]
	s_waitcnt vmcnt(0)
	s_delay_alu instid0(VALU_DEP_1) | instskip(NEXT) | instid1(VALU_DEP_1)
	v_fma_f64 v[0:1], v[77:78], v[67:68], v[0:1]
	v_add_f64 v[0:1], v[55:56], -v[0:1]
	scratch_store_b64 off, v[0:1], off
	s_cbranch_vccz .LBB24_209
; %bb.160:
	v_dual_mov_b32 v0, s12 :: v_dual_mov_b32 v1, s13
	s_mov_b32 s0, exec_lo
	flat_load_b32 v0, v[0:1] offset:92
	s_waitcnt vmcnt(0) lgkmcnt(0)
	v_cmpx_ne_u32_e32 24, v0
	s_cbranch_execz .LBB24_162
; %bb.161:
	v_lshl_add_u32 v54, v0, 3, 0
	scratch_load_b64 v[0:1], v54, off offset:-8
	s_waitcnt vmcnt(0)
	scratch_store_b64 off, v[0:1], off offset:184
	scratch_store_b64 v54, v[2:3], off offset:-8
.LBB24_162:
	s_or_b32 exec_lo, exec_lo, s0
	v_dual_mov_b32 v0, s12 :: v_dual_mov_b32 v1, s13
	s_mov_b32 s0, exec_lo
	flat_load_b32 v0, v[0:1] offset:88
	s_waitcnt vmcnt(0) lgkmcnt(0)
	v_cmpx_ne_u32_e32 23, v0
	s_cbranch_execz .LBB24_164
; %bb.163:
	v_lshl_add_u32 v54, v0, 3, 0
	scratch_load_b64 v[0:1], v54, off offset:-8
	scratch_load_b64 v[2:3], off, off offset:176
	s_waitcnt vmcnt(1)
	scratch_store_b64 off, v[0:1], off offset:176
	s_waitcnt vmcnt(0)
	scratch_store_b64 v54, v[2:3], off offset:-8
.LBB24_164:
	s_or_b32 exec_lo, exec_lo, s0
	v_dual_mov_b32 v0, s12 :: v_dual_mov_b32 v1, s13
	s_mov_b32 s0, exec_lo
	flat_load_b32 v0, v[0:1] offset:84
	s_waitcnt vmcnt(0) lgkmcnt(0)
	v_cmpx_ne_u32_e32 22, v0
	s_cbranch_execz .LBB24_166
; %bb.165:
	v_lshl_add_u32 v54, v0, 3, 0
	scratch_load_b64 v[0:1], v54, off offset:-8
	scratch_load_b64 v[2:3], off, off offset:168
	s_waitcnt vmcnt(1)
	scratch_store_b64 off, v[0:1], off offset:168
	s_waitcnt vmcnt(0)
	scratch_store_b64 v54, v[2:3], off offset:-8
.LBB24_166:
	s_or_b32 exec_lo, exec_lo, s0
	v_dual_mov_b32 v0, s12 :: v_dual_mov_b32 v1, s13
	s_mov_b32 s0, exec_lo
	flat_load_b32 v0, v[0:1] offset:80
	s_waitcnt vmcnt(0) lgkmcnt(0)
	v_cmpx_ne_u32_e32 21, v0
	s_cbranch_execz .LBB24_168
; %bb.167:
	v_lshl_add_u32 v54, v0, 3, 0
	scratch_load_b64 v[0:1], v54, off offset:-8
	scratch_load_b64 v[2:3], off, off offset:160
	s_waitcnt vmcnt(1)
	scratch_store_b64 off, v[0:1], off offset:160
	s_waitcnt vmcnt(0)
	scratch_store_b64 v54, v[2:3], off offset:-8
.LBB24_168:
	s_or_b32 exec_lo, exec_lo, s0
	v_dual_mov_b32 v0, s12 :: v_dual_mov_b32 v1, s13
	s_mov_b32 s0, exec_lo
	flat_load_b32 v0, v[0:1] offset:76
	s_waitcnt vmcnt(0) lgkmcnt(0)
	v_cmpx_ne_u32_e32 20, v0
	s_cbranch_execz .LBB24_170
; %bb.169:
	v_lshl_add_u32 v54, v0, 3, 0
	scratch_load_b64 v[0:1], v54, off offset:-8
	scratch_load_b64 v[2:3], off, off offset:152
	s_waitcnt vmcnt(1)
	scratch_store_b64 off, v[0:1], off offset:152
	s_waitcnt vmcnt(0)
	scratch_store_b64 v54, v[2:3], off offset:-8
.LBB24_170:
	s_or_b32 exec_lo, exec_lo, s0
	v_dual_mov_b32 v0, s12 :: v_dual_mov_b32 v1, s13
	s_mov_b32 s0, exec_lo
	flat_load_b32 v0, v[0:1] offset:72
	s_waitcnt vmcnt(0) lgkmcnt(0)
	v_cmpx_ne_u32_e32 19, v0
	s_cbranch_execz .LBB24_172
; %bb.171:
	v_lshl_add_u32 v54, v0, 3, 0
	scratch_load_b64 v[0:1], v54, off offset:-8
	scratch_load_b64 v[2:3], off, off offset:144
	s_waitcnt vmcnt(1)
	scratch_store_b64 off, v[0:1], off offset:144
	s_waitcnt vmcnt(0)
	scratch_store_b64 v54, v[2:3], off offset:-8
.LBB24_172:
	s_or_b32 exec_lo, exec_lo, s0
	v_dual_mov_b32 v0, s12 :: v_dual_mov_b32 v1, s13
	s_mov_b32 s0, exec_lo
	flat_load_b32 v0, v[0:1] offset:68
	s_waitcnt vmcnt(0) lgkmcnt(0)
	v_cmpx_ne_u32_e32 18, v0
	s_cbranch_execz .LBB24_174
; %bb.173:
	v_lshl_add_u32 v54, v0, 3, 0
	scratch_load_b64 v[0:1], v54, off offset:-8
	scratch_load_b64 v[2:3], off, off offset:136
	s_waitcnt vmcnt(1)
	scratch_store_b64 off, v[0:1], off offset:136
	s_waitcnt vmcnt(0)
	scratch_store_b64 v54, v[2:3], off offset:-8
.LBB24_174:
	s_or_b32 exec_lo, exec_lo, s0
	v_dual_mov_b32 v0, s12 :: v_dual_mov_b32 v1, s13
	s_mov_b32 s0, exec_lo
	flat_load_b32 v0, v[0:1] offset:64
	s_waitcnt vmcnt(0) lgkmcnt(0)
	v_cmpx_ne_u32_e32 17, v0
	s_cbranch_execz .LBB24_176
; %bb.175:
	v_lshl_add_u32 v54, v0, 3, 0
	scratch_load_b64 v[0:1], v54, off offset:-8
	scratch_load_b64 v[2:3], off, off offset:128
	s_waitcnt vmcnt(1)
	scratch_store_b64 off, v[0:1], off offset:128
	s_waitcnt vmcnt(0)
	scratch_store_b64 v54, v[2:3], off offset:-8
.LBB24_176:
	s_or_b32 exec_lo, exec_lo, s0
	v_dual_mov_b32 v0, s12 :: v_dual_mov_b32 v1, s13
	s_mov_b32 s0, exec_lo
	flat_load_b32 v0, v[0:1] offset:60
	s_waitcnt vmcnt(0) lgkmcnt(0)
	v_cmpx_ne_u32_e32 16, v0
	s_cbranch_execz .LBB24_178
; %bb.177:
	v_lshl_add_u32 v54, v0, 3, 0
	scratch_load_b64 v[0:1], v54, off offset:-8
	scratch_load_b64 v[2:3], off, off offset:120
	s_waitcnt vmcnt(1)
	scratch_store_b64 off, v[0:1], off offset:120
	s_waitcnt vmcnt(0)
	scratch_store_b64 v54, v[2:3], off offset:-8
.LBB24_178:
	s_or_b32 exec_lo, exec_lo, s0
	v_dual_mov_b32 v0, s12 :: v_dual_mov_b32 v1, s13
	s_mov_b32 s0, exec_lo
	flat_load_b32 v0, v[0:1] offset:56
	s_waitcnt vmcnt(0) lgkmcnt(0)
	v_cmpx_ne_u32_e32 15, v0
	s_cbranch_execz .LBB24_180
; %bb.179:
	v_lshl_add_u32 v54, v0, 3, 0
	scratch_load_b64 v[0:1], v54, off offset:-8
	scratch_load_b64 v[2:3], off, off offset:112
	s_waitcnt vmcnt(1)
	scratch_store_b64 off, v[0:1], off offset:112
	s_waitcnt vmcnt(0)
	scratch_store_b64 v54, v[2:3], off offset:-8
.LBB24_180:
	s_or_b32 exec_lo, exec_lo, s0
	v_dual_mov_b32 v0, s12 :: v_dual_mov_b32 v1, s13
	s_mov_b32 s0, exec_lo
	flat_load_b32 v0, v[0:1] offset:52
	s_waitcnt vmcnt(0) lgkmcnt(0)
	v_cmpx_ne_u32_e32 14, v0
	s_cbranch_execz .LBB24_182
; %bb.181:
	v_lshl_add_u32 v54, v0, 3, 0
	scratch_load_b64 v[0:1], v54, off offset:-8
	scratch_load_b64 v[2:3], off, off offset:104
	s_waitcnt vmcnt(1)
	scratch_store_b64 off, v[0:1], off offset:104
	s_waitcnt vmcnt(0)
	scratch_store_b64 v54, v[2:3], off offset:-8
.LBB24_182:
	s_or_b32 exec_lo, exec_lo, s0
	v_dual_mov_b32 v0, s12 :: v_dual_mov_b32 v1, s13
	s_mov_b32 s0, exec_lo
	flat_load_b32 v0, v[0:1] offset:48
	s_waitcnt vmcnt(0) lgkmcnt(0)
	v_cmpx_ne_u32_e32 13, v0
	s_cbranch_execz .LBB24_184
; %bb.183:
	v_lshl_add_u32 v54, v0, 3, 0
	scratch_load_b64 v[0:1], v54, off offset:-8
	scratch_load_b64 v[2:3], off, off offset:96
	s_waitcnt vmcnt(1)
	scratch_store_b64 off, v[0:1], off offset:96
	s_waitcnt vmcnt(0)
	scratch_store_b64 v54, v[2:3], off offset:-8
.LBB24_184:
	s_or_b32 exec_lo, exec_lo, s0
	v_dual_mov_b32 v0, s12 :: v_dual_mov_b32 v1, s13
	s_mov_b32 s0, exec_lo
	flat_load_b32 v0, v[0:1] offset:44
	s_waitcnt vmcnt(0) lgkmcnt(0)
	v_cmpx_ne_u32_e32 12, v0
	s_cbranch_execz .LBB24_186
; %bb.185:
	v_lshl_add_u32 v54, v0, 3, 0
	scratch_load_b64 v[0:1], v54, off offset:-8
	scratch_load_b64 v[2:3], off, off offset:88
	s_waitcnt vmcnt(1)
	scratch_store_b64 off, v[0:1], off offset:88
	s_waitcnt vmcnt(0)
	scratch_store_b64 v54, v[2:3], off offset:-8
.LBB24_186:
	s_or_b32 exec_lo, exec_lo, s0
	v_dual_mov_b32 v0, s12 :: v_dual_mov_b32 v1, s13
	s_mov_b32 s0, exec_lo
	flat_load_b32 v0, v[0:1] offset:40
	s_waitcnt vmcnt(0) lgkmcnt(0)
	v_cmpx_ne_u32_e32 11, v0
	s_cbranch_execz .LBB24_188
; %bb.187:
	v_lshl_add_u32 v54, v0, 3, 0
	scratch_load_b64 v[0:1], v54, off offset:-8
	scratch_load_b64 v[2:3], off, off offset:80
	s_waitcnt vmcnt(1)
	scratch_store_b64 off, v[0:1], off offset:80
	s_waitcnt vmcnt(0)
	scratch_store_b64 v54, v[2:3], off offset:-8
.LBB24_188:
	s_or_b32 exec_lo, exec_lo, s0
	v_dual_mov_b32 v0, s12 :: v_dual_mov_b32 v1, s13
	s_mov_b32 s0, exec_lo
	flat_load_b32 v0, v[0:1] offset:36
	s_waitcnt vmcnt(0) lgkmcnt(0)
	v_cmpx_ne_u32_e32 10, v0
	s_cbranch_execz .LBB24_190
; %bb.189:
	v_lshl_add_u32 v54, v0, 3, 0
	scratch_load_b64 v[0:1], v54, off offset:-8
	scratch_load_b64 v[2:3], off, off offset:72
	s_waitcnt vmcnt(1)
	scratch_store_b64 off, v[0:1], off offset:72
	s_waitcnt vmcnt(0)
	scratch_store_b64 v54, v[2:3], off offset:-8
.LBB24_190:
	s_or_b32 exec_lo, exec_lo, s0
	v_dual_mov_b32 v0, s12 :: v_dual_mov_b32 v1, s13
	s_mov_b32 s0, exec_lo
	flat_load_b32 v0, v[0:1] offset:32
	s_waitcnt vmcnt(0) lgkmcnt(0)
	v_cmpx_ne_u32_e32 9, v0
	s_cbranch_execz .LBB24_192
; %bb.191:
	v_lshl_add_u32 v54, v0, 3, 0
	scratch_load_b64 v[0:1], v54, off offset:-8
	scratch_load_b64 v[2:3], off, off offset:64
	s_waitcnt vmcnt(1)
	scratch_store_b64 off, v[0:1], off offset:64
	s_waitcnt vmcnt(0)
	scratch_store_b64 v54, v[2:3], off offset:-8
.LBB24_192:
	s_or_b32 exec_lo, exec_lo, s0
	v_dual_mov_b32 v0, s12 :: v_dual_mov_b32 v1, s13
	s_mov_b32 s0, exec_lo
	flat_load_b32 v0, v[0:1] offset:28
	s_waitcnt vmcnt(0) lgkmcnt(0)
	v_cmpx_ne_u32_e32 8, v0
	s_cbranch_execz .LBB24_194
; %bb.193:
	v_lshl_add_u32 v54, v0, 3, 0
	scratch_load_b64 v[0:1], v54, off offset:-8
	scratch_load_b64 v[2:3], off, off offset:56
	s_waitcnt vmcnt(1)
	scratch_store_b64 off, v[0:1], off offset:56
	s_waitcnt vmcnt(0)
	scratch_store_b64 v54, v[2:3], off offset:-8
.LBB24_194:
	s_or_b32 exec_lo, exec_lo, s0
	v_dual_mov_b32 v0, s12 :: v_dual_mov_b32 v1, s13
	s_mov_b32 s0, exec_lo
	flat_load_b32 v0, v[0:1] offset:24
	s_waitcnt vmcnt(0) lgkmcnt(0)
	v_cmpx_ne_u32_e32 7, v0
	s_cbranch_execz .LBB24_196
; %bb.195:
	v_lshl_add_u32 v54, v0, 3, 0
	scratch_load_b64 v[0:1], v54, off offset:-8
	scratch_load_b64 v[2:3], off, off offset:48
	s_waitcnt vmcnt(1)
	scratch_store_b64 off, v[0:1], off offset:48
	s_waitcnt vmcnt(0)
	scratch_store_b64 v54, v[2:3], off offset:-8
.LBB24_196:
	s_or_b32 exec_lo, exec_lo, s0
	v_dual_mov_b32 v0, s12 :: v_dual_mov_b32 v1, s13
	s_mov_b32 s0, exec_lo
	flat_load_b32 v0, v[0:1] offset:20
	s_waitcnt vmcnt(0) lgkmcnt(0)
	v_cmpx_ne_u32_e32 6, v0
	s_cbranch_execz .LBB24_198
; %bb.197:
	v_lshl_add_u32 v54, v0, 3, 0
	scratch_load_b64 v[0:1], v54, off offset:-8
	scratch_load_b64 v[2:3], off, off offset:40
	s_waitcnt vmcnt(1)
	scratch_store_b64 off, v[0:1], off offset:40
	s_waitcnt vmcnt(0)
	scratch_store_b64 v54, v[2:3], off offset:-8
.LBB24_198:
	s_or_b32 exec_lo, exec_lo, s0
	v_dual_mov_b32 v0, s12 :: v_dual_mov_b32 v1, s13
	s_mov_b32 s0, exec_lo
	flat_load_b32 v0, v[0:1] offset:16
	s_waitcnt vmcnt(0) lgkmcnt(0)
	v_cmpx_ne_u32_e32 5, v0
	s_cbranch_execz .LBB24_200
; %bb.199:
	v_lshl_add_u32 v54, v0, 3, 0
	scratch_load_b64 v[0:1], v54, off offset:-8
	scratch_load_b64 v[2:3], off, off offset:32
	s_waitcnt vmcnt(1)
	scratch_store_b64 off, v[0:1], off offset:32
	s_waitcnt vmcnt(0)
	scratch_store_b64 v54, v[2:3], off offset:-8
.LBB24_200:
	s_or_b32 exec_lo, exec_lo, s0
	v_dual_mov_b32 v0, s12 :: v_dual_mov_b32 v1, s13
	s_mov_b32 s0, exec_lo
	flat_load_b32 v0, v[0:1] offset:12
	s_waitcnt vmcnt(0) lgkmcnt(0)
	v_cmpx_ne_u32_e32 4, v0
	s_cbranch_execz .LBB24_202
; %bb.201:
	v_lshl_add_u32 v54, v0, 3, 0
	scratch_load_b64 v[0:1], v54, off offset:-8
	scratch_load_b64 v[2:3], off, off offset:24
	s_waitcnt vmcnt(1)
	scratch_store_b64 off, v[0:1], off offset:24
	s_waitcnt vmcnt(0)
	scratch_store_b64 v54, v[2:3], off offset:-8
.LBB24_202:
	s_or_b32 exec_lo, exec_lo, s0
	v_dual_mov_b32 v0, s12 :: v_dual_mov_b32 v1, s13
	s_mov_b32 s0, exec_lo
	flat_load_b32 v0, v[0:1] offset:8
	s_waitcnt vmcnt(0) lgkmcnt(0)
	v_cmpx_ne_u32_e32 3, v0
	s_cbranch_execz .LBB24_204
; %bb.203:
	v_lshl_add_u32 v54, v0, 3, 0
	scratch_load_b64 v[0:1], v54, off offset:-8
	scratch_load_b64 v[2:3], off, off offset:16
	s_waitcnt vmcnt(1)
	scratch_store_b64 off, v[0:1], off offset:16
	s_waitcnt vmcnt(0)
	scratch_store_b64 v54, v[2:3], off offset:-8
.LBB24_204:
	s_or_b32 exec_lo, exec_lo, s0
	v_dual_mov_b32 v0, s12 :: v_dual_mov_b32 v1, s13
	s_mov_b32 s0, exec_lo
	flat_load_b32 v0, v[0:1] offset:4
	s_waitcnt vmcnt(0) lgkmcnt(0)
	v_cmpx_ne_u32_e32 2, v0
	s_cbranch_execz .LBB24_206
; %bb.205:
	v_lshl_add_u32 v54, v0, 3, 0
	scratch_load_b64 v[0:1], v54, off offset:-8
	scratch_load_b64 v[2:3], off, off offset:8
	s_waitcnt vmcnt(1)
	scratch_store_b64 off, v[0:1], off offset:8
	s_waitcnt vmcnt(0)
	scratch_store_b64 v54, v[2:3], off offset:-8
.LBB24_206:
	s_or_b32 exec_lo, exec_lo, s0
	v_dual_mov_b32 v0, s12 :: v_dual_mov_b32 v1, s13
	s_mov_b32 s0, exec_lo
	flat_load_b32 v2, v[0:1]
	scratch_load_b64 v[0:1], off, off
	s_waitcnt vmcnt(1) lgkmcnt(0)
	v_cmpx_ne_u32_e32 1, v2
	s_cbranch_execz .LBB24_208
; %bb.207:
	v_lshl_add_u32 v54, v2, 3, 0
	scratch_load_b64 v[2:3], v54, off offset:-8
	s_waitcnt vmcnt(0)
	scratch_store_b64 off, v[2:3], off
	scratch_store_b64 v54, v[0:1], off offset:-8
	scratch_load_b64 v[0:1], off, off
.LBB24_208:
	s_or_b32 exec_lo, exec_lo, s0
.LBB24_209:
	s_clause 0x8
	scratch_load_b128 v[54:57], off, off offset:8
	scratch_load_b128 v[58:61], off, off offset:24
	;; [unrolled: 1-line block ×9, first 2 shown]
	s_waitcnt vmcnt(9)
	global_store_b64 v[4:5], v[0:1], off
	s_clause 0x1
	scratch_load_b128 v[0:3], off, off offset:152
	scratch_load_b128 v[90:93], off, off offset:168
	s_waitcnt vmcnt(10)
	s_clause 0x1
	global_store_b64 v[8:9], v[54:55], off
	global_store_b64 v[14:15], v[56:57], off
	scratch_load_b128 v[54:57], off, off offset:184
	s_waitcnt vmcnt(10)
	s_clause 0x1
	global_store_b64 v[6:7], v[58:59], off
	global_store_b64 v[10:11], v[60:61], off
	s_waitcnt vmcnt(9)
	s_clause 0x1
	global_store_b64 v[12:13], v[62:63], off
	global_store_b64 v[16:17], v[64:65], off
	;; [unrolled: 4-line block ×11, first 2 shown]
	s_endpgm
	.section	.rodata,"a",@progbits
	.p2align	6, 0x0
	.amdhsa_kernel _ZN9rocsolver6v33100L18getri_kernel_smallILi25EdPdEEvT1_iilPiilS4_bb
		.amdhsa_group_segment_fixed_size 408
		.amdhsa_private_segment_fixed_size 208
		.amdhsa_kernarg_size 60
		.amdhsa_user_sgpr_count 15
		.amdhsa_user_sgpr_dispatch_ptr 0
		.amdhsa_user_sgpr_queue_ptr 0
		.amdhsa_user_sgpr_kernarg_segment_ptr 1
		.amdhsa_user_sgpr_dispatch_id 0
		.amdhsa_user_sgpr_private_segment_size 0
		.amdhsa_wavefront_size32 1
		.amdhsa_uses_dynamic_stack 0
		.amdhsa_enable_private_segment 1
		.amdhsa_system_sgpr_workgroup_id_x 1
		.amdhsa_system_sgpr_workgroup_id_y 0
		.amdhsa_system_sgpr_workgroup_id_z 0
		.amdhsa_system_sgpr_workgroup_info 0
		.amdhsa_system_vgpr_workitem_id 0
		.amdhsa_next_free_vgpr 94
		.amdhsa_next_free_sgpr 18
		.amdhsa_reserve_vcc 1
		.amdhsa_float_round_mode_32 0
		.amdhsa_float_round_mode_16_64 0
		.amdhsa_float_denorm_mode_32 3
		.amdhsa_float_denorm_mode_16_64 3
		.amdhsa_dx10_clamp 1
		.amdhsa_ieee_mode 1
		.amdhsa_fp16_overflow 0
		.amdhsa_workgroup_processor_mode 1
		.amdhsa_memory_ordered 1
		.amdhsa_forward_progress 0
		.amdhsa_shared_vgpr_count 0
		.amdhsa_exception_fp_ieee_invalid_op 0
		.amdhsa_exception_fp_denorm_src 0
		.amdhsa_exception_fp_ieee_div_zero 0
		.amdhsa_exception_fp_ieee_overflow 0
		.amdhsa_exception_fp_ieee_underflow 0
		.amdhsa_exception_fp_ieee_inexact 0
		.amdhsa_exception_int_div_zero 0
	.end_amdhsa_kernel
	.section	.text._ZN9rocsolver6v33100L18getri_kernel_smallILi25EdPdEEvT1_iilPiilS4_bb,"axG",@progbits,_ZN9rocsolver6v33100L18getri_kernel_smallILi25EdPdEEvT1_iilPiilS4_bb,comdat
.Lfunc_end24:
	.size	_ZN9rocsolver6v33100L18getri_kernel_smallILi25EdPdEEvT1_iilPiilS4_bb, .Lfunc_end24-_ZN9rocsolver6v33100L18getri_kernel_smallILi25EdPdEEvT1_iilPiilS4_bb
                                        ; -- End function
	.section	.AMDGPU.csdata,"",@progbits
; Kernel info:
; codeLenInByte = 17672
; NumSgprs: 20
; NumVgprs: 94
; ScratchSize: 208
; MemoryBound: 0
; FloatMode: 240
; IeeeMode: 1
; LDSByteSize: 408 bytes/workgroup (compile time only)
; SGPRBlocks: 2
; VGPRBlocks: 11
; NumSGPRsForWavesPerEU: 20
; NumVGPRsForWavesPerEU: 94
; Occupancy: 16
; WaveLimiterHint : 1
; COMPUTE_PGM_RSRC2:SCRATCH_EN: 1
; COMPUTE_PGM_RSRC2:USER_SGPR: 15
; COMPUTE_PGM_RSRC2:TRAP_HANDLER: 0
; COMPUTE_PGM_RSRC2:TGID_X_EN: 1
; COMPUTE_PGM_RSRC2:TGID_Y_EN: 0
; COMPUTE_PGM_RSRC2:TGID_Z_EN: 0
; COMPUTE_PGM_RSRC2:TIDIG_COMP_CNT: 0
	.section	.text._ZN9rocsolver6v33100L18getri_kernel_smallILi26EdPdEEvT1_iilPiilS4_bb,"axG",@progbits,_ZN9rocsolver6v33100L18getri_kernel_smallILi26EdPdEEvT1_iilPiilS4_bb,comdat
	.globl	_ZN9rocsolver6v33100L18getri_kernel_smallILi26EdPdEEvT1_iilPiilS4_bb ; -- Begin function _ZN9rocsolver6v33100L18getri_kernel_smallILi26EdPdEEvT1_iilPiilS4_bb
	.p2align	8
	.type	_ZN9rocsolver6v33100L18getri_kernel_smallILi26EdPdEEvT1_iilPiilS4_bb,@function
_ZN9rocsolver6v33100L18getri_kernel_smallILi26EdPdEEvT1_iilPiilS4_bb: ; @_ZN9rocsolver6v33100L18getri_kernel_smallILi26EdPdEEvT1_iilPiilS4_bb
; %bb.0:
	s_mov_b32 s2, exec_lo
	v_cmpx_gt_u32_e32 26, v0
	s_cbranch_execz .LBB25_114
; %bb.1:
	s_clause 0x2
	s_load_b32 s17, s[0:1], 0x38
	s_load_b128 s[8:11], s[0:1], 0x10
	s_load_b128 s[4:7], s[0:1], 0x28
	s_mov_b32 s14, s15
                                        ; implicit-def: $sgpr12_sgpr13
	s_waitcnt lgkmcnt(0)
	s_bitcmp1_b32 s17, 8
	s_cselect_b32 s16, -1, 0
	s_bfe_u32 s2, s17, 0x10008
	s_ashr_i32 s15, s15, 31
	s_cmp_eq_u32 s2, 0
	s_cbranch_scc1 .LBB25_3
; %bb.2:
	s_load_b32 s2, s[0:1], 0x20
	s_mul_i32 s3, s14, s5
	s_mul_hi_u32 s5, s14, s4
	s_mul_i32 s12, s15, s4
	s_add_i32 s3, s5, s3
	s_mul_i32 s4, s14, s4
	s_add_i32 s5, s3, s12
	s_delay_alu instid0(SALU_CYCLE_1)
	s_lshl_b64 s[4:5], s[4:5], 2
	s_waitcnt lgkmcnt(0)
	s_ashr_i32 s3, s2, 31
	s_add_u32 s4, s10, s4
	s_addc_u32 s5, s11, s5
	s_lshl_b64 s[2:3], s[2:3], 2
	s_delay_alu instid0(SALU_CYCLE_1)
	s_add_u32 s12, s4, s2
	s_addc_u32 s13, s5, s3
.LBB25_3:
	s_load_b128 s[0:3], s[0:1], 0x0
	s_mul_i32 s4, s14, s9
	s_mul_hi_u32 s5, s14, s8
	s_mul_i32 s9, s15, s8
	s_add_i32 s5, s5, s4
	s_mul_i32 s4, s14, s8
	s_add_i32 s5, s5, s9
	v_lshlrev_b32_e32 v3, 3, v0
	s_lshl_b64 s[4:5], s[4:5], 3
	s_waitcnt lgkmcnt(0)
	v_add3_u32 v1, s3, s3, v0
	s_ashr_i32 s9, s2, 31
	s_mov_b32 s8, s2
	s_add_u32 s2, s0, s4
	s_addc_u32 s5, s1, s5
	v_add_nc_u32_e32 v6, s3, v1
	s_lshl_b64 s[0:1], s[8:9], 3
	v_ashrrev_i32_e32 v2, 31, v1
	s_add_u32 s0, s2, s0
	s_addc_u32 s1, s5, s1
	v_add_co_u32 v8, s2, s0, v3
	v_add_nc_u32_e32 v10, s3, v6
	s_mov_b32 s4, s3
	s_ashr_i32 s5, s3, 31
	v_add_co_ci_u32_e64 v9, null, s1, 0, s2
	v_ashrrev_i32_e32 v7, 31, v6
	v_lshlrev_b64 v[1:2], 3, v[1:2]
	s_lshl_b64 s[4:5], s[4:5], 3
	v_ashrrev_i32_e32 v11, 31, v10
	v_add_co_u32 v4, vcc_lo, v8, s4
	v_add_co_ci_u32_e32 v5, vcc_lo, s5, v9, vcc_lo
	v_lshlrev_b64 v[6:7], 3, v[6:7]
	v_add_co_u32 v14, vcc_lo, s0, v1
	v_add_nc_u32_e32 v16, s3, v10
	v_add_co_ci_u32_e32 v15, vcc_lo, s1, v2, vcc_lo
	v_lshlrev_b64 v[1:2], 3, v[10:11]
	v_add_co_u32 v6, vcc_lo, s0, v6
	s_delay_alu instid0(VALU_DEP_4)
	v_ashrrev_i32_e32 v17, 31, v16
	s_clause 0x1
	global_load_b64 v[40:41], v3, s[0:1]
	global_load_b64 v[42:43], v[4:5], off
	v_add_co_ci_u32_e32 v7, vcc_lo, s1, v7, vcc_lo
	v_add_co_u32 v10, vcc_lo, s0, v1
	v_add_nc_u32_e32 v1, s3, v16
	v_lshlrev_b64 v[12:13], 3, v[16:17]
	v_add_co_ci_u32_e32 v11, vcc_lo, s1, v2, vcc_lo
	s_bitcmp0_b32 s17, 0
	s_delay_alu instid0(VALU_DEP_3) | instskip(SKIP_1) | instid1(VALU_DEP_4)
	v_add_nc_u32_e32 v20, s3, v1
	v_ashrrev_i32_e32 v2, 31, v1
	v_add_co_u32 v12, vcc_lo, s0, v12
	v_add_co_ci_u32_e32 v13, vcc_lo, s1, v13, vcc_lo
	s_delay_alu instid0(VALU_DEP_4) | instskip(NEXT) | instid1(VALU_DEP_4)
	v_ashrrev_i32_e32 v21, 31, v20
	v_lshlrev_b64 v[1:2], 3, v[1:2]
	s_clause 0x3
	global_load_b64 v[48:49], v[14:15], off
	global_load_b64 v[50:51], v[6:7], off
	;; [unrolled: 1-line block ×4, first 2 shown]
	v_lshlrev_b64 v[18:19], 3, v[20:21]
	v_add_co_u32 v16, vcc_lo, s0, v1
	v_add_co_ci_u32_e32 v17, vcc_lo, s1, v2, vcc_lo
	s_delay_alu instid0(VALU_DEP_3) | instskip(NEXT) | instid1(VALU_DEP_4)
	v_add_co_u32 v18, vcc_lo, s0, v18
	v_add_co_ci_u32_e32 v19, vcc_lo, s1, v19, vcc_lo
	s_clause 0x1
	global_load_b64 v[56:57], v[16:17], off
	global_load_b64 v[58:59], v[18:19], off
	v_add_nc_u32_e32 v1, s3, v20
	s_delay_alu instid0(VALU_DEP_1) | instskip(SKIP_1) | instid1(VALU_DEP_2)
	v_add_nc_u32_e32 v22, s3, v1
	v_ashrrev_i32_e32 v2, 31, v1
	v_add_nc_u32_e32 v24, s3, v22
	s_delay_alu instid0(VALU_DEP_2) | instskip(SKIP_1) | instid1(VALU_DEP_3)
	v_lshlrev_b64 v[1:2], 3, v[1:2]
	v_ashrrev_i32_e32 v23, 31, v22
	v_add_nc_u32_e32 v26, s3, v24
	v_ashrrev_i32_e32 v25, 31, v24
	s_delay_alu instid0(VALU_DEP_4) | instskip(NEXT) | instid1(VALU_DEP_4)
	v_add_co_u32 v20, vcc_lo, s0, v1
	v_lshlrev_b64 v[22:23], 3, v[22:23]
	s_delay_alu instid0(VALU_DEP_4) | instskip(SKIP_3) | instid1(VALU_DEP_4)
	v_add_nc_u32_e32 v28, s3, v26
	v_ashrrev_i32_e32 v27, 31, v26
	v_lshlrev_b64 v[24:25], 3, v[24:25]
	v_add_co_ci_u32_e32 v21, vcc_lo, s1, v2, vcc_lo
	v_add_nc_u32_e32 v30, s3, v28
	v_ashrrev_i32_e32 v29, 31, v28
	v_add_co_u32 v22, vcc_lo, s0, v22
	v_lshlrev_b64 v[26:27], 3, v[26:27]
	s_delay_alu instid0(VALU_DEP_4) | instskip(SKIP_3) | instid1(VALU_DEP_4)
	v_add_nc_u32_e32 v32, s3, v30
	v_ashrrev_i32_e32 v31, 31, v30
	v_add_co_ci_u32_e32 v23, vcc_lo, s1, v23, vcc_lo
	v_add_co_u32 v24, vcc_lo, s0, v24
	v_add_nc_u32_e32 v34, s3, v32
	v_lshlrev_b64 v[28:29], 3, v[28:29]
	v_ashrrev_i32_e32 v33, 31, v32
	v_add_co_ci_u32_e32 v25, vcc_lo, s1, v25, vcc_lo
	s_delay_alu instid0(VALU_DEP_4) | instskip(SKIP_3) | instid1(VALU_DEP_4)
	v_add_nc_u32_e32 v36, s3, v34
	v_add_co_u32 v26, vcc_lo, s0, v26
	v_lshlrev_b64 v[30:31], 3, v[30:31]
	v_ashrrev_i32_e32 v35, 31, v34
	v_add_nc_u32_e32 v38, s3, v36
	v_add_co_ci_u32_e32 v27, vcc_lo, s1, v27, vcc_lo
	v_add_co_u32 v28, vcc_lo, s0, v28
	s_delay_alu instid0(VALU_DEP_3) | instskip(SKIP_3) | instid1(VALU_DEP_4)
	v_add_nc_u32_e32 v44, s3, v38
	v_lshlrev_b64 v[32:33], 3, v[32:33]
	v_add_co_ci_u32_e32 v29, vcc_lo, s1, v29, vcc_lo
	v_add_co_u32 v30, vcc_lo, s0, v30
	v_add_nc_u32_e32 v1, s3, v44
	v_lshlrev_b64 v[34:35], 3, v[34:35]
	v_ashrrev_i32_e32 v37, 31, v36
	v_add_co_ci_u32_e32 v31, vcc_lo, s1, v31, vcc_lo
	s_delay_alu instid0(VALU_DEP_4) | instskip(SKIP_3) | instid1(VALU_DEP_4)
	v_add_nc_u32_e32 v46, s3, v1
	v_add_co_u32 v32, vcc_lo, s0, v32
	v_ashrrev_i32_e32 v39, 31, v38
	v_add_co_ci_u32_e32 v33, vcc_lo, s1, v33, vcc_lo
	v_add_nc_u32_e32 v72, s3, v46
	v_lshlrev_b64 v[73:74], 3, v[36:37]
	v_add_co_u32 v36, vcc_lo, s0, v34
	v_ashrrev_i32_e32 v45, 31, v44
	s_delay_alu instid0(VALU_DEP_4) | instskip(SKIP_3) | instid1(VALU_DEP_4)
	v_add_nc_u32_e32 v82, s3, v72
	v_add_co_ci_u32_e32 v37, vcc_lo, s1, v35, vcc_lo
	v_lshlrev_b64 v[83:84], 3, v[38:39]
	v_ashrrev_i32_e32 v2, 31, v1
	v_add_nc_u32_e32 v90, s3, v82
	v_lshlrev_b64 v[44:45], 3, v[44:45]
	s_clause 0x4
	global_load_b64 v[60:61], v[20:21], off
	global_load_b64 v[62:63], v[22:23], off
	;; [unrolled: 1-line block ×5, first 2 shown]
	v_lshlrev_b64 v[1:2], 3, v[1:2]
	v_add_nc_u32_e32 v92, s3, v90
	v_ashrrev_i32_e32 v47, 31, v46
	v_ashrrev_i32_e32 v91, 31, v90
	s_delay_alu instid0(VALU_DEP_3) | instskip(NEXT) | instid1(VALU_DEP_3)
	v_add_nc_u32_e32 v70, s3, v92
	v_lshlrev_b64 v[46:47], 3, v[46:47]
	v_ashrrev_i32_e32 v93, 31, v92
	s_delay_alu instid0(VALU_DEP_3) | instskip(NEXT) | instid1(VALU_DEP_1)
	v_ashrrev_i32_e32 v71, 31, v70
	v_lshlrev_b64 v[70:71], 3, v[70:71]
	s_delay_alu instid0(VALU_DEP_1) | instskip(NEXT) | instid1(VALU_DEP_2)
	v_add_co_u32 v34, vcc_lo, s0, v70
	v_add_co_ci_u32_e32 v35, vcc_lo, s1, v71, vcc_lo
	v_add_co_u32 v38, vcc_lo, s0, v73
	v_add_co_ci_u32_e32 v39, vcc_lo, s1, v74, vcc_lo
	v_ashrrev_i32_e32 v73, 31, v72
	global_load_b64 v[74:75], v[34:35], off
	s_waitcnt vmcnt(12)
	scratch_store_b128 off, v[40:43], off
	v_add_co_u32 v40, vcc_lo, s0, v83
	v_add_co_ci_u32_e32 v41, vcc_lo, s1, v84, vcc_lo
	v_add_co_u32 v42, vcc_lo, s0, v44
	v_add_co_ci_u32_e32 v43, vcc_lo, s1, v45, vcc_lo
	;; [unrolled: 2-line block ×3, first 2 shown]
	v_lshlrev_b64 v[1:2], 3, v[72:73]
	v_ashrrev_i32_e32 v83, 31, v82
	v_add_co_u32 v46, vcc_lo, s0, v46
	v_add_co_ci_u32_e32 v47, vcc_lo, s1, v47, vcc_lo
	s_delay_alu instid0(VALU_DEP_3)
	v_lshlrev_b64 v[72:73], 3, v[82:83]
	s_clause 0x3
	global_load_b64 v[70:71], v[30:31], off
	global_load_b64 v[76:77], v[32:33], off
	global_load_b64 v[78:79], v[36:37], off
	global_load_b64 v[80:81], v[38:39], off
	s_waitcnt vmcnt(14)
	scratch_store_b128 off, v[48:51], off offset:16
	s_waitcnt vmcnt(12)
	scratch_store_b128 off, v[52:55], off offset:32
	v_add_co_u32 v48, vcc_lo, s0, v1
	v_add_co_ci_u32_e32 v49, vcc_lo, s1, v2, vcc_lo
	v_lshlrev_b64 v[1:2], 3, v[90:91]
	v_add_co_u32 v50, vcc_lo, s0, v72
	v_lshlrev_b64 v[54:55], 3, v[92:93]
	v_add_co_ci_u32_e32 v51, vcc_lo, s1, v73, vcc_lo
	s_delay_alu instid0(VALU_DEP_4) | instskip(SKIP_1) | instid1(VALU_DEP_4)
	v_add_co_u32 v52, vcc_lo, s0, v1
	v_add_co_ci_u32_e32 v53, vcc_lo, s1, v2, vcc_lo
	v_add_co_u32 v54, vcc_lo, s0, v54
	v_add_co_ci_u32_e32 v55, vcc_lo, s1, v55, vcc_lo
	s_clause 0x3
	global_load_b64 v[82:83], v[40:41], off
	global_load_b64 v[84:85], v[42:43], off
	;; [unrolled: 1-line block ×4, first 2 shown]
	s_waitcnt vmcnt(14)
	scratch_store_b128 off, v[56:59], off offset:48
	s_clause 0x3
	global_load_b64 v[90:91], v[48:49], off
	global_load_b64 v[56:57], v[50:51], off
	;; [unrolled: 1-line block ×4, first 2 shown]
	s_mov_b32 s1, -1
	s_waitcnt vmcnt(16)
	scratch_store_b128 off, v[60:63], off offset:64
	s_waitcnt vmcnt(14)
	scratch_store_b128 off, v[64:67], off offset:80
	;; [unrolled: 2-line block ×9, first 2 shown]
	s_cbranch_scc1 .LBB25_112
; %bb.4:
	v_cmp_eq_u32_e64 s0, 0, v0
	s_delay_alu instid0(VALU_DEP_1)
	s_and_saveexec_b32 s1, s0
	s_cbranch_execz .LBB25_6
; %bb.5:
	v_mov_b32_e32 v1, 0
	ds_store_b32 v1, v1 offset:416
.LBB25_6:
	s_or_b32 exec_lo, exec_lo, s1
	s_waitcnt lgkmcnt(0)
	s_waitcnt_vscnt null, 0x0
	s_barrier
	buffer_gl0_inv
	scratch_load_b64 v[1:2], v3, off
	s_mov_b32 s2, exec_lo
	s_waitcnt vmcnt(0)
	v_cmpx_eq_f64_e32 0, v[1:2]
	s_cbranch_execz .LBB25_10
; %bb.7:
	v_mov_b32_e32 v1, 0
	s_mov_b32 s3, 0
	ds_load_b32 v2, v1 offset:416
	s_waitcnt lgkmcnt(0)
	v_readfirstlane_b32 s1, v2
	v_add_nc_u32_e32 v2, 1, v0
	s_delay_alu instid0(VALU_DEP_2) | instskip(NEXT) | instid1(VALU_DEP_1)
	s_cmp_eq_u32 s1, 0
	v_cmp_gt_i32_e32 vcc_lo, s1, v2
	s_cselect_b32 s4, -1, 0
	s_delay_alu instid0(SALU_CYCLE_1) | instskip(NEXT) | instid1(SALU_CYCLE_1)
	s_or_b32 s4, s4, vcc_lo
	s_and_b32 exec_lo, exec_lo, s4
	s_cbranch_execz .LBB25_10
; %bb.8:
	v_mov_b32_e32 v56, s1
.LBB25_9:                               ; =>This Inner Loop Header: Depth=1
	ds_cmpstore_rtn_b32 v56, v1, v2, v56 offset:416
	s_waitcnt lgkmcnt(0)
	v_cmp_ne_u32_e32 vcc_lo, 0, v56
	v_cmp_le_i32_e64 s1, v56, v2
	s_delay_alu instid0(VALU_DEP_1) | instskip(NEXT) | instid1(SALU_CYCLE_1)
	s_and_b32 s1, vcc_lo, s1
	s_and_b32 s1, exec_lo, s1
	s_delay_alu instid0(SALU_CYCLE_1) | instskip(NEXT) | instid1(SALU_CYCLE_1)
	s_or_b32 s3, s1, s3
	s_and_not1_b32 exec_lo, exec_lo, s3
	s_cbranch_execnz .LBB25_9
.LBB25_10:
	s_or_b32 exec_lo, exec_lo, s2
	v_mov_b32_e32 v1, 0
	s_barrier
	buffer_gl0_inv
	ds_load_b32 v2, v1 offset:416
	s_and_saveexec_b32 s1, s0
	s_cbranch_execz .LBB25_12
; %bb.11:
	s_lshl_b64 s[2:3], s[14:15], 2
	s_delay_alu instid0(SALU_CYCLE_1)
	s_add_u32 s2, s6, s2
	s_addc_u32 s3, s7, s3
	s_waitcnt lgkmcnt(0)
	global_store_b32 v1, v2, s[2:3]
.LBB25_12:
	s_or_b32 exec_lo, exec_lo, s1
	s_waitcnt lgkmcnt(0)
	v_cmp_ne_u32_e32 vcc_lo, 0, v2
	s_mov_b32 s1, 0
	s_cbranch_vccnz .LBB25_112
; %bb.13:
	v_add_nc_u32_e32 v56, 0, v3
	scratch_load_b64 v[1:2], v56, off
	s_waitcnt vmcnt(0)
	v_div_scale_f64 v[57:58], null, v[1:2], v[1:2], 1.0
	v_div_scale_f64 v[63:64], vcc_lo, 1.0, v[1:2], 1.0
	s_delay_alu instid0(VALU_DEP_2) | instskip(SKIP_2) | instid1(VALU_DEP_1)
	v_rcp_f64_e32 v[59:60], v[57:58]
	s_waitcnt_depctr 0xfff
	v_fma_f64 v[61:62], -v[57:58], v[59:60], 1.0
	v_fma_f64 v[59:60], v[59:60], v[61:62], v[59:60]
	s_delay_alu instid0(VALU_DEP_1) | instskip(NEXT) | instid1(VALU_DEP_1)
	v_fma_f64 v[61:62], -v[57:58], v[59:60], 1.0
	v_fma_f64 v[59:60], v[59:60], v[61:62], v[59:60]
	s_delay_alu instid0(VALU_DEP_1) | instskip(NEXT) | instid1(VALU_DEP_1)
	v_mul_f64 v[61:62], v[63:64], v[59:60]
	v_fma_f64 v[57:58], -v[57:58], v[61:62], v[63:64]
	s_delay_alu instid0(VALU_DEP_1) | instskip(NEXT) | instid1(VALU_DEP_1)
	v_div_fmas_f64 v[57:58], v[57:58], v[59:60], v[61:62]
	v_div_fixup_f64 v[1:2], v[57:58], v[1:2], 1.0
	v_add_nc_u32_e32 v57, 0xd0, v3
	scratch_store_b64 v56, v[1:2], off
	scratch_load_b64 v[58:59], off, off offset:8
	v_xor_b32_e32 v2, 0x80000000, v2
	s_waitcnt vmcnt(0)
	ds_store_2addr_b64 v3, v[1:2], v[58:59] offset1:26
	s_waitcnt lgkmcnt(0)
	s_waitcnt_vscnt null, 0x0
	s_barrier
	buffer_gl0_inv
	s_and_saveexec_b32 s1, s0
	s_cbranch_execz .LBB25_15
; %bb.14:
	scratch_load_b64 v[1:2], v56, off
	ds_load_b64 v[58:59], v57
	s_waitcnt vmcnt(0) lgkmcnt(0)
	v_fma_f64 v[1:2], v[1:2], v[58:59], 0
	v_mov_b32_e32 v58, 0
	ds_load_b64 v[58:59], v58 offset:8
	s_waitcnt lgkmcnt(0)
	v_mul_f64 v[1:2], v[1:2], v[58:59]
	scratch_store_b64 off, v[1:2], off offset:8
.LBB25_15:
	s_or_b32 exec_lo, exec_lo, s1
	s_waitcnt_vscnt null, 0x0
	s_barrier
	buffer_gl0_inv
	scratch_load_b64 v[1:2], off, off offset:16
	s_mov_b32 s1, exec_lo
	s_waitcnt vmcnt(0)
	ds_store_b64 v57, v[1:2]
	s_waitcnt lgkmcnt(0)
	s_barrier
	buffer_gl0_inv
	v_cmpx_gt_u32_e32 2, v0
	s_cbranch_execz .LBB25_19
; %bb.16:
	scratch_load_b64 v[1:2], v56, off
	ds_load_b64 v[58:59], v57
	s_waitcnt vmcnt(0) lgkmcnt(0)
	v_fma_f64 v[1:2], v[1:2], v[58:59], 0
	s_and_saveexec_b32 s2, s0
	s_cbranch_execz .LBB25_18
; %bb.17:
	scratch_load_b64 v[58:59], off, off offset:8
	v_mov_b32_e32 v60, 0
	ds_load_b64 v[60:61], v60 offset:216
	s_waitcnt vmcnt(0) lgkmcnt(0)
	v_fma_f64 v[1:2], v[58:59], v[60:61], v[1:2]
.LBB25_18:
	s_or_b32 exec_lo, exec_lo, s2
	v_mov_b32_e32 v58, 0
	ds_load_b64 v[58:59], v58 offset:16
	s_waitcnt lgkmcnt(0)
	v_mul_f64 v[1:2], v[1:2], v[58:59]
	scratch_store_b64 off, v[1:2], off offset:16
.LBB25_19:
	s_or_b32 exec_lo, exec_lo, s1
	s_waitcnt_vscnt null, 0x0
	s_barrier
	buffer_gl0_inv
	scratch_load_b64 v[1:2], off, off offset:24
	v_add_nc_u32_e32 v58, -1, v0
	s_mov_b32 s0, exec_lo
	s_waitcnt vmcnt(0)
	ds_store_b64 v57, v[1:2]
	s_waitcnt lgkmcnt(0)
	s_barrier
	buffer_gl0_inv
	v_cmpx_gt_u32_e32 3, v0
	s_cbranch_execz .LBB25_23
; %bb.20:
	v_dual_mov_b32 v1, 0 :: v_dual_add_nc_u32 v60, 0xd0, v3
	v_dual_mov_b32 v2, 0 :: v_dual_add_nc_u32 v59, -1, v0
	v_add_nc_u32_e32 v61, 0, v3
	s_mov_b32 s1, 0
.LBB25_21:                              ; =>This Inner Loop Header: Depth=1
	scratch_load_b64 v[62:63], v61, off
	ds_load_b64 v[64:65], v60
	v_add_nc_u32_e32 v59, 1, v59
	v_add_nc_u32_e32 v60, 8, v60
	v_add_nc_u32_e32 v61, 8, v61
	s_delay_alu instid0(VALU_DEP_3)
	v_cmp_lt_u32_e32 vcc_lo, 1, v59
	s_or_b32 s1, vcc_lo, s1
	s_waitcnt vmcnt(0) lgkmcnt(0)
	v_fma_f64 v[1:2], v[62:63], v[64:65], v[1:2]
	s_and_not1_b32 exec_lo, exec_lo, s1
	s_cbranch_execnz .LBB25_21
; %bb.22:
	s_or_b32 exec_lo, exec_lo, s1
	v_mov_b32_e32 v59, 0
	ds_load_b64 v[59:60], v59 offset:24
	s_waitcnt lgkmcnt(0)
	v_mul_f64 v[1:2], v[1:2], v[59:60]
	scratch_store_b64 off, v[1:2], off offset:24
.LBB25_23:
	s_or_b32 exec_lo, exec_lo, s0
	s_waitcnt_vscnt null, 0x0
	s_barrier
	buffer_gl0_inv
	scratch_load_b64 v[1:2], off, off offset:32
	s_mov_b32 s0, exec_lo
	s_waitcnt vmcnt(0)
	ds_store_b64 v57, v[1:2]
	s_waitcnt lgkmcnt(0)
	s_barrier
	buffer_gl0_inv
	v_cmpx_gt_u32_e32 4, v0
	s_cbranch_execz .LBB25_27
; %bb.24:
	v_dual_mov_b32 v1, 0 :: v_dual_add_nc_u32 v60, 0xd0, v3
	v_dual_mov_b32 v2, 0 :: v_dual_add_nc_u32 v59, -1, v0
	v_add_nc_u32_e32 v61, 0, v3
	s_mov_b32 s1, 0
.LBB25_25:                              ; =>This Inner Loop Header: Depth=1
	scratch_load_b64 v[62:63], v61, off
	ds_load_b64 v[64:65], v60
	v_add_nc_u32_e32 v59, 1, v59
	v_add_nc_u32_e32 v60, 8, v60
	v_add_nc_u32_e32 v61, 8, v61
	s_delay_alu instid0(VALU_DEP_3)
	v_cmp_lt_u32_e32 vcc_lo, 2, v59
	s_or_b32 s1, vcc_lo, s1
	s_waitcnt vmcnt(0) lgkmcnt(0)
	v_fma_f64 v[1:2], v[62:63], v[64:65], v[1:2]
	s_and_not1_b32 exec_lo, exec_lo, s1
	s_cbranch_execnz .LBB25_25
; %bb.26:
	s_or_b32 exec_lo, exec_lo, s1
	v_mov_b32_e32 v59, 0
	ds_load_b64 v[59:60], v59 offset:32
	s_waitcnt lgkmcnt(0)
	v_mul_f64 v[1:2], v[1:2], v[59:60]
	scratch_store_b64 off, v[1:2], off offset:32
.LBB25_27:
	s_or_b32 exec_lo, exec_lo, s0
	s_waitcnt_vscnt null, 0x0
	s_barrier
	buffer_gl0_inv
	scratch_load_b64 v[1:2], off, off offset:40
	;; [unrolled: 39-line block ×20, first 2 shown]
	s_mov_b32 s0, exec_lo
	s_waitcnt vmcnt(0)
	ds_store_b64 v57, v[1:2]
	s_waitcnt lgkmcnt(0)
	s_barrier
	buffer_gl0_inv
	v_cmpx_gt_u32_e32 23, v0
	s_cbranch_execz .LBB25_103
; %bb.100:
	v_dual_mov_b32 v1, 0 :: v_dual_add_nc_u32 v60, 0xd0, v3
	v_dual_mov_b32 v2, 0 :: v_dual_add_nc_u32 v59, -1, v0
	v_add_nc_u32_e32 v61, 0, v3
	s_mov_b32 s1, 0
.LBB25_101:                             ; =>This Inner Loop Header: Depth=1
	scratch_load_b64 v[62:63], v61, off
	ds_load_b64 v[64:65], v60
	v_add_nc_u32_e32 v59, 1, v59
	v_add_nc_u32_e32 v60, 8, v60
	;; [unrolled: 1-line block ×3, first 2 shown]
	s_delay_alu instid0(VALU_DEP_3)
	v_cmp_lt_u32_e32 vcc_lo, 21, v59
	s_or_b32 s1, vcc_lo, s1
	s_waitcnt vmcnt(0) lgkmcnt(0)
	v_fma_f64 v[1:2], v[62:63], v[64:65], v[1:2]
	s_and_not1_b32 exec_lo, exec_lo, s1
	s_cbranch_execnz .LBB25_101
; %bb.102:
	s_or_b32 exec_lo, exec_lo, s1
	v_mov_b32_e32 v59, 0
	ds_load_b64 v[59:60], v59 offset:184
	s_waitcnt lgkmcnt(0)
	v_mul_f64 v[1:2], v[1:2], v[59:60]
	scratch_store_b64 off, v[1:2], off offset:184
.LBB25_103:
	s_or_b32 exec_lo, exec_lo, s0
	s_waitcnt_vscnt null, 0x0
	s_barrier
	buffer_gl0_inv
	scratch_load_b64 v[1:2], off, off offset:192
	s_mov_b32 s0, exec_lo
	s_waitcnt vmcnt(0)
	ds_store_b64 v57, v[1:2]
	s_waitcnt lgkmcnt(0)
	s_barrier
	buffer_gl0_inv
	v_cmpx_gt_u32_e32 24, v0
	s_cbranch_execz .LBB25_107
; %bb.104:
	v_dual_mov_b32 v1, 0 :: v_dual_add_nc_u32 v60, 0xd0, v3
	v_dual_mov_b32 v2, 0 :: v_dual_add_nc_u32 v59, -1, v0
	v_add_nc_u32_e32 v3, 0, v3
	s_mov_b32 s1, 0
.LBB25_105:                             ; =>This Inner Loop Header: Depth=1
	scratch_load_b64 v[61:62], v3, off
	ds_load_b64 v[63:64], v60
	v_add_nc_u32_e32 v59, 1, v59
	v_add_nc_u32_e32 v60, 8, v60
	;; [unrolled: 1-line block ×3, first 2 shown]
	s_delay_alu instid0(VALU_DEP_3)
	v_cmp_lt_u32_e32 vcc_lo, 22, v59
	s_or_b32 s1, vcc_lo, s1
	s_waitcnt vmcnt(0) lgkmcnt(0)
	v_fma_f64 v[1:2], v[61:62], v[63:64], v[1:2]
	s_and_not1_b32 exec_lo, exec_lo, s1
	s_cbranch_execnz .LBB25_105
; %bb.106:
	s_or_b32 exec_lo, exec_lo, s1
	v_mov_b32_e32 v3, 0
	ds_load_b64 v[59:60], v3 offset:192
	s_waitcnt lgkmcnt(0)
	v_mul_f64 v[1:2], v[1:2], v[59:60]
	scratch_store_b64 off, v[1:2], off offset:192
.LBB25_107:
	s_or_b32 exec_lo, exec_lo, s0
	s_waitcnt_vscnt null, 0x0
	s_barrier
	buffer_gl0_inv
	scratch_load_b64 v[1:2], off, off offset:200
	s_mov_b32 s0, exec_lo
	s_waitcnt vmcnt(0)
	ds_store_b64 v57, v[1:2]
	s_waitcnt lgkmcnt(0)
	s_barrier
	buffer_gl0_inv
	v_cmpx_ne_u32_e32 25, v0
	s_cbranch_execz .LBB25_111
; %bb.108:
	v_mov_b32_e32 v1, 0
	v_mov_b32_e32 v2, 0
	s_mov_b32 s1, 0
.LBB25_109:                             ; =>This Inner Loop Header: Depth=1
	scratch_load_b64 v[59:60], v56, off
	ds_load_b64 v[61:62], v57
	v_add_nc_u32_e32 v58, 1, v58
	v_add_nc_u32_e32 v57, 8, v57
	;; [unrolled: 1-line block ×3, first 2 shown]
	s_delay_alu instid0(VALU_DEP_3)
	v_cmp_lt_u32_e32 vcc_lo, 23, v58
	s_or_b32 s1, vcc_lo, s1
	s_waitcnt vmcnt(0) lgkmcnt(0)
	v_fma_f64 v[1:2], v[59:60], v[61:62], v[1:2]
	s_and_not1_b32 exec_lo, exec_lo, s1
	s_cbranch_execnz .LBB25_109
; %bb.110:
	s_or_b32 exec_lo, exec_lo, s1
	v_mov_b32_e32 v3, 0
	ds_load_b64 v[56:57], v3 offset:200
	s_waitcnt lgkmcnt(0)
	v_mul_f64 v[1:2], v[1:2], v[56:57]
	scratch_store_b64 off, v[1:2], off offset:200
.LBB25_111:
	s_or_b32 exec_lo, exec_lo, s0
	s_mov_b32 s1, -1
	s_waitcnt_vscnt null, 0x0
	s_barrier
	buffer_gl0_inv
.LBB25_112:
	s_and_b32 vcc_lo, exec_lo, s1
	s_cbranch_vccz .LBB25_114
; %bb.113:
	s_lshl_b64 s[0:1], s[14:15], 2
	v_mov_b32_e32 v1, 0
	s_add_u32 s0, s6, s0
	s_addc_u32 s1, s7, s1
	global_load_b32 v1, v1, s[0:1]
	s_waitcnt vmcnt(0)
	v_cmp_ne_u32_e32 vcc_lo, 0, v1
	s_cbranch_vccz .LBB25_115
.LBB25_114:
	s_endpgm
.LBB25_115:
	v_lshl_add_u32 v3, v0, 3, 0xd0
	s_mov_b32 s0, exec_lo
	v_cmpx_eq_u32_e32 25, v0
	s_cbranch_execz .LBB25_117
; %bb.116:
	scratch_load_b64 v[1:2], off, off offset:192
	v_mov_b32_e32 v56, 0
	s_delay_alu instid0(VALU_DEP_1)
	v_mov_b32_e32 v57, v56
	scratch_store_b64 off, v[56:57], off offset:192
	s_waitcnt vmcnt(0)
	ds_store_b64 v3, v[1:2]
.LBB25_117:
	s_or_b32 exec_lo, exec_lo, s0
	s_waitcnt lgkmcnt(0)
	s_waitcnt_vscnt null, 0x0
	s_barrier
	buffer_gl0_inv
	scratch_load_b128 v[56:59], off, off offset:192
	v_mov_b32_e32 v1, 0
	s_mov_b32 s0, exec_lo
	ds_load_b64 v[60:61], v1 offset:408
	s_waitcnt vmcnt(0) lgkmcnt(0)
	v_fma_f64 v[58:59], v[58:59], v[60:61], 0
	s_delay_alu instid0(VALU_DEP_1)
	v_add_f64 v[56:57], v[56:57], -v[58:59]
	scratch_store_b64 off, v[56:57], off offset:192
	v_cmpx_lt_u32_e32 23, v0
	s_cbranch_execz .LBB25_119
; %bb.118:
	scratch_load_b64 v[56:57], off, off offset:184
	v_mov_b32_e32 v2, v1
	scratch_store_b64 off, v[1:2], off offset:184
	s_waitcnt vmcnt(0)
	ds_store_b64 v3, v[56:57]
.LBB25_119:
	s_or_b32 exec_lo, exec_lo, s0
	s_waitcnt lgkmcnt(0)
	s_waitcnt_vscnt null, 0x0
	s_barrier
	buffer_gl0_inv
	s_clause 0x1
	scratch_load_b128 v[56:59], off, off offset:184
	scratch_load_b64 v[64:65], off, off offset:200
	ds_load_b128 v[60:63], v1 offset:400
	s_mov_b32 s0, exec_lo
	s_waitcnt vmcnt(1) lgkmcnt(0)
	v_fma_f64 v[1:2], v[58:59], v[60:61], 0
	s_waitcnt vmcnt(0)
	s_delay_alu instid0(VALU_DEP_1) | instskip(NEXT) | instid1(VALU_DEP_1)
	v_fma_f64 v[1:2], v[64:65], v[62:63], v[1:2]
	v_add_f64 v[1:2], v[56:57], -v[1:2]
	scratch_store_b64 off, v[1:2], off offset:184
	v_cmpx_lt_u32_e32 22, v0
	s_cbranch_execz .LBB25_121
; %bb.120:
	scratch_load_b64 v[1:2], off, off offset:176
	v_mov_b32_e32 v56, 0
	s_delay_alu instid0(VALU_DEP_1)
	v_mov_b32_e32 v57, v56
	scratch_store_b64 off, v[56:57], off offset:176
	s_waitcnt vmcnt(0)
	ds_store_b64 v3, v[1:2]
.LBB25_121:
	s_or_b32 exec_lo, exec_lo, s0
	s_waitcnt lgkmcnt(0)
	s_waitcnt_vscnt null, 0x0
	s_barrier
	buffer_gl0_inv
	s_clause 0x1
	scratch_load_b128 v[56:59], off, off offset:176
	scratch_load_b128 v[60:63], off, off offset:192
	v_mov_b32_e32 v1, 0
	ds_load_2addr_b64 v[64:67], v1 offset0:49 offset1:50
	ds_load_b64 v[68:69], v1 offset:408
	s_mov_b32 s0, exec_lo
	s_waitcnt vmcnt(1) lgkmcnt(1)
	v_fma_f64 v[58:59], v[58:59], v[64:65], 0
	s_waitcnt vmcnt(0)
	s_delay_alu instid0(VALU_DEP_1) | instskip(SKIP_1) | instid1(VALU_DEP_1)
	v_fma_f64 v[58:59], v[60:61], v[66:67], v[58:59]
	s_waitcnt lgkmcnt(0)
	v_fma_f64 v[58:59], v[62:63], v[68:69], v[58:59]
	s_delay_alu instid0(VALU_DEP_1)
	v_add_f64 v[56:57], v[56:57], -v[58:59]
	scratch_store_b64 off, v[56:57], off offset:176
	v_cmpx_lt_u32_e32 21, v0
	s_cbranch_execz .LBB25_123
; %bb.122:
	scratch_load_b64 v[56:57], off, off offset:168
	v_mov_b32_e32 v2, v1
	scratch_store_b64 off, v[1:2], off offset:168
	s_waitcnt vmcnt(0)
	ds_store_b64 v3, v[56:57]
.LBB25_123:
	s_or_b32 exec_lo, exec_lo, s0
	s_waitcnt lgkmcnt(0)
	s_waitcnt_vscnt null, 0x0
	s_barrier
	buffer_gl0_inv
	s_clause 0x2
	scratch_load_b128 v[56:59], off, off offset:168
	scratch_load_b128 v[60:63], off, off offset:184
	scratch_load_b64 v[72:73], off, off offset:200
	ds_load_b128 v[64:67], v1 offset:384
	ds_load_b128 v[68:71], v1 offset:400
	s_mov_b32 s0, exec_lo
	s_waitcnt vmcnt(2) lgkmcnt(1)
	v_fma_f64 v[1:2], v[58:59], v[64:65], 0
	s_waitcnt vmcnt(1)
	s_delay_alu instid0(VALU_DEP_1) | instskip(SKIP_1) | instid1(VALU_DEP_1)
	v_fma_f64 v[1:2], v[60:61], v[66:67], v[1:2]
	s_waitcnt lgkmcnt(0)
	v_fma_f64 v[1:2], v[62:63], v[68:69], v[1:2]
	s_waitcnt vmcnt(0)
	s_delay_alu instid0(VALU_DEP_1) | instskip(NEXT) | instid1(VALU_DEP_1)
	v_fma_f64 v[1:2], v[72:73], v[70:71], v[1:2]
	v_add_f64 v[1:2], v[56:57], -v[1:2]
	scratch_store_b64 off, v[1:2], off offset:168
	v_cmpx_lt_u32_e32 20, v0
	s_cbranch_execz .LBB25_125
; %bb.124:
	scratch_load_b64 v[1:2], off, off offset:160
	v_mov_b32_e32 v56, 0
	s_delay_alu instid0(VALU_DEP_1)
	v_mov_b32_e32 v57, v56
	scratch_store_b64 off, v[56:57], off offset:160
	s_waitcnt vmcnt(0)
	ds_store_b64 v3, v[1:2]
.LBB25_125:
	s_or_b32 exec_lo, exec_lo, s0
	s_waitcnt lgkmcnt(0)
	s_waitcnt_vscnt null, 0x0
	s_barrier
	buffer_gl0_inv
	s_clause 0x2
	scratch_load_b128 v[56:59], off, off offset:160
	scratch_load_b128 v[60:63], off, off offset:176
	scratch_load_b128 v[64:67], off, off offset:192
	v_mov_b32_e32 v1, 0
	ds_load_2addr_b64 v[68:71], v1 offset0:47 offset1:48
	ds_load_2addr_b64 v[72:75], v1 offset0:49 offset1:50
	s_mov_b32 s0, exec_lo
	s_waitcnt vmcnt(2) lgkmcnt(1)
	v_fma_f64 v[58:59], v[58:59], v[68:69], 0
	s_waitcnt vmcnt(1)
	s_delay_alu instid0(VALU_DEP_1) | instskip(SKIP_4) | instid1(VALU_DEP_1)
	v_fma_f64 v[58:59], v[60:61], v[70:71], v[58:59]
	ds_load_b64 v[60:61], v1 offset:408
	s_waitcnt lgkmcnt(1)
	v_fma_f64 v[58:59], v[62:63], v[72:73], v[58:59]
	s_waitcnt vmcnt(0)
	v_fma_f64 v[58:59], v[64:65], v[74:75], v[58:59]
	s_waitcnt lgkmcnt(0)
	s_delay_alu instid0(VALU_DEP_1) | instskip(NEXT) | instid1(VALU_DEP_1)
	v_fma_f64 v[58:59], v[66:67], v[60:61], v[58:59]
	v_add_f64 v[56:57], v[56:57], -v[58:59]
	scratch_store_b64 off, v[56:57], off offset:160
	v_cmpx_lt_u32_e32 19, v0
	s_cbranch_execz .LBB25_127
; %bb.126:
	scratch_load_b64 v[56:57], off, off offset:152
	v_mov_b32_e32 v2, v1
	scratch_store_b64 off, v[1:2], off offset:152
	s_waitcnt vmcnt(0)
	ds_store_b64 v3, v[56:57]
.LBB25_127:
	s_or_b32 exec_lo, exec_lo, s0
	s_waitcnt lgkmcnt(0)
	s_waitcnt_vscnt null, 0x0
	s_barrier
	buffer_gl0_inv
	s_clause 0x3
	scratch_load_b128 v[56:59], off, off offset:152
	scratch_load_b128 v[60:63], off, off offset:168
	;; [unrolled: 1-line block ×3, first 2 shown]
	scratch_load_b64 v[76:77], off, off offset:200
	ds_load_b128 v[68:71], v1 offset:368
	ds_load_b128 v[72:75], v1 offset:384
	s_mov_b32 s0, exec_lo
	s_waitcnt vmcnt(3) lgkmcnt(1)
	v_fma_f64 v[58:59], v[58:59], v[68:69], 0
	s_waitcnt vmcnt(2)
	s_delay_alu instid0(VALU_DEP_1) | instskip(SKIP_1) | instid1(VALU_DEP_1)
	v_fma_f64 v[58:59], v[60:61], v[70:71], v[58:59]
	s_waitcnt lgkmcnt(0)
	v_fma_f64 v[58:59], v[62:63], v[72:73], v[58:59]
	s_waitcnt vmcnt(1)
	s_delay_alu instid0(VALU_DEP_1) | instskip(SKIP_4) | instid1(VALU_DEP_1)
	v_fma_f64 v[62:63], v[64:65], v[74:75], v[58:59]
	ds_load_b128 v[58:61], v1 offset:400
	s_waitcnt lgkmcnt(0)
	v_fma_f64 v[1:2], v[66:67], v[58:59], v[62:63]
	s_waitcnt vmcnt(0)
	v_fma_f64 v[1:2], v[76:77], v[60:61], v[1:2]
	s_delay_alu instid0(VALU_DEP_1)
	v_add_f64 v[1:2], v[56:57], -v[1:2]
	scratch_store_b64 off, v[1:2], off offset:152
	v_cmpx_lt_u32_e32 18, v0
	s_cbranch_execz .LBB25_129
; %bb.128:
	scratch_load_b64 v[1:2], off, off offset:144
	v_mov_b32_e32 v56, 0
	s_delay_alu instid0(VALU_DEP_1)
	v_mov_b32_e32 v57, v56
	scratch_store_b64 off, v[56:57], off offset:144
	s_waitcnt vmcnt(0)
	ds_store_b64 v3, v[1:2]
.LBB25_129:
	s_or_b32 exec_lo, exec_lo, s0
	s_waitcnt lgkmcnt(0)
	s_waitcnt_vscnt null, 0x0
	s_barrier
	buffer_gl0_inv
	s_clause 0x3
	scratch_load_b128 v[56:59], off, off offset:144
	scratch_load_b128 v[60:63], off, off offset:160
	;; [unrolled: 1-line block ×4, first 2 shown]
	v_mov_b32_e32 v1, 0
	ds_load_2addr_b64 v[72:75], v1 offset0:45 offset1:46
	ds_load_2addr_b64 v[76:79], v1 offset0:47 offset1:48
	s_mov_b32 s0, exec_lo
	s_waitcnt vmcnt(3) lgkmcnt(1)
	v_fma_f64 v[58:59], v[58:59], v[72:73], 0
	s_waitcnt vmcnt(2)
	s_delay_alu instid0(VALU_DEP_1) | instskip(SKIP_1) | instid1(VALU_DEP_1)
	v_fma_f64 v[58:59], v[60:61], v[74:75], v[58:59]
	s_waitcnt lgkmcnt(0)
	v_fma_f64 v[58:59], v[62:63], v[76:77], v[58:59]
	s_waitcnt vmcnt(1)
	s_delay_alu instid0(VALU_DEP_1)
	v_fma_f64 v[62:63], v[64:65], v[78:79], v[58:59]
	ds_load_2addr_b64 v[58:61], v1 offset0:49 offset1:50
	ds_load_b64 v[64:65], v1 offset:408
	s_waitcnt lgkmcnt(1)
	v_fma_f64 v[58:59], v[66:67], v[58:59], v[62:63]
	s_waitcnt vmcnt(0)
	s_delay_alu instid0(VALU_DEP_1) | instskip(SKIP_1) | instid1(VALU_DEP_1)
	v_fma_f64 v[58:59], v[68:69], v[60:61], v[58:59]
	s_waitcnt lgkmcnt(0)
	v_fma_f64 v[58:59], v[70:71], v[64:65], v[58:59]
	s_delay_alu instid0(VALU_DEP_1)
	v_add_f64 v[56:57], v[56:57], -v[58:59]
	scratch_store_b64 off, v[56:57], off offset:144
	v_cmpx_lt_u32_e32 17, v0
	s_cbranch_execz .LBB25_131
; %bb.130:
	scratch_load_b64 v[56:57], off, off offset:136
	v_mov_b32_e32 v2, v1
	scratch_store_b64 off, v[1:2], off offset:136
	s_waitcnt vmcnt(0)
	ds_store_b64 v3, v[56:57]
.LBB25_131:
	s_or_b32 exec_lo, exec_lo, s0
	s_waitcnt lgkmcnt(0)
	s_waitcnt_vscnt null, 0x0
	s_barrier
	buffer_gl0_inv
	s_clause 0x4
	scratch_load_b128 v[56:59], off, off offset:136
	scratch_load_b128 v[60:63], off, off offset:152
	;; [unrolled: 1-line block ×4, first 2 shown]
	scratch_load_b64 v[80:81], off, off offset:200
	ds_load_b128 v[72:75], v1 offset:352
	ds_load_b128 v[76:79], v1 offset:368
	s_mov_b32 s0, exec_lo
	s_waitcnt vmcnt(4) lgkmcnt(1)
	v_fma_f64 v[58:59], v[58:59], v[72:73], 0
	s_waitcnt vmcnt(3)
	s_delay_alu instid0(VALU_DEP_1) | instskip(SKIP_1) | instid1(VALU_DEP_1)
	v_fma_f64 v[58:59], v[60:61], v[74:75], v[58:59]
	s_waitcnt lgkmcnt(0)
	v_fma_f64 v[58:59], v[62:63], v[76:77], v[58:59]
	s_waitcnt vmcnt(2)
	s_delay_alu instid0(VALU_DEP_1)
	v_fma_f64 v[72:73], v[64:65], v[78:79], v[58:59]
	ds_load_b128 v[58:61], v1 offset:384
	ds_load_b128 v[62:65], v1 offset:400
	s_waitcnt lgkmcnt(1)
	v_fma_f64 v[1:2], v[66:67], v[58:59], v[72:73]
	s_waitcnt vmcnt(1)
	s_delay_alu instid0(VALU_DEP_1) | instskip(SKIP_1) | instid1(VALU_DEP_1)
	v_fma_f64 v[1:2], v[68:69], v[60:61], v[1:2]
	s_waitcnt lgkmcnt(0)
	v_fma_f64 v[1:2], v[70:71], v[62:63], v[1:2]
	s_waitcnt vmcnt(0)
	s_delay_alu instid0(VALU_DEP_1) | instskip(NEXT) | instid1(VALU_DEP_1)
	v_fma_f64 v[1:2], v[80:81], v[64:65], v[1:2]
	v_add_f64 v[1:2], v[56:57], -v[1:2]
	scratch_store_b64 off, v[1:2], off offset:136
	v_cmpx_lt_u32_e32 16, v0
	s_cbranch_execz .LBB25_133
; %bb.132:
	scratch_load_b64 v[1:2], off, off offset:128
	v_mov_b32_e32 v56, 0
	s_delay_alu instid0(VALU_DEP_1)
	v_mov_b32_e32 v57, v56
	scratch_store_b64 off, v[56:57], off offset:128
	s_waitcnt vmcnt(0)
	ds_store_b64 v3, v[1:2]
.LBB25_133:
	s_or_b32 exec_lo, exec_lo, s0
	s_waitcnt lgkmcnt(0)
	s_waitcnt_vscnt null, 0x0
	s_barrier
	buffer_gl0_inv
	s_clause 0x4
	scratch_load_b128 v[56:59], off, off offset:128
	scratch_load_b128 v[60:63], off, off offset:144
	;; [unrolled: 1-line block ×5, first 2 shown]
	v_mov_b32_e32 v1, 0
	ds_load_2addr_b64 v[76:79], v1 offset0:43 offset1:44
	ds_load_2addr_b64 v[80:83], v1 offset0:45 offset1:46
	s_mov_b32 s0, exec_lo
	s_waitcnt vmcnt(4) lgkmcnt(1)
	v_fma_f64 v[58:59], v[58:59], v[76:77], 0
	s_waitcnt vmcnt(3)
	s_delay_alu instid0(VALU_DEP_1) | instskip(SKIP_1) | instid1(VALU_DEP_1)
	v_fma_f64 v[58:59], v[60:61], v[78:79], v[58:59]
	s_waitcnt lgkmcnt(0)
	v_fma_f64 v[58:59], v[62:63], v[80:81], v[58:59]
	s_waitcnt vmcnt(2)
	s_delay_alu instid0(VALU_DEP_1)
	v_fma_f64 v[76:77], v[64:65], v[82:83], v[58:59]
	ds_load_2addr_b64 v[58:61], v1 offset0:47 offset1:48
	ds_load_2addr_b64 v[62:65], v1 offset0:49 offset1:50
	s_waitcnt lgkmcnt(1)
	v_fma_f64 v[58:59], v[66:67], v[58:59], v[76:77]
	s_waitcnt vmcnt(1)
	s_delay_alu instid0(VALU_DEP_1) | instskip(SKIP_4) | instid1(VALU_DEP_1)
	v_fma_f64 v[58:59], v[68:69], v[60:61], v[58:59]
	ds_load_b64 v[60:61], v1 offset:408
	s_waitcnt lgkmcnt(1)
	v_fma_f64 v[58:59], v[70:71], v[62:63], v[58:59]
	s_waitcnt vmcnt(0)
	v_fma_f64 v[58:59], v[72:73], v[64:65], v[58:59]
	s_waitcnt lgkmcnt(0)
	s_delay_alu instid0(VALU_DEP_1) | instskip(NEXT) | instid1(VALU_DEP_1)
	v_fma_f64 v[58:59], v[74:75], v[60:61], v[58:59]
	v_add_f64 v[56:57], v[56:57], -v[58:59]
	scratch_store_b64 off, v[56:57], off offset:128
	v_cmpx_lt_u32_e32 15, v0
	s_cbranch_execz .LBB25_135
; %bb.134:
	scratch_load_b64 v[56:57], off, off offset:120
	v_mov_b32_e32 v2, v1
	scratch_store_b64 off, v[1:2], off offset:120
	s_waitcnt vmcnt(0)
	ds_store_b64 v3, v[56:57]
.LBB25_135:
	s_or_b32 exec_lo, exec_lo, s0
	s_waitcnt lgkmcnt(0)
	s_waitcnt_vscnt null, 0x0
	s_barrier
	buffer_gl0_inv
	s_clause 0x4
	scratch_load_b128 v[56:59], off, off offset:120
	scratch_load_b128 v[60:63], off, off offset:136
	;; [unrolled: 1-line block ×5, first 2 shown]
	ds_load_b128 v[76:79], v1 offset:336
	ds_load_b128 v[80:83], v1 offset:352
	s_mov_b32 s0, exec_lo
	s_waitcnt vmcnt(4) lgkmcnt(1)
	v_fma_f64 v[58:59], v[58:59], v[76:77], 0
	scratch_load_b64 v[76:77], off, off offset:200
	s_waitcnt vmcnt(4)
	v_fma_f64 v[58:59], v[60:61], v[78:79], v[58:59]
	s_waitcnt lgkmcnt(0)
	s_delay_alu instid0(VALU_DEP_1) | instskip(SKIP_1) | instid1(VALU_DEP_1)
	v_fma_f64 v[58:59], v[62:63], v[80:81], v[58:59]
	s_waitcnt vmcnt(3)
	v_fma_f64 v[78:79], v[64:65], v[82:83], v[58:59]
	ds_load_b128 v[58:61], v1 offset:368
	ds_load_b128 v[62:65], v1 offset:384
	s_waitcnt lgkmcnt(1)
	v_fma_f64 v[58:59], v[66:67], v[58:59], v[78:79]
	s_waitcnt vmcnt(2)
	s_delay_alu instid0(VALU_DEP_1) | instskip(SKIP_1) | instid1(VALU_DEP_1)
	v_fma_f64 v[58:59], v[68:69], v[60:61], v[58:59]
	s_waitcnt lgkmcnt(0)
	v_fma_f64 v[58:59], v[70:71], v[62:63], v[58:59]
	s_waitcnt vmcnt(1)
	s_delay_alu instid0(VALU_DEP_1) | instskip(SKIP_4) | instid1(VALU_DEP_1)
	v_fma_f64 v[62:63], v[72:73], v[64:65], v[58:59]
	ds_load_b128 v[58:61], v1 offset:400
	s_waitcnt lgkmcnt(0)
	v_fma_f64 v[1:2], v[74:75], v[58:59], v[62:63]
	s_waitcnt vmcnt(0)
	v_fma_f64 v[1:2], v[76:77], v[60:61], v[1:2]
	s_delay_alu instid0(VALU_DEP_1)
	v_add_f64 v[1:2], v[56:57], -v[1:2]
	scratch_store_b64 off, v[1:2], off offset:120
	v_cmpx_lt_u32_e32 14, v0
	s_cbranch_execz .LBB25_137
; %bb.136:
	scratch_load_b64 v[1:2], off, off offset:112
	v_mov_b32_e32 v56, 0
	s_delay_alu instid0(VALU_DEP_1)
	v_mov_b32_e32 v57, v56
	scratch_store_b64 off, v[56:57], off offset:112
	s_waitcnt vmcnt(0)
	ds_store_b64 v3, v[1:2]
.LBB25_137:
	s_or_b32 exec_lo, exec_lo, s0
	s_waitcnt lgkmcnt(0)
	s_waitcnt_vscnt null, 0x0
	s_barrier
	buffer_gl0_inv
	s_clause 0x4
	scratch_load_b128 v[56:59], off, off offset:112
	scratch_load_b128 v[60:63], off, off offset:128
	;; [unrolled: 1-line block ×5, first 2 shown]
	v_mov_b32_e32 v1, 0
	ds_load_2addr_b64 v[76:79], v1 offset0:41 offset1:42
	ds_load_2addr_b64 v[80:83], v1 offset0:43 offset1:44
	scratch_load_b128 v[84:87], off, off offset:192
	s_mov_b32 s0, exec_lo
	s_waitcnt vmcnt(5) lgkmcnt(1)
	v_fma_f64 v[58:59], v[58:59], v[76:77], 0
	s_waitcnt vmcnt(4)
	s_delay_alu instid0(VALU_DEP_1) | instskip(SKIP_1) | instid1(VALU_DEP_1)
	v_fma_f64 v[58:59], v[60:61], v[78:79], v[58:59]
	s_waitcnt lgkmcnt(0)
	v_fma_f64 v[58:59], v[62:63], v[80:81], v[58:59]
	s_waitcnt vmcnt(3)
	s_delay_alu instid0(VALU_DEP_1)
	v_fma_f64 v[76:77], v[64:65], v[82:83], v[58:59]
	ds_load_2addr_b64 v[58:61], v1 offset0:45 offset1:46
	ds_load_2addr_b64 v[62:65], v1 offset0:47 offset1:48
	s_waitcnt lgkmcnt(1)
	v_fma_f64 v[58:59], v[66:67], v[58:59], v[76:77]
	s_waitcnt vmcnt(2)
	s_delay_alu instid0(VALU_DEP_1) | instskip(SKIP_1) | instid1(VALU_DEP_1)
	v_fma_f64 v[58:59], v[68:69], v[60:61], v[58:59]
	s_waitcnt lgkmcnt(0)
	v_fma_f64 v[58:59], v[70:71], v[62:63], v[58:59]
	s_waitcnt vmcnt(1)
	s_delay_alu instid0(VALU_DEP_1)
	v_fma_f64 v[62:63], v[72:73], v[64:65], v[58:59]
	ds_load_2addr_b64 v[58:61], v1 offset0:49 offset1:50
	ds_load_b64 v[64:65], v1 offset:408
	s_waitcnt lgkmcnt(1)
	v_fma_f64 v[58:59], v[74:75], v[58:59], v[62:63]
	s_waitcnt vmcnt(0)
	s_delay_alu instid0(VALU_DEP_1) | instskip(SKIP_1) | instid1(VALU_DEP_1)
	v_fma_f64 v[58:59], v[84:85], v[60:61], v[58:59]
	s_waitcnt lgkmcnt(0)
	v_fma_f64 v[58:59], v[86:87], v[64:65], v[58:59]
	s_delay_alu instid0(VALU_DEP_1)
	v_add_f64 v[56:57], v[56:57], -v[58:59]
	scratch_store_b64 off, v[56:57], off offset:112
	v_cmpx_lt_u32_e32 13, v0
	s_cbranch_execz .LBB25_139
; %bb.138:
	scratch_load_b64 v[56:57], off, off offset:104
	v_mov_b32_e32 v2, v1
	scratch_store_b64 off, v[1:2], off offset:104
	s_waitcnt vmcnt(0)
	ds_store_b64 v3, v[56:57]
.LBB25_139:
	s_or_b32 exec_lo, exec_lo, s0
	s_waitcnt lgkmcnt(0)
	s_waitcnt_vscnt null, 0x0
	s_barrier
	buffer_gl0_inv
	s_clause 0x4
	scratch_load_b128 v[56:59], off, off offset:104
	scratch_load_b128 v[60:63], off, off offset:120
	;; [unrolled: 1-line block ×5, first 2 shown]
	ds_load_b128 v[76:79], v1 offset:320
	ds_load_b128 v[80:83], v1 offset:336
	scratch_load_b128 v[84:87], off, off offset:184
	s_mov_b32 s0, exec_lo
	s_waitcnt vmcnt(5) lgkmcnt(1)
	v_fma_f64 v[58:59], v[58:59], v[76:77], 0
	scratch_load_b64 v[76:77], off, off offset:200
	s_waitcnt vmcnt(5)
	v_fma_f64 v[58:59], v[60:61], v[78:79], v[58:59]
	s_waitcnt lgkmcnt(0)
	s_delay_alu instid0(VALU_DEP_1) | instskip(SKIP_1) | instid1(VALU_DEP_1)
	v_fma_f64 v[58:59], v[62:63], v[80:81], v[58:59]
	s_waitcnt vmcnt(4)
	v_fma_f64 v[78:79], v[64:65], v[82:83], v[58:59]
	ds_load_b128 v[58:61], v1 offset:352
	ds_load_b128 v[62:65], v1 offset:368
	s_waitcnt lgkmcnt(1)
	v_fma_f64 v[58:59], v[66:67], v[58:59], v[78:79]
	s_waitcnt vmcnt(3)
	s_delay_alu instid0(VALU_DEP_1) | instskip(SKIP_1) | instid1(VALU_DEP_1)
	v_fma_f64 v[58:59], v[68:69], v[60:61], v[58:59]
	s_waitcnt lgkmcnt(0)
	v_fma_f64 v[58:59], v[70:71], v[62:63], v[58:59]
	s_waitcnt vmcnt(2)
	s_delay_alu instid0(VALU_DEP_1)
	v_fma_f64 v[66:67], v[72:73], v[64:65], v[58:59]
	ds_load_b128 v[58:61], v1 offset:384
	ds_load_b128 v[62:65], v1 offset:400
	s_waitcnt lgkmcnt(1)
	v_fma_f64 v[1:2], v[74:75], v[58:59], v[66:67]
	s_waitcnt vmcnt(1)
	s_delay_alu instid0(VALU_DEP_1) | instskip(SKIP_1) | instid1(VALU_DEP_1)
	v_fma_f64 v[1:2], v[84:85], v[60:61], v[1:2]
	s_waitcnt lgkmcnt(0)
	v_fma_f64 v[1:2], v[86:87], v[62:63], v[1:2]
	s_waitcnt vmcnt(0)
	s_delay_alu instid0(VALU_DEP_1) | instskip(NEXT) | instid1(VALU_DEP_1)
	v_fma_f64 v[1:2], v[76:77], v[64:65], v[1:2]
	v_add_f64 v[1:2], v[56:57], -v[1:2]
	scratch_store_b64 off, v[1:2], off offset:104
	v_cmpx_lt_u32_e32 12, v0
	s_cbranch_execz .LBB25_141
; %bb.140:
	scratch_load_b64 v[1:2], off, off offset:96
	v_mov_b32_e32 v56, 0
	s_delay_alu instid0(VALU_DEP_1)
	v_mov_b32_e32 v57, v56
	scratch_store_b64 off, v[56:57], off offset:96
	s_waitcnt vmcnt(0)
	ds_store_b64 v3, v[1:2]
.LBB25_141:
	s_or_b32 exec_lo, exec_lo, s0
	s_waitcnt lgkmcnt(0)
	s_waitcnt_vscnt null, 0x0
	s_barrier
	buffer_gl0_inv
	s_clause 0x4
	scratch_load_b128 v[56:59], off, off offset:96
	scratch_load_b128 v[60:63], off, off offset:112
	;; [unrolled: 1-line block ×5, first 2 shown]
	v_mov_b32_e32 v1, 0
	ds_load_2addr_b64 v[76:79], v1 offset0:39 offset1:40
	ds_load_2addr_b64 v[80:83], v1 offset0:41 offset1:42
	scratch_load_b128 v[84:87], off, off offset:176
	s_mov_b32 s0, exec_lo
	s_waitcnt vmcnt(5) lgkmcnt(1)
	v_fma_f64 v[58:59], v[58:59], v[76:77], 0
	s_waitcnt vmcnt(4)
	s_delay_alu instid0(VALU_DEP_1) | instskip(SKIP_1) | instid1(VALU_DEP_1)
	v_fma_f64 v[58:59], v[60:61], v[78:79], v[58:59]
	s_waitcnt lgkmcnt(0)
	v_fma_f64 v[62:63], v[62:63], v[80:81], v[58:59]
	scratch_load_b128 v[58:61], off, off offset:192
	s_waitcnt vmcnt(4)
	v_fma_f64 v[80:81], v[64:65], v[82:83], v[62:63]
	ds_load_2addr_b64 v[62:65], v1 offset0:43 offset1:44
	ds_load_2addr_b64 v[76:79], v1 offset0:45 offset1:46
	s_waitcnt lgkmcnt(1)
	v_fma_f64 v[62:63], v[66:67], v[62:63], v[80:81]
	s_waitcnt vmcnt(3)
	s_delay_alu instid0(VALU_DEP_1) | instskip(SKIP_1) | instid1(VALU_DEP_1)
	v_fma_f64 v[62:63], v[68:69], v[64:65], v[62:63]
	s_waitcnt lgkmcnt(0)
	v_fma_f64 v[62:63], v[70:71], v[76:77], v[62:63]
	s_waitcnt vmcnt(2)
	s_delay_alu instid0(VALU_DEP_1)
	v_fma_f64 v[70:71], v[72:73], v[78:79], v[62:63]
	ds_load_2addr_b64 v[62:65], v1 offset0:47 offset1:48
	ds_load_2addr_b64 v[66:69], v1 offset0:49 offset1:50
	s_waitcnt lgkmcnt(1)
	v_fma_f64 v[62:63], v[74:75], v[62:63], v[70:71]
	s_waitcnt vmcnt(1)
	s_delay_alu instid0(VALU_DEP_1) | instskip(SKIP_1) | instid1(VALU_DEP_1)
	v_fma_f64 v[62:63], v[84:85], v[64:65], v[62:63]
	s_waitcnt lgkmcnt(0)
	v_fma_f64 v[62:63], v[86:87], v[66:67], v[62:63]
	s_waitcnt vmcnt(0)
	s_delay_alu instid0(VALU_DEP_1) | instskip(SKIP_3) | instid1(VALU_DEP_1)
	v_fma_f64 v[58:59], v[58:59], v[68:69], v[62:63]
	ds_load_b64 v[62:63], v1 offset:408
	s_waitcnt lgkmcnt(0)
	v_fma_f64 v[58:59], v[60:61], v[62:63], v[58:59]
	v_add_f64 v[56:57], v[56:57], -v[58:59]
	scratch_store_b64 off, v[56:57], off offset:96
	v_cmpx_lt_u32_e32 11, v0
	s_cbranch_execz .LBB25_143
; %bb.142:
	scratch_load_b64 v[56:57], off, off offset:88
	v_mov_b32_e32 v2, v1
	scratch_store_b64 off, v[1:2], off offset:88
	s_waitcnt vmcnt(0)
	ds_store_b64 v3, v[56:57]
.LBB25_143:
	s_or_b32 exec_lo, exec_lo, s0
	s_waitcnt lgkmcnt(0)
	s_waitcnt_vscnt null, 0x0
	s_barrier
	buffer_gl0_inv
	s_clause 0x4
	scratch_load_b128 v[56:59], off, off offset:88
	scratch_load_b128 v[60:63], off, off offset:104
	;; [unrolled: 1-line block ×5, first 2 shown]
	ds_load_b128 v[76:79], v1 offset:304
	ds_load_b128 v[80:83], v1 offset:320
	scratch_load_b128 v[84:87], off, off offset:168
	s_mov_b32 s0, exec_lo
	s_waitcnt vmcnt(5) lgkmcnt(1)
	v_fma_f64 v[58:59], v[58:59], v[76:77], 0
	s_waitcnt vmcnt(4)
	s_delay_alu instid0(VALU_DEP_1) | instskip(SKIP_1) | instid1(VALU_DEP_1)
	v_fma_f64 v[58:59], v[60:61], v[78:79], v[58:59]
	s_waitcnt lgkmcnt(0)
	v_fma_f64 v[62:63], v[62:63], v[80:81], v[58:59]
	scratch_load_b128 v[58:61], off, off offset:184
	s_waitcnt vmcnt(4)
	v_fma_f64 v[80:81], v[64:65], v[82:83], v[62:63]
	ds_load_b128 v[62:65], v1 offset:336
	ds_load_b128 v[76:79], v1 offset:352
	s_waitcnt lgkmcnt(1)
	v_fma_f64 v[62:63], v[66:67], v[62:63], v[80:81]
	scratch_load_b64 v[80:81], off, off offset:200
	s_waitcnt vmcnt(4)
	v_fma_f64 v[62:63], v[68:69], v[64:65], v[62:63]
	s_waitcnt lgkmcnt(0)
	s_delay_alu instid0(VALU_DEP_1) | instskip(SKIP_1) | instid1(VALU_DEP_1)
	v_fma_f64 v[62:63], v[70:71], v[76:77], v[62:63]
	s_waitcnt vmcnt(3)
	v_fma_f64 v[70:71], v[72:73], v[78:79], v[62:63]
	ds_load_b128 v[62:65], v1 offset:368
	ds_load_b128 v[66:69], v1 offset:384
	s_waitcnt lgkmcnt(1)
	v_fma_f64 v[62:63], v[74:75], v[62:63], v[70:71]
	s_waitcnt vmcnt(2)
	s_delay_alu instid0(VALU_DEP_1) | instskip(SKIP_1) | instid1(VALU_DEP_1)
	v_fma_f64 v[62:63], v[84:85], v[64:65], v[62:63]
	s_waitcnt lgkmcnt(0)
	v_fma_f64 v[62:63], v[86:87], v[66:67], v[62:63]
	s_waitcnt vmcnt(1)
	s_delay_alu instid0(VALU_DEP_1) | instskip(SKIP_4) | instid1(VALU_DEP_1)
	v_fma_f64 v[58:59], v[58:59], v[68:69], v[62:63]
	ds_load_b128 v[62:65], v1 offset:400
	s_waitcnt lgkmcnt(0)
	v_fma_f64 v[1:2], v[60:61], v[62:63], v[58:59]
	s_waitcnt vmcnt(0)
	v_fma_f64 v[1:2], v[80:81], v[64:65], v[1:2]
	s_delay_alu instid0(VALU_DEP_1)
	v_add_f64 v[1:2], v[56:57], -v[1:2]
	scratch_store_b64 off, v[1:2], off offset:88
	v_cmpx_lt_u32_e32 10, v0
	s_cbranch_execz .LBB25_145
; %bb.144:
	scratch_load_b64 v[1:2], off, off offset:80
	v_mov_b32_e32 v56, 0
	s_delay_alu instid0(VALU_DEP_1)
	v_mov_b32_e32 v57, v56
	scratch_store_b64 off, v[56:57], off offset:80
	s_waitcnt vmcnt(0)
	ds_store_b64 v3, v[1:2]
.LBB25_145:
	s_or_b32 exec_lo, exec_lo, s0
	s_waitcnt lgkmcnt(0)
	s_waitcnt_vscnt null, 0x0
	s_barrier
	buffer_gl0_inv
	s_clause 0x4
	scratch_load_b128 v[56:59], off, off offset:80
	scratch_load_b128 v[60:63], off, off offset:96
	;; [unrolled: 1-line block ×5, first 2 shown]
	v_mov_b32_e32 v1, 0
	ds_load_2addr_b64 v[76:79], v1 offset0:37 offset1:38
	ds_load_2addr_b64 v[80:83], v1 offset0:39 offset1:40
	scratch_load_b128 v[84:87], off, off offset:160
	s_mov_b32 s0, exec_lo
	s_waitcnt vmcnt(5) lgkmcnt(1)
	v_fma_f64 v[58:59], v[58:59], v[76:77], 0
	s_waitcnt vmcnt(4)
	s_delay_alu instid0(VALU_DEP_1) | instskip(SKIP_1) | instid1(VALU_DEP_1)
	v_fma_f64 v[58:59], v[60:61], v[78:79], v[58:59]
	s_waitcnt lgkmcnt(0)
	v_fma_f64 v[62:63], v[62:63], v[80:81], v[58:59]
	scratch_load_b128 v[58:61], off, off offset:176
	s_waitcnt vmcnt(4)
	v_fma_f64 v[80:81], v[64:65], v[82:83], v[62:63]
	ds_load_2addr_b64 v[62:65], v1 offset0:41 offset1:42
	ds_load_2addr_b64 v[76:79], v1 offset0:43 offset1:44
	s_waitcnt lgkmcnt(1)
	v_fma_f64 v[62:63], v[66:67], v[62:63], v[80:81]
	scratch_load_b128 v[80:83], off, off offset:192
	s_waitcnt vmcnt(4)
	v_fma_f64 v[62:63], v[68:69], v[64:65], v[62:63]
	s_waitcnt lgkmcnt(0)
	s_delay_alu instid0(VALU_DEP_1) | instskip(SKIP_1) | instid1(VALU_DEP_1)
	v_fma_f64 v[62:63], v[70:71], v[76:77], v[62:63]
	s_waitcnt vmcnt(3)
	v_fma_f64 v[70:71], v[72:73], v[78:79], v[62:63]
	ds_load_2addr_b64 v[62:65], v1 offset0:45 offset1:46
	ds_load_2addr_b64 v[66:69], v1 offset0:47 offset1:48
	s_waitcnt lgkmcnt(1)
	v_fma_f64 v[62:63], v[74:75], v[62:63], v[70:71]
	s_waitcnt vmcnt(2)
	s_delay_alu instid0(VALU_DEP_1) | instskip(SKIP_1) | instid1(VALU_DEP_1)
	v_fma_f64 v[62:63], v[84:85], v[64:65], v[62:63]
	s_waitcnt lgkmcnt(0)
	v_fma_f64 v[62:63], v[86:87], v[66:67], v[62:63]
	s_waitcnt vmcnt(1)
	s_delay_alu instid0(VALU_DEP_1)
	v_fma_f64 v[58:59], v[58:59], v[68:69], v[62:63]
	ds_load_2addr_b64 v[62:65], v1 offset0:49 offset1:50
	ds_load_b64 v[66:67], v1 offset:408
	s_waitcnt lgkmcnt(1)
	v_fma_f64 v[58:59], v[60:61], v[62:63], v[58:59]
	s_waitcnt vmcnt(0)
	s_delay_alu instid0(VALU_DEP_1) | instskip(SKIP_1) | instid1(VALU_DEP_1)
	v_fma_f64 v[58:59], v[80:81], v[64:65], v[58:59]
	s_waitcnt lgkmcnt(0)
	v_fma_f64 v[58:59], v[82:83], v[66:67], v[58:59]
	s_delay_alu instid0(VALU_DEP_1)
	v_add_f64 v[56:57], v[56:57], -v[58:59]
	scratch_store_b64 off, v[56:57], off offset:80
	v_cmpx_lt_u32_e32 9, v0
	s_cbranch_execz .LBB25_147
; %bb.146:
	scratch_load_b64 v[56:57], off, off offset:72
	v_mov_b32_e32 v2, v1
	scratch_store_b64 off, v[1:2], off offset:72
	s_waitcnt vmcnt(0)
	ds_store_b64 v3, v[56:57]
.LBB25_147:
	s_or_b32 exec_lo, exec_lo, s0
	s_waitcnt lgkmcnt(0)
	s_waitcnt_vscnt null, 0x0
	s_barrier
	buffer_gl0_inv
	s_clause 0x4
	scratch_load_b128 v[56:59], off, off offset:72
	scratch_load_b128 v[60:63], off, off offset:88
	;; [unrolled: 1-line block ×5, first 2 shown]
	ds_load_b128 v[76:79], v1 offset:288
	ds_load_b128 v[80:83], v1 offset:304
	scratch_load_b128 v[84:87], off, off offset:152
	s_mov_b32 s0, exec_lo
	s_waitcnt vmcnt(5) lgkmcnt(1)
	v_fma_f64 v[58:59], v[58:59], v[76:77], 0
	s_waitcnt vmcnt(4)
	s_delay_alu instid0(VALU_DEP_1) | instskip(SKIP_1) | instid1(VALU_DEP_1)
	v_fma_f64 v[58:59], v[60:61], v[78:79], v[58:59]
	s_waitcnt lgkmcnt(0)
	v_fma_f64 v[62:63], v[62:63], v[80:81], v[58:59]
	scratch_load_b128 v[58:61], off, off offset:168
	s_waitcnt vmcnt(4)
	v_fma_f64 v[80:81], v[64:65], v[82:83], v[62:63]
	ds_load_b128 v[62:65], v1 offset:320
	ds_load_b128 v[76:79], v1 offset:336
	s_waitcnt lgkmcnt(1)
	v_fma_f64 v[62:63], v[66:67], v[62:63], v[80:81]
	scratch_load_b128 v[80:83], off, off offset:184
	s_waitcnt vmcnt(4)
	v_fma_f64 v[62:63], v[68:69], v[64:65], v[62:63]
	s_waitcnt lgkmcnt(0)
	s_delay_alu instid0(VALU_DEP_1)
	v_fma_f64 v[62:63], v[70:71], v[76:77], v[62:63]
	scratch_load_b64 v[70:71], off, off offset:200
	s_waitcnt vmcnt(4)
	v_fma_f64 v[72:73], v[72:73], v[78:79], v[62:63]
	ds_load_b128 v[62:65], v1 offset:352
	ds_load_b128 v[66:69], v1 offset:368
	s_waitcnt lgkmcnt(1)
	v_fma_f64 v[62:63], v[74:75], v[62:63], v[72:73]
	s_waitcnt vmcnt(3)
	s_delay_alu instid0(VALU_DEP_1) | instskip(SKIP_1) | instid1(VALU_DEP_1)
	v_fma_f64 v[62:63], v[84:85], v[64:65], v[62:63]
	s_waitcnt lgkmcnt(0)
	v_fma_f64 v[62:63], v[86:87], v[66:67], v[62:63]
	s_waitcnt vmcnt(2)
	s_delay_alu instid0(VALU_DEP_1)
	v_fma_f64 v[58:59], v[58:59], v[68:69], v[62:63]
	ds_load_b128 v[62:65], v1 offset:384
	ds_load_b128 v[66:69], v1 offset:400
	s_waitcnt lgkmcnt(1)
	v_fma_f64 v[1:2], v[60:61], v[62:63], v[58:59]
	s_waitcnt vmcnt(1)
	s_delay_alu instid0(VALU_DEP_1) | instskip(SKIP_1) | instid1(VALU_DEP_1)
	v_fma_f64 v[1:2], v[80:81], v[64:65], v[1:2]
	s_waitcnt lgkmcnt(0)
	v_fma_f64 v[1:2], v[82:83], v[66:67], v[1:2]
	s_waitcnt vmcnt(0)
	s_delay_alu instid0(VALU_DEP_1) | instskip(NEXT) | instid1(VALU_DEP_1)
	v_fma_f64 v[1:2], v[70:71], v[68:69], v[1:2]
	v_add_f64 v[1:2], v[56:57], -v[1:2]
	scratch_store_b64 off, v[1:2], off offset:72
	v_cmpx_lt_u32_e32 8, v0
	s_cbranch_execz .LBB25_149
; %bb.148:
	scratch_load_b64 v[1:2], off, off offset:64
	v_mov_b32_e32 v56, 0
	s_delay_alu instid0(VALU_DEP_1)
	v_mov_b32_e32 v57, v56
	scratch_store_b64 off, v[56:57], off offset:64
	s_waitcnt vmcnt(0)
	ds_store_b64 v3, v[1:2]
.LBB25_149:
	s_or_b32 exec_lo, exec_lo, s0
	s_waitcnt lgkmcnt(0)
	s_waitcnt_vscnt null, 0x0
	s_barrier
	buffer_gl0_inv
	s_clause 0x4
	scratch_load_b128 v[56:59], off, off offset:64
	scratch_load_b128 v[60:63], off, off offset:80
	;; [unrolled: 1-line block ×5, first 2 shown]
	v_mov_b32_e32 v1, 0
	ds_load_2addr_b64 v[76:79], v1 offset0:35 offset1:36
	ds_load_2addr_b64 v[80:83], v1 offset0:37 offset1:38
	scratch_load_b128 v[84:87], off, off offset:144
	s_mov_b32 s0, exec_lo
	s_waitcnt vmcnt(5) lgkmcnt(1)
	v_fma_f64 v[58:59], v[58:59], v[76:77], 0
	s_waitcnt vmcnt(4)
	s_delay_alu instid0(VALU_DEP_1) | instskip(SKIP_1) | instid1(VALU_DEP_1)
	v_fma_f64 v[58:59], v[60:61], v[78:79], v[58:59]
	s_waitcnt lgkmcnt(0)
	v_fma_f64 v[62:63], v[62:63], v[80:81], v[58:59]
	scratch_load_b128 v[58:61], off, off offset:160
	s_waitcnt vmcnt(4)
	v_fma_f64 v[80:81], v[64:65], v[82:83], v[62:63]
	ds_load_2addr_b64 v[62:65], v1 offset0:39 offset1:40
	ds_load_2addr_b64 v[76:79], v1 offset0:41 offset1:42
	s_waitcnt lgkmcnt(1)
	v_fma_f64 v[62:63], v[66:67], v[62:63], v[80:81]
	scratch_load_b128 v[80:83], off, off offset:176
	s_waitcnt vmcnt(4)
	v_fma_f64 v[62:63], v[68:69], v[64:65], v[62:63]
	s_waitcnt lgkmcnt(0)
	s_delay_alu instid0(VALU_DEP_1)
	v_fma_f64 v[66:67], v[70:71], v[76:77], v[62:63]
	scratch_load_b128 v[62:65], off, off offset:192
	s_waitcnt vmcnt(4)
	v_fma_f64 v[76:77], v[72:73], v[78:79], v[66:67]
	ds_load_2addr_b64 v[66:69], v1 offset0:43 offset1:44
	ds_load_2addr_b64 v[70:73], v1 offset0:45 offset1:46
	s_waitcnt lgkmcnt(1)
	v_fma_f64 v[66:67], v[74:75], v[66:67], v[76:77]
	s_waitcnt vmcnt(3)
	s_delay_alu instid0(VALU_DEP_1) | instskip(SKIP_1) | instid1(VALU_DEP_1)
	v_fma_f64 v[66:67], v[84:85], v[68:69], v[66:67]
	s_waitcnt lgkmcnt(0)
	v_fma_f64 v[66:67], v[86:87], v[70:71], v[66:67]
	s_waitcnt vmcnt(2)
	s_delay_alu instid0(VALU_DEP_1)
	v_fma_f64 v[58:59], v[58:59], v[72:73], v[66:67]
	ds_load_2addr_b64 v[66:69], v1 offset0:47 offset1:48
	ds_load_2addr_b64 v[70:73], v1 offset0:49 offset1:50
	s_waitcnt lgkmcnt(1)
	v_fma_f64 v[58:59], v[60:61], v[66:67], v[58:59]
	ds_load_b64 v[60:61], v1 offset:408
	s_waitcnt vmcnt(1)
	v_fma_f64 v[58:59], v[80:81], v[68:69], v[58:59]
	s_waitcnt lgkmcnt(1)
	s_delay_alu instid0(VALU_DEP_1) | instskip(SKIP_1) | instid1(VALU_DEP_1)
	v_fma_f64 v[58:59], v[82:83], v[70:71], v[58:59]
	s_waitcnt vmcnt(0)
	v_fma_f64 v[58:59], v[62:63], v[72:73], v[58:59]
	s_waitcnt lgkmcnt(0)
	s_delay_alu instid0(VALU_DEP_1) | instskip(NEXT) | instid1(VALU_DEP_1)
	v_fma_f64 v[58:59], v[64:65], v[60:61], v[58:59]
	v_add_f64 v[56:57], v[56:57], -v[58:59]
	scratch_store_b64 off, v[56:57], off offset:64
	v_cmpx_lt_u32_e32 7, v0
	s_cbranch_execz .LBB25_151
; %bb.150:
	scratch_load_b64 v[56:57], off, off offset:56
	v_mov_b32_e32 v2, v1
	scratch_store_b64 off, v[1:2], off offset:56
	s_waitcnt vmcnt(0)
	ds_store_b64 v3, v[56:57]
.LBB25_151:
	s_or_b32 exec_lo, exec_lo, s0
	s_waitcnt lgkmcnt(0)
	s_waitcnt_vscnt null, 0x0
	s_barrier
	buffer_gl0_inv
	s_clause 0x4
	scratch_load_b128 v[56:59], off, off offset:56
	scratch_load_b128 v[60:63], off, off offset:72
	;; [unrolled: 1-line block ×5, first 2 shown]
	ds_load_b128 v[76:79], v1 offset:272
	ds_load_b128 v[80:83], v1 offset:288
	scratch_load_b128 v[84:87], off, off offset:136
	s_mov_b32 s0, exec_lo
	s_waitcnt vmcnt(5) lgkmcnt(1)
	v_fma_f64 v[58:59], v[58:59], v[76:77], 0
	s_waitcnt vmcnt(4)
	s_delay_alu instid0(VALU_DEP_1) | instskip(SKIP_1) | instid1(VALU_DEP_1)
	v_fma_f64 v[58:59], v[60:61], v[78:79], v[58:59]
	s_waitcnt lgkmcnt(0)
	v_fma_f64 v[62:63], v[62:63], v[80:81], v[58:59]
	scratch_load_b128 v[58:61], off, off offset:152
	s_waitcnt vmcnt(4)
	v_fma_f64 v[80:81], v[64:65], v[82:83], v[62:63]
	ds_load_b128 v[62:65], v1 offset:304
	ds_load_b128 v[76:79], v1 offset:320
	s_waitcnt lgkmcnt(1)
	v_fma_f64 v[62:63], v[66:67], v[62:63], v[80:81]
	scratch_load_b128 v[80:83], off, off offset:168
	s_waitcnt vmcnt(4)
	v_fma_f64 v[62:63], v[68:69], v[64:65], v[62:63]
	s_waitcnt lgkmcnt(0)
	s_delay_alu instid0(VALU_DEP_1)
	v_fma_f64 v[66:67], v[70:71], v[76:77], v[62:63]
	scratch_load_b128 v[62:65], off, off offset:184
	s_waitcnt vmcnt(4)
	v_fma_f64 v[76:77], v[72:73], v[78:79], v[66:67]
	ds_load_b128 v[66:69], v1 offset:336
	ds_load_b128 v[70:73], v1 offset:352
	s_waitcnt lgkmcnt(1)
	v_fma_f64 v[66:67], v[74:75], v[66:67], v[76:77]
	scratch_load_b64 v[74:75], off, off offset:200
	s_waitcnt vmcnt(4)
	v_fma_f64 v[66:67], v[84:85], v[68:69], v[66:67]
	s_waitcnt lgkmcnt(0)
	s_delay_alu instid0(VALU_DEP_1) | instskip(SKIP_1) | instid1(VALU_DEP_1)
	v_fma_f64 v[66:67], v[86:87], v[70:71], v[66:67]
	s_waitcnt vmcnt(3)
	v_fma_f64 v[58:59], v[58:59], v[72:73], v[66:67]
	ds_load_b128 v[66:69], v1 offset:368
	ds_load_b128 v[70:73], v1 offset:384
	s_waitcnt lgkmcnt(1)
	v_fma_f64 v[58:59], v[60:61], v[66:67], v[58:59]
	s_waitcnt vmcnt(2)
	s_delay_alu instid0(VALU_DEP_1) | instskip(SKIP_1) | instid1(VALU_DEP_1)
	v_fma_f64 v[58:59], v[80:81], v[68:69], v[58:59]
	s_waitcnt lgkmcnt(0)
	v_fma_f64 v[58:59], v[82:83], v[70:71], v[58:59]
	s_waitcnt vmcnt(1)
	s_delay_alu instid0(VALU_DEP_1) | instskip(SKIP_4) | instid1(VALU_DEP_1)
	v_fma_f64 v[62:63], v[62:63], v[72:73], v[58:59]
	ds_load_b128 v[58:61], v1 offset:400
	s_waitcnt lgkmcnt(0)
	v_fma_f64 v[1:2], v[64:65], v[58:59], v[62:63]
	s_waitcnt vmcnt(0)
	v_fma_f64 v[1:2], v[74:75], v[60:61], v[1:2]
	s_delay_alu instid0(VALU_DEP_1)
	v_add_f64 v[1:2], v[56:57], -v[1:2]
	scratch_store_b64 off, v[1:2], off offset:56
	v_cmpx_lt_u32_e32 6, v0
	s_cbranch_execz .LBB25_153
; %bb.152:
	scratch_load_b64 v[1:2], off, off offset:48
	v_mov_b32_e32 v56, 0
	s_delay_alu instid0(VALU_DEP_1)
	v_mov_b32_e32 v57, v56
	scratch_store_b64 off, v[56:57], off offset:48
	s_waitcnt vmcnt(0)
	ds_store_b64 v3, v[1:2]
.LBB25_153:
	s_or_b32 exec_lo, exec_lo, s0
	s_waitcnt lgkmcnt(0)
	s_waitcnt_vscnt null, 0x0
	s_barrier
	buffer_gl0_inv
	s_clause 0x4
	scratch_load_b128 v[56:59], off, off offset:48
	scratch_load_b128 v[60:63], off, off offset:64
	;; [unrolled: 1-line block ×5, first 2 shown]
	v_mov_b32_e32 v1, 0
	ds_load_2addr_b64 v[76:79], v1 offset0:33 offset1:34
	ds_load_2addr_b64 v[80:83], v1 offset0:35 offset1:36
	scratch_load_b128 v[84:87], off, off offset:128
	s_mov_b32 s0, exec_lo
	s_waitcnt vmcnt(5) lgkmcnt(1)
	v_fma_f64 v[58:59], v[58:59], v[76:77], 0
	s_waitcnt vmcnt(4)
	s_delay_alu instid0(VALU_DEP_1) | instskip(SKIP_1) | instid1(VALU_DEP_1)
	v_fma_f64 v[58:59], v[60:61], v[78:79], v[58:59]
	s_waitcnt lgkmcnt(0)
	v_fma_f64 v[62:63], v[62:63], v[80:81], v[58:59]
	scratch_load_b128 v[58:61], off, off offset:144
	s_waitcnt vmcnt(4)
	v_fma_f64 v[80:81], v[64:65], v[82:83], v[62:63]
	ds_load_2addr_b64 v[62:65], v1 offset0:37 offset1:38
	ds_load_2addr_b64 v[76:79], v1 offset0:39 offset1:40
	s_waitcnt lgkmcnt(1)
	v_fma_f64 v[62:63], v[66:67], v[62:63], v[80:81]
	scratch_load_b128 v[80:83], off, off offset:160
	s_waitcnt vmcnt(4)
	v_fma_f64 v[62:63], v[68:69], v[64:65], v[62:63]
	s_waitcnt lgkmcnt(0)
	s_delay_alu instid0(VALU_DEP_1)
	v_fma_f64 v[66:67], v[70:71], v[76:77], v[62:63]
	scratch_load_b128 v[62:65], off, off offset:176
	s_waitcnt vmcnt(4)
	v_fma_f64 v[76:77], v[72:73], v[78:79], v[66:67]
	ds_load_2addr_b64 v[66:69], v1 offset0:41 offset1:42
	ds_load_2addr_b64 v[70:73], v1 offset0:43 offset1:44
	s_waitcnt lgkmcnt(1)
	v_fma_f64 v[66:67], v[74:75], v[66:67], v[76:77]
	scratch_load_b128 v[74:77], off, off offset:192
	s_waitcnt vmcnt(4)
	v_fma_f64 v[66:67], v[84:85], v[68:69], v[66:67]
	s_waitcnt lgkmcnt(0)
	s_delay_alu instid0(VALU_DEP_1) | instskip(SKIP_1) | instid1(VALU_DEP_1)
	v_fma_f64 v[66:67], v[86:87], v[70:71], v[66:67]
	s_waitcnt vmcnt(3)
	v_fma_f64 v[58:59], v[58:59], v[72:73], v[66:67]
	ds_load_2addr_b64 v[66:69], v1 offset0:45 offset1:46
	ds_load_2addr_b64 v[70:73], v1 offset0:47 offset1:48
	s_waitcnt lgkmcnt(1)
	v_fma_f64 v[58:59], v[60:61], v[66:67], v[58:59]
	s_waitcnt vmcnt(2)
	s_delay_alu instid0(VALU_DEP_1) | instskip(SKIP_1) | instid1(VALU_DEP_1)
	v_fma_f64 v[58:59], v[80:81], v[68:69], v[58:59]
	s_waitcnt lgkmcnt(0)
	v_fma_f64 v[58:59], v[82:83], v[70:71], v[58:59]
	s_waitcnt vmcnt(1)
	s_delay_alu instid0(VALU_DEP_1)
	v_fma_f64 v[62:63], v[62:63], v[72:73], v[58:59]
	ds_load_2addr_b64 v[58:61], v1 offset0:49 offset1:50
	ds_load_b64 v[66:67], v1 offset:408
	s_waitcnt lgkmcnt(1)
	v_fma_f64 v[58:59], v[64:65], v[58:59], v[62:63]
	s_waitcnt vmcnt(0)
	s_delay_alu instid0(VALU_DEP_1) | instskip(SKIP_1) | instid1(VALU_DEP_1)
	v_fma_f64 v[58:59], v[74:75], v[60:61], v[58:59]
	s_waitcnt lgkmcnt(0)
	v_fma_f64 v[58:59], v[76:77], v[66:67], v[58:59]
	s_delay_alu instid0(VALU_DEP_1)
	v_add_f64 v[56:57], v[56:57], -v[58:59]
	scratch_store_b64 off, v[56:57], off offset:48
	v_cmpx_lt_u32_e32 5, v0
	s_cbranch_execz .LBB25_155
; %bb.154:
	scratch_load_b64 v[56:57], off, off offset:40
	v_mov_b32_e32 v2, v1
	scratch_store_b64 off, v[1:2], off offset:40
	s_waitcnt vmcnt(0)
	ds_store_b64 v3, v[56:57]
.LBB25_155:
	s_or_b32 exec_lo, exec_lo, s0
	s_waitcnt lgkmcnt(0)
	s_waitcnt_vscnt null, 0x0
	s_barrier
	buffer_gl0_inv
	s_clause 0x4
	scratch_load_b128 v[56:59], off, off offset:40
	scratch_load_b128 v[60:63], off, off offset:56
	;; [unrolled: 1-line block ×5, first 2 shown]
	ds_load_b128 v[76:79], v1 offset:256
	ds_load_b128 v[80:83], v1 offset:272
	scratch_load_b128 v[84:87], off, off offset:120
	s_mov_b32 s0, exec_lo
	s_waitcnt vmcnt(5) lgkmcnt(1)
	v_fma_f64 v[58:59], v[58:59], v[76:77], 0
	s_waitcnt vmcnt(4)
	s_delay_alu instid0(VALU_DEP_1) | instskip(SKIP_1) | instid1(VALU_DEP_1)
	v_fma_f64 v[58:59], v[60:61], v[78:79], v[58:59]
	s_waitcnt lgkmcnt(0)
	v_fma_f64 v[62:63], v[62:63], v[80:81], v[58:59]
	scratch_load_b128 v[58:61], off, off offset:136
	s_waitcnt vmcnt(4)
	v_fma_f64 v[80:81], v[64:65], v[82:83], v[62:63]
	ds_load_b128 v[62:65], v1 offset:288
	ds_load_b128 v[76:79], v1 offset:304
	s_waitcnt lgkmcnt(1)
	v_fma_f64 v[62:63], v[66:67], v[62:63], v[80:81]
	scratch_load_b128 v[80:83], off, off offset:152
	s_waitcnt vmcnt(4)
	v_fma_f64 v[62:63], v[68:69], v[64:65], v[62:63]
	s_waitcnt lgkmcnt(0)
	s_delay_alu instid0(VALU_DEP_1)
	v_fma_f64 v[66:67], v[70:71], v[76:77], v[62:63]
	scratch_load_b128 v[62:65], off, off offset:168
	s_waitcnt vmcnt(4)
	v_fma_f64 v[76:77], v[72:73], v[78:79], v[66:67]
	ds_load_b128 v[66:69], v1 offset:320
	ds_load_b128 v[70:73], v1 offset:336
	scratch_load_b64 v[78:79], off, off offset:200
	s_waitcnt lgkmcnt(1)
	v_fma_f64 v[66:67], v[74:75], v[66:67], v[76:77]
	scratch_load_b128 v[74:77], off, off offset:184
	s_waitcnt vmcnt(5)
	v_fma_f64 v[66:67], v[84:85], v[68:69], v[66:67]
	s_waitcnt lgkmcnt(0)
	s_delay_alu instid0(VALU_DEP_1) | instskip(SKIP_1) | instid1(VALU_DEP_1)
	v_fma_f64 v[66:67], v[86:87], v[70:71], v[66:67]
	s_waitcnt vmcnt(4)
	v_fma_f64 v[58:59], v[58:59], v[72:73], v[66:67]
	ds_load_b128 v[66:69], v1 offset:352
	ds_load_b128 v[70:73], v1 offset:368
	s_waitcnt lgkmcnt(1)
	v_fma_f64 v[58:59], v[60:61], v[66:67], v[58:59]
	s_waitcnt vmcnt(3)
	s_delay_alu instid0(VALU_DEP_1) | instskip(SKIP_1) | instid1(VALU_DEP_1)
	v_fma_f64 v[58:59], v[80:81], v[68:69], v[58:59]
	s_waitcnt lgkmcnt(0)
	v_fma_f64 v[58:59], v[82:83], v[70:71], v[58:59]
	s_waitcnt vmcnt(2)
	s_delay_alu instid0(VALU_DEP_1)
	v_fma_f64 v[62:63], v[62:63], v[72:73], v[58:59]
	ds_load_b128 v[58:61], v1 offset:384
	ds_load_b128 v[66:69], v1 offset:400
	s_waitcnt lgkmcnt(1)
	v_fma_f64 v[1:2], v[64:65], v[58:59], v[62:63]
	s_waitcnt vmcnt(0)
	s_delay_alu instid0(VALU_DEP_1) | instskip(SKIP_1) | instid1(VALU_DEP_1)
	v_fma_f64 v[1:2], v[74:75], v[60:61], v[1:2]
	s_waitcnt lgkmcnt(0)
	v_fma_f64 v[1:2], v[76:77], v[66:67], v[1:2]
	s_delay_alu instid0(VALU_DEP_1) | instskip(NEXT) | instid1(VALU_DEP_1)
	v_fma_f64 v[1:2], v[78:79], v[68:69], v[1:2]
	v_add_f64 v[1:2], v[56:57], -v[1:2]
	scratch_store_b64 off, v[1:2], off offset:40
	v_cmpx_lt_u32_e32 4, v0
	s_cbranch_execz .LBB25_157
; %bb.156:
	scratch_load_b64 v[1:2], off, off offset:32
	v_mov_b32_e32 v56, 0
	s_delay_alu instid0(VALU_DEP_1)
	v_mov_b32_e32 v57, v56
	scratch_store_b64 off, v[56:57], off offset:32
	s_waitcnt vmcnt(0)
	ds_store_b64 v3, v[1:2]
.LBB25_157:
	s_or_b32 exec_lo, exec_lo, s0
	s_waitcnt lgkmcnt(0)
	s_waitcnt_vscnt null, 0x0
	s_barrier
	buffer_gl0_inv
	s_clause 0x4
	scratch_load_b128 v[56:59], off, off offset:32
	scratch_load_b128 v[60:63], off, off offset:48
	;; [unrolled: 1-line block ×5, first 2 shown]
	v_mov_b32_e32 v1, 0
	ds_load_2addr_b64 v[76:79], v1 offset0:31 offset1:32
	ds_load_2addr_b64 v[80:83], v1 offset0:33 offset1:34
	scratch_load_b128 v[84:87], off, off offset:112
	s_mov_b32 s0, exec_lo
	s_waitcnt vmcnt(5) lgkmcnt(1)
	v_fma_f64 v[58:59], v[58:59], v[76:77], 0
	s_waitcnt vmcnt(4)
	s_delay_alu instid0(VALU_DEP_1) | instskip(SKIP_1) | instid1(VALU_DEP_1)
	v_fma_f64 v[58:59], v[60:61], v[78:79], v[58:59]
	s_waitcnt lgkmcnt(0)
	v_fma_f64 v[62:63], v[62:63], v[80:81], v[58:59]
	scratch_load_b128 v[58:61], off, off offset:128
	s_waitcnt vmcnt(4)
	v_fma_f64 v[80:81], v[64:65], v[82:83], v[62:63]
	ds_load_2addr_b64 v[62:65], v1 offset0:35 offset1:36
	ds_load_2addr_b64 v[76:79], v1 offset0:37 offset1:38
	s_waitcnt lgkmcnt(1)
	v_fma_f64 v[62:63], v[66:67], v[62:63], v[80:81]
	scratch_load_b128 v[80:83], off, off offset:144
	s_waitcnt vmcnt(4)
	v_fma_f64 v[62:63], v[68:69], v[64:65], v[62:63]
	s_waitcnt lgkmcnt(0)
	s_delay_alu instid0(VALU_DEP_1)
	v_fma_f64 v[66:67], v[70:71], v[76:77], v[62:63]
	scratch_load_b128 v[62:65], off, off offset:160
	s_waitcnt vmcnt(4)
	v_fma_f64 v[76:77], v[72:73], v[78:79], v[66:67]
	ds_load_2addr_b64 v[66:69], v1 offset0:39 offset1:40
	ds_load_2addr_b64 v[70:73], v1 offset0:41 offset1:42
	s_waitcnt lgkmcnt(1)
	v_fma_f64 v[66:67], v[74:75], v[66:67], v[76:77]
	scratch_load_b128 v[74:77], off, off offset:176
	s_waitcnt vmcnt(4)
	v_fma_f64 v[66:67], v[84:85], v[68:69], v[66:67]
	s_waitcnt lgkmcnt(0)
	s_delay_alu instid0(VALU_DEP_1)
	v_fma_f64 v[70:71], v[86:87], v[70:71], v[66:67]
	scratch_load_b128 v[66:69], off, off offset:192
	s_waitcnt vmcnt(4)
	v_fma_f64 v[58:59], v[58:59], v[72:73], v[70:71]
	ds_load_2addr_b64 v[70:73], v1 offset0:43 offset1:44
	ds_load_2addr_b64 v[84:87], v1 offset0:45 offset1:46
	s_waitcnt lgkmcnt(1)
	v_fma_f64 v[58:59], v[60:61], v[70:71], v[58:59]
	s_waitcnt vmcnt(3)
	s_delay_alu instid0(VALU_DEP_1) | instskip(SKIP_1) | instid1(VALU_DEP_1)
	v_fma_f64 v[58:59], v[80:81], v[72:73], v[58:59]
	s_waitcnt lgkmcnt(0)
	v_fma_f64 v[58:59], v[82:83], v[84:85], v[58:59]
	s_waitcnt vmcnt(2)
	s_delay_alu instid0(VALU_DEP_1)
	v_fma_f64 v[62:63], v[62:63], v[86:87], v[58:59]
	ds_load_2addr_b64 v[58:61], v1 offset0:47 offset1:48
	ds_load_2addr_b64 v[70:73], v1 offset0:49 offset1:50
	s_waitcnt lgkmcnt(1)
	v_fma_f64 v[58:59], v[64:65], v[58:59], v[62:63]
	s_waitcnt vmcnt(1)
	s_delay_alu instid0(VALU_DEP_1) | instskip(SKIP_4) | instid1(VALU_DEP_1)
	v_fma_f64 v[58:59], v[74:75], v[60:61], v[58:59]
	ds_load_b64 v[60:61], v1 offset:408
	s_waitcnt lgkmcnt(1)
	v_fma_f64 v[58:59], v[76:77], v[70:71], v[58:59]
	s_waitcnt vmcnt(0)
	v_fma_f64 v[58:59], v[66:67], v[72:73], v[58:59]
	s_waitcnt lgkmcnt(0)
	s_delay_alu instid0(VALU_DEP_1) | instskip(NEXT) | instid1(VALU_DEP_1)
	v_fma_f64 v[58:59], v[68:69], v[60:61], v[58:59]
	v_add_f64 v[56:57], v[56:57], -v[58:59]
	scratch_store_b64 off, v[56:57], off offset:32
	v_cmpx_lt_u32_e32 3, v0
	s_cbranch_execz .LBB25_159
; %bb.158:
	scratch_load_b64 v[56:57], off, off offset:24
	v_mov_b32_e32 v2, v1
	scratch_store_b64 off, v[1:2], off offset:24
	s_waitcnt vmcnt(0)
	ds_store_b64 v3, v[56:57]
.LBB25_159:
	s_or_b32 exec_lo, exec_lo, s0
	s_waitcnt lgkmcnt(0)
	s_waitcnt_vscnt null, 0x0
	s_barrier
	buffer_gl0_inv
	s_clause 0x4
	scratch_load_b128 v[56:59], off, off offset:24
	scratch_load_b128 v[60:63], off, off offset:40
	;; [unrolled: 1-line block ×5, first 2 shown]
	ds_load_b128 v[76:79], v1 offset:240
	ds_load_b128 v[80:83], v1 offset:256
	scratch_load_b128 v[84:87], off, off offset:104
	s_mov_b32 s0, exec_lo
	s_waitcnt vmcnt(5) lgkmcnt(1)
	v_fma_f64 v[58:59], v[58:59], v[76:77], 0
	s_waitcnt vmcnt(4)
	s_delay_alu instid0(VALU_DEP_1) | instskip(SKIP_1) | instid1(VALU_DEP_1)
	v_fma_f64 v[58:59], v[60:61], v[78:79], v[58:59]
	s_waitcnt lgkmcnt(0)
	v_fma_f64 v[62:63], v[62:63], v[80:81], v[58:59]
	scratch_load_b128 v[58:61], off, off offset:120
	s_waitcnt vmcnt(4)
	v_fma_f64 v[80:81], v[64:65], v[82:83], v[62:63]
	ds_load_b128 v[62:65], v1 offset:272
	ds_load_b128 v[76:79], v1 offset:288
	s_waitcnt lgkmcnt(1)
	v_fma_f64 v[62:63], v[66:67], v[62:63], v[80:81]
	scratch_load_b128 v[80:83], off, off offset:136
	s_waitcnt vmcnt(4)
	v_fma_f64 v[62:63], v[68:69], v[64:65], v[62:63]
	s_waitcnt lgkmcnt(0)
	s_delay_alu instid0(VALU_DEP_1)
	v_fma_f64 v[66:67], v[70:71], v[76:77], v[62:63]
	scratch_load_b128 v[62:65], off, off offset:152
	s_waitcnt vmcnt(4)
	v_fma_f64 v[76:77], v[72:73], v[78:79], v[66:67]
	ds_load_b128 v[66:69], v1 offset:304
	ds_load_b128 v[70:73], v1 offset:320
	s_waitcnt lgkmcnt(1)
	v_fma_f64 v[66:67], v[74:75], v[66:67], v[76:77]
	scratch_load_b128 v[74:77], off, off offset:168
	s_waitcnt vmcnt(4)
	v_fma_f64 v[66:67], v[84:85], v[68:69], v[66:67]
	s_waitcnt lgkmcnt(0)
	s_delay_alu instid0(VALU_DEP_1)
	v_fma_f64 v[70:71], v[86:87], v[70:71], v[66:67]
	scratch_load_b128 v[66:69], off, off offset:184
	s_waitcnt vmcnt(4)
	v_fma_f64 v[58:59], v[58:59], v[72:73], v[70:71]
	ds_load_b128 v[70:73], v1 offset:336
	ds_load_b128 v[84:87], v1 offset:352
	scratch_load_b64 v[78:79], off, off offset:200
	s_waitcnt lgkmcnt(1)
	v_fma_f64 v[58:59], v[60:61], v[70:71], v[58:59]
	s_waitcnt vmcnt(4)
	s_delay_alu instid0(VALU_DEP_1) | instskip(SKIP_1) | instid1(VALU_DEP_1)
	v_fma_f64 v[58:59], v[80:81], v[72:73], v[58:59]
	s_waitcnt lgkmcnt(0)
	v_fma_f64 v[58:59], v[82:83], v[84:85], v[58:59]
	s_waitcnt vmcnt(3)
	s_delay_alu instid0(VALU_DEP_1)
	v_fma_f64 v[62:63], v[62:63], v[86:87], v[58:59]
	ds_load_b128 v[58:61], v1 offset:368
	ds_load_b128 v[70:73], v1 offset:384
	s_waitcnt lgkmcnt(1)
	v_fma_f64 v[58:59], v[64:65], v[58:59], v[62:63]
	s_waitcnt vmcnt(2)
	s_delay_alu instid0(VALU_DEP_1) | instskip(SKIP_1) | instid1(VALU_DEP_1)
	v_fma_f64 v[58:59], v[74:75], v[60:61], v[58:59]
	s_waitcnt lgkmcnt(0)
	v_fma_f64 v[58:59], v[76:77], v[70:71], v[58:59]
	s_waitcnt vmcnt(1)
	s_delay_alu instid0(VALU_DEP_1) | instskip(SKIP_4) | instid1(VALU_DEP_1)
	v_fma_f64 v[62:63], v[66:67], v[72:73], v[58:59]
	ds_load_b128 v[58:61], v1 offset:400
	s_waitcnt lgkmcnt(0)
	v_fma_f64 v[1:2], v[68:69], v[58:59], v[62:63]
	s_waitcnt vmcnt(0)
	v_fma_f64 v[1:2], v[78:79], v[60:61], v[1:2]
	s_delay_alu instid0(VALU_DEP_1)
	v_add_f64 v[1:2], v[56:57], -v[1:2]
	scratch_store_b64 off, v[1:2], off offset:24
	v_cmpx_lt_u32_e32 2, v0
	s_cbranch_execz .LBB25_161
; %bb.160:
	scratch_load_b64 v[1:2], off, off offset:16
	v_mov_b32_e32 v56, 0
	s_delay_alu instid0(VALU_DEP_1)
	v_mov_b32_e32 v57, v56
	scratch_store_b64 off, v[56:57], off offset:16
	s_waitcnt vmcnt(0)
	ds_store_b64 v3, v[1:2]
.LBB25_161:
	s_or_b32 exec_lo, exec_lo, s0
	s_waitcnt lgkmcnt(0)
	s_waitcnt_vscnt null, 0x0
	s_barrier
	buffer_gl0_inv
	s_clause 0x4
	scratch_load_b128 v[56:59], off, off offset:16
	scratch_load_b128 v[60:63], off, off offset:32
	;; [unrolled: 1-line block ×5, first 2 shown]
	v_mov_b32_e32 v1, 0
	ds_load_2addr_b64 v[76:79], v1 offset0:29 offset1:30
	ds_load_2addr_b64 v[80:83], v1 offset0:31 offset1:32
	scratch_load_b128 v[84:87], off, off offset:96
	s_mov_b32 s0, exec_lo
	s_waitcnt vmcnt(5) lgkmcnt(1)
	v_fma_f64 v[58:59], v[58:59], v[76:77], 0
	s_waitcnt vmcnt(4)
	s_delay_alu instid0(VALU_DEP_1) | instskip(SKIP_1) | instid1(VALU_DEP_1)
	v_fma_f64 v[58:59], v[60:61], v[78:79], v[58:59]
	s_waitcnt lgkmcnt(0)
	v_fma_f64 v[62:63], v[62:63], v[80:81], v[58:59]
	scratch_load_b128 v[58:61], off, off offset:112
	s_waitcnt vmcnt(4)
	v_fma_f64 v[80:81], v[64:65], v[82:83], v[62:63]
	ds_load_2addr_b64 v[62:65], v1 offset0:33 offset1:34
	ds_load_2addr_b64 v[76:79], v1 offset0:35 offset1:36
	s_waitcnt lgkmcnt(1)
	v_fma_f64 v[62:63], v[66:67], v[62:63], v[80:81]
	scratch_load_b128 v[80:83], off, off offset:128
	s_waitcnt vmcnt(4)
	v_fma_f64 v[62:63], v[68:69], v[64:65], v[62:63]
	s_waitcnt lgkmcnt(0)
	s_delay_alu instid0(VALU_DEP_1)
	v_fma_f64 v[66:67], v[70:71], v[76:77], v[62:63]
	scratch_load_b128 v[62:65], off, off offset:144
	s_waitcnt vmcnt(4)
	v_fma_f64 v[76:77], v[72:73], v[78:79], v[66:67]
	ds_load_2addr_b64 v[66:69], v1 offset0:37 offset1:38
	ds_load_2addr_b64 v[70:73], v1 offset0:39 offset1:40
	s_waitcnt lgkmcnt(1)
	v_fma_f64 v[66:67], v[74:75], v[66:67], v[76:77]
	scratch_load_b128 v[74:77], off, off offset:160
	s_waitcnt vmcnt(4)
	v_fma_f64 v[66:67], v[84:85], v[68:69], v[66:67]
	s_waitcnt lgkmcnt(0)
	s_delay_alu instid0(VALU_DEP_1)
	v_fma_f64 v[70:71], v[86:87], v[70:71], v[66:67]
	scratch_load_b128 v[66:69], off, off offset:176
	s_waitcnt vmcnt(4)
	v_fma_f64 v[58:59], v[58:59], v[72:73], v[70:71]
	ds_load_2addr_b64 v[70:73], v1 offset0:41 offset1:42
	ds_load_2addr_b64 v[84:87], v1 offset0:43 offset1:44
	s_waitcnt lgkmcnt(1)
	v_fma_f64 v[70:71], v[60:61], v[70:71], v[58:59]
	scratch_load_b128 v[58:61], off, off offset:192
	s_waitcnt vmcnt(4)
	v_fma_f64 v[70:71], v[80:81], v[72:73], v[70:71]
	s_waitcnt lgkmcnt(0)
	s_delay_alu instid0(VALU_DEP_1) | instskip(SKIP_1) | instid1(VALU_DEP_1)
	v_fma_f64 v[70:71], v[82:83], v[84:85], v[70:71]
	s_waitcnt vmcnt(3)
	v_fma_f64 v[62:63], v[62:63], v[86:87], v[70:71]
	ds_load_2addr_b64 v[70:73], v1 offset0:45 offset1:46
	ds_load_2addr_b64 v[78:81], v1 offset0:47 offset1:48
	s_waitcnt lgkmcnt(1)
	v_fma_f64 v[62:63], v[64:65], v[70:71], v[62:63]
	s_waitcnt vmcnt(2)
	s_delay_alu instid0(VALU_DEP_1) | instskip(SKIP_1) | instid1(VALU_DEP_1)
	v_fma_f64 v[62:63], v[74:75], v[72:73], v[62:63]
	s_waitcnt lgkmcnt(0)
	v_fma_f64 v[62:63], v[76:77], v[78:79], v[62:63]
	s_waitcnt vmcnt(1)
	s_delay_alu instid0(VALU_DEP_1)
	v_fma_f64 v[66:67], v[66:67], v[80:81], v[62:63]
	ds_load_2addr_b64 v[62:65], v1 offset0:49 offset1:50
	ds_load_b64 v[70:71], v1 offset:408
	s_waitcnt lgkmcnt(1)
	v_fma_f64 v[62:63], v[68:69], v[62:63], v[66:67]
	s_waitcnt vmcnt(0)
	s_delay_alu instid0(VALU_DEP_1) | instskip(SKIP_1) | instid1(VALU_DEP_1)
	v_fma_f64 v[58:59], v[58:59], v[64:65], v[62:63]
	s_waitcnt lgkmcnt(0)
	v_fma_f64 v[58:59], v[60:61], v[70:71], v[58:59]
	s_delay_alu instid0(VALU_DEP_1)
	v_add_f64 v[56:57], v[56:57], -v[58:59]
	scratch_store_b64 off, v[56:57], off offset:16
	v_cmpx_lt_u32_e32 1, v0
	s_cbranch_execz .LBB25_163
; %bb.162:
	scratch_load_b64 v[56:57], off, off offset:8
	v_mov_b32_e32 v2, v1
	scratch_store_b64 off, v[1:2], off offset:8
	s_waitcnt vmcnt(0)
	ds_store_b64 v3, v[56:57]
.LBB25_163:
	s_or_b32 exec_lo, exec_lo, s0
	s_waitcnt lgkmcnt(0)
	s_waitcnt_vscnt null, 0x0
	s_barrier
	buffer_gl0_inv
	s_clause 0x4
	scratch_load_b128 v[56:59], off, off offset:8
	scratch_load_b128 v[60:63], off, off offset:24
	;; [unrolled: 1-line block ×5, first 2 shown]
	ds_load_b128 v[76:79], v1 offset:224
	ds_load_b128 v[80:83], v1 offset:240
	scratch_load_b128 v[84:87], off, off offset:88
	s_mov_b32 s0, exec_lo
	s_waitcnt vmcnt(5) lgkmcnt(1)
	v_fma_f64 v[58:59], v[58:59], v[76:77], 0
	s_waitcnt vmcnt(4)
	s_delay_alu instid0(VALU_DEP_1) | instskip(SKIP_1) | instid1(VALU_DEP_1)
	v_fma_f64 v[58:59], v[60:61], v[78:79], v[58:59]
	s_waitcnt lgkmcnt(0)
	v_fma_f64 v[62:63], v[62:63], v[80:81], v[58:59]
	scratch_load_b128 v[58:61], off, off offset:104
	s_waitcnt vmcnt(4)
	v_fma_f64 v[80:81], v[64:65], v[82:83], v[62:63]
	ds_load_b128 v[62:65], v1 offset:256
	ds_load_b128 v[76:79], v1 offset:272
	s_waitcnt lgkmcnt(1)
	v_fma_f64 v[62:63], v[66:67], v[62:63], v[80:81]
	scratch_load_b128 v[80:83], off, off offset:120
	s_waitcnt vmcnt(4)
	v_fma_f64 v[62:63], v[68:69], v[64:65], v[62:63]
	s_waitcnt lgkmcnt(0)
	s_delay_alu instid0(VALU_DEP_1)
	v_fma_f64 v[66:67], v[70:71], v[76:77], v[62:63]
	scratch_load_b128 v[62:65], off, off offset:136
	s_waitcnt vmcnt(4)
	v_fma_f64 v[76:77], v[72:73], v[78:79], v[66:67]
	ds_load_b128 v[66:69], v1 offset:288
	ds_load_b128 v[70:73], v1 offset:304
	s_waitcnt lgkmcnt(1)
	v_fma_f64 v[66:67], v[74:75], v[66:67], v[76:77]
	scratch_load_b128 v[74:77], off, off offset:152
	s_waitcnt vmcnt(4)
	v_fma_f64 v[66:67], v[84:85], v[68:69], v[66:67]
	s_waitcnt lgkmcnt(0)
	s_delay_alu instid0(VALU_DEP_1)
	;; [unrolled: 13-line block ×3, first 2 shown]
	v_fma_f64 v[70:71], v[82:83], v[84:85], v[70:71]
	scratch_load_b64 v[82:83], off, off offset:200
	s_waitcnt vmcnt(4)
	v_fma_f64 v[62:63], v[62:63], v[86:87], v[70:71]
	ds_load_b128 v[70:73], v1 offset:352
	ds_load_b128 v[78:81], v1 offset:368
	s_waitcnt lgkmcnt(1)
	v_fma_f64 v[62:63], v[64:65], v[70:71], v[62:63]
	s_waitcnt vmcnt(3)
	s_delay_alu instid0(VALU_DEP_1) | instskip(SKIP_1) | instid1(VALU_DEP_1)
	v_fma_f64 v[62:63], v[74:75], v[72:73], v[62:63]
	s_waitcnt lgkmcnt(0)
	v_fma_f64 v[62:63], v[76:77], v[78:79], v[62:63]
	s_waitcnt vmcnt(2)
	s_delay_alu instid0(VALU_DEP_1)
	v_fma_f64 v[66:67], v[66:67], v[80:81], v[62:63]
	ds_load_b128 v[62:65], v1 offset:384
	ds_load_b128 v[70:73], v1 offset:400
	s_waitcnt lgkmcnt(1)
	v_fma_f64 v[1:2], v[68:69], v[62:63], v[66:67]
	s_waitcnt vmcnt(1)
	s_delay_alu instid0(VALU_DEP_1) | instskip(SKIP_1) | instid1(VALU_DEP_1)
	v_fma_f64 v[1:2], v[58:59], v[64:65], v[1:2]
	s_waitcnt lgkmcnt(0)
	v_fma_f64 v[1:2], v[60:61], v[70:71], v[1:2]
	s_waitcnt vmcnt(0)
	s_delay_alu instid0(VALU_DEP_1) | instskip(NEXT) | instid1(VALU_DEP_1)
	v_fma_f64 v[1:2], v[82:83], v[72:73], v[1:2]
	v_add_f64 v[1:2], v[56:57], -v[1:2]
	scratch_store_b64 off, v[1:2], off offset:8
	v_cmpx_ne_u32_e32 0, v0
	s_cbranch_execz .LBB25_165
; %bb.164:
	scratch_load_b64 v[0:1], off, off
	v_mov_b32_e32 v56, 0
	s_delay_alu instid0(VALU_DEP_1)
	v_mov_b32_e32 v57, v56
	scratch_store_b64 off, v[56:57], off
	s_waitcnt vmcnt(0)
	ds_store_b64 v3, v[0:1]
.LBB25_165:
	s_or_b32 exec_lo, exec_lo, s0
	s_waitcnt lgkmcnt(0)
	s_waitcnt_vscnt null, 0x0
	s_barrier
	buffer_gl0_inv
	s_clause 0x4
	scratch_load_b128 v[56:59], off, off
	scratch_load_b128 v[0:3], off, off offset:16
	scratch_load_b128 v[60:63], off, off offset:32
	;; [unrolled: 1-line block ×4, first 2 shown]
	v_mov_b32_e32 v88, 0
	ds_load_2addr_b64 v[72:75], v88 offset0:27 offset1:28
	ds_load_2addr_b64 v[76:79], v88 offset0:29 offset1:30
	scratch_load_b128 v[80:83], off, off offset:80
	s_and_b32 vcc_lo, exec_lo, s16
	s_waitcnt vmcnt(5) lgkmcnt(1)
	v_fma_f64 v[58:59], v[58:59], v[72:73], 0
	s_waitcnt vmcnt(4)
	s_delay_alu instid0(VALU_DEP_1) | instskip(SKIP_1) | instid1(VALU_DEP_1)
	v_fma_f64 v[0:1], v[0:1], v[74:75], v[58:59]
	s_waitcnt lgkmcnt(0)
	v_fma_f64 v[58:59], v[2:3], v[76:77], v[0:1]
	scratch_load_b128 v[0:3], off, off offset:96
	s_waitcnt vmcnt(4)
	v_fma_f64 v[76:77], v[60:61], v[78:79], v[58:59]
	ds_load_2addr_b64 v[58:61], v88 offset0:31 offset1:32
	ds_load_2addr_b64 v[72:75], v88 offset0:33 offset1:34
	s_waitcnt lgkmcnt(1)
	v_fma_f64 v[58:59], v[62:63], v[58:59], v[76:77]
	scratch_load_b128 v[76:79], off, off offset:112
	s_waitcnt vmcnt(4)
	v_fma_f64 v[58:59], v[64:65], v[60:61], v[58:59]
	s_waitcnt lgkmcnt(0)
	s_delay_alu instid0(VALU_DEP_1)
	v_fma_f64 v[62:63], v[66:67], v[72:73], v[58:59]
	scratch_load_b128 v[58:61], off, off offset:128
	s_waitcnt vmcnt(4)
	v_fma_f64 v[72:73], v[68:69], v[74:75], v[62:63]
	ds_load_2addr_b64 v[62:65], v88 offset0:35 offset1:36
	ds_load_2addr_b64 v[66:69], v88 offset0:37 offset1:38
	s_waitcnt lgkmcnt(1)
	v_fma_f64 v[62:63], v[70:71], v[62:63], v[72:73]
	scratch_load_b128 v[70:73], off, off offset:144
	s_waitcnt vmcnt(4)
	v_fma_f64 v[62:63], v[80:81], v[64:65], v[62:63]
	s_waitcnt lgkmcnt(0)
	s_delay_alu instid0(VALU_DEP_1)
	v_fma_f64 v[66:67], v[82:83], v[66:67], v[62:63]
	scratch_load_b128 v[62:65], off, off offset:160
	s_waitcnt vmcnt(4)
	v_fma_f64 v[0:1], v[0:1], v[68:69], v[66:67]
	ds_load_2addr_b64 v[66:69], v88 offset0:39 offset1:40
	ds_load_2addr_b64 v[80:83], v88 offset0:41 offset1:42
	scratch_load_b128 v[84:87], off, off offset:176
	s_waitcnt lgkmcnt(1)
	v_fma_f64 v[0:1], v[2:3], v[66:67], v[0:1]
	s_waitcnt vmcnt(4)
	s_delay_alu instid0(VALU_DEP_1) | instskip(SKIP_1) | instid1(VALU_DEP_1)
	v_fma_f64 v[0:1], v[76:77], v[68:69], v[0:1]
	s_waitcnt lgkmcnt(0)
	v_fma_f64 v[66:67], v[78:79], v[80:81], v[0:1]
	scratch_load_b128 v[0:3], off, off offset:192
	s_waitcnt vmcnt(4)
	v_fma_f64 v[58:59], v[58:59], v[82:83], v[66:67]
	ds_load_2addr_b64 v[66:69], v88 offset0:43 offset1:44
	ds_load_2addr_b64 v[74:77], v88 offset0:45 offset1:46
	s_waitcnt lgkmcnt(1)
	v_fma_f64 v[58:59], v[60:61], v[66:67], v[58:59]
	s_waitcnt vmcnt(3)
	s_delay_alu instid0(VALU_DEP_1) | instskip(SKIP_1) | instid1(VALU_DEP_1)
	v_fma_f64 v[58:59], v[70:71], v[68:69], v[58:59]
	s_waitcnt lgkmcnt(0)
	v_fma_f64 v[58:59], v[72:73], v[74:75], v[58:59]
	s_waitcnt vmcnt(2)
	s_delay_alu instid0(VALU_DEP_1)
	v_fma_f64 v[62:63], v[62:63], v[76:77], v[58:59]
	ds_load_2addr_b64 v[58:61], v88 offset0:47 offset1:48
	ds_load_2addr_b64 v[66:69], v88 offset0:49 offset1:50
	s_waitcnt lgkmcnt(1)
	v_fma_f64 v[58:59], v[64:65], v[58:59], v[62:63]
	s_waitcnt vmcnt(1)
	s_delay_alu instid0(VALU_DEP_1) | instskip(SKIP_4) | instid1(VALU_DEP_1)
	v_fma_f64 v[58:59], v[84:85], v[60:61], v[58:59]
	ds_load_b64 v[60:61], v88 offset:408
	s_waitcnt lgkmcnt(1)
	v_fma_f64 v[58:59], v[86:87], v[66:67], v[58:59]
	s_waitcnt vmcnt(0)
	v_fma_f64 v[58:59], v[0:1], v[68:69], v[58:59]
	s_waitcnt lgkmcnt(0)
	s_delay_alu instid0(VALU_DEP_1) | instskip(NEXT) | instid1(VALU_DEP_1)
	v_fma_f64 v[2:3], v[2:3], v[60:61], v[58:59]
	v_add_f64 v[2:3], v[56:57], -v[2:3]
	scratch_store_b64 off, v[2:3], off
	s_cbranch_vccz .LBB25_217
; %bb.166:
	v_dual_mov_b32 v2, s12 :: v_dual_mov_b32 v3, s13
	s_mov_b32 s0, exec_lo
	flat_load_b32 v2, v[2:3] offset:96
	s_waitcnt vmcnt(0) lgkmcnt(0)
	v_cmpx_ne_u32_e32 25, v2
	s_cbranch_execz .LBB25_168
; %bb.167:
	v_lshl_add_u32 v56, v2, 3, 0
	scratch_load_b64 v[2:3], v56, off offset:-8
	s_waitcnt vmcnt(0)
	scratch_store_b64 off, v[2:3], off offset:192
	scratch_store_b64 v56, v[0:1], off offset:-8
.LBB25_168:
	s_or_b32 exec_lo, exec_lo, s0
	v_dual_mov_b32 v0, s12 :: v_dual_mov_b32 v1, s13
	s_mov_b32 s0, exec_lo
	flat_load_b32 v0, v[0:1] offset:92
	s_waitcnt vmcnt(0) lgkmcnt(0)
	v_cmpx_ne_u32_e32 24, v0
	s_cbranch_execz .LBB25_170
; %bb.169:
	v_lshl_add_u32 v56, v0, 3, 0
	scratch_load_b64 v[0:1], v56, off offset:-8
	scratch_load_b64 v[2:3], off, off offset:184
	s_waitcnt vmcnt(1)
	scratch_store_b64 off, v[0:1], off offset:184
	s_waitcnt vmcnt(0)
	scratch_store_b64 v56, v[2:3], off offset:-8
.LBB25_170:
	s_or_b32 exec_lo, exec_lo, s0
	v_dual_mov_b32 v0, s12 :: v_dual_mov_b32 v1, s13
	s_mov_b32 s0, exec_lo
	flat_load_b32 v0, v[0:1] offset:88
	s_waitcnt vmcnt(0) lgkmcnt(0)
	v_cmpx_ne_u32_e32 23, v0
	s_cbranch_execz .LBB25_172
; %bb.171:
	v_lshl_add_u32 v56, v0, 3, 0
	scratch_load_b64 v[0:1], v56, off offset:-8
	scratch_load_b64 v[2:3], off, off offset:176
	s_waitcnt vmcnt(1)
	scratch_store_b64 off, v[0:1], off offset:176
	s_waitcnt vmcnt(0)
	scratch_store_b64 v56, v[2:3], off offset:-8
.LBB25_172:
	;; [unrolled: 16-line block ×23, first 2 shown]
	s_or_b32 exec_lo, exec_lo, s0
	v_dual_mov_b32 v0, s12 :: v_dual_mov_b32 v1, s13
	s_mov_b32 s0, exec_lo
	flat_load_b32 v0, v[0:1]
	scratch_load_b64 v[2:3], off, off
	s_waitcnt vmcnt(1) lgkmcnt(0)
	v_cmpx_ne_u32_e32 1, v0
	s_cbranch_execz .LBB25_216
; %bb.215:
	v_lshl_add_u32 v56, v0, 3, 0
	scratch_load_b64 v[0:1], v56, off offset:-8
	s_waitcnt vmcnt(0)
	scratch_store_b64 off, v[0:1], off
	scratch_store_b64 v56, v[2:3], off offset:-8
	scratch_load_b64 v[2:3], off, off
.LBB25_216:
	s_or_b32 exec_lo, exec_lo, s0
.LBB25_217:
	s_clause 0x8
	scratch_load_b128 v[56:59], off, off offset:8
	scratch_load_b128 v[60:63], off, off offset:24
	;; [unrolled: 1-line block ×9, first 2 shown]
	s_waitcnt vmcnt(9)
	global_store_b64 v[8:9], v[2:3], off
	s_clause 0x1
	scratch_load_b128 v[0:3], off, off offset:152
	scratch_load_b128 v[92:95], off, off offset:168
	s_waitcnt vmcnt(10)
	s_clause 0x1
	global_store_b64 v[4:5], v[56:57], off
	global_store_b64 v[14:15], v[58:59], off
	s_clause 0x1
	scratch_load_b128 v[56:59], off, off offset:184
	scratch_load_b64 v[4:5], off, off offset:200
	s_waitcnt vmcnt(11)
	s_clause 0x1
	global_store_b64 v[6:7], v[60:61], off
	global_store_b64 v[10:11], v[62:63], off
	s_waitcnt vmcnt(10)
	s_clause 0x1
	global_store_b64 v[12:13], v[64:65], off
	global_store_b64 v[16:17], v[66:67], off
	;; [unrolled: 4-line block ×11, first 2 shown]
	s_waitcnt vmcnt(0)
	global_store_b64 v[34:35], v[4:5], off
	s_endpgm
	.section	.rodata,"a",@progbits
	.p2align	6, 0x0
	.amdhsa_kernel _ZN9rocsolver6v33100L18getri_kernel_smallILi26EdPdEEvT1_iilPiilS4_bb
		.amdhsa_group_segment_fixed_size 424
		.amdhsa_private_segment_fixed_size 224
		.amdhsa_kernarg_size 60
		.amdhsa_user_sgpr_count 15
		.amdhsa_user_sgpr_dispatch_ptr 0
		.amdhsa_user_sgpr_queue_ptr 0
		.amdhsa_user_sgpr_kernarg_segment_ptr 1
		.amdhsa_user_sgpr_dispatch_id 0
		.amdhsa_user_sgpr_private_segment_size 0
		.amdhsa_wavefront_size32 1
		.amdhsa_uses_dynamic_stack 0
		.amdhsa_enable_private_segment 1
		.amdhsa_system_sgpr_workgroup_id_x 1
		.amdhsa_system_sgpr_workgroup_id_y 0
		.amdhsa_system_sgpr_workgroup_id_z 0
		.amdhsa_system_sgpr_workgroup_info 0
		.amdhsa_system_vgpr_workitem_id 0
		.amdhsa_next_free_vgpr 96
		.amdhsa_next_free_sgpr 18
		.amdhsa_reserve_vcc 1
		.amdhsa_float_round_mode_32 0
		.amdhsa_float_round_mode_16_64 0
		.amdhsa_float_denorm_mode_32 3
		.amdhsa_float_denorm_mode_16_64 3
		.amdhsa_dx10_clamp 1
		.amdhsa_ieee_mode 1
		.amdhsa_fp16_overflow 0
		.amdhsa_workgroup_processor_mode 1
		.amdhsa_memory_ordered 1
		.amdhsa_forward_progress 0
		.amdhsa_shared_vgpr_count 0
		.amdhsa_exception_fp_ieee_invalid_op 0
		.amdhsa_exception_fp_denorm_src 0
		.amdhsa_exception_fp_ieee_div_zero 0
		.amdhsa_exception_fp_ieee_overflow 0
		.amdhsa_exception_fp_ieee_underflow 0
		.amdhsa_exception_fp_ieee_inexact 0
		.amdhsa_exception_int_div_zero 0
	.end_amdhsa_kernel
	.section	.text._ZN9rocsolver6v33100L18getri_kernel_smallILi26EdPdEEvT1_iilPiilS4_bb,"axG",@progbits,_ZN9rocsolver6v33100L18getri_kernel_smallILi26EdPdEEvT1_iilPiilS4_bb,comdat
.Lfunc_end25:
	.size	_ZN9rocsolver6v33100L18getri_kernel_smallILi26EdPdEEvT1_iilPiilS4_bb, .Lfunc_end25-_ZN9rocsolver6v33100L18getri_kernel_smallILi26EdPdEEvT1_iilPiilS4_bb
                                        ; -- End function
	.section	.AMDGPU.csdata,"",@progbits
; Kernel info:
; codeLenInByte = 18684
; NumSgprs: 20
; NumVgprs: 96
; ScratchSize: 224
; MemoryBound: 0
; FloatMode: 240
; IeeeMode: 1
; LDSByteSize: 424 bytes/workgroup (compile time only)
; SGPRBlocks: 2
; VGPRBlocks: 11
; NumSGPRsForWavesPerEU: 20
; NumVGPRsForWavesPerEU: 96
; Occupancy: 16
; WaveLimiterHint : 1
; COMPUTE_PGM_RSRC2:SCRATCH_EN: 1
; COMPUTE_PGM_RSRC2:USER_SGPR: 15
; COMPUTE_PGM_RSRC2:TRAP_HANDLER: 0
; COMPUTE_PGM_RSRC2:TGID_X_EN: 1
; COMPUTE_PGM_RSRC2:TGID_Y_EN: 0
; COMPUTE_PGM_RSRC2:TGID_Z_EN: 0
; COMPUTE_PGM_RSRC2:TIDIG_COMP_CNT: 0
	.section	.text._ZN9rocsolver6v33100L18getri_kernel_smallILi27EdPdEEvT1_iilPiilS4_bb,"axG",@progbits,_ZN9rocsolver6v33100L18getri_kernel_smallILi27EdPdEEvT1_iilPiilS4_bb,comdat
	.globl	_ZN9rocsolver6v33100L18getri_kernel_smallILi27EdPdEEvT1_iilPiilS4_bb ; -- Begin function _ZN9rocsolver6v33100L18getri_kernel_smallILi27EdPdEEvT1_iilPiilS4_bb
	.p2align	8
	.type	_ZN9rocsolver6v33100L18getri_kernel_smallILi27EdPdEEvT1_iilPiilS4_bb,@function
_ZN9rocsolver6v33100L18getri_kernel_smallILi27EdPdEEvT1_iilPiilS4_bb: ; @_ZN9rocsolver6v33100L18getri_kernel_smallILi27EdPdEEvT1_iilPiilS4_bb
; %bb.0:
	s_mov_b32 s2, exec_lo
	v_cmpx_gt_u32_e32 27, v0
	s_cbranch_execz .LBB26_118
; %bb.1:
	s_clause 0x2
	s_load_b32 s17, s[0:1], 0x38
	s_load_b128 s[8:11], s[0:1], 0x10
	s_load_b128 s[4:7], s[0:1], 0x28
	s_mov_b32 s14, s15
                                        ; implicit-def: $sgpr12_sgpr13
	s_waitcnt lgkmcnt(0)
	s_bitcmp1_b32 s17, 8
	s_cselect_b32 s16, -1, 0
	s_bfe_u32 s2, s17, 0x10008
	s_ashr_i32 s15, s15, 31
	s_cmp_eq_u32 s2, 0
	s_cbranch_scc1 .LBB26_3
; %bb.2:
	s_load_b32 s2, s[0:1], 0x20
	s_mul_i32 s3, s14, s5
	s_mul_hi_u32 s5, s14, s4
	s_mul_i32 s12, s15, s4
	s_add_i32 s3, s5, s3
	s_mul_i32 s4, s14, s4
	s_add_i32 s5, s3, s12
	s_delay_alu instid0(SALU_CYCLE_1)
	s_lshl_b64 s[4:5], s[4:5], 2
	s_waitcnt lgkmcnt(0)
	s_ashr_i32 s3, s2, 31
	s_add_u32 s4, s10, s4
	s_addc_u32 s5, s11, s5
	s_lshl_b64 s[2:3], s[2:3], 2
	s_delay_alu instid0(SALU_CYCLE_1)
	s_add_u32 s12, s4, s2
	s_addc_u32 s13, s5, s3
.LBB26_3:
	s_load_b128 s[0:3], s[0:1], 0x0
	s_mul_i32 s4, s14, s9
	s_mul_hi_u32 s5, s14, s8
	s_mul_i32 s9, s15, s8
	s_add_i32 s5, s5, s4
	s_mul_i32 s4, s14, s8
	s_add_i32 s5, s5, s9
	v_lshlrev_b32_e32 v3, 3, v0
	s_lshl_b64 s[4:5], s[4:5], 3
	s_waitcnt lgkmcnt(0)
	v_add3_u32 v1, s3, s3, v0
	s_ashr_i32 s9, s2, 31
	s_mov_b32 s8, s2
	s_add_u32 s2, s0, s4
	s_addc_u32 s5, s1, s5
	s_lshl_b64 s[0:1], s[8:9], 3
	v_add_nc_u32_e32 v8, s3, v1
	s_add_u32 s0, s2, s0
	v_ashrrev_i32_e32 v2, 31, v1
	s_addc_u32 s1, s5, s1
	v_add_co_u32 v6, s2, s0, v3
	s_mov_b32 s4, s3
	s_ashr_i32 s5, s3, 31
	v_add_co_ci_u32_e64 v7, null, s1, 0, s2
	v_add_nc_u32_e32 v10, s3, v8
	s_lshl_b64 s[4:5], s[4:5], 3
	v_ashrrev_i32_e32 v9, 31, v8
	v_lshlrev_b64 v[1:2], 3, v[1:2]
	v_add_co_u32 v4, vcc_lo, v6, s4
	v_add_co_ci_u32_e32 v5, vcc_lo, s5, v7, vcc_lo
	v_ashrrev_i32_e32 v11, 31, v10
	v_add_nc_u32_e32 v14, s3, v10
	v_lshlrev_b64 v[8:9], 3, v[8:9]
	v_add_co_u32 v12, vcc_lo, s0, v1
	s_clause 0x1
	global_load_b64 v[40:41], v3, s[0:1]
	global_load_b64 v[42:43], v[4:5], off
	v_add_co_ci_u32_e32 v13, vcc_lo, s1, v2, vcc_lo
	v_lshlrev_b64 v[1:2], 3, v[10:11]
	v_ashrrev_i32_e32 v15, 31, v14
	v_add_nc_u32_e32 v16, s3, v14
	v_add_co_u32 v10, vcc_lo, s0, v8
	v_add_co_ci_u32_e32 v11, vcc_lo, s1, v9, vcc_lo
	s_delay_alu instid0(VALU_DEP_4)
	v_lshlrev_b64 v[8:9], 3, v[14:15]
	v_add_co_u32 v14, vcc_lo, s0, v1
	v_add_nc_u32_e32 v1, s3, v16
	v_ashrrev_i32_e32 v17, 31, v16
	v_add_co_ci_u32_e32 v15, vcc_lo, s1, v2, vcc_lo
	v_add_co_u32 v8, vcc_lo, s0, v8
	s_delay_alu instid0(VALU_DEP_4)
	v_add_nc_u32_e32 v18, s3, v1
	v_ashrrev_i32_e32 v2, 31, v1
	v_add_co_ci_u32_e32 v9, vcc_lo, s1, v9, vcc_lo
	v_lshlrev_b64 v[16:17], 3, v[16:17]
	s_clause 0x3
	global_load_b64 v[48:49], v[12:13], off
	global_load_b64 v[50:51], v[10:11], off
	;; [unrolled: 1-line block ×4, first 2 shown]
	v_add_nc_u32_e32 v24, s3, v18
	v_lshlrev_b64 v[1:2], 3, v[1:2]
	v_ashrrev_i32_e32 v19, 31, v18
	s_bitcmp0_b32 s17, 0
	v_add_co_u32 v16, vcc_lo, s0, v16
	v_ashrrev_i32_e32 v25, 31, v24
	v_add_co_ci_u32_e32 v17, vcc_lo, s1, v17, vcc_lo
	v_lshlrev_b64 v[20:21], 3, v[18:19]
	v_add_co_u32 v18, vcc_lo, s0, v1
	v_add_co_ci_u32_e32 v19, vcc_lo, s1, v2, vcc_lo
	v_lshlrev_b64 v[1:2], 3, v[24:25]
	s_delay_alu instid0(VALU_DEP_4) | instskip(SKIP_1) | instid1(VALU_DEP_3)
	v_add_co_u32 v20, vcc_lo, s0, v20
	v_add_co_ci_u32_e32 v21, vcc_lo, s1, v21, vcc_lo
	v_add_co_u32 v22, vcc_lo, s0, v1
	s_delay_alu instid0(VALU_DEP_4)
	v_add_co_ci_u32_e32 v23, vcc_lo, s1, v2, vcc_lo
	s_clause 0x3
	global_load_b64 v[58:59], v[16:17], off
	global_load_b64 v[60:61], v[18:19], off
	;; [unrolled: 1-line block ×4, first 2 shown]
	v_add_nc_u32_e32 v1, s3, v24
	s_delay_alu instid0(VALU_DEP_1) | instskip(SKIP_1) | instid1(VALU_DEP_2)
	v_add_nc_u32_e32 v24, s3, v1
	v_ashrrev_i32_e32 v2, 31, v1
	v_add_nc_u32_e32 v26, s3, v24
	v_ashrrev_i32_e32 v25, 31, v24
	s_delay_alu instid0(VALU_DEP_3) | instskip(NEXT) | instid1(VALU_DEP_3)
	v_lshlrev_b64 v[1:2], 3, v[1:2]
	v_add_nc_u32_e32 v28, s3, v26
	v_ashrrev_i32_e32 v27, 31, v26
	s_delay_alu instid0(VALU_DEP_4) | instskip(NEXT) | instid1(VALU_DEP_4)
	v_lshlrev_b64 v[31:32], 3, v[24:25]
	v_add_co_u32 v24, vcc_lo, s0, v1
	s_delay_alu instid0(VALU_DEP_4) | instskip(SKIP_3) | instid1(VALU_DEP_4)
	v_add_nc_u32_e32 v30, s3, v28
	v_add_co_ci_u32_e32 v25, vcc_lo, s1, v2, vcc_lo
	v_lshlrev_b64 v[1:2], 3, v[26:27]
	v_ashrrev_i32_e32 v29, 31, v28
	v_add_nc_u32_e32 v34, s3, v30
	v_add_co_u32 v26, vcc_lo, s0, v31
	v_ashrrev_i32_e32 v31, 31, v30
	v_add_co_ci_u32_e32 v27, vcc_lo, s1, v32, vcc_lo
	s_delay_alu instid0(VALU_DEP_4) | instskip(SKIP_3) | instid1(VALU_DEP_4)
	v_add_nc_u32_e32 v36, s3, v34
	v_lshlrev_b64 v[32:33], 3, v[28:29]
	v_add_co_u32 v28, vcc_lo, s0, v1
	v_add_co_ci_u32_e32 v29, vcc_lo, s1, v2, vcc_lo
	v_add_nc_u32_e32 v38, s3, v36
	v_lshlrev_b64 v[1:2], 3, v[30:31]
	v_ashrrev_i32_e32 v35, 31, v34
	v_add_co_u32 v32, vcc_lo, s0, v32
	s_delay_alu instid0(VALU_DEP_4) | instskip(SKIP_1) | instid1(VALU_DEP_4)
	v_add_nc_u32_e32 v44, s3, v38
	v_ashrrev_i32_e32 v37, 31, v36
	v_lshlrev_b64 v[72:73], 3, v[34:35]
	v_add_co_ci_u32_e32 v33, vcc_lo, s1, v33, vcc_lo
	s_delay_alu instid0(VALU_DEP_4) | instskip(SKIP_2) | instid1(VALU_DEP_3)
	v_add_nc_u32_e32 v46, s3, v44
	v_add_co_u32 v34, vcc_lo, s0, v1
	v_add_co_ci_u32_e32 v35, vcc_lo, s1, v2, vcc_lo
	v_add_nc_u32_e32 v56, s3, v46
	v_lshlrev_b64 v[1:2], 3, v[36:37]
	v_ashrrev_i32_e32 v39, 31, v38
	v_add_co_u32 v36, vcc_lo, s0, v72
	s_delay_alu instid0(VALU_DEP_4) | instskip(SKIP_3) | instid1(VALU_DEP_4)
	v_add_nc_u32_e32 v80, s3, v56
	v_add_co_ci_u32_e32 v37, vcc_lo, s1, v73, vcc_lo
	v_ashrrev_i32_e32 v45, 31, v44
	v_lshlrev_b64 v[83:84], 3, v[38:39]
	v_add_nc_u32_e32 v82, s3, v80
	v_ashrrev_i32_e32 v47, 31, v46
	s_clause 0x2
	global_load_b64 v[66:67], v[24:25], off
	global_load_b64 v[68:69], v[26:27], off
	global_load_b64 v[70:71], v[28:29], off
	v_ashrrev_i32_e32 v57, 31, v56
	v_ashrrev_i32_e32 v81, 31, v80
	v_add_nc_u32_e32 v88, s3, v82
	s_delay_alu instid0(VALU_DEP_1) | instskip(SKIP_1) | instid1(VALU_DEP_2)
	v_add_nc_u32_e32 v90, s3, v88
	v_ashrrev_i32_e32 v89, 31, v88
	v_add_nc_u32_e32 v92, s3, v90
	v_ashrrev_i32_e32 v91, 31, v90
	s_delay_alu instid0(VALU_DEP_2) | instskip(SKIP_1) | instid1(VALU_DEP_2)
	v_add_nc_u32_e32 v30, s3, v92
	v_ashrrev_i32_e32 v93, 31, v92
	v_ashrrev_i32_e32 v31, 31, v30
	s_delay_alu instid0(VALU_DEP_1) | instskip(NEXT) | instid1(VALU_DEP_1)
	v_lshlrev_b64 v[30:31], 3, v[30:31]
	v_add_co_u32 v30, vcc_lo, s0, v30
	s_delay_alu instid0(VALU_DEP_2)
	v_add_co_ci_u32_e32 v31, vcc_lo, s1, v31, vcc_lo
	v_add_co_u32 v38, vcc_lo, s0, v1
	v_add_co_ci_u32_e32 v39, vcc_lo, s1, v2, vcc_lo
	v_lshlrev_b64 v[1:2], 3, v[44:45]
	v_lshlrev_b64 v[44:45], 3, v[46:47]
	global_load_b64 v[94:95], v[30:31], off
	s_waitcnt vmcnt(12)
	scratch_store_b128 off, v[40:43], off
	v_add_co_u32 v40, vcc_lo, s0, v83
	v_add_co_ci_u32_e32 v41, vcc_lo, s1, v84, vcc_lo
	v_add_co_u32 v42, vcc_lo, s0, v1
	v_add_co_ci_u32_e32 v43, vcc_lo, s1, v2, vcc_lo
	v_lshlrev_b64 v[1:2], 3, v[56:57]
	v_add_co_u32 v44, vcc_lo, s0, v44
	v_ashrrev_i32_e32 v83, 31, v82
	v_add_co_ci_u32_e32 v45, vcc_lo, s1, v45, vcc_lo
	v_lshlrev_b64 v[56:57], 3, v[80:81]
	v_add_co_u32 v46, vcc_lo, s0, v1
	v_add_co_ci_u32_e32 v47, vcc_lo, s1, v2, vcc_lo
	v_lshlrev_b64 v[1:2], 3, v[82:83]
	s_clause 0x3
	global_load_b64 v[72:73], v[32:33], off
	global_load_b64 v[74:75], v[34:35], off
	;; [unrolled: 1-line block ×4, first 2 shown]
	s_waitcnt vmcnt(14)
	scratch_store_b128 off, v[48:51], off offset:16
	s_waitcnt vmcnt(12)
	scratch_store_b128 off, v[52:55], off offset:32
	v_add_co_u32 v48, vcc_lo, s0, v56
	v_lshlrev_b64 v[50:51], 3, v[88:89]
	v_add_co_ci_u32_e32 v49, vcc_lo, s1, v57, vcc_lo
	v_add_co_u32 v52, vcc_lo, s0, v1
	v_add_co_ci_u32_e32 v53, vcc_lo, s1, v2, vcc_lo
	v_lshlrev_b64 v[1:2], 3, v[90:91]
	v_add_co_u32 v54, vcc_lo, s0, v50
	v_add_co_ci_u32_e32 v55, vcc_lo, s1, v51, vcc_lo
	v_lshlrev_b64 v[50:51], 3, v[92:93]
	s_delay_alu instid0(VALU_DEP_4)
	v_add_co_u32 v56, vcc_lo, s0, v1
	v_add_co_ci_u32_e32 v57, vcc_lo, s1, v2, vcc_lo
	s_clause 0x3
	global_load_b64 v[80:81], v[40:41], off
	global_load_b64 v[82:83], v[42:43], off
	;; [unrolled: 1-line block ×4, first 2 shown]
	v_add_co_u32 v50, vcc_lo, s0, v50
	v_add_co_ci_u32_e32 v51, vcc_lo, s1, v51, vcc_lo
	s_waitcnt vmcnt(14)
	scratch_store_b128 off, v[58:61], off offset:48
	s_clause 0x2
	global_load_b64 v[88:89], v[48:49], off
	global_load_b64 v[58:59], v[52:53], off
	;; [unrolled: 1-line block ×3, first 2 shown]
	s_waitcnt vmcnt(15)
	scratch_store_b128 off, v[62:65], off offset:64
	s_clause 0x1
	global_load_b64 v[64:65], v[50:51], off
	global_load_b64 v[62:63], v[56:57], off
	s_mov_b32 s1, -1
	s_waitcnt vmcnt(15)
	scratch_store_b128 off, v[66:69], off offset:80
	s_waitcnt vmcnt(12)
	scratch_store_b128 off, v[70:73], off offset:96
	;; [unrolled: 2-line block ×7, first 2 shown]
	s_waitcnt vmcnt(0)
	s_clause 0x1
	scratch_store_b128 off, v[62:65], off offset:192
	scratch_store_b64 off, v[94:95], off offset:208
	s_cbranch_scc1 .LBB26_116
; %bb.4:
	v_cmp_eq_u32_e64 s0, 0, v0
	s_delay_alu instid0(VALU_DEP_1)
	s_and_saveexec_b32 s1, s0
	s_cbranch_execz .LBB26_6
; %bb.5:
	v_mov_b32_e32 v1, 0
	ds_store_b32 v1, v1 offset:216
.LBB26_6:
	s_or_b32 exec_lo, exec_lo, s1
	s_waitcnt lgkmcnt(0)
	s_waitcnt_vscnt null, 0x0
	s_barrier
	buffer_gl0_inv
	scratch_load_b64 v[1:2], v3, off
	s_mov_b32 s2, exec_lo
	s_waitcnt vmcnt(0)
	v_cmpx_eq_f64_e32 0, v[1:2]
	s_cbranch_execz .LBB26_10
; %bb.7:
	v_mov_b32_e32 v1, 0
	s_mov_b32 s3, 0
	ds_load_b32 v2, v1 offset:216
	s_waitcnt lgkmcnt(0)
	v_readfirstlane_b32 s1, v2
	v_add_nc_u32_e32 v2, 1, v0
	s_delay_alu instid0(VALU_DEP_2) | instskip(NEXT) | instid1(VALU_DEP_1)
	s_cmp_eq_u32 s1, 0
	v_cmp_gt_i32_e32 vcc_lo, s1, v2
	s_cselect_b32 s4, -1, 0
	s_delay_alu instid0(SALU_CYCLE_1) | instskip(NEXT) | instid1(SALU_CYCLE_1)
	s_or_b32 s4, s4, vcc_lo
	s_and_b32 exec_lo, exec_lo, s4
	s_cbranch_execz .LBB26_10
; %bb.8:
	v_mov_b32_e32 v58, s1
.LBB26_9:                               ; =>This Inner Loop Header: Depth=1
	ds_cmpstore_rtn_b32 v58, v1, v2, v58 offset:216
	s_waitcnt lgkmcnt(0)
	v_cmp_ne_u32_e32 vcc_lo, 0, v58
	v_cmp_le_i32_e64 s1, v58, v2
	s_delay_alu instid0(VALU_DEP_1) | instskip(NEXT) | instid1(SALU_CYCLE_1)
	s_and_b32 s1, vcc_lo, s1
	s_and_b32 s1, exec_lo, s1
	s_delay_alu instid0(SALU_CYCLE_1) | instskip(NEXT) | instid1(SALU_CYCLE_1)
	s_or_b32 s3, s1, s3
	s_and_not1_b32 exec_lo, exec_lo, s3
	s_cbranch_execnz .LBB26_9
.LBB26_10:
	s_or_b32 exec_lo, exec_lo, s2
	v_mov_b32_e32 v1, 0
	s_barrier
	buffer_gl0_inv
	ds_load_b32 v2, v1 offset:216
	s_and_saveexec_b32 s1, s0
	s_cbranch_execz .LBB26_12
; %bb.11:
	s_lshl_b64 s[2:3], s[14:15], 2
	s_delay_alu instid0(SALU_CYCLE_1)
	s_add_u32 s2, s6, s2
	s_addc_u32 s3, s7, s3
	s_waitcnt lgkmcnt(0)
	global_store_b32 v1, v2, s[2:3]
.LBB26_12:
	s_or_b32 exec_lo, exec_lo, s1
	s_waitcnt lgkmcnt(0)
	v_cmp_ne_u32_e32 vcc_lo, 0, v2
	s_mov_b32 s1, 0
	s_cbranch_vccnz .LBB26_116
; %bb.13:
	v_add_nc_u32_e32 v58, 0, v3
	scratch_load_b64 v[1:2], v58, off
	s_waitcnt vmcnt(0)
	v_div_scale_f64 v[59:60], null, v[1:2], v[1:2], 1.0
	v_div_scale_f64 v[65:66], vcc_lo, 1.0, v[1:2], 1.0
	s_delay_alu instid0(VALU_DEP_2) | instskip(SKIP_2) | instid1(VALU_DEP_1)
	v_rcp_f64_e32 v[61:62], v[59:60]
	s_waitcnt_depctr 0xfff
	v_fma_f64 v[63:64], -v[59:60], v[61:62], 1.0
	v_fma_f64 v[61:62], v[61:62], v[63:64], v[61:62]
	s_delay_alu instid0(VALU_DEP_1) | instskip(NEXT) | instid1(VALU_DEP_1)
	v_fma_f64 v[63:64], -v[59:60], v[61:62], 1.0
	v_fma_f64 v[61:62], v[61:62], v[63:64], v[61:62]
	s_delay_alu instid0(VALU_DEP_1) | instskip(NEXT) | instid1(VALU_DEP_1)
	v_mul_f64 v[63:64], v[65:66], v[61:62]
	v_fma_f64 v[59:60], -v[59:60], v[63:64], v[65:66]
	s_delay_alu instid0(VALU_DEP_1) | instskip(NEXT) | instid1(VALU_DEP_1)
	v_div_fmas_f64 v[59:60], v[59:60], v[61:62], v[63:64]
	v_div_fixup_f64 v[1:2], v[59:60], v[1:2], 1.0
	v_add_nc_u32_e32 v59, 0xe0, v3
	scratch_store_b64 v58, v[1:2], off
	scratch_load_b64 v[60:61], off, off offset:8
	v_xor_b32_e32 v2, 0x80000000, v2
	s_waitcnt vmcnt(0)
	ds_store_2addr_b64 v3, v[1:2], v[60:61] offset1:28
	s_waitcnt lgkmcnt(0)
	s_waitcnt_vscnt null, 0x0
	s_barrier
	buffer_gl0_inv
	s_and_saveexec_b32 s1, s0
	s_cbranch_execz .LBB26_15
; %bb.14:
	scratch_load_b64 v[1:2], v58, off
	ds_load_b64 v[60:61], v59
	s_waitcnt vmcnt(0) lgkmcnt(0)
	v_fma_f64 v[1:2], v[1:2], v[60:61], 0
	v_mov_b32_e32 v60, 0
	ds_load_b64 v[60:61], v60 offset:8
	s_waitcnt lgkmcnt(0)
	v_mul_f64 v[1:2], v[1:2], v[60:61]
	scratch_store_b64 off, v[1:2], off offset:8
.LBB26_15:
	s_or_b32 exec_lo, exec_lo, s1
	s_waitcnt_vscnt null, 0x0
	s_barrier
	buffer_gl0_inv
	scratch_load_b64 v[1:2], off, off offset:16
	s_mov_b32 s1, exec_lo
	s_waitcnt vmcnt(0)
	ds_store_b64 v59, v[1:2]
	s_waitcnt lgkmcnt(0)
	s_barrier
	buffer_gl0_inv
	v_cmpx_gt_u32_e32 2, v0
	s_cbranch_execz .LBB26_19
; %bb.16:
	scratch_load_b64 v[1:2], v58, off
	ds_load_b64 v[60:61], v59
	s_waitcnt vmcnt(0) lgkmcnt(0)
	v_fma_f64 v[1:2], v[1:2], v[60:61], 0
	s_and_saveexec_b32 s2, s0
	s_cbranch_execz .LBB26_18
; %bb.17:
	scratch_load_b64 v[60:61], off, off offset:8
	v_mov_b32_e32 v62, 0
	ds_load_b64 v[62:63], v62 offset:232
	s_waitcnt vmcnt(0) lgkmcnt(0)
	v_fma_f64 v[1:2], v[60:61], v[62:63], v[1:2]
.LBB26_18:
	s_or_b32 exec_lo, exec_lo, s2
	v_mov_b32_e32 v60, 0
	ds_load_b64 v[60:61], v60 offset:16
	s_waitcnt lgkmcnt(0)
	v_mul_f64 v[1:2], v[1:2], v[60:61]
	scratch_store_b64 off, v[1:2], off offset:16
.LBB26_19:
	s_or_b32 exec_lo, exec_lo, s1
	s_waitcnt_vscnt null, 0x0
	s_barrier
	buffer_gl0_inv
	scratch_load_b64 v[1:2], off, off offset:24
	v_add_nc_u32_e32 v60, -1, v0
	s_mov_b32 s0, exec_lo
	s_waitcnt vmcnt(0)
	ds_store_b64 v59, v[1:2]
	s_waitcnt lgkmcnt(0)
	s_barrier
	buffer_gl0_inv
	v_cmpx_gt_u32_e32 3, v0
	s_cbranch_execz .LBB26_23
; %bb.20:
	v_dual_mov_b32 v1, 0 :: v_dual_add_nc_u32 v62, 0xe0, v3
	v_dual_mov_b32 v2, 0 :: v_dual_add_nc_u32 v61, -1, v0
	v_add_nc_u32_e32 v63, 0, v3
	s_mov_b32 s1, 0
.LBB26_21:                              ; =>This Inner Loop Header: Depth=1
	scratch_load_b64 v[64:65], v63, off
	ds_load_b64 v[66:67], v62
	v_add_nc_u32_e32 v61, 1, v61
	v_add_nc_u32_e32 v62, 8, v62
	v_add_nc_u32_e32 v63, 8, v63
	s_delay_alu instid0(VALU_DEP_3)
	v_cmp_lt_u32_e32 vcc_lo, 1, v61
	s_or_b32 s1, vcc_lo, s1
	s_waitcnt vmcnt(0) lgkmcnt(0)
	v_fma_f64 v[1:2], v[64:65], v[66:67], v[1:2]
	s_and_not1_b32 exec_lo, exec_lo, s1
	s_cbranch_execnz .LBB26_21
; %bb.22:
	s_or_b32 exec_lo, exec_lo, s1
	v_mov_b32_e32 v61, 0
	ds_load_b64 v[61:62], v61 offset:24
	s_waitcnt lgkmcnt(0)
	v_mul_f64 v[1:2], v[1:2], v[61:62]
	scratch_store_b64 off, v[1:2], off offset:24
.LBB26_23:
	s_or_b32 exec_lo, exec_lo, s0
	s_waitcnt_vscnt null, 0x0
	s_barrier
	buffer_gl0_inv
	scratch_load_b64 v[1:2], off, off offset:32
	s_mov_b32 s0, exec_lo
	s_waitcnt vmcnt(0)
	ds_store_b64 v59, v[1:2]
	s_waitcnt lgkmcnt(0)
	s_barrier
	buffer_gl0_inv
	v_cmpx_gt_u32_e32 4, v0
	s_cbranch_execz .LBB26_27
; %bb.24:
	v_dual_mov_b32 v1, 0 :: v_dual_add_nc_u32 v62, 0xe0, v3
	v_dual_mov_b32 v2, 0 :: v_dual_add_nc_u32 v61, -1, v0
	v_add_nc_u32_e32 v63, 0, v3
	s_mov_b32 s1, 0
.LBB26_25:                              ; =>This Inner Loop Header: Depth=1
	scratch_load_b64 v[64:65], v63, off
	ds_load_b64 v[66:67], v62
	v_add_nc_u32_e32 v61, 1, v61
	v_add_nc_u32_e32 v62, 8, v62
	v_add_nc_u32_e32 v63, 8, v63
	s_delay_alu instid0(VALU_DEP_3)
	v_cmp_lt_u32_e32 vcc_lo, 2, v61
	s_or_b32 s1, vcc_lo, s1
	s_waitcnt vmcnt(0) lgkmcnt(0)
	v_fma_f64 v[1:2], v[64:65], v[66:67], v[1:2]
	s_and_not1_b32 exec_lo, exec_lo, s1
	s_cbranch_execnz .LBB26_25
; %bb.26:
	s_or_b32 exec_lo, exec_lo, s1
	v_mov_b32_e32 v61, 0
	ds_load_b64 v[61:62], v61 offset:32
	s_waitcnt lgkmcnt(0)
	v_mul_f64 v[1:2], v[1:2], v[61:62]
	scratch_store_b64 off, v[1:2], off offset:32
.LBB26_27:
	s_or_b32 exec_lo, exec_lo, s0
	s_waitcnt_vscnt null, 0x0
	s_barrier
	buffer_gl0_inv
	scratch_load_b64 v[1:2], off, off offset:40
	;; [unrolled: 39-line block ×20, first 2 shown]
	s_mov_b32 s0, exec_lo
	s_waitcnt vmcnt(0)
	ds_store_b64 v59, v[1:2]
	s_waitcnt lgkmcnt(0)
	s_barrier
	buffer_gl0_inv
	v_cmpx_gt_u32_e32 23, v0
	s_cbranch_execz .LBB26_103
; %bb.100:
	v_dual_mov_b32 v1, 0 :: v_dual_add_nc_u32 v62, 0xe0, v3
	v_dual_mov_b32 v2, 0 :: v_dual_add_nc_u32 v61, -1, v0
	v_add_nc_u32_e32 v63, 0, v3
	s_mov_b32 s1, 0
.LBB26_101:                             ; =>This Inner Loop Header: Depth=1
	scratch_load_b64 v[64:65], v63, off
	ds_load_b64 v[66:67], v62
	v_add_nc_u32_e32 v61, 1, v61
	v_add_nc_u32_e32 v62, 8, v62
	v_add_nc_u32_e32 v63, 8, v63
	s_delay_alu instid0(VALU_DEP_3)
	v_cmp_lt_u32_e32 vcc_lo, 21, v61
	s_or_b32 s1, vcc_lo, s1
	s_waitcnt vmcnt(0) lgkmcnt(0)
	v_fma_f64 v[1:2], v[64:65], v[66:67], v[1:2]
	s_and_not1_b32 exec_lo, exec_lo, s1
	s_cbranch_execnz .LBB26_101
; %bb.102:
	s_or_b32 exec_lo, exec_lo, s1
	v_mov_b32_e32 v61, 0
	ds_load_b64 v[61:62], v61 offset:184
	s_waitcnt lgkmcnt(0)
	v_mul_f64 v[1:2], v[1:2], v[61:62]
	scratch_store_b64 off, v[1:2], off offset:184
.LBB26_103:
	s_or_b32 exec_lo, exec_lo, s0
	s_waitcnt_vscnt null, 0x0
	s_barrier
	buffer_gl0_inv
	scratch_load_b64 v[1:2], off, off offset:192
	s_mov_b32 s0, exec_lo
	s_waitcnt vmcnt(0)
	ds_store_b64 v59, v[1:2]
	s_waitcnt lgkmcnt(0)
	s_barrier
	buffer_gl0_inv
	v_cmpx_gt_u32_e32 24, v0
	s_cbranch_execz .LBB26_107
; %bb.104:
	v_dual_mov_b32 v1, 0 :: v_dual_add_nc_u32 v62, 0xe0, v3
	v_dual_mov_b32 v2, 0 :: v_dual_add_nc_u32 v61, -1, v0
	v_add_nc_u32_e32 v63, 0, v3
	s_mov_b32 s1, 0
.LBB26_105:                             ; =>This Inner Loop Header: Depth=1
	scratch_load_b64 v[64:65], v63, off
	ds_load_b64 v[66:67], v62
	v_add_nc_u32_e32 v61, 1, v61
	v_add_nc_u32_e32 v62, 8, v62
	v_add_nc_u32_e32 v63, 8, v63
	s_delay_alu instid0(VALU_DEP_3)
	v_cmp_lt_u32_e32 vcc_lo, 22, v61
	s_or_b32 s1, vcc_lo, s1
	s_waitcnt vmcnt(0) lgkmcnt(0)
	v_fma_f64 v[1:2], v[64:65], v[66:67], v[1:2]
	s_and_not1_b32 exec_lo, exec_lo, s1
	s_cbranch_execnz .LBB26_105
; %bb.106:
	s_or_b32 exec_lo, exec_lo, s1
	v_mov_b32_e32 v61, 0
	ds_load_b64 v[61:62], v61 offset:192
	s_waitcnt lgkmcnt(0)
	v_mul_f64 v[1:2], v[1:2], v[61:62]
	scratch_store_b64 off, v[1:2], off offset:192
.LBB26_107:
	s_or_b32 exec_lo, exec_lo, s0
	s_waitcnt_vscnt null, 0x0
	s_barrier
	buffer_gl0_inv
	scratch_load_b64 v[1:2], off, off offset:200
	;; [unrolled: 39-line block ×3, first 2 shown]
	s_mov_b32 s0, exec_lo
	s_waitcnt vmcnt(0)
	ds_store_b64 v59, v[1:2]
	s_waitcnt lgkmcnt(0)
	s_barrier
	buffer_gl0_inv
	v_cmpx_ne_u32_e32 26, v0
	s_cbranch_execz .LBB26_115
; %bb.112:
	v_mov_b32_e32 v1, 0
	v_mov_b32_e32 v2, 0
	s_mov_b32 s1, 0
.LBB26_113:                             ; =>This Inner Loop Header: Depth=1
	scratch_load_b64 v[61:62], v58, off
	ds_load_b64 v[63:64], v59
	v_add_nc_u32_e32 v60, 1, v60
	v_add_nc_u32_e32 v59, 8, v59
	;; [unrolled: 1-line block ×3, first 2 shown]
	s_delay_alu instid0(VALU_DEP_3)
	v_cmp_lt_u32_e32 vcc_lo, 24, v60
	s_or_b32 s1, vcc_lo, s1
	s_waitcnt vmcnt(0) lgkmcnt(0)
	v_fma_f64 v[1:2], v[61:62], v[63:64], v[1:2]
	s_and_not1_b32 exec_lo, exec_lo, s1
	s_cbranch_execnz .LBB26_113
; %bb.114:
	s_or_b32 exec_lo, exec_lo, s1
	v_mov_b32_e32 v3, 0
	ds_load_b64 v[58:59], v3 offset:208
	s_waitcnt lgkmcnt(0)
	v_mul_f64 v[1:2], v[1:2], v[58:59]
	scratch_store_b64 off, v[1:2], off offset:208
.LBB26_115:
	s_or_b32 exec_lo, exec_lo, s0
	s_mov_b32 s1, -1
	s_waitcnt_vscnt null, 0x0
	s_barrier
	buffer_gl0_inv
.LBB26_116:
	s_and_b32 vcc_lo, exec_lo, s1
	s_cbranch_vccz .LBB26_118
; %bb.117:
	s_lshl_b64 s[0:1], s[14:15], 2
	v_mov_b32_e32 v1, 0
	s_add_u32 s0, s6, s0
	s_addc_u32 s1, s7, s1
	global_load_b32 v1, v1, s[0:1]
	s_waitcnt vmcnt(0)
	v_cmp_ne_u32_e32 vcc_lo, 0, v1
	s_cbranch_vccz .LBB26_119
.LBB26_118:
	s_endpgm
.LBB26_119:
	v_lshl_add_u32 v3, v0, 3, 0xe0
	s_mov_b32 s0, exec_lo
	v_cmpx_eq_u32_e32 26, v0
	s_cbranch_execz .LBB26_121
; %bb.120:
	scratch_load_b64 v[1:2], off, off offset:200
	v_mov_b32_e32 v58, 0
	s_delay_alu instid0(VALU_DEP_1)
	v_mov_b32_e32 v59, v58
	scratch_store_b64 off, v[58:59], off offset:200
	s_waitcnt vmcnt(0)
	ds_store_b64 v3, v[1:2]
.LBB26_121:
	s_or_b32 exec_lo, exec_lo, s0
	s_waitcnt lgkmcnt(0)
	s_waitcnt_vscnt null, 0x0
	s_barrier
	buffer_gl0_inv
	scratch_load_b128 v[58:61], off, off offset:200
	v_mov_b32_e32 v1, 0
	s_mov_b32 s0, exec_lo
	ds_load_b64 v[62:63], v1 offset:432
	s_waitcnt vmcnt(0) lgkmcnt(0)
	v_fma_f64 v[60:61], v[60:61], v[62:63], 0
	s_delay_alu instid0(VALU_DEP_1)
	v_add_f64 v[58:59], v[58:59], -v[60:61]
	scratch_store_b64 off, v[58:59], off offset:200
	v_cmpx_lt_u32_e32 24, v0
	s_cbranch_execz .LBB26_123
; %bb.122:
	scratch_load_b64 v[58:59], off, off offset:192
	v_mov_b32_e32 v2, v1
	scratch_store_b64 off, v[1:2], off offset:192
	s_waitcnt vmcnt(0)
	ds_store_b64 v3, v[58:59]
.LBB26_123:
	s_or_b32 exec_lo, exec_lo, s0
	s_waitcnt lgkmcnt(0)
	s_waitcnt_vscnt null, 0x0
	s_barrier
	buffer_gl0_inv
	s_clause 0x1
	scratch_load_b128 v[58:61], off, off offset:192
	scratch_load_b64 v[66:67], off, off offset:208
	ds_load_2addr_b64 v[62:65], v1 offset0:53 offset1:54
	s_mov_b32 s0, exec_lo
	s_waitcnt vmcnt(1) lgkmcnt(0)
	v_fma_f64 v[1:2], v[60:61], v[62:63], 0
	s_waitcnt vmcnt(0)
	s_delay_alu instid0(VALU_DEP_1) | instskip(NEXT) | instid1(VALU_DEP_1)
	v_fma_f64 v[1:2], v[66:67], v[64:65], v[1:2]
	v_add_f64 v[1:2], v[58:59], -v[1:2]
	scratch_store_b64 off, v[1:2], off offset:192
	v_cmpx_lt_u32_e32 23, v0
	s_cbranch_execz .LBB26_125
; %bb.124:
	scratch_load_b64 v[1:2], off, off offset:184
	v_mov_b32_e32 v58, 0
	s_delay_alu instid0(VALU_DEP_1)
	v_mov_b32_e32 v59, v58
	scratch_store_b64 off, v[58:59], off offset:184
	s_waitcnt vmcnt(0)
	ds_store_b64 v3, v[1:2]
.LBB26_125:
	s_or_b32 exec_lo, exec_lo, s0
	s_waitcnt lgkmcnt(0)
	s_waitcnt_vscnt null, 0x0
	s_barrier
	buffer_gl0_inv
	s_clause 0x1
	scratch_load_b128 v[58:61], off, off offset:184
	scratch_load_b128 v[62:65], off, off offset:200
	v_mov_b32_e32 v1, 0
	ds_load_b128 v[66:69], v1 offset:416
	ds_load_b64 v[70:71], v1 offset:432
	s_mov_b32 s0, exec_lo
	s_waitcnt vmcnt(1) lgkmcnt(1)
	v_fma_f64 v[60:61], v[60:61], v[66:67], 0
	s_waitcnt vmcnt(0)
	s_delay_alu instid0(VALU_DEP_1) | instskip(SKIP_1) | instid1(VALU_DEP_1)
	v_fma_f64 v[60:61], v[62:63], v[68:69], v[60:61]
	s_waitcnt lgkmcnt(0)
	v_fma_f64 v[60:61], v[64:65], v[70:71], v[60:61]
	s_delay_alu instid0(VALU_DEP_1)
	v_add_f64 v[58:59], v[58:59], -v[60:61]
	scratch_store_b64 off, v[58:59], off offset:184
	v_cmpx_lt_u32_e32 22, v0
	s_cbranch_execz .LBB26_127
; %bb.126:
	scratch_load_b64 v[58:59], off, off offset:176
	v_mov_b32_e32 v2, v1
	scratch_store_b64 off, v[1:2], off offset:176
	s_waitcnt vmcnt(0)
	ds_store_b64 v3, v[58:59]
.LBB26_127:
	s_or_b32 exec_lo, exec_lo, s0
	s_waitcnt lgkmcnt(0)
	s_waitcnt_vscnt null, 0x0
	s_barrier
	buffer_gl0_inv
	s_clause 0x2
	scratch_load_b128 v[58:61], off, off offset:176
	scratch_load_b128 v[62:65], off, off offset:192
	scratch_load_b64 v[74:75], off, off offset:208
	ds_load_2addr_b64 v[66:69], v1 offset0:51 offset1:52
	ds_load_2addr_b64 v[70:73], v1 offset0:53 offset1:54
	s_mov_b32 s0, exec_lo
	s_waitcnt vmcnt(2) lgkmcnt(1)
	v_fma_f64 v[1:2], v[60:61], v[66:67], 0
	s_waitcnt vmcnt(1)
	s_delay_alu instid0(VALU_DEP_1) | instskip(SKIP_1) | instid1(VALU_DEP_1)
	v_fma_f64 v[1:2], v[62:63], v[68:69], v[1:2]
	s_waitcnt lgkmcnt(0)
	v_fma_f64 v[1:2], v[64:65], v[70:71], v[1:2]
	s_waitcnt vmcnt(0)
	s_delay_alu instid0(VALU_DEP_1) | instskip(NEXT) | instid1(VALU_DEP_1)
	v_fma_f64 v[1:2], v[74:75], v[72:73], v[1:2]
	v_add_f64 v[1:2], v[58:59], -v[1:2]
	scratch_store_b64 off, v[1:2], off offset:176
	v_cmpx_lt_u32_e32 21, v0
	s_cbranch_execz .LBB26_129
; %bb.128:
	scratch_load_b64 v[1:2], off, off offset:168
	v_mov_b32_e32 v58, 0
	s_delay_alu instid0(VALU_DEP_1)
	v_mov_b32_e32 v59, v58
	scratch_store_b64 off, v[58:59], off offset:168
	s_waitcnt vmcnt(0)
	ds_store_b64 v3, v[1:2]
.LBB26_129:
	s_or_b32 exec_lo, exec_lo, s0
	s_waitcnt lgkmcnt(0)
	s_waitcnt_vscnt null, 0x0
	s_barrier
	buffer_gl0_inv
	s_clause 0x2
	scratch_load_b128 v[58:61], off, off offset:168
	scratch_load_b128 v[62:65], off, off offset:184
	;; [unrolled: 1-line block ×3, first 2 shown]
	v_mov_b32_e32 v1, 0
	ds_load_b128 v[70:73], v1 offset:400
	ds_load_b128 v[74:77], v1 offset:416
	s_mov_b32 s0, exec_lo
	s_waitcnt vmcnt(2) lgkmcnt(1)
	v_fma_f64 v[60:61], v[60:61], v[70:71], 0
	s_waitcnt vmcnt(1)
	s_delay_alu instid0(VALU_DEP_1) | instskip(SKIP_4) | instid1(VALU_DEP_1)
	v_fma_f64 v[60:61], v[62:63], v[72:73], v[60:61]
	ds_load_b64 v[62:63], v1 offset:432
	s_waitcnt lgkmcnt(1)
	v_fma_f64 v[60:61], v[64:65], v[74:75], v[60:61]
	s_waitcnt vmcnt(0)
	v_fma_f64 v[60:61], v[66:67], v[76:77], v[60:61]
	s_waitcnt lgkmcnt(0)
	s_delay_alu instid0(VALU_DEP_1) | instskip(NEXT) | instid1(VALU_DEP_1)
	v_fma_f64 v[60:61], v[68:69], v[62:63], v[60:61]
	v_add_f64 v[58:59], v[58:59], -v[60:61]
	scratch_store_b64 off, v[58:59], off offset:168
	v_cmpx_lt_u32_e32 20, v0
	s_cbranch_execz .LBB26_131
; %bb.130:
	scratch_load_b64 v[58:59], off, off offset:160
	v_mov_b32_e32 v2, v1
	scratch_store_b64 off, v[1:2], off offset:160
	s_waitcnt vmcnt(0)
	ds_store_b64 v3, v[58:59]
.LBB26_131:
	s_or_b32 exec_lo, exec_lo, s0
	s_waitcnt lgkmcnt(0)
	s_waitcnt_vscnt null, 0x0
	s_barrier
	buffer_gl0_inv
	s_clause 0x3
	scratch_load_b128 v[58:61], off, off offset:160
	scratch_load_b128 v[62:65], off, off offset:176
	;; [unrolled: 1-line block ×3, first 2 shown]
	scratch_load_b64 v[78:79], off, off offset:208
	ds_load_2addr_b64 v[70:73], v1 offset0:49 offset1:50
	ds_load_2addr_b64 v[74:77], v1 offset0:51 offset1:52
	s_mov_b32 s0, exec_lo
	s_waitcnt vmcnt(3) lgkmcnt(1)
	v_fma_f64 v[60:61], v[60:61], v[70:71], 0
	s_waitcnt vmcnt(2)
	s_delay_alu instid0(VALU_DEP_1) | instskip(SKIP_1) | instid1(VALU_DEP_1)
	v_fma_f64 v[60:61], v[62:63], v[72:73], v[60:61]
	s_waitcnt lgkmcnt(0)
	v_fma_f64 v[60:61], v[64:65], v[74:75], v[60:61]
	s_waitcnt vmcnt(1)
	s_delay_alu instid0(VALU_DEP_1) | instskip(SKIP_4) | instid1(VALU_DEP_1)
	v_fma_f64 v[64:65], v[66:67], v[76:77], v[60:61]
	ds_load_2addr_b64 v[60:63], v1 offset0:53 offset1:54
	s_waitcnt lgkmcnt(0)
	v_fma_f64 v[1:2], v[68:69], v[60:61], v[64:65]
	s_waitcnt vmcnt(0)
	v_fma_f64 v[1:2], v[78:79], v[62:63], v[1:2]
	s_delay_alu instid0(VALU_DEP_1)
	v_add_f64 v[1:2], v[58:59], -v[1:2]
	scratch_store_b64 off, v[1:2], off offset:160
	v_cmpx_lt_u32_e32 19, v0
	s_cbranch_execz .LBB26_133
; %bb.132:
	scratch_load_b64 v[1:2], off, off offset:152
	v_mov_b32_e32 v58, 0
	s_delay_alu instid0(VALU_DEP_1)
	v_mov_b32_e32 v59, v58
	scratch_store_b64 off, v[58:59], off offset:152
	s_waitcnt vmcnt(0)
	ds_store_b64 v3, v[1:2]
.LBB26_133:
	s_or_b32 exec_lo, exec_lo, s0
	s_waitcnt lgkmcnt(0)
	s_waitcnt_vscnt null, 0x0
	s_barrier
	buffer_gl0_inv
	s_clause 0x3
	scratch_load_b128 v[58:61], off, off offset:152
	scratch_load_b128 v[62:65], off, off offset:168
	scratch_load_b128 v[66:69], off, off offset:184
	scratch_load_b128 v[70:73], off, off offset:200
	v_mov_b32_e32 v1, 0
	ds_load_b128 v[74:77], v1 offset:384
	ds_load_b128 v[78:81], v1 offset:400
	s_mov_b32 s0, exec_lo
	s_waitcnt vmcnt(3) lgkmcnt(1)
	v_fma_f64 v[60:61], v[60:61], v[74:75], 0
	s_waitcnt vmcnt(2)
	s_delay_alu instid0(VALU_DEP_1) | instskip(SKIP_1) | instid1(VALU_DEP_1)
	v_fma_f64 v[60:61], v[62:63], v[76:77], v[60:61]
	s_waitcnt lgkmcnt(0)
	v_fma_f64 v[60:61], v[64:65], v[78:79], v[60:61]
	s_waitcnt vmcnt(1)
	s_delay_alu instid0(VALU_DEP_1)
	v_fma_f64 v[64:65], v[66:67], v[80:81], v[60:61]
	ds_load_b128 v[60:63], v1 offset:416
	ds_load_b64 v[66:67], v1 offset:432
	s_waitcnt lgkmcnt(1)
	v_fma_f64 v[60:61], v[68:69], v[60:61], v[64:65]
	s_waitcnt vmcnt(0)
	s_delay_alu instid0(VALU_DEP_1) | instskip(SKIP_1) | instid1(VALU_DEP_1)
	v_fma_f64 v[60:61], v[70:71], v[62:63], v[60:61]
	s_waitcnt lgkmcnt(0)
	v_fma_f64 v[60:61], v[72:73], v[66:67], v[60:61]
	s_delay_alu instid0(VALU_DEP_1)
	v_add_f64 v[58:59], v[58:59], -v[60:61]
	scratch_store_b64 off, v[58:59], off offset:152
	v_cmpx_lt_u32_e32 18, v0
	s_cbranch_execz .LBB26_135
; %bb.134:
	scratch_load_b64 v[58:59], off, off offset:144
	v_mov_b32_e32 v2, v1
	scratch_store_b64 off, v[1:2], off offset:144
	s_waitcnt vmcnt(0)
	ds_store_b64 v3, v[58:59]
.LBB26_135:
	s_or_b32 exec_lo, exec_lo, s0
	s_waitcnt lgkmcnt(0)
	s_waitcnt_vscnt null, 0x0
	s_barrier
	buffer_gl0_inv
	s_clause 0x4
	scratch_load_b128 v[58:61], off, off offset:144
	scratch_load_b128 v[62:65], off, off offset:160
	;; [unrolled: 1-line block ×4, first 2 shown]
	scratch_load_b64 v[82:83], off, off offset:208
	ds_load_2addr_b64 v[74:77], v1 offset0:47 offset1:48
	ds_load_2addr_b64 v[78:81], v1 offset0:49 offset1:50
	s_mov_b32 s0, exec_lo
	s_waitcnt vmcnt(4) lgkmcnt(1)
	v_fma_f64 v[60:61], v[60:61], v[74:75], 0
	s_waitcnt vmcnt(3)
	s_delay_alu instid0(VALU_DEP_1) | instskip(SKIP_1) | instid1(VALU_DEP_1)
	v_fma_f64 v[60:61], v[62:63], v[76:77], v[60:61]
	s_waitcnt lgkmcnt(0)
	v_fma_f64 v[60:61], v[64:65], v[78:79], v[60:61]
	s_waitcnt vmcnt(2)
	s_delay_alu instid0(VALU_DEP_1)
	v_fma_f64 v[74:75], v[66:67], v[80:81], v[60:61]
	ds_load_2addr_b64 v[60:63], v1 offset0:51 offset1:52
	ds_load_2addr_b64 v[64:67], v1 offset0:53 offset1:54
	s_waitcnt lgkmcnt(1)
	v_fma_f64 v[1:2], v[68:69], v[60:61], v[74:75]
	s_waitcnt vmcnt(1)
	s_delay_alu instid0(VALU_DEP_1) | instskip(SKIP_1) | instid1(VALU_DEP_1)
	v_fma_f64 v[1:2], v[70:71], v[62:63], v[1:2]
	s_waitcnt lgkmcnt(0)
	v_fma_f64 v[1:2], v[72:73], v[64:65], v[1:2]
	s_waitcnt vmcnt(0)
	s_delay_alu instid0(VALU_DEP_1) | instskip(NEXT) | instid1(VALU_DEP_1)
	v_fma_f64 v[1:2], v[82:83], v[66:67], v[1:2]
	v_add_f64 v[1:2], v[58:59], -v[1:2]
	scratch_store_b64 off, v[1:2], off offset:144
	v_cmpx_lt_u32_e32 17, v0
	s_cbranch_execz .LBB26_137
; %bb.136:
	scratch_load_b64 v[1:2], off, off offset:136
	v_mov_b32_e32 v58, 0
	s_delay_alu instid0(VALU_DEP_1)
	v_mov_b32_e32 v59, v58
	scratch_store_b64 off, v[58:59], off offset:136
	s_waitcnt vmcnt(0)
	ds_store_b64 v3, v[1:2]
.LBB26_137:
	s_or_b32 exec_lo, exec_lo, s0
	s_waitcnt lgkmcnt(0)
	s_waitcnt_vscnt null, 0x0
	s_barrier
	buffer_gl0_inv
	s_clause 0x4
	scratch_load_b128 v[58:61], off, off offset:136
	scratch_load_b128 v[62:65], off, off offset:152
	;; [unrolled: 1-line block ×5, first 2 shown]
	v_mov_b32_e32 v1, 0
	ds_load_b128 v[78:81], v1 offset:368
	ds_load_b128 v[82:85], v1 offset:384
	s_mov_b32 s0, exec_lo
	s_waitcnt vmcnt(4) lgkmcnt(1)
	v_fma_f64 v[60:61], v[60:61], v[78:79], 0
	s_waitcnt vmcnt(3)
	s_delay_alu instid0(VALU_DEP_1) | instskip(SKIP_1) | instid1(VALU_DEP_1)
	v_fma_f64 v[60:61], v[62:63], v[80:81], v[60:61]
	s_waitcnt lgkmcnt(0)
	v_fma_f64 v[60:61], v[64:65], v[82:83], v[60:61]
	s_waitcnt vmcnt(2)
	s_delay_alu instid0(VALU_DEP_1)
	v_fma_f64 v[78:79], v[66:67], v[84:85], v[60:61]
	ds_load_b128 v[60:63], v1 offset:400
	ds_load_b128 v[64:67], v1 offset:416
	s_waitcnt lgkmcnt(1)
	v_fma_f64 v[60:61], v[68:69], v[60:61], v[78:79]
	s_waitcnt vmcnt(1)
	s_delay_alu instid0(VALU_DEP_1) | instskip(SKIP_4) | instid1(VALU_DEP_1)
	v_fma_f64 v[60:61], v[70:71], v[62:63], v[60:61]
	ds_load_b64 v[62:63], v1 offset:432
	s_waitcnt lgkmcnt(1)
	v_fma_f64 v[60:61], v[72:73], v[64:65], v[60:61]
	s_waitcnt vmcnt(0)
	v_fma_f64 v[60:61], v[74:75], v[66:67], v[60:61]
	s_waitcnt lgkmcnt(0)
	s_delay_alu instid0(VALU_DEP_1) | instskip(NEXT) | instid1(VALU_DEP_1)
	v_fma_f64 v[60:61], v[76:77], v[62:63], v[60:61]
	v_add_f64 v[58:59], v[58:59], -v[60:61]
	scratch_store_b64 off, v[58:59], off offset:136
	v_cmpx_lt_u32_e32 16, v0
	s_cbranch_execz .LBB26_139
; %bb.138:
	scratch_load_b64 v[58:59], off, off offset:128
	v_mov_b32_e32 v2, v1
	scratch_store_b64 off, v[1:2], off offset:128
	s_waitcnt vmcnt(0)
	ds_store_b64 v3, v[58:59]
.LBB26_139:
	s_or_b32 exec_lo, exec_lo, s0
	s_waitcnt lgkmcnt(0)
	s_waitcnt_vscnt null, 0x0
	s_barrier
	buffer_gl0_inv
	s_clause 0x4
	scratch_load_b128 v[58:61], off, off offset:128
	scratch_load_b128 v[62:65], off, off offset:144
	;; [unrolled: 1-line block ×5, first 2 shown]
	ds_load_2addr_b64 v[78:81], v1 offset0:45 offset1:46
	ds_load_2addr_b64 v[82:85], v1 offset0:47 offset1:48
	s_mov_b32 s0, exec_lo
	s_waitcnt vmcnt(4) lgkmcnt(1)
	v_fma_f64 v[60:61], v[60:61], v[78:79], 0
	scratch_load_b64 v[78:79], off, off offset:208
	s_waitcnt vmcnt(4)
	v_fma_f64 v[60:61], v[62:63], v[80:81], v[60:61]
	s_waitcnt lgkmcnt(0)
	s_delay_alu instid0(VALU_DEP_1) | instskip(SKIP_1) | instid1(VALU_DEP_1)
	v_fma_f64 v[60:61], v[64:65], v[82:83], v[60:61]
	s_waitcnt vmcnt(3)
	v_fma_f64 v[80:81], v[66:67], v[84:85], v[60:61]
	ds_load_2addr_b64 v[60:63], v1 offset0:49 offset1:50
	ds_load_2addr_b64 v[64:67], v1 offset0:51 offset1:52
	s_waitcnt lgkmcnt(1)
	v_fma_f64 v[60:61], v[68:69], v[60:61], v[80:81]
	s_waitcnt vmcnt(2)
	s_delay_alu instid0(VALU_DEP_1) | instskip(SKIP_1) | instid1(VALU_DEP_1)
	v_fma_f64 v[60:61], v[70:71], v[62:63], v[60:61]
	s_waitcnt lgkmcnt(0)
	v_fma_f64 v[60:61], v[72:73], v[64:65], v[60:61]
	s_waitcnt vmcnt(1)
	s_delay_alu instid0(VALU_DEP_1) | instskip(SKIP_4) | instid1(VALU_DEP_1)
	v_fma_f64 v[64:65], v[74:75], v[66:67], v[60:61]
	ds_load_2addr_b64 v[60:63], v1 offset0:53 offset1:54
	s_waitcnt lgkmcnt(0)
	v_fma_f64 v[1:2], v[76:77], v[60:61], v[64:65]
	s_waitcnt vmcnt(0)
	v_fma_f64 v[1:2], v[78:79], v[62:63], v[1:2]
	s_delay_alu instid0(VALU_DEP_1)
	v_add_f64 v[1:2], v[58:59], -v[1:2]
	scratch_store_b64 off, v[1:2], off offset:128
	v_cmpx_lt_u32_e32 15, v0
	s_cbranch_execz .LBB26_141
; %bb.140:
	scratch_load_b64 v[1:2], off, off offset:120
	v_mov_b32_e32 v58, 0
	s_delay_alu instid0(VALU_DEP_1)
	v_mov_b32_e32 v59, v58
	scratch_store_b64 off, v[58:59], off offset:120
	s_waitcnt vmcnt(0)
	ds_store_b64 v3, v[1:2]
.LBB26_141:
	s_or_b32 exec_lo, exec_lo, s0
	s_waitcnt lgkmcnt(0)
	s_waitcnt_vscnt null, 0x0
	s_barrier
	buffer_gl0_inv
	s_clause 0x4
	scratch_load_b128 v[58:61], off, off offset:120
	scratch_load_b128 v[62:65], off, off offset:136
	;; [unrolled: 1-line block ×5, first 2 shown]
	v_mov_b32_e32 v1, 0
	ds_load_b128 v[78:81], v1 offset:352
	ds_load_b128 v[82:85], v1 offset:368
	scratch_load_b128 v[86:89], off, off offset:200
	s_mov_b32 s0, exec_lo
	s_waitcnt vmcnt(5) lgkmcnt(1)
	v_fma_f64 v[60:61], v[60:61], v[78:79], 0
	s_waitcnt vmcnt(4)
	s_delay_alu instid0(VALU_DEP_1) | instskip(SKIP_1) | instid1(VALU_DEP_1)
	v_fma_f64 v[60:61], v[62:63], v[80:81], v[60:61]
	s_waitcnt lgkmcnt(0)
	v_fma_f64 v[60:61], v[64:65], v[82:83], v[60:61]
	s_waitcnt vmcnt(3)
	s_delay_alu instid0(VALU_DEP_1)
	v_fma_f64 v[78:79], v[66:67], v[84:85], v[60:61]
	ds_load_b128 v[60:63], v1 offset:384
	ds_load_b128 v[64:67], v1 offset:400
	s_waitcnt lgkmcnt(1)
	v_fma_f64 v[60:61], v[68:69], v[60:61], v[78:79]
	s_waitcnt vmcnt(2)
	s_delay_alu instid0(VALU_DEP_1) | instskip(SKIP_1) | instid1(VALU_DEP_1)
	v_fma_f64 v[60:61], v[70:71], v[62:63], v[60:61]
	s_waitcnt lgkmcnt(0)
	v_fma_f64 v[60:61], v[72:73], v[64:65], v[60:61]
	s_waitcnt vmcnt(1)
	s_delay_alu instid0(VALU_DEP_1)
	v_fma_f64 v[64:65], v[74:75], v[66:67], v[60:61]
	ds_load_b128 v[60:63], v1 offset:416
	ds_load_b64 v[66:67], v1 offset:432
	s_waitcnt lgkmcnt(1)
	v_fma_f64 v[60:61], v[76:77], v[60:61], v[64:65]
	s_waitcnt vmcnt(0)
	s_delay_alu instid0(VALU_DEP_1) | instskip(SKIP_1) | instid1(VALU_DEP_1)
	v_fma_f64 v[60:61], v[86:87], v[62:63], v[60:61]
	s_waitcnt lgkmcnt(0)
	v_fma_f64 v[60:61], v[88:89], v[66:67], v[60:61]
	s_delay_alu instid0(VALU_DEP_1)
	v_add_f64 v[58:59], v[58:59], -v[60:61]
	scratch_store_b64 off, v[58:59], off offset:120
	v_cmpx_lt_u32_e32 14, v0
	s_cbranch_execz .LBB26_143
; %bb.142:
	scratch_load_b64 v[58:59], off, off offset:112
	v_mov_b32_e32 v2, v1
	scratch_store_b64 off, v[1:2], off offset:112
	s_waitcnt vmcnt(0)
	ds_store_b64 v3, v[58:59]
.LBB26_143:
	s_or_b32 exec_lo, exec_lo, s0
	s_waitcnt lgkmcnt(0)
	s_waitcnt_vscnt null, 0x0
	s_barrier
	buffer_gl0_inv
	s_clause 0x4
	scratch_load_b128 v[58:61], off, off offset:112
	scratch_load_b128 v[62:65], off, off offset:128
	;; [unrolled: 1-line block ×5, first 2 shown]
	ds_load_2addr_b64 v[78:81], v1 offset0:43 offset1:44
	ds_load_2addr_b64 v[82:85], v1 offset0:45 offset1:46
	scratch_load_b128 v[86:89], off, off offset:192
	s_mov_b32 s0, exec_lo
	s_waitcnt vmcnt(5) lgkmcnt(1)
	v_fma_f64 v[60:61], v[60:61], v[78:79], 0
	scratch_load_b64 v[78:79], off, off offset:208
	s_waitcnt vmcnt(5)
	v_fma_f64 v[60:61], v[62:63], v[80:81], v[60:61]
	s_waitcnt lgkmcnt(0)
	s_delay_alu instid0(VALU_DEP_1) | instskip(SKIP_1) | instid1(VALU_DEP_1)
	v_fma_f64 v[60:61], v[64:65], v[82:83], v[60:61]
	s_waitcnt vmcnt(4)
	v_fma_f64 v[80:81], v[66:67], v[84:85], v[60:61]
	ds_load_2addr_b64 v[60:63], v1 offset0:47 offset1:48
	ds_load_2addr_b64 v[64:67], v1 offset0:49 offset1:50
	s_waitcnt lgkmcnt(1)
	v_fma_f64 v[60:61], v[68:69], v[60:61], v[80:81]
	s_waitcnt vmcnt(3)
	s_delay_alu instid0(VALU_DEP_1) | instskip(SKIP_1) | instid1(VALU_DEP_1)
	v_fma_f64 v[60:61], v[70:71], v[62:63], v[60:61]
	s_waitcnt lgkmcnt(0)
	v_fma_f64 v[60:61], v[72:73], v[64:65], v[60:61]
	s_waitcnt vmcnt(2)
	s_delay_alu instid0(VALU_DEP_1)
	v_fma_f64 v[68:69], v[74:75], v[66:67], v[60:61]
	ds_load_2addr_b64 v[60:63], v1 offset0:51 offset1:52
	ds_load_2addr_b64 v[64:67], v1 offset0:53 offset1:54
	s_waitcnt lgkmcnt(1)
	v_fma_f64 v[1:2], v[76:77], v[60:61], v[68:69]
	s_waitcnt vmcnt(1)
	s_delay_alu instid0(VALU_DEP_1) | instskip(SKIP_1) | instid1(VALU_DEP_1)
	v_fma_f64 v[1:2], v[86:87], v[62:63], v[1:2]
	s_waitcnt lgkmcnt(0)
	v_fma_f64 v[1:2], v[88:89], v[64:65], v[1:2]
	s_waitcnt vmcnt(0)
	s_delay_alu instid0(VALU_DEP_1) | instskip(NEXT) | instid1(VALU_DEP_1)
	v_fma_f64 v[1:2], v[78:79], v[66:67], v[1:2]
	v_add_f64 v[1:2], v[58:59], -v[1:2]
	scratch_store_b64 off, v[1:2], off offset:112
	v_cmpx_lt_u32_e32 13, v0
	s_cbranch_execz .LBB26_145
; %bb.144:
	scratch_load_b64 v[1:2], off, off offset:104
	v_mov_b32_e32 v58, 0
	s_delay_alu instid0(VALU_DEP_1)
	v_mov_b32_e32 v59, v58
	scratch_store_b64 off, v[58:59], off offset:104
	s_waitcnt vmcnt(0)
	ds_store_b64 v3, v[1:2]
.LBB26_145:
	s_or_b32 exec_lo, exec_lo, s0
	s_waitcnt lgkmcnt(0)
	s_waitcnt_vscnt null, 0x0
	s_barrier
	buffer_gl0_inv
	s_clause 0x4
	scratch_load_b128 v[58:61], off, off offset:104
	scratch_load_b128 v[62:65], off, off offset:120
	;; [unrolled: 1-line block ×5, first 2 shown]
	v_mov_b32_e32 v1, 0
	ds_load_b128 v[78:81], v1 offset:336
	ds_load_b128 v[82:85], v1 offset:352
	scratch_load_b128 v[86:89], off, off offset:184
	s_mov_b32 s0, exec_lo
	s_waitcnt vmcnt(5) lgkmcnt(1)
	v_fma_f64 v[60:61], v[60:61], v[78:79], 0
	s_waitcnt vmcnt(4)
	s_delay_alu instid0(VALU_DEP_1) | instskip(SKIP_1) | instid1(VALU_DEP_1)
	v_fma_f64 v[60:61], v[62:63], v[80:81], v[60:61]
	s_waitcnt lgkmcnt(0)
	v_fma_f64 v[64:65], v[64:65], v[82:83], v[60:61]
	scratch_load_b128 v[60:63], off, off offset:200
	s_waitcnt vmcnt(4)
	v_fma_f64 v[82:83], v[66:67], v[84:85], v[64:65]
	ds_load_b128 v[64:67], v1 offset:368
	ds_load_b128 v[78:81], v1 offset:384
	s_waitcnt lgkmcnt(1)
	v_fma_f64 v[64:65], v[68:69], v[64:65], v[82:83]
	s_waitcnt vmcnt(3)
	s_delay_alu instid0(VALU_DEP_1) | instskip(SKIP_1) | instid1(VALU_DEP_1)
	v_fma_f64 v[64:65], v[70:71], v[66:67], v[64:65]
	s_waitcnt lgkmcnt(0)
	v_fma_f64 v[64:65], v[72:73], v[78:79], v[64:65]
	s_waitcnt vmcnt(2)
	s_delay_alu instid0(VALU_DEP_1)
	v_fma_f64 v[72:73], v[74:75], v[80:81], v[64:65]
	ds_load_b128 v[64:67], v1 offset:400
	ds_load_b128 v[68:71], v1 offset:416
	s_waitcnt lgkmcnt(1)
	v_fma_f64 v[64:65], v[76:77], v[64:65], v[72:73]
	s_waitcnt vmcnt(1)
	s_delay_alu instid0(VALU_DEP_1) | instskip(SKIP_1) | instid1(VALU_DEP_1)
	v_fma_f64 v[64:65], v[86:87], v[66:67], v[64:65]
	s_waitcnt lgkmcnt(0)
	v_fma_f64 v[64:65], v[88:89], v[68:69], v[64:65]
	s_waitcnt vmcnt(0)
	s_delay_alu instid0(VALU_DEP_1) | instskip(SKIP_3) | instid1(VALU_DEP_1)
	v_fma_f64 v[60:61], v[60:61], v[70:71], v[64:65]
	ds_load_b64 v[64:65], v1 offset:432
	s_waitcnt lgkmcnt(0)
	v_fma_f64 v[60:61], v[62:63], v[64:65], v[60:61]
	v_add_f64 v[58:59], v[58:59], -v[60:61]
	scratch_store_b64 off, v[58:59], off offset:104
	v_cmpx_lt_u32_e32 12, v0
	s_cbranch_execz .LBB26_147
; %bb.146:
	scratch_load_b64 v[58:59], off, off offset:96
	v_mov_b32_e32 v2, v1
	scratch_store_b64 off, v[1:2], off offset:96
	s_waitcnt vmcnt(0)
	ds_store_b64 v3, v[58:59]
.LBB26_147:
	s_or_b32 exec_lo, exec_lo, s0
	s_waitcnt lgkmcnt(0)
	s_waitcnt_vscnt null, 0x0
	s_barrier
	buffer_gl0_inv
	s_clause 0x4
	scratch_load_b128 v[58:61], off, off offset:96
	scratch_load_b128 v[62:65], off, off offset:112
	;; [unrolled: 1-line block ×5, first 2 shown]
	ds_load_2addr_b64 v[78:81], v1 offset0:41 offset1:42
	ds_load_2addr_b64 v[82:85], v1 offset0:43 offset1:44
	scratch_load_b128 v[86:89], off, off offset:176
	s_mov_b32 s0, exec_lo
	s_waitcnt vmcnt(5) lgkmcnt(1)
	v_fma_f64 v[60:61], v[60:61], v[78:79], 0
	s_waitcnt vmcnt(4)
	s_delay_alu instid0(VALU_DEP_1) | instskip(SKIP_1) | instid1(VALU_DEP_1)
	v_fma_f64 v[60:61], v[62:63], v[80:81], v[60:61]
	s_waitcnt lgkmcnt(0)
	v_fma_f64 v[64:65], v[64:65], v[82:83], v[60:61]
	scratch_load_b128 v[60:63], off, off offset:192
	s_waitcnt vmcnt(4)
	v_fma_f64 v[82:83], v[66:67], v[84:85], v[64:65]
	ds_load_2addr_b64 v[64:67], v1 offset0:45 offset1:46
	ds_load_2addr_b64 v[78:81], v1 offset0:47 offset1:48
	s_waitcnt lgkmcnt(1)
	v_fma_f64 v[64:65], v[68:69], v[64:65], v[82:83]
	scratch_load_b64 v[82:83], off, off offset:208
	s_waitcnt vmcnt(4)
	v_fma_f64 v[64:65], v[70:71], v[66:67], v[64:65]
	s_waitcnt lgkmcnt(0)
	s_delay_alu instid0(VALU_DEP_1) | instskip(SKIP_1) | instid1(VALU_DEP_1)
	v_fma_f64 v[64:65], v[72:73], v[78:79], v[64:65]
	s_waitcnt vmcnt(3)
	v_fma_f64 v[72:73], v[74:75], v[80:81], v[64:65]
	ds_load_2addr_b64 v[64:67], v1 offset0:49 offset1:50
	ds_load_2addr_b64 v[68:71], v1 offset0:51 offset1:52
	s_waitcnt lgkmcnt(1)
	v_fma_f64 v[64:65], v[76:77], v[64:65], v[72:73]
	s_waitcnt vmcnt(2)
	s_delay_alu instid0(VALU_DEP_1) | instskip(SKIP_1) | instid1(VALU_DEP_1)
	v_fma_f64 v[64:65], v[86:87], v[66:67], v[64:65]
	s_waitcnt lgkmcnt(0)
	v_fma_f64 v[64:65], v[88:89], v[68:69], v[64:65]
	s_waitcnt vmcnt(1)
	s_delay_alu instid0(VALU_DEP_1) | instskip(SKIP_4) | instid1(VALU_DEP_1)
	v_fma_f64 v[60:61], v[60:61], v[70:71], v[64:65]
	ds_load_2addr_b64 v[64:67], v1 offset0:53 offset1:54
	s_waitcnt lgkmcnt(0)
	v_fma_f64 v[1:2], v[62:63], v[64:65], v[60:61]
	s_waitcnt vmcnt(0)
	v_fma_f64 v[1:2], v[82:83], v[66:67], v[1:2]
	s_delay_alu instid0(VALU_DEP_1)
	v_add_f64 v[1:2], v[58:59], -v[1:2]
	scratch_store_b64 off, v[1:2], off offset:96
	v_cmpx_lt_u32_e32 11, v0
	s_cbranch_execz .LBB26_149
; %bb.148:
	scratch_load_b64 v[1:2], off, off offset:88
	v_mov_b32_e32 v58, 0
	s_delay_alu instid0(VALU_DEP_1)
	v_mov_b32_e32 v59, v58
	scratch_store_b64 off, v[58:59], off offset:88
	s_waitcnt vmcnt(0)
	ds_store_b64 v3, v[1:2]
.LBB26_149:
	s_or_b32 exec_lo, exec_lo, s0
	s_waitcnt lgkmcnt(0)
	s_waitcnt_vscnt null, 0x0
	s_barrier
	buffer_gl0_inv
	s_clause 0x4
	scratch_load_b128 v[58:61], off, off offset:88
	scratch_load_b128 v[62:65], off, off offset:104
	;; [unrolled: 1-line block ×5, first 2 shown]
	v_mov_b32_e32 v1, 0
	ds_load_b128 v[78:81], v1 offset:320
	ds_load_b128 v[82:85], v1 offset:336
	scratch_load_b128 v[86:89], off, off offset:168
	s_mov_b32 s0, exec_lo
	s_waitcnt vmcnt(5) lgkmcnt(1)
	v_fma_f64 v[60:61], v[60:61], v[78:79], 0
	s_waitcnt vmcnt(4)
	s_delay_alu instid0(VALU_DEP_1) | instskip(SKIP_1) | instid1(VALU_DEP_1)
	v_fma_f64 v[60:61], v[62:63], v[80:81], v[60:61]
	s_waitcnt lgkmcnt(0)
	v_fma_f64 v[64:65], v[64:65], v[82:83], v[60:61]
	scratch_load_b128 v[60:63], off, off offset:184
	s_waitcnt vmcnt(4)
	v_fma_f64 v[82:83], v[66:67], v[84:85], v[64:65]
	ds_load_b128 v[64:67], v1 offset:352
	ds_load_b128 v[78:81], v1 offset:368
	s_waitcnt lgkmcnt(1)
	v_fma_f64 v[64:65], v[68:69], v[64:65], v[82:83]
	scratch_load_b128 v[82:85], off, off offset:200
	s_waitcnt vmcnt(4)
	v_fma_f64 v[64:65], v[70:71], v[66:67], v[64:65]
	s_waitcnt lgkmcnt(0)
	s_delay_alu instid0(VALU_DEP_1) | instskip(SKIP_1) | instid1(VALU_DEP_1)
	v_fma_f64 v[64:65], v[72:73], v[78:79], v[64:65]
	s_waitcnt vmcnt(3)
	v_fma_f64 v[72:73], v[74:75], v[80:81], v[64:65]
	ds_load_b128 v[64:67], v1 offset:384
	ds_load_b128 v[68:71], v1 offset:400
	s_waitcnt lgkmcnt(1)
	v_fma_f64 v[64:65], v[76:77], v[64:65], v[72:73]
	s_waitcnt vmcnt(2)
	s_delay_alu instid0(VALU_DEP_1) | instskip(SKIP_1) | instid1(VALU_DEP_1)
	v_fma_f64 v[64:65], v[86:87], v[66:67], v[64:65]
	s_waitcnt lgkmcnt(0)
	v_fma_f64 v[64:65], v[88:89], v[68:69], v[64:65]
	s_waitcnt vmcnt(1)
	s_delay_alu instid0(VALU_DEP_1)
	v_fma_f64 v[60:61], v[60:61], v[70:71], v[64:65]
	ds_load_b128 v[64:67], v1 offset:416
	ds_load_b64 v[68:69], v1 offset:432
	s_waitcnt lgkmcnt(1)
	v_fma_f64 v[60:61], v[62:63], v[64:65], v[60:61]
	s_waitcnt vmcnt(0)
	s_delay_alu instid0(VALU_DEP_1) | instskip(SKIP_1) | instid1(VALU_DEP_1)
	v_fma_f64 v[60:61], v[82:83], v[66:67], v[60:61]
	s_waitcnt lgkmcnt(0)
	v_fma_f64 v[60:61], v[84:85], v[68:69], v[60:61]
	s_delay_alu instid0(VALU_DEP_1)
	v_add_f64 v[58:59], v[58:59], -v[60:61]
	scratch_store_b64 off, v[58:59], off offset:88
	v_cmpx_lt_u32_e32 10, v0
	s_cbranch_execz .LBB26_151
; %bb.150:
	scratch_load_b64 v[58:59], off, off offset:80
	v_mov_b32_e32 v2, v1
	scratch_store_b64 off, v[1:2], off offset:80
	s_waitcnt vmcnt(0)
	ds_store_b64 v3, v[58:59]
.LBB26_151:
	s_or_b32 exec_lo, exec_lo, s0
	s_waitcnt lgkmcnt(0)
	s_waitcnt_vscnt null, 0x0
	s_barrier
	buffer_gl0_inv
	s_clause 0x4
	scratch_load_b128 v[58:61], off, off offset:80
	scratch_load_b128 v[62:65], off, off offset:96
	;; [unrolled: 1-line block ×5, first 2 shown]
	ds_load_2addr_b64 v[78:81], v1 offset0:39 offset1:40
	ds_load_2addr_b64 v[82:85], v1 offset0:41 offset1:42
	scratch_load_b128 v[86:89], off, off offset:160
	s_mov_b32 s0, exec_lo
	s_waitcnt vmcnt(5) lgkmcnt(1)
	v_fma_f64 v[60:61], v[60:61], v[78:79], 0
	s_waitcnt vmcnt(4)
	s_delay_alu instid0(VALU_DEP_1) | instskip(SKIP_1) | instid1(VALU_DEP_1)
	v_fma_f64 v[60:61], v[62:63], v[80:81], v[60:61]
	s_waitcnt lgkmcnt(0)
	v_fma_f64 v[64:65], v[64:65], v[82:83], v[60:61]
	scratch_load_b128 v[60:63], off, off offset:176
	s_waitcnt vmcnt(4)
	v_fma_f64 v[82:83], v[66:67], v[84:85], v[64:65]
	ds_load_2addr_b64 v[64:67], v1 offset0:43 offset1:44
	ds_load_2addr_b64 v[78:81], v1 offset0:45 offset1:46
	s_waitcnt lgkmcnt(1)
	v_fma_f64 v[64:65], v[68:69], v[64:65], v[82:83]
	scratch_load_b128 v[82:85], off, off offset:192
	s_waitcnt vmcnt(4)
	v_fma_f64 v[64:65], v[70:71], v[66:67], v[64:65]
	s_waitcnt lgkmcnt(0)
	s_delay_alu instid0(VALU_DEP_1)
	v_fma_f64 v[64:65], v[72:73], v[78:79], v[64:65]
	scratch_load_b64 v[72:73], off, off offset:208
	s_waitcnt vmcnt(4)
	v_fma_f64 v[74:75], v[74:75], v[80:81], v[64:65]
	ds_load_2addr_b64 v[64:67], v1 offset0:47 offset1:48
	ds_load_2addr_b64 v[68:71], v1 offset0:49 offset1:50
	s_waitcnt lgkmcnt(1)
	v_fma_f64 v[64:65], v[76:77], v[64:65], v[74:75]
	s_waitcnt vmcnt(3)
	s_delay_alu instid0(VALU_DEP_1) | instskip(SKIP_1) | instid1(VALU_DEP_1)
	v_fma_f64 v[64:65], v[86:87], v[66:67], v[64:65]
	s_waitcnt lgkmcnt(0)
	v_fma_f64 v[64:65], v[88:89], v[68:69], v[64:65]
	s_waitcnt vmcnt(2)
	s_delay_alu instid0(VALU_DEP_1)
	v_fma_f64 v[60:61], v[60:61], v[70:71], v[64:65]
	ds_load_2addr_b64 v[64:67], v1 offset0:51 offset1:52
	ds_load_2addr_b64 v[68:71], v1 offset0:53 offset1:54
	s_waitcnt lgkmcnt(1)
	v_fma_f64 v[1:2], v[62:63], v[64:65], v[60:61]
	s_waitcnt vmcnt(1)
	s_delay_alu instid0(VALU_DEP_1) | instskip(SKIP_1) | instid1(VALU_DEP_1)
	v_fma_f64 v[1:2], v[82:83], v[66:67], v[1:2]
	s_waitcnt lgkmcnt(0)
	v_fma_f64 v[1:2], v[84:85], v[68:69], v[1:2]
	s_waitcnt vmcnt(0)
	s_delay_alu instid0(VALU_DEP_1) | instskip(NEXT) | instid1(VALU_DEP_1)
	v_fma_f64 v[1:2], v[72:73], v[70:71], v[1:2]
	v_add_f64 v[1:2], v[58:59], -v[1:2]
	scratch_store_b64 off, v[1:2], off offset:80
	v_cmpx_lt_u32_e32 9, v0
	s_cbranch_execz .LBB26_153
; %bb.152:
	scratch_load_b64 v[1:2], off, off offset:72
	v_mov_b32_e32 v58, 0
	s_delay_alu instid0(VALU_DEP_1)
	v_mov_b32_e32 v59, v58
	scratch_store_b64 off, v[58:59], off offset:72
	s_waitcnt vmcnt(0)
	ds_store_b64 v3, v[1:2]
.LBB26_153:
	s_or_b32 exec_lo, exec_lo, s0
	s_waitcnt lgkmcnt(0)
	s_waitcnt_vscnt null, 0x0
	s_barrier
	buffer_gl0_inv
	s_clause 0x4
	scratch_load_b128 v[58:61], off, off offset:72
	scratch_load_b128 v[62:65], off, off offset:88
	;; [unrolled: 1-line block ×5, first 2 shown]
	v_mov_b32_e32 v1, 0
	ds_load_b128 v[78:81], v1 offset:304
	ds_load_b128 v[82:85], v1 offset:320
	scratch_load_b128 v[86:89], off, off offset:152
	s_mov_b32 s0, exec_lo
	s_waitcnt vmcnt(5) lgkmcnt(1)
	v_fma_f64 v[60:61], v[60:61], v[78:79], 0
	s_waitcnt vmcnt(4)
	s_delay_alu instid0(VALU_DEP_1) | instskip(SKIP_1) | instid1(VALU_DEP_1)
	v_fma_f64 v[60:61], v[62:63], v[80:81], v[60:61]
	s_waitcnt lgkmcnt(0)
	v_fma_f64 v[64:65], v[64:65], v[82:83], v[60:61]
	scratch_load_b128 v[60:63], off, off offset:168
	s_waitcnt vmcnt(4)
	v_fma_f64 v[82:83], v[66:67], v[84:85], v[64:65]
	ds_load_b128 v[64:67], v1 offset:336
	ds_load_b128 v[78:81], v1 offset:352
	s_waitcnt lgkmcnt(1)
	v_fma_f64 v[64:65], v[68:69], v[64:65], v[82:83]
	scratch_load_b128 v[82:85], off, off offset:184
	s_waitcnt vmcnt(4)
	v_fma_f64 v[64:65], v[70:71], v[66:67], v[64:65]
	s_waitcnt lgkmcnt(0)
	s_delay_alu instid0(VALU_DEP_1)
	v_fma_f64 v[68:69], v[72:73], v[78:79], v[64:65]
	scratch_load_b128 v[64:67], off, off offset:200
	s_waitcnt vmcnt(4)
	v_fma_f64 v[78:79], v[74:75], v[80:81], v[68:69]
	ds_load_b128 v[68:71], v1 offset:368
	ds_load_b128 v[72:75], v1 offset:384
	s_waitcnt lgkmcnt(1)
	v_fma_f64 v[68:69], v[76:77], v[68:69], v[78:79]
	s_waitcnt vmcnt(3)
	s_delay_alu instid0(VALU_DEP_1) | instskip(SKIP_1) | instid1(VALU_DEP_1)
	v_fma_f64 v[68:69], v[86:87], v[70:71], v[68:69]
	s_waitcnt lgkmcnt(0)
	v_fma_f64 v[68:69], v[88:89], v[72:73], v[68:69]
	s_waitcnt vmcnt(2)
	s_delay_alu instid0(VALU_DEP_1)
	v_fma_f64 v[60:61], v[60:61], v[74:75], v[68:69]
	ds_load_b128 v[68:71], v1 offset:400
	ds_load_b128 v[72:75], v1 offset:416
	s_waitcnt lgkmcnt(1)
	v_fma_f64 v[60:61], v[62:63], v[68:69], v[60:61]
	ds_load_b64 v[62:63], v1 offset:432
	s_waitcnt vmcnt(1)
	v_fma_f64 v[60:61], v[82:83], v[70:71], v[60:61]
	s_waitcnt lgkmcnt(1)
	s_delay_alu instid0(VALU_DEP_1) | instskip(SKIP_1) | instid1(VALU_DEP_1)
	v_fma_f64 v[60:61], v[84:85], v[72:73], v[60:61]
	s_waitcnt vmcnt(0)
	v_fma_f64 v[60:61], v[64:65], v[74:75], v[60:61]
	s_waitcnt lgkmcnt(0)
	s_delay_alu instid0(VALU_DEP_1) | instskip(NEXT) | instid1(VALU_DEP_1)
	v_fma_f64 v[60:61], v[66:67], v[62:63], v[60:61]
	v_add_f64 v[58:59], v[58:59], -v[60:61]
	scratch_store_b64 off, v[58:59], off offset:72
	v_cmpx_lt_u32_e32 8, v0
	s_cbranch_execz .LBB26_155
; %bb.154:
	scratch_load_b64 v[58:59], off, off offset:64
	v_mov_b32_e32 v2, v1
	scratch_store_b64 off, v[1:2], off offset:64
	s_waitcnt vmcnt(0)
	ds_store_b64 v3, v[58:59]
.LBB26_155:
	s_or_b32 exec_lo, exec_lo, s0
	s_waitcnt lgkmcnt(0)
	s_waitcnt_vscnt null, 0x0
	s_barrier
	buffer_gl0_inv
	s_clause 0x4
	scratch_load_b128 v[58:61], off, off offset:64
	scratch_load_b128 v[62:65], off, off offset:80
	;; [unrolled: 1-line block ×5, first 2 shown]
	ds_load_2addr_b64 v[78:81], v1 offset0:37 offset1:38
	ds_load_2addr_b64 v[82:85], v1 offset0:39 offset1:40
	scratch_load_b128 v[86:89], off, off offset:144
	s_mov_b32 s0, exec_lo
	s_waitcnt vmcnt(5) lgkmcnt(1)
	v_fma_f64 v[60:61], v[60:61], v[78:79], 0
	s_waitcnt vmcnt(4)
	s_delay_alu instid0(VALU_DEP_1) | instskip(SKIP_1) | instid1(VALU_DEP_1)
	v_fma_f64 v[60:61], v[62:63], v[80:81], v[60:61]
	s_waitcnt lgkmcnt(0)
	v_fma_f64 v[64:65], v[64:65], v[82:83], v[60:61]
	scratch_load_b128 v[60:63], off, off offset:160
	s_waitcnt vmcnt(4)
	v_fma_f64 v[82:83], v[66:67], v[84:85], v[64:65]
	ds_load_2addr_b64 v[64:67], v1 offset0:41 offset1:42
	ds_load_2addr_b64 v[78:81], v1 offset0:43 offset1:44
	s_waitcnt lgkmcnt(1)
	v_fma_f64 v[64:65], v[68:69], v[64:65], v[82:83]
	scratch_load_b128 v[82:85], off, off offset:176
	s_waitcnt vmcnt(4)
	v_fma_f64 v[64:65], v[70:71], v[66:67], v[64:65]
	s_waitcnt lgkmcnt(0)
	s_delay_alu instid0(VALU_DEP_1)
	v_fma_f64 v[68:69], v[72:73], v[78:79], v[64:65]
	scratch_load_b128 v[64:67], off, off offset:192
	s_waitcnt vmcnt(4)
	v_fma_f64 v[78:79], v[74:75], v[80:81], v[68:69]
	ds_load_2addr_b64 v[68:71], v1 offset0:45 offset1:46
	ds_load_2addr_b64 v[72:75], v1 offset0:47 offset1:48
	s_waitcnt lgkmcnt(1)
	v_fma_f64 v[68:69], v[76:77], v[68:69], v[78:79]
	scratch_load_b64 v[76:77], off, off offset:208
	s_waitcnt vmcnt(4)
	v_fma_f64 v[68:69], v[86:87], v[70:71], v[68:69]
	s_waitcnt lgkmcnt(0)
	s_delay_alu instid0(VALU_DEP_1) | instskip(SKIP_1) | instid1(VALU_DEP_1)
	v_fma_f64 v[68:69], v[88:89], v[72:73], v[68:69]
	s_waitcnt vmcnt(3)
	v_fma_f64 v[60:61], v[60:61], v[74:75], v[68:69]
	ds_load_2addr_b64 v[68:71], v1 offset0:49 offset1:50
	ds_load_2addr_b64 v[72:75], v1 offset0:51 offset1:52
	s_waitcnt lgkmcnt(1)
	v_fma_f64 v[60:61], v[62:63], v[68:69], v[60:61]
	s_waitcnt vmcnt(2)
	s_delay_alu instid0(VALU_DEP_1) | instskip(SKIP_1) | instid1(VALU_DEP_1)
	v_fma_f64 v[60:61], v[82:83], v[70:71], v[60:61]
	s_waitcnt lgkmcnt(0)
	v_fma_f64 v[60:61], v[84:85], v[72:73], v[60:61]
	s_waitcnt vmcnt(1)
	s_delay_alu instid0(VALU_DEP_1) | instskip(SKIP_4) | instid1(VALU_DEP_1)
	v_fma_f64 v[64:65], v[64:65], v[74:75], v[60:61]
	ds_load_2addr_b64 v[60:63], v1 offset0:53 offset1:54
	s_waitcnt lgkmcnt(0)
	v_fma_f64 v[1:2], v[66:67], v[60:61], v[64:65]
	s_waitcnt vmcnt(0)
	v_fma_f64 v[1:2], v[76:77], v[62:63], v[1:2]
	s_delay_alu instid0(VALU_DEP_1)
	v_add_f64 v[1:2], v[58:59], -v[1:2]
	scratch_store_b64 off, v[1:2], off offset:64
	v_cmpx_lt_u32_e32 7, v0
	s_cbranch_execz .LBB26_157
; %bb.156:
	scratch_load_b64 v[1:2], off, off offset:56
	v_mov_b32_e32 v58, 0
	s_delay_alu instid0(VALU_DEP_1)
	v_mov_b32_e32 v59, v58
	scratch_store_b64 off, v[58:59], off offset:56
	s_waitcnt vmcnt(0)
	ds_store_b64 v3, v[1:2]
.LBB26_157:
	s_or_b32 exec_lo, exec_lo, s0
	s_waitcnt lgkmcnt(0)
	s_waitcnt_vscnt null, 0x0
	s_barrier
	buffer_gl0_inv
	s_clause 0x4
	scratch_load_b128 v[58:61], off, off offset:56
	scratch_load_b128 v[62:65], off, off offset:72
	;; [unrolled: 1-line block ×5, first 2 shown]
	v_mov_b32_e32 v1, 0
	ds_load_b128 v[78:81], v1 offset:288
	ds_load_b128 v[82:85], v1 offset:304
	scratch_load_b128 v[86:89], off, off offset:136
	s_mov_b32 s0, exec_lo
	s_waitcnt vmcnt(5) lgkmcnt(1)
	v_fma_f64 v[60:61], v[60:61], v[78:79], 0
	s_waitcnt vmcnt(4)
	s_delay_alu instid0(VALU_DEP_1) | instskip(SKIP_1) | instid1(VALU_DEP_1)
	v_fma_f64 v[60:61], v[62:63], v[80:81], v[60:61]
	s_waitcnt lgkmcnt(0)
	v_fma_f64 v[64:65], v[64:65], v[82:83], v[60:61]
	scratch_load_b128 v[60:63], off, off offset:152
	s_waitcnt vmcnt(4)
	v_fma_f64 v[82:83], v[66:67], v[84:85], v[64:65]
	ds_load_b128 v[64:67], v1 offset:320
	ds_load_b128 v[78:81], v1 offset:336
	s_waitcnt lgkmcnt(1)
	v_fma_f64 v[64:65], v[68:69], v[64:65], v[82:83]
	scratch_load_b128 v[82:85], off, off offset:168
	s_waitcnt vmcnt(4)
	v_fma_f64 v[64:65], v[70:71], v[66:67], v[64:65]
	s_waitcnt lgkmcnt(0)
	s_delay_alu instid0(VALU_DEP_1)
	v_fma_f64 v[68:69], v[72:73], v[78:79], v[64:65]
	scratch_load_b128 v[64:67], off, off offset:184
	s_waitcnt vmcnt(4)
	v_fma_f64 v[78:79], v[74:75], v[80:81], v[68:69]
	ds_load_b128 v[68:71], v1 offset:352
	ds_load_b128 v[72:75], v1 offset:368
	s_waitcnt lgkmcnt(1)
	v_fma_f64 v[68:69], v[76:77], v[68:69], v[78:79]
	scratch_load_b128 v[76:79], off, off offset:200
	s_waitcnt vmcnt(4)
	v_fma_f64 v[68:69], v[86:87], v[70:71], v[68:69]
	s_waitcnt lgkmcnt(0)
	s_delay_alu instid0(VALU_DEP_1) | instskip(SKIP_1) | instid1(VALU_DEP_1)
	v_fma_f64 v[68:69], v[88:89], v[72:73], v[68:69]
	s_waitcnt vmcnt(3)
	v_fma_f64 v[60:61], v[60:61], v[74:75], v[68:69]
	ds_load_b128 v[68:71], v1 offset:384
	ds_load_b128 v[72:75], v1 offset:400
	s_waitcnt lgkmcnt(1)
	v_fma_f64 v[60:61], v[62:63], v[68:69], v[60:61]
	s_waitcnt vmcnt(2)
	s_delay_alu instid0(VALU_DEP_1) | instskip(SKIP_1) | instid1(VALU_DEP_1)
	v_fma_f64 v[60:61], v[82:83], v[70:71], v[60:61]
	s_waitcnt lgkmcnt(0)
	v_fma_f64 v[60:61], v[84:85], v[72:73], v[60:61]
	s_waitcnt vmcnt(1)
	s_delay_alu instid0(VALU_DEP_1)
	v_fma_f64 v[64:65], v[64:65], v[74:75], v[60:61]
	ds_load_b128 v[60:63], v1 offset:416
	ds_load_b64 v[68:69], v1 offset:432
	s_waitcnt lgkmcnt(1)
	v_fma_f64 v[60:61], v[66:67], v[60:61], v[64:65]
	s_waitcnt vmcnt(0)
	s_delay_alu instid0(VALU_DEP_1) | instskip(SKIP_1) | instid1(VALU_DEP_1)
	v_fma_f64 v[60:61], v[76:77], v[62:63], v[60:61]
	s_waitcnt lgkmcnt(0)
	v_fma_f64 v[60:61], v[78:79], v[68:69], v[60:61]
	s_delay_alu instid0(VALU_DEP_1)
	v_add_f64 v[58:59], v[58:59], -v[60:61]
	scratch_store_b64 off, v[58:59], off offset:56
	v_cmpx_lt_u32_e32 6, v0
	s_cbranch_execz .LBB26_159
; %bb.158:
	scratch_load_b64 v[58:59], off, off offset:48
	v_mov_b32_e32 v2, v1
	scratch_store_b64 off, v[1:2], off offset:48
	s_waitcnt vmcnt(0)
	ds_store_b64 v3, v[58:59]
.LBB26_159:
	s_or_b32 exec_lo, exec_lo, s0
	s_waitcnt lgkmcnt(0)
	s_waitcnt_vscnt null, 0x0
	s_barrier
	buffer_gl0_inv
	s_clause 0x4
	scratch_load_b128 v[58:61], off, off offset:48
	scratch_load_b128 v[62:65], off, off offset:64
	;; [unrolled: 1-line block ×5, first 2 shown]
	ds_load_2addr_b64 v[78:81], v1 offset0:35 offset1:36
	ds_load_2addr_b64 v[82:85], v1 offset0:37 offset1:38
	scratch_load_b128 v[86:89], off, off offset:128
	s_mov_b32 s0, exec_lo
	s_waitcnt vmcnt(5) lgkmcnt(1)
	v_fma_f64 v[60:61], v[60:61], v[78:79], 0
	s_waitcnt vmcnt(4)
	s_delay_alu instid0(VALU_DEP_1) | instskip(SKIP_1) | instid1(VALU_DEP_1)
	v_fma_f64 v[60:61], v[62:63], v[80:81], v[60:61]
	s_waitcnt lgkmcnt(0)
	v_fma_f64 v[64:65], v[64:65], v[82:83], v[60:61]
	scratch_load_b128 v[60:63], off, off offset:144
	s_waitcnt vmcnt(4)
	v_fma_f64 v[82:83], v[66:67], v[84:85], v[64:65]
	ds_load_2addr_b64 v[64:67], v1 offset0:39 offset1:40
	ds_load_2addr_b64 v[78:81], v1 offset0:41 offset1:42
	s_waitcnt lgkmcnt(1)
	v_fma_f64 v[64:65], v[68:69], v[64:65], v[82:83]
	scratch_load_b128 v[82:85], off, off offset:160
	s_waitcnt vmcnt(4)
	v_fma_f64 v[64:65], v[70:71], v[66:67], v[64:65]
	s_waitcnt lgkmcnt(0)
	s_delay_alu instid0(VALU_DEP_1)
	v_fma_f64 v[68:69], v[72:73], v[78:79], v[64:65]
	scratch_load_b128 v[64:67], off, off offset:176
	s_waitcnt vmcnt(4)
	v_fma_f64 v[78:79], v[74:75], v[80:81], v[68:69]
	ds_load_2addr_b64 v[68:71], v1 offset0:43 offset1:44
	ds_load_2addr_b64 v[72:75], v1 offset0:45 offset1:46
	scratch_load_b64 v[80:81], off, off offset:208
	s_waitcnt lgkmcnt(1)
	v_fma_f64 v[68:69], v[76:77], v[68:69], v[78:79]
	scratch_load_b128 v[76:79], off, off offset:192
	s_waitcnt vmcnt(5)
	v_fma_f64 v[68:69], v[86:87], v[70:71], v[68:69]
	s_waitcnt lgkmcnt(0)
	s_delay_alu instid0(VALU_DEP_1) | instskip(SKIP_1) | instid1(VALU_DEP_1)
	v_fma_f64 v[68:69], v[88:89], v[72:73], v[68:69]
	s_waitcnt vmcnt(4)
	v_fma_f64 v[60:61], v[60:61], v[74:75], v[68:69]
	ds_load_2addr_b64 v[68:71], v1 offset0:47 offset1:48
	ds_load_2addr_b64 v[72:75], v1 offset0:49 offset1:50
	s_waitcnt lgkmcnt(1)
	v_fma_f64 v[60:61], v[62:63], v[68:69], v[60:61]
	s_waitcnt vmcnt(3)
	s_delay_alu instid0(VALU_DEP_1) | instskip(SKIP_1) | instid1(VALU_DEP_1)
	v_fma_f64 v[60:61], v[82:83], v[70:71], v[60:61]
	s_waitcnt lgkmcnt(0)
	v_fma_f64 v[60:61], v[84:85], v[72:73], v[60:61]
	s_waitcnt vmcnt(2)
	s_delay_alu instid0(VALU_DEP_1)
	v_fma_f64 v[64:65], v[64:65], v[74:75], v[60:61]
	ds_load_2addr_b64 v[60:63], v1 offset0:51 offset1:52
	ds_load_2addr_b64 v[68:71], v1 offset0:53 offset1:54
	s_waitcnt lgkmcnt(1)
	v_fma_f64 v[1:2], v[66:67], v[60:61], v[64:65]
	s_waitcnt vmcnt(0)
	s_delay_alu instid0(VALU_DEP_1) | instskip(SKIP_1) | instid1(VALU_DEP_1)
	v_fma_f64 v[1:2], v[76:77], v[62:63], v[1:2]
	s_waitcnt lgkmcnt(0)
	v_fma_f64 v[1:2], v[78:79], v[68:69], v[1:2]
	s_delay_alu instid0(VALU_DEP_1) | instskip(NEXT) | instid1(VALU_DEP_1)
	v_fma_f64 v[1:2], v[80:81], v[70:71], v[1:2]
	v_add_f64 v[1:2], v[58:59], -v[1:2]
	scratch_store_b64 off, v[1:2], off offset:48
	v_cmpx_lt_u32_e32 5, v0
	s_cbranch_execz .LBB26_161
; %bb.160:
	scratch_load_b64 v[1:2], off, off offset:40
	v_mov_b32_e32 v58, 0
	s_delay_alu instid0(VALU_DEP_1)
	v_mov_b32_e32 v59, v58
	scratch_store_b64 off, v[58:59], off offset:40
	s_waitcnt vmcnt(0)
	ds_store_b64 v3, v[1:2]
.LBB26_161:
	s_or_b32 exec_lo, exec_lo, s0
	s_waitcnt lgkmcnt(0)
	s_waitcnt_vscnt null, 0x0
	s_barrier
	buffer_gl0_inv
	s_clause 0x4
	scratch_load_b128 v[58:61], off, off offset:40
	scratch_load_b128 v[62:65], off, off offset:56
	;; [unrolled: 1-line block ×5, first 2 shown]
	v_mov_b32_e32 v1, 0
	ds_load_b128 v[78:81], v1 offset:272
	ds_load_b128 v[82:85], v1 offset:288
	scratch_load_b128 v[86:89], off, off offset:120
	s_mov_b32 s0, exec_lo
	s_waitcnt vmcnt(5) lgkmcnt(1)
	v_fma_f64 v[60:61], v[60:61], v[78:79], 0
	s_waitcnt vmcnt(4)
	s_delay_alu instid0(VALU_DEP_1) | instskip(SKIP_1) | instid1(VALU_DEP_1)
	v_fma_f64 v[60:61], v[62:63], v[80:81], v[60:61]
	s_waitcnt lgkmcnt(0)
	v_fma_f64 v[64:65], v[64:65], v[82:83], v[60:61]
	scratch_load_b128 v[60:63], off, off offset:136
	s_waitcnt vmcnt(4)
	v_fma_f64 v[82:83], v[66:67], v[84:85], v[64:65]
	ds_load_b128 v[64:67], v1 offset:304
	ds_load_b128 v[78:81], v1 offset:320
	s_waitcnt lgkmcnt(1)
	v_fma_f64 v[64:65], v[68:69], v[64:65], v[82:83]
	scratch_load_b128 v[82:85], off, off offset:152
	s_waitcnt vmcnt(4)
	v_fma_f64 v[64:65], v[70:71], v[66:67], v[64:65]
	s_waitcnt lgkmcnt(0)
	s_delay_alu instid0(VALU_DEP_1)
	v_fma_f64 v[68:69], v[72:73], v[78:79], v[64:65]
	scratch_load_b128 v[64:67], off, off offset:168
	s_waitcnt vmcnt(4)
	v_fma_f64 v[78:79], v[74:75], v[80:81], v[68:69]
	ds_load_b128 v[68:71], v1 offset:336
	ds_load_b128 v[72:75], v1 offset:352
	s_waitcnt lgkmcnt(1)
	v_fma_f64 v[68:69], v[76:77], v[68:69], v[78:79]
	scratch_load_b128 v[76:79], off, off offset:184
	s_waitcnt vmcnt(4)
	v_fma_f64 v[68:69], v[86:87], v[70:71], v[68:69]
	s_waitcnt lgkmcnt(0)
	s_delay_alu instid0(VALU_DEP_1)
	v_fma_f64 v[72:73], v[88:89], v[72:73], v[68:69]
	scratch_load_b128 v[68:71], off, off offset:200
	s_waitcnt vmcnt(4)
	v_fma_f64 v[60:61], v[60:61], v[74:75], v[72:73]
	ds_load_b128 v[72:75], v1 offset:368
	ds_load_b128 v[86:89], v1 offset:384
	s_waitcnt lgkmcnt(1)
	v_fma_f64 v[60:61], v[62:63], v[72:73], v[60:61]
	s_waitcnt vmcnt(3)
	s_delay_alu instid0(VALU_DEP_1) | instskip(SKIP_1) | instid1(VALU_DEP_1)
	v_fma_f64 v[60:61], v[82:83], v[74:75], v[60:61]
	s_waitcnt lgkmcnt(0)
	v_fma_f64 v[60:61], v[84:85], v[86:87], v[60:61]
	s_waitcnt vmcnt(2)
	s_delay_alu instid0(VALU_DEP_1)
	v_fma_f64 v[64:65], v[64:65], v[88:89], v[60:61]
	ds_load_b128 v[60:63], v1 offset:400
	ds_load_b128 v[72:75], v1 offset:416
	s_waitcnt lgkmcnt(1)
	v_fma_f64 v[60:61], v[66:67], v[60:61], v[64:65]
	s_waitcnt vmcnt(1)
	s_delay_alu instid0(VALU_DEP_1) | instskip(SKIP_4) | instid1(VALU_DEP_1)
	v_fma_f64 v[60:61], v[76:77], v[62:63], v[60:61]
	ds_load_b64 v[62:63], v1 offset:432
	s_waitcnt lgkmcnt(1)
	v_fma_f64 v[60:61], v[78:79], v[72:73], v[60:61]
	s_waitcnt vmcnt(0)
	v_fma_f64 v[60:61], v[68:69], v[74:75], v[60:61]
	s_waitcnt lgkmcnt(0)
	s_delay_alu instid0(VALU_DEP_1) | instskip(NEXT) | instid1(VALU_DEP_1)
	v_fma_f64 v[60:61], v[70:71], v[62:63], v[60:61]
	v_add_f64 v[58:59], v[58:59], -v[60:61]
	scratch_store_b64 off, v[58:59], off offset:40
	v_cmpx_lt_u32_e32 4, v0
	s_cbranch_execz .LBB26_163
; %bb.162:
	scratch_load_b64 v[58:59], off, off offset:32
	v_mov_b32_e32 v2, v1
	scratch_store_b64 off, v[1:2], off offset:32
	s_waitcnt vmcnt(0)
	ds_store_b64 v3, v[58:59]
.LBB26_163:
	s_or_b32 exec_lo, exec_lo, s0
	s_waitcnt lgkmcnt(0)
	s_waitcnt_vscnt null, 0x0
	s_barrier
	buffer_gl0_inv
	s_clause 0x4
	scratch_load_b128 v[58:61], off, off offset:32
	scratch_load_b128 v[62:65], off, off offset:48
	;; [unrolled: 1-line block ×5, first 2 shown]
	ds_load_2addr_b64 v[78:81], v1 offset0:33 offset1:34
	ds_load_2addr_b64 v[82:85], v1 offset0:35 offset1:36
	scratch_load_b128 v[86:89], off, off offset:112
	s_mov_b32 s0, exec_lo
	s_waitcnt vmcnt(5) lgkmcnt(1)
	v_fma_f64 v[60:61], v[60:61], v[78:79], 0
	s_waitcnt vmcnt(4)
	s_delay_alu instid0(VALU_DEP_1) | instskip(SKIP_1) | instid1(VALU_DEP_1)
	v_fma_f64 v[60:61], v[62:63], v[80:81], v[60:61]
	s_waitcnt lgkmcnt(0)
	v_fma_f64 v[64:65], v[64:65], v[82:83], v[60:61]
	scratch_load_b128 v[60:63], off, off offset:128
	s_waitcnt vmcnt(4)
	v_fma_f64 v[82:83], v[66:67], v[84:85], v[64:65]
	ds_load_2addr_b64 v[64:67], v1 offset0:37 offset1:38
	ds_load_2addr_b64 v[78:81], v1 offset0:39 offset1:40
	s_waitcnt lgkmcnt(1)
	v_fma_f64 v[64:65], v[68:69], v[64:65], v[82:83]
	scratch_load_b128 v[82:85], off, off offset:144
	s_waitcnt vmcnt(4)
	v_fma_f64 v[64:65], v[70:71], v[66:67], v[64:65]
	s_waitcnt lgkmcnt(0)
	s_delay_alu instid0(VALU_DEP_1)
	v_fma_f64 v[68:69], v[72:73], v[78:79], v[64:65]
	scratch_load_b128 v[64:67], off, off offset:160
	s_waitcnt vmcnt(4)
	v_fma_f64 v[78:79], v[74:75], v[80:81], v[68:69]
	ds_load_2addr_b64 v[68:71], v1 offset0:41 offset1:42
	ds_load_2addr_b64 v[72:75], v1 offset0:43 offset1:44
	s_waitcnt lgkmcnt(1)
	v_fma_f64 v[68:69], v[76:77], v[68:69], v[78:79]
	scratch_load_b128 v[76:79], off, off offset:176
	s_waitcnt vmcnt(4)
	v_fma_f64 v[68:69], v[86:87], v[70:71], v[68:69]
	s_waitcnt lgkmcnt(0)
	s_delay_alu instid0(VALU_DEP_1)
	v_fma_f64 v[72:73], v[88:89], v[72:73], v[68:69]
	scratch_load_b128 v[68:71], off, off offset:192
	s_waitcnt vmcnt(4)
	v_fma_f64 v[60:61], v[60:61], v[74:75], v[72:73]
	ds_load_2addr_b64 v[72:75], v1 offset0:45 offset1:46
	ds_load_2addr_b64 v[86:89], v1 offset0:47 offset1:48
	scratch_load_b64 v[80:81], off, off offset:208
	s_waitcnt lgkmcnt(1)
	v_fma_f64 v[60:61], v[62:63], v[72:73], v[60:61]
	s_waitcnt vmcnt(4)
	s_delay_alu instid0(VALU_DEP_1) | instskip(SKIP_1) | instid1(VALU_DEP_1)
	v_fma_f64 v[60:61], v[82:83], v[74:75], v[60:61]
	s_waitcnt lgkmcnt(0)
	v_fma_f64 v[60:61], v[84:85], v[86:87], v[60:61]
	s_waitcnt vmcnt(3)
	s_delay_alu instid0(VALU_DEP_1)
	v_fma_f64 v[64:65], v[64:65], v[88:89], v[60:61]
	ds_load_2addr_b64 v[60:63], v1 offset0:49 offset1:50
	ds_load_2addr_b64 v[72:75], v1 offset0:51 offset1:52
	s_waitcnt lgkmcnt(1)
	v_fma_f64 v[60:61], v[66:67], v[60:61], v[64:65]
	s_waitcnt vmcnt(2)
	s_delay_alu instid0(VALU_DEP_1) | instskip(SKIP_1) | instid1(VALU_DEP_1)
	v_fma_f64 v[60:61], v[76:77], v[62:63], v[60:61]
	s_waitcnt lgkmcnt(0)
	v_fma_f64 v[60:61], v[78:79], v[72:73], v[60:61]
	s_waitcnt vmcnt(1)
	s_delay_alu instid0(VALU_DEP_1) | instskip(SKIP_4) | instid1(VALU_DEP_1)
	v_fma_f64 v[64:65], v[68:69], v[74:75], v[60:61]
	ds_load_2addr_b64 v[60:63], v1 offset0:53 offset1:54
	s_waitcnt lgkmcnt(0)
	v_fma_f64 v[1:2], v[70:71], v[60:61], v[64:65]
	s_waitcnt vmcnt(0)
	v_fma_f64 v[1:2], v[80:81], v[62:63], v[1:2]
	s_delay_alu instid0(VALU_DEP_1)
	v_add_f64 v[1:2], v[58:59], -v[1:2]
	scratch_store_b64 off, v[1:2], off offset:32
	v_cmpx_lt_u32_e32 3, v0
	s_cbranch_execz .LBB26_165
; %bb.164:
	scratch_load_b64 v[1:2], off, off offset:24
	v_mov_b32_e32 v58, 0
	s_delay_alu instid0(VALU_DEP_1)
	v_mov_b32_e32 v59, v58
	scratch_store_b64 off, v[58:59], off offset:24
	s_waitcnt vmcnt(0)
	ds_store_b64 v3, v[1:2]
.LBB26_165:
	s_or_b32 exec_lo, exec_lo, s0
	s_waitcnt lgkmcnt(0)
	s_waitcnt_vscnt null, 0x0
	s_barrier
	buffer_gl0_inv
	s_clause 0x4
	scratch_load_b128 v[58:61], off, off offset:24
	scratch_load_b128 v[62:65], off, off offset:40
	;; [unrolled: 1-line block ×5, first 2 shown]
	v_mov_b32_e32 v1, 0
	ds_load_b128 v[78:81], v1 offset:256
	ds_load_b128 v[82:85], v1 offset:272
	scratch_load_b128 v[86:89], off, off offset:104
	s_mov_b32 s0, exec_lo
	s_waitcnt vmcnt(5) lgkmcnt(1)
	v_fma_f64 v[60:61], v[60:61], v[78:79], 0
	s_waitcnt vmcnt(4)
	s_delay_alu instid0(VALU_DEP_1) | instskip(SKIP_1) | instid1(VALU_DEP_1)
	v_fma_f64 v[60:61], v[62:63], v[80:81], v[60:61]
	s_waitcnt lgkmcnt(0)
	v_fma_f64 v[64:65], v[64:65], v[82:83], v[60:61]
	scratch_load_b128 v[60:63], off, off offset:120
	s_waitcnt vmcnt(4)
	v_fma_f64 v[82:83], v[66:67], v[84:85], v[64:65]
	ds_load_b128 v[64:67], v1 offset:288
	ds_load_b128 v[78:81], v1 offset:304
	s_waitcnt lgkmcnt(1)
	v_fma_f64 v[64:65], v[68:69], v[64:65], v[82:83]
	scratch_load_b128 v[82:85], off, off offset:136
	s_waitcnt vmcnt(4)
	v_fma_f64 v[64:65], v[70:71], v[66:67], v[64:65]
	s_waitcnt lgkmcnt(0)
	s_delay_alu instid0(VALU_DEP_1)
	v_fma_f64 v[68:69], v[72:73], v[78:79], v[64:65]
	scratch_load_b128 v[64:67], off, off offset:152
	s_waitcnt vmcnt(4)
	v_fma_f64 v[78:79], v[74:75], v[80:81], v[68:69]
	ds_load_b128 v[68:71], v1 offset:320
	ds_load_b128 v[72:75], v1 offset:336
	s_waitcnt lgkmcnt(1)
	v_fma_f64 v[68:69], v[76:77], v[68:69], v[78:79]
	scratch_load_b128 v[76:79], off, off offset:168
	s_waitcnt vmcnt(4)
	v_fma_f64 v[68:69], v[86:87], v[70:71], v[68:69]
	s_waitcnt lgkmcnt(0)
	s_delay_alu instid0(VALU_DEP_1)
	v_fma_f64 v[72:73], v[88:89], v[72:73], v[68:69]
	scratch_load_b128 v[68:71], off, off offset:184
	s_waitcnt vmcnt(4)
	v_fma_f64 v[60:61], v[60:61], v[74:75], v[72:73]
	ds_load_b128 v[72:75], v1 offset:352
	ds_load_b128 v[86:89], v1 offset:368
	s_waitcnt lgkmcnt(1)
	v_fma_f64 v[72:73], v[62:63], v[72:73], v[60:61]
	scratch_load_b128 v[60:63], off, off offset:200
	s_waitcnt vmcnt(4)
	v_fma_f64 v[72:73], v[82:83], v[74:75], v[72:73]
	s_waitcnt lgkmcnt(0)
	s_delay_alu instid0(VALU_DEP_1) | instskip(SKIP_1) | instid1(VALU_DEP_1)
	v_fma_f64 v[72:73], v[84:85], v[86:87], v[72:73]
	s_waitcnt vmcnt(3)
	v_fma_f64 v[64:65], v[64:65], v[88:89], v[72:73]
	ds_load_b128 v[72:75], v1 offset:384
	ds_load_b128 v[80:83], v1 offset:400
	s_waitcnt lgkmcnt(1)
	v_fma_f64 v[64:65], v[66:67], v[72:73], v[64:65]
	s_waitcnt vmcnt(2)
	s_delay_alu instid0(VALU_DEP_1) | instskip(SKIP_1) | instid1(VALU_DEP_1)
	v_fma_f64 v[64:65], v[76:77], v[74:75], v[64:65]
	s_waitcnt lgkmcnt(0)
	v_fma_f64 v[64:65], v[78:79], v[80:81], v[64:65]
	s_waitcnt vmcnt(1)
	s_delay_alu instid0(VALU_DEP_1)
	v_fma_f64 v[68:69], v[68:69], v[82:83], v[64:65]
	ds_load_b128 v[64:67], v1 offset:416
	ds_load_b64 v[72:73], v1 offset:432
	s_waitcnt lgkmcnt(1)
	v_fma_f64 v[64:65], v[70:71], v[64:65], v[68:69]
	s_waitcnt vmcnt(0)
	s_delay_alu instid0(VALU_DEP_1) | instskip(SKIP_1) | instid1(VALU_DEP_1)
	v_fma_f64 v[60:61], v[60:61], v[66:67], v[64:65]
	s_waitcnt lgkmcnt(0)
	v_fma_f64 v[60:61], v[62:63], v[72:73], v[60:61]
	s_delay_alu instid0(VALU_DEP_1)
	v_add_f64 v[58:59], v[58:59], -v[60:61]
	scratch_store_b64 off, v[58:59], off offset:24
	v_cmpx_lt_u32_e32 2, v0
	s_cbranch_execz .LBB26_167
; %bb.166:
	scratch_load_b64 v[58:59], off, off offset:16
	v_mov_b32_e32 v2, v1
	scratch_store_b64 off, v[1:2], off offset:16
	s_waitcnt vmcnt(0)
	ds_store_b64 v3, v[58:59]
.LBB26_167:
	s_or_b32 exec_lo, exec_lo, s0
	s_waitcnt lgkmcnt(0)
	s_waitcnt_vscnt null, 0x0
	s_barrier
	buffer_gl0_inv
	s_clause 0x4
	scratch_load_b128 v[58:61], off, off offset:16
	scratch_load_b128 v[62:65], off, off offset:32
	;; [unrolled: 1-line block ×5, first 2 shown]
	ds_load_2addr_b64 v[78:81], v1 offset0:31 offset1:32
	ds_load_2addr_b64 v[82:85], v1 offset0:33 offset1:34
	scratch_load_b128 v[86:89], off, off offset:96
	s_mov_b32 s0, exec_lo
	s_waitcnt vmcnt(5) lgkmcnt(1)
	v_fma_f64 v[60:61], v[60:61], v[78:79], 0
	s_waitcnt vmcnt(4)
	s_delay_alu instid0(VALU_DEP_1) | instskip(SKIP_1) | instid1(VALU_DEP_1)
	v_fma_f64 v[60:61], v[62:63], v[80:81], v[60:61]
	s_waitcnt lgkmcnt(0)
	v_fma_f64 v[64:65], v[64:65], v[82:83], v[60:61]
	scratch_load_b128 v[60:63], off, off offset:112
	s_waitcnt vmcnt(4)
	v_fma_f64 v[82:83], v[66:67], v[84:85], v[64:65]
	ds_load_2addr_b64 v[64:67], v1 offset0:35 offset1:36
	ds_load_2addr_b64 v[78:81], v1 offset0:37 offset1:38
	s_waitcnt lgkmcnt(1)
	v_fma_f64 v[64:65], v[68:69], v[64:65], v[82:83]
	scratch_load_b128 v[82:85], off, off offset:128
	s_waitcnt vmcnt(4)
	v_fma_f64 v[64:65], v[70:71], v[66:67], v[64:65]
	s_waitcnt lgkmcnt(0)
	s_delay_alu instid0(VALU_DEP_1)
	v_fma_f64 v[68:69], v[72:73], v[78:79], v[64:65]
	scratch_load_b128 v[64:67], off, off offset:144
	s_waitcnt vmcnt(4)
	v_fma_f64 v[78:79], v[74:75], v[80:81], v[68:69]
	ds_load_2addr_b64 v[68:71], v1 offset0:39 offset1:40
	ds_load_2addr_b64 v[72:75], v1 offset0:41 offset1:42
	s_waitcnt lgkmcnt(1)
	v_fma_f64 v[68:69], v[76:77], v[68:69], v[78:79]
	scratch_load_b128 v[76:79], off, off offset:160
	s_waitcnt vmcnt(4)
	v_fma_f64 v[68:69], v[86:87], v[70:71], v[68:69]
	s_waitcnt lgkmcnt(0)
	s_delay_alu instid0(VALU_DEP_1)
	;; [unrolled: 13-line block ×3, first 2 shown]
	v_fma_f64 v[72:73], v[84:85], v[86:87], v[72:73]
	scratch_load_b64 v[84:85], off, off offset:208
	s_waitcnt vmcnt(4)
	v_fma_f64 v[64:65], v[64:65], v[88:89], v[72:73]
	ds_load_2addr_b64 v[72:75], v1 offset0:47 offset1:48
	ds_load_2addr_b64 v[80:83], v1 offset0:49 offset1:50
	s_waitcnt lgkmcnt(1)
	v_fma_f64 v[64:65], v[66:67], v[72:73], v[64:65]
	s_waitcnt vmcnt(3)
	s_delay_alu instid0(VALU_DEP_1) | instskip(SKIP_1) | instid1(VALU_DEP_1)
	v_fma_f64 v[64:65], v[76:77], v[74:75], v[64:65]
	s_waitcnt lgkmcnt(0)
	v_fma_f64 v[64:65], v[78:79], v[80:81], v[64:65]
	s_waitcnt vmcnt(2)
	s_delay_alu instid0(VALU_DEP_1)
	v_fma_f64 v[68:69], v[68:69], v[82:83], v[64:65]
	ds_load_2addr_b64 v[64:67], v1 offset0:51 offset1:52
	ds_load_2addr_b64 v[72:75], v1 offset0:53 offset1:54
	s_waitcnt lgkmcnt(1)
	v_fma_f64 v[1:2], v[70:71], v[64:65], v[68:69]
	s_waitcnt vmcnt(1)
	s_delay_alu instid0(VALU_DEP_1) | instskip(SKIP_1) | instid1(VALU_DEP_1)
	v_fma_f64 v[1:2], v[60:61], v[66:67], v[1:2]
	s_waitcnt lgkmcnt(0)
	v_fma_f64 v[1:2], v[62:63], v[72:73], v[1:2]
	s_waitcnt vmcnt(0)
	s_delay_alu instid0(VALU_DEP_1) | instskip(NEXT) | instid1(VALU_DEP_1)
	v_fma_f64 v[1:2], v[84:85], v[74:75], v[1:2]
	v_add_f64 v[1:2], v[58:59], -v[1:2]
	scratch_store_b64 off, v[1:2], off offset:16
	v_cmpx_lt_u32_e32 1, v0
	s_cbranch_execz .LBB26_169
; %bb.168:
	scratch_load_b64 v[1:2], off, off offset:8
	v_mov_b32_e32 v58, 0
	s_delay_alu instid0(VALU_DEP_1)
	v_mov_b32_e32 v59, v58
	scratch_store_b64 off, v[58:59], off offset:8
	s_waitcnt vmcnt(0)
	ds_store_b64 v3, v[1:2]
.LBB26_169:
	s_or_b32 exec_lo, exec_lo, s0
	s_waitcnt lgkmcnt(0)
	s_waitcnt_vscnt null, 0x0
	s_barrier
	buffer_gl0_inv
	s_clause 0x4
	scratch_load_b128 v[59:62], off, off offset:8
	scratch_load_b128 v[63:66], off, off offset:24
	;; [unrolled: 1-line block ×5, first 2 shown]
	v_mov_b32_e32 v58, 0
	ds_load_b128 v[79:82], v58 offset:240
	ds_load_b128 v[83:86], v58 offset:256
	scratch_load_b128 v[87:90], off, off offset:88
	s_mov_b32 s0, exec_lo
	s_waitcnt vmcnt(5) lgkmcnt(1)
	v_fma_f64 v[1:2], v[61:62], v[79:80], 0
	s_waitcnt vmcnt(4)
	s_delay_alu instid0(VALU_DEP_1) | instskip(SKIP_4) | instid1(VALU_DEP_1)
	v_fma_f64 v[1:2], v[63:64], v[81:82], v[1:2]
	scratch_load_b128 v[61:64], off, off offset:104
	s_waitcnt lgkmcnt(0)
	v_fma_f64 v[1:2], v[65:66], v[83:84], v[1:2]
	s_waitcnt vmcnt(4)
	v_fma_f64 v[1:2], v[67:68], v[85:86], v[1:2]
	ds_load_b128 v[65:68], v58 offset:272
	ds_load_b128 v[79:82], v58 offset:288
	scratch_load_b128 v[83:86], off, off offset:120
	s_waitcnt lgkmcnt(1)
	v_fma_f64 v[1:2], v[69:70], v[65:66], v[1:2]
	s_waitcnt vmcnt(4)
	s_delay_alu instid0(VALU_DEP_1) | instskip(SKIP_4) | instid1(VALU_DEP_1)
	v_fma_f64 v[1:2], v[71:72], v[67:68], v[1:2]
	scratch_load_b128 v[65:68], off, off offset:136
	s_waitcnt lgkmcnt(0)
	v_fma_f64 v[1:2], v[73:74], v[79:80], v[1:2]
	s_waitcnt vmcnt(4)
	v_fma_f64 v[1:2], v[75:76], v[81:82], v[1:2]
	ds_load_b128 v[69:72], v58 offset:304
	ds_load_b128 v[73:76], v58 offset:320
	s_waitcnt lgkmcnt(1)
	v_fma_f64 v[1:2], v[77:78], v[69:70], v[1:2]
	scratch_load_b128 v[77:80], off, off offset:152
	s_waitcnt vmcnt(4)
	v_fma_f64 v[1:2], v[87:88], v[71:72], v[1:2]
	scratch_load_b128 v[69:72], off, off offset:168
	s_waitcnt lgkmcnt(0)
	v_fma_f64 v[1:2], v[89:90], v[73:74], v[1:2]
	s_waitcnt vmcnt(4)
	s_delay_alu instid0(VALU_DEP_1)
	v_fma_f64 v[1:2], v[61:62], v[75:76], v[1:2]
	ds_load_b128 v[73:76], v58 offset:336
	ds_load_b128 v[87:90], v58 offset:352
	s_waitcnt lgkmcnt(1)
	v_fma_f64 v[1:2], v[63:64], v[73:74], v[1:2]
	scratch_load_b128 v[61:64], off, off offset:184
	s_waitcnt vmcnt(4)
	v_fma_f64 v[1:2], v[83:84], v[75:76], v[1:2]
	scratch_load_b128 v[73:76], off, off offset:200
	s_waitcnt lgkmcnt(0)
	v_fma_f64 v[1:2], v[85:86], v[87:88], v[1:2]
	ds_load_b128 v[81:84], v58 offset:368
	ds_load_b128 v[85:88], v58 offset:384
	s_waitcnt vmcnt(4)
	v_fma_f64 v[1:2], v[65:66], v[89:90], v[1:2]
	s_waitcnt lgkmcnt(1)
	s_delay_alu instid0(VALU_DEP_1) | instskip(SKIP_1) | instid1(VALU_DEP_1)
	v_fma_f64 v[1:2], v[67:68], v[81:82], v[1:2]
	s_waitcnt vmcnt(3)
	v_fma_f64 v[1:2], v[77:78], v[83:84], v[1:2]
	s_waitcnt lgkmcnt(0)
	s_delay_alu instid0(VALU_DEP_1)
	v_fma_f64 v[1:2], v[79:80], v[85:86], v[1:2]
	ds_load_b128 v[65:68], v58 offset:400
	ds_load_b128 v[77:80], v58 offset:416
	s_waitcnt vmcnt(2)
	v_fma_f64 v[1:2], v[69:70], v[87:88], v[1:2]
	s_waitcnt lgkmcnt(1)
	s_delay_alu instid0(VALU_DEP_1) | instskip(SKIP_1) | instid1(VALU_DEP_1)
	v_fma_f64 v[1:2], v[71:72], v[65:66], v[1:2]
	s_waitcnt vmcnt(1)
	v_fma_f64 v[1:2], v[61:62], v[67:68], v[1:2]
	ds_load_b64 v[61:62], v58 offset:432
	s_waitcnt lgkmcnt(1)
	v_fma_f64 v[1:2], v[63:64], v[77:78], v[1:2]
	s_waitcnt vmcnt(0)
	s_delay_alu instid0(VALU_DEP_1) | instskip(SKIP_1) | instid1(VALU_DEP_1)
	v_fma_f64 v[1:2], v[73:74], v[79:80], v[1:2]
	s_waitcnt lgkmcnt(0)
	v_fma_f64 v[1:2], v[75:76], v[61:62], v[1:2]
	s_delay_alu instid0(VALU_DEP_1)
	v_add_f64 v[1:2], v[59:60], -v[1:2]
	scratch_store_b64 off, v[1:2], off offset:8
	v_cmpx_ne_u32_e32 0, v0
	s_cbranch_execz .LBB26_171
; %bb.170:
	scratch_load_b64 v[0:1], off, off
	v_mov_b32_e32 v59, v58
	scratch_store_b64 off, v[58:59], off
	s_waitcnt vmcnt(0)
	ds_store_b64 v3, v[0:1]
.LBB26_171:
	s_or_b32 exec_lo, exec_lo, s0
	s_waitcnt lgkmcnt(0)
	s_waitcnt_vscnt null, 0x0
	s_barrier
	buffer_gl0_inv
	s_clause 0x4
	scratch_load_b128 v[59:62], off, off
	scratch_load_b128 v[0:3], off, off offset:16
	scratch_load_b128 v[63:66], off, off offset:32
	;; [unrolled: 1-line block ×4, first 2 shown]
	ds_load_2addr_b64 v[75:78], v58 offset0:29 offset1:30
	ds_load_2addr_b64 v[79:82], v58 offset0:31 offset1:32
	scratch_load_b128 v[83:86], off, off offset:80
	s_and_b32 vcc_lo, exec_lo, s16
	s_waitcnt vmcnt(5) lgkmcnt(1)
	v_fma_f64 v[61:62], v[61:62], v[75:76], 0
	s_waitcnt vmcnt(4)
	s_delay_alu instid0(VALU_DEP_1) | instskip(SKIP_1) | instid1(VALU_DEP_1)
	v_fma_f64 v[0:1], v[0:1], v[77:78], v[61:62]
	s_waitcnt lgkmcnt(0)
	v_fma_f64 v[61:62], v[2:3], v[79:80], v[0:1]
	scratch_load_b128 v[0:3], off, off offset:96
	s_waitcnt vmcnt(4)
	v_fma_f64 v[79:80], v[63:64], v[81:82], v[61:62]
	ds_load_2addr_b64 v[61:64], v58 offset0:33 offset1:34
	ds_load_2addr_b64 v[75:78], v58 offset0:35 offset1:36
	s_waitcnt lgkmcnt(1)
	v_fma_f64 v[61:62], v[65:66], v[61:62], v[79:80]
	scratch_load_b128 v[79:82], off, off offset:112
	s_waitcnt vmcnt(4)
	v_fma_f64 v[61:62], v[67:68], v[63:64], v[61:62]
	s_waitcnt lgkmcnt(0)
	s_delay_alu instid0(VALU_DEP_1)
	v_fma_f64 v[65:66], v[69:70], v[75:76], v[61:62]
	scratch_load_b128 v[61:64], off, off offset:128
	s_waitcnt vmcnt(4)
	v_fma_f64 v[75:76], v[71:72], v[77:78], v[65:66]
	ds_load_2addr_b64 v[65:68], v58 offset0:37 offset1:38
	ds_load_2addr_b64 v[69:72], v58 offset0:39 offset1:40
	s_waitcnt lgkmcnt(1)
	v_fma_f64 v[65:66], v[73:74], v[65:66], v[75:76]
	scratch_load_b128 v[73:76], off, off offset:144
	s_waitcnt vmcnt(4)
	v_fma_f64 v[65:66], v[83:84], v[67:68], v[65:66]
	s_waitcnt lgkmcnt(0)
	s_delay_alu instid0(VALU_DEP_1)
	v_fma_f64 v[69:70], v[85:86], v[69:70], v[65:66]
	scratch_load_b128 v[65:68], off, off offset:160
	s_waitcnt vmcnt(4)
	v_fma_f64 v[0:1], v[0:1], v[71:72], v[69:70]
	ds_load_2addr_b64 v[69:72], v58 offset0:41 offset1:42
	ds_load_2addr_b64 v[83:86], v58 offset0:43 offset1:44
	scratch_load_b128 v[87:90], off, off offset:176
	s_waitcnt lgkmcnt(1)
	v_fma_f64 v[0:1], v[2:3], v[69:70], v[0:1]
	s_waitcnt vmcnt(4)
	s_delay_alu instid0(VALU_DEP_1) | instskip(SKIP_1) | instid1(VALU_DEP_1)
	v_fma_f64 v[0:1], v[79:80], v[71:72], v[0:1]
	s_waitcnt lgkmcnt(0)
	v_fma_f64 v[69:70], v[81:82], v[83:84], v[0:1]
	scratch_load_b128 v[0:3], off, off offset:192
	s_waitcnt vmcnt(4)
	v_fma_f64 v[61:62], v[61:62], v[85:86], v[69:70]
	ds_load_2addr_b64 v[69:72], v58 offset0:45 offset1:46
	ds_load_2addr_b64 v[77:80], v58 offset0:47 offset1:48
	scratch_load_b64 v[81:82], off, off offset:208
	s_waitcnt lgkmcnt(1)
	v_fma_f64 v[61:62], v[63:64], v[69:70], v[61:62]
	s_waitcnt vmcnt(4)
	s_delay_alu instid0(VALU_DEP_1) | instskip(SKIP_1) | instid1(VALU_DEP_1)
	v_fma_f64 v[61:62], v[73:74], v[71:72], v[61:62]
	s_waitcnt lgkmcnt(0)
	v_fma_f64 v[61:62], v[75:76], v[77:78], v[61:62]
	s_waitcnt vmcnt(3)
	s_delay_alu instid0(VALU_DEP_1)
	v_fma_f64 v[65:66], v[65:66], v[79:80], v[61:62]
	ds_load_2addr_b64 v[61:64], v58 offset0:49 offset1:50
	ds_load_2addr_b64 v[69:72], v58 offset0:51 offset1:52
	s_waitcnt lgkmcnt(1)
	v_fma_f64 v[61:62], v[67:68], v[61:62], v[65:66]
	s_waitcnt vmcnt(2)
	s_delay_alu instid0(VALU_DEP_1) | instskip(SKIP_1) | instid1(VALU_DEP_1)
	v_fma_f64 v[61:62], v[87:88], v[63:64], v[61:62]
	s_waitcnt lgkmcnt(0)
	v_fma_f64 v[61:62], v[89:90], v[69:70], v[61:62]
	s_waitcnt vmcnt(1)
	s_delay_alu instid0(VALU_DEP_1) | instskip(SKIP_4) | instid1(VALU_DEP_1)
	v_fma_f64 v[0:1], v[0:1], v[71:72], v[61:62]
	ds_load_2addr_b64 v[61:64], v58 offset0:53 offset1:54
	s_waitcnt lgkmcnt(0)
	v_fma_f64 v[0:1], v[2:3], v[61:62], v[0:1]
	s_waitcnt vmcnt(0)
	v_fma_f64 v[0:1], v[81:82], v[63:64], v[0:1]
	s_delay_alu instid0(VALU_DEP_1)
	v_add_f64 v[0:1], v[59:60], -v[0:1]
	scratch_store_b64 off, v[0:1], off
	s_cbranch_vccz .LBB26_225
; %bb.172:
	v_dual_mov_b32 v0, s12 :: v_dual_mov_b32 v1, s13
	s_mov_b32 s0, exec_lo
	flat_load_b32 v0, v[0:1] offset:100
	s_waitcnt vmcnt(0) lgkmcnt(0)
	v_cmpx_ne_u32_e32 26, v0
	s_cbranch_execz .LBB26_174
; %bb.173:
	v_lshl_add_u32 v58, v0, 3, 0
	scratch_load_b64 v[0:1], v58, off offset:-8
	s_waitcnt vmcnt(0)
	scratch_store_b64 off, v[0:1], off offset:200
	scratch_store_b64 v58, v[2:3], off offset:-8
.LBB26_174:
	s_or_b32 exec_lo, exec_lo, s0
	v_dual_mov_b32 v0, s12 :: v_dual_mov_b32 v1, s13
	s_mov_b32 s0, exec_lo
	flat_load_b32 v0, v[0:1] offset:96
	s_waitcnt vmcnt(0) lgkmcnt(0)
	v_cmpx_ne_u32_e32 25, v0
	s_cbranch_execz .LBB26_176
; %bb.175:
	v_lshl_add_u32 v58, v0, 3, 0
	scratch_load_b64 v[0:1], v58, off offset:-8
	scratch_load_b64 v[2:3], off, off offset:192
	s_waitcnt vmcnt(1)
	scratch_store_b64 off, v[0:1], off offset:192
	s_waitcnt vmcnt(0)
	scratch_store_b64 v58, v[2:3], off offset:-8
.LBB26_176:
	s_or_b32 exec_lo, exec_lo, s0
	v_dual_mov_b32 v0, s12 :: v_dual_mov_b32 v1, s13
	s_mov_b32 s0, exec_lo
	flat_load_b32 v0, v[0:1] offset:92
	s_waitcnt vmcnt(0) lgkmcnt(0)
	v_cmpx_ne_u32_e32 24, v0
	s_cbranch_execz .LBB26_178
; %bb.177:
	v_lshl_add_u32 v58, v0, 3, 0
	scratch_load_b64 v[0:1], v58, off offset:-8
	scratch_load_b64 v[2:3], off, off offset:184
	s_waitcnt vmcnt(1)
	scratch_store_b64 off, v[0:1], off offset:184
	s_waitcnt vmcnt(0)
	scratch_store_b64 v58, v[2:3], off offset:-8
.LBB26_178:
	;; [unrolled: 16-line block ×24, first 2 shown]
	s_or_b32 exec_lo, exec_lo, s0
	v_dual_mov_b32 v0, s12 :: v_dual_mov_b32 v1, s13
	s_mov_b32 s0, exec_lo
	flat_load_b32 v2, v[0:1]
	scratch_load_b64 v[0:1], off, off
	s_waitcnt vmcnt(1) lgkmcnt(0)
	v_cmpx_ne_u32_e32 1, v2
	s_cbranch_execz .LBB26_224
; %bb.223:
	v_lshl_add_u32 v58, v2, 3, 0
	scratch_load_b64 v[2:3], v58, off offset:-8
	s_waitcnt vmcnt(0)
	scratch_store_b64 off, v[2:3], off
	scratch_store_b64 v58, v[0:1], off offset:-8
	scratch_load_b64 v[0:1], off, off
.LBB26_224:
	s_or_b32 exec_lo, exec_lo, s0
.LBB26_225:
	s_clause 0x7
	scratch_load_b128 v[58:61], off, off offset:8
	scratch_load_b128 v[62:65], off, off offset:24
	;; [unrolled: 1-line block ×8, first 2 shown]
	s_waitcnt vmcnt(8)
	global_store_b64 v[6:7], v[0:1], off
	s_clause 0x1
	scratch_load_b128 v[0:3], off, off offset:136
	scratch_load_b128 v[90:93], off, off offset:152
	s_waitcnt vmcnt(9)
	s_clause 0x1
	global_store_b64 v[4:5], v[58:59], off
	global_store_b64 v[12:13], v[60:61], off
	s_clause 0x1
	scratch_load_b128 v[4:7], off, off offset:168
	scratch_load_b128 v[58:61], off, off offset:184
	s_waitcnt vmcnt(10)
	s_clause 0x1
	global_store_b64 v[10:11], v[62:63], off
	global_store_b64 v[14:15], v[64:65], off
	scratch_load_b128 v[10:13], off, off offset:200
	s_waitcnt vmcnt(10)
	s_clause 0x1
	global_store_b64 v[8:9], v[66:67], off
	global_store_b64 v[16:17], v[68:69], off
	s_waitcnt vmcnt(9)
	s_clause 0x1
	global_store_b64 v[18:19], v[70:71], off
	global_store_b64 v[20:21], v[72:73], off
	;; [unrolled: 4-line block ×11, first 2 shown]
	s_endpgm
	.section	.rodata,"a",@progbits
	.p2align	6, 0x0
	.amdhsa_kernel _ZN9rocsolver6v33100L18getri_kernel_smallILi27EdPdEEvT1_iilPiilS4_bb
		.amdhsa_group_segment_fixed_size 440
		.amdhsa_private_segment_fixed_size 224
		.amdhsa_kernarg_size 60
		.amdhsa_user_sgpr_count 15
		.amdhsa_user_sgpr_dispatch_ptr 0
		.amdhsa_user_sgpr_queue_ptr 0
		.amdhsa_user_sgpr_kernarg_segment_ptr 1
		.amdhsa_user_sgpr_dispatch_id 0
		.amdhsa_user_sgpr_private_segment_size 0
		.amdhsa_wavefront_size32 1
		.amdhsa_uses_dynamic_stack 0
		.amdhsa_enable_private_segment 1
		.amdhsa_system_sgpr_workgroup_id_x 1
		.amdhsa_system_sgpr_workgroup_id_y 0
		.amdhsa_system_sgpr_workgroup_id_z 0
		.amdhsa_system_sgpr_workgroup_info 0
		.amdhsa_system_vgpr_workitem_id 0
		.amdhsa_next_free_vgpr 96
		.amdhsa_next_free_sgpr 18
		.amdhsa_reserve_vcc 1
		.amdhsa_float_round_mode_32 0
		.amdhsa_float_round_mode_16_64 0
		.amdhsa_float_denorm_mode_32 3
		.amdhsa_float_denorm_mode_16_64 3
		.amdhsa_dx10_clamp 1
		.amdhsa_ieee_mode 1
		.amdhsa_fp16_overflow 0
		.amdhsa_workgroup_processor_mode 1
		.amdhsa_memory_ordered 1
		.amdhsa_forward_progress 0
		.amdhsa_shared_vgpr_count 0
		.amdhsa_exception_fp_ieee_invalid_op 0
		.amdhsa_exception_fp_denorm_src 0
		.amdhsa_exception_fp_ieee_div_zero 0
		.amdhsa_exception_fp_ieee_overflow 0
		.amdhsa_exception_fp_ieee_underflow 0
		.amdhsa_exception_fp_ieee_inexact 0
		.amdhsa_exception_int_div_zero 0
	.end_amdhsa_kernel
	.section	.text._ZN9rocsolver6v33100L18getri_kernel_smallILi27EdPdEEvT1_iilPiilS4_bb,"axG",@progbits,_ZN9rocsolver6v33100L18getri_kernel_smallILi27EdPdEEvT1_iilPiilS4_bb,comdat
.Lfunc_end26:
	.size	_ZN9rocsolver6v33100L18getri_kernel_smallILi27EdPdEEvT1_iilPiilS4_bb, .Lfunc_end26-_ZN9rocsolver6v33100L18getri_kernel_smallILi27EdPdEEvT1_iilPiilS4_bb
                                        ; -- End function
	.section	.AMDGPU.csdata,"",@progbits
; Kernel info:
; codeLenInByte = 19672
; NumSgprs: 20
; NumVgprs: 96
; ScratchSize: 224
; MemoryBound: 0
; FloatMode: 240
; IeeeMode: 1
; LDSByteSize: 440 bytes/workgroup (compile time only)
; SGPRBlocks: 2
; VGPRBlocks: 11
; NumSGPRsForWavesPerEU: 20
; NumVGPRsForWavesPerEU: 96
; Occupancy: 16
; WaveLimiterHint : 1
; COMPUTE_PGM_RSRC2:SCRATCH_EN: 1
; COMPUTE_PGM_RSRC2:USER_SGPR: 15
; COMPUTE_PGM_RSRC2:TRAP_HANDLER: 0
; COMPUTE_PGM_RSRC2:TGID_X_EN: 1
; COMPUTE_PGM_RSRC2:TGID_Y_EN: 0
; COMPUTE_PGM_RSRC2:TGID_Z_EN: 0
; COMPUTE_PGM_RSRC2:TIDIG_COMP_CNT: 0
	.section	.text._ZN9rocsolver6v33100L18getri_kernel_smallILi28EdPdEEvT1_iilPiilS4_bb,"axG",@progbits,_ZN9rocsolver6v33100L18getri_kernel_smallILi28EdPdEEvT1_iilPiilS4_bb,comdat
	.globl	_ZN9rocsolver6v33100L18getri_kernel_smallILi28EdPdEEvT1_iilPiilS4_bb ; -- Begin function _ZN9rocsolver6v33100L18getri_kernel_smallILi28EdPdEEvT1_iilPiilS4_bb
	.p2align	8
	.type	_ZN9rocsolver6v33100L18getri_kernel_smallILi28EdPdEEvT1_iilPiilS4_bb,@function
_ZN9rocsolver6v33100L18getri_kernel_smallILi28EdPdEEvT1_iilPiilS4_bb: ; @_ZN9rocsolver6v33100L18getri_kernel_smallILi28EdPdEEvT1_iilPiilS4_bb
; %bb.0:
	s_mov_b32 s2, exec_lo
	v_cmpx_gt_u32_e32 28, v0
	s_cbranch_execz .LBB27_122
; %bb.1:
	s_clause 0x2
	s_load_b32 s17, s[0:1], 0x38
	s_load_b128 s[8:11], s[0:1], 0x10
	s_load_b128 s[4:7], s[0:1], 0x28
	s_mov_b32 s14, s15
                                        ; implicit-def: $sgpr12_sgpr13
	s_waitcnt lgkmcnt(0)
	s_bitcmp1_b32 s17, 8
	s_cselect_b32 s16, -1, 0
	s_bfe_u32 s2, s17, 0x10008
	s_ashr_i32 s15, s15, 31
	s_cmp_eq_u32 s2, 0
	s_cbranch_scc1 .LBB27_3
; %bb.2:
	s_load_b32 s2, s[0:1], 0x20
	s_mul_i32 s3, s14, s5
	s_mul_hi_u32 s5, s14, s4
	s_mul_i32 s12, s15, s4
	s_add_i32 s3, s5, s3
	s_mul_i32 s4, s14, s4
	s_add_i32 s5, s3, s12
	s_delay_alu instid0(SALU_CYCLE_1)
	s_lshl_b64 s[4:5], s[4:5], 2
	s_waitcnt lgkmcnt(0)
	s_ashr_i32 s3, s2, 31
	s_add_u32 s4, s10, s4
	s_addc_u32 s5, s11, s5
	s_lshl_b64 s[2:3], s[2:3], 2
	s_delay_alu instid0(SALU_CYCLE_1)
	s_add_u32 s12, s4, s2
	s_addc_u32 s13, s5, s3
.LBB27_3:
	s_load_b128 s[0:3], s[0:1], 0x0
	s_mul_i32 s4, s14, s9
	s_mul_hi_u32 s5, s14, s8
	s_mul_i32 s9, s15, s8
	s_add_i32 s5, s5, s4
	s_mul_i32 s4, s14, s8
	s_add_i32 s5, s5, s9
	v_lshlrev_b32_e32 v3, 3, v0
	s_lshl_b64 s[4:5], s[4:5], 3
	s_waitcnt lgkmcnt(0)
	v_add3_u32 v1, s3, s3, v0
	s_ashr_i32 s9, s2, 31
	s_mov_b32 s8, s2
	s_add_u32 s2, s0, s4
	s_addc_u32 s5, s1, s5
	s_lshl_b64 s[0:1], s[8:9], 3
	v_ashrrev_i32_e32 v2, 31, v1
	s_add_u32 s0, s2, s0
	v_add_nc_u32_e32 v4, s3, v1
	s_addc_u32 s1, s5, s1
	v_add_co_u32 v6, s2, s0, v3
	s_mov_b32 s4, s3
	s_ashr_i32 s5, s3, 31
	v_add_co_ci_u32_e64 v7, null, s1, 0, s2
	v_lshlrev_b64 v[1:2], 3, v[1:2]
	s_lshl_b64 s[4:5], s[4:5], 3
	v_add_nc_u32_e32 v10, s3, v4
	v_add_co_u32 v12, vcc_lo, v6, s4
	v_add_co_ci_u32_e32 v13, vcc_lo, s5, v7, vcc_lo
	s_delay_alu instid0(VALU_DEP_4) | instskip(NEXT) | instid1(VALU_DEP_4)
	v_add_co_u32 v8, vcc_lo, s0, v1
	v_add_nc_u32_e32 v1, s3, v10
	v_ashrrev_i32_e32 v5, 31, v4
	v_ashrrev_i32_e32 v11, 31, v10
	v_add_co_ci_u32_e32 v9, vcc_lo, s1, v2, vcc_lo
	s_delay_alu instid0(VALU_DEP_4) | instskip(NEXT) | instid1(VALU_DEP_4)
	v_add_nc_u32_e32 v14, s3, v1
	v_lshlrev_b64 v[4:5], 3, v[4:5]
	v_ashrrev_i32_e32 v2, 31, v1
	v_lshlrev_b64 v[10:11], 3, v[10:11]
	global_load_b64 v[40:41], v3, s[0:1]
	v_add_nc_u32_e32 v20, s3, v14
	v_ashrrev_i32_e32 v15, 31, v14
	v_add_co_u32 v4, vcc_lo, s0, v4
	v_lshlrev_b64 v[1:2], 3, v[1:2]
	v_add_co_ci_u32_e32 v5, vcc_lo, s1, v5, vcc_lo
	v_add_co_u32 v18, vcc_lo, s0, v10
	v_ashrrev_i32_e32 v21, 31, v20
	v_add_co_ci_u32_e32 v19, vcc_lo, s1, v11, vcc_lo
	v_lshlrev_b64 v[14:15], 3, v[14:15]
	v_add_co_u32 v10, vcc_lo, s0, v1
	v_add_co_ci_u32_e32 v11, vcc_lo, s1, v2, vcc_lo
	v_lshlrev_b64 v[1:2], 3, v[20:21]
	s_delay_alu instid0(VALU_DEP_4)
	v_add_co_u32 v14, vcc_lo, s0, v14
	v_add_co_ci_u32_e32 v15, vcc_lo, s1, v15, vcc_lo
	s_clause 0x2
	global_load_b64 v[42:43], v[12:13], off
	global_load_b64 v[44:45], v[8:9], off
	;; [unrolled: 1-line block ×3, first 2 shown]
	v_add_co_u32 v16, vcc_lo, s0, v1
	v_add_nc_u32_e32 v1, s3, v20
	v_add_co_ci_u32_e32 v17, vcc_lo, s1, v2, vcc_lo
	s_clause 0x3
	global_load_b64 v[48:49], v[18:19], off
	global_load_b64 v[50:51], v[10:11], off
	;; [unrolled: 1-line block ×4, first 2 shown]
	v_ashrrev_i32_e32 v2, 31, v1
	v_add_nc_u32_e32 v22, s3, v1
	s_bitcmp0_b32 s17, 0
	s_delay_alu instid0(VALU_DEP_2) | instskip(NEXT) | instid1(VALU_DEP_2)
	v_lshlrev_b64 v[1:2], 3, v[1:2]
	v_add_nc_u32_e32 v24, s3, v22
	v_ashrrev_i32_e32 v23, 31, v22
	s_delay_alu instid0(VALU_DEP_2) | instskip(NEXT) | instid1(VALU_DEP_4)
	v_add_nc_u32_e32 v28, s3, v24
	v_add_co_u32 v20, vcc_lo, s0, v1
	v_ashrrev_i32_e32 v25, 31, v24
	v_add_co_ci_u32_e32 v21, vcc_lo, s1, v2, vcc_lo
	v_lshlrev_b64 v[1:2], 3, v[22:23]
	v_ashrrev_i32_e32 v29, 31, v28
	s_delay_alu instid0(VALU_DEP_4)
	v_lshlrev_b64 v[24:25], 3, v[24:25]
	global_load_b64 v[60:61], v[20:21], off
	v_add_co_u32 v22, vcc_lo, s0, v1
	v_add_co_ci_u32_e32 v23, vcc_lo, s1, v2, vcc_lo
	v_lshlrev_b64 v[1:2], 3, v[28:29]
	v_add_co_u32 v24, vcc_lo, s0, v24
	v_add_co_ci_u32_e32 v25, vcc_lo, s1, v25, vcc_lo
	s_delay_alu instid0(VALU_DEP_3) | instskip(NEXT) | instid1(VALU_DEP_4)
	v_add_co_u32 v26, vcc_lo, s0, v1
	v_add_co_ci_u32_e32 v27, vcc_lo, s1, v2, vcc_lo
	s_clause 0x2
	global_load_b64 v[62:63], v[22:23], off
	global_load_b64 v[64:65], v[24:25], off
	;; [unrolled: 1-line block ×3, first 2 shown]
	v_add_nc_u32_e32 v1, s3, v28
	s_delay_alu instid0(VALU_DEP_1) | instskip(SKIP_1) | instid1(VALU_DEP_2)
	v_add_nc_u32_e32 v30, s3, v1
	v_ashrrev_i32_e32 v2, 31, v1
	v_add_nc_u32_e32 v32, s3, v30
	s_delay_alu instid0(VALU_DEP_2) | instskip(SKIP_1) | instid1(VALU_DEP_3)
	v_lshlrev_b64 v[1:2], 3, v[1:2]
	v_ashrrev_i32_e32 v31, 31, v30
	v_add_nc_u32_e32 v34, s3, v32
	v_ashrrev_i32_e32 v33, 31, v32
	s_delay_alu instid0(VALU_DEP_4) | instskip(NEXT) | instid1(VALU_DEP_4)
	v_add_co_u32 v28, vcc_lo, s0, v1
	v_lshlrev_b64 v[30:31], 3, v[30:31]
	s_delay_alu instid0(VALU_DEP_4) | instskip(NEXT) | instid1(VALU_DEP_4)
	v_add_nc_u32_e32 v36, s3, v34
	v_lshlrev_b64 v[32:33], 3, v[32:33]
	v_ashrrev_i32_e32 v35, 31, v34
	v_add_co_ci_u32_e32 v29, vcc_lo, s1, v2, vcc_lo
	s_delay_alu instid0(VALU_DEP_4) | instskip(SKIP_2) | instid1(VALU_DEP_3)
	v_add_nc_u32_e32 v38, s3, v36
	v_add_co_u32 v30, vcc_lo, s0, v30
	v_add_co_ci_u32_e32 v31, vcc_lo, s1, v31, vcc_lo
	v_add_nc_u32_e32 v56, s3, v38
	v_lshlrev_b64 v[73:74], 3, v[34:35]
	v_ashrrev_i32_e32 v37, 31, v36
	v_add_co_u32 v34, vcc_lo, s0, v32
	s_delay_alu instid0(VALU_DEP_4) | instskip(SKIP_3) | instid1(VALU_DEP_4)
	v_add_nc_u32_e32 v58, s3, v56
	v_add_co_ci_u32_e32 v35, vcc_lo, s1, v33, vcc_lo
	v_ashrrev_i32_e32 v39, 31, v38
	v_lshlrev_b64 v[75:76], 3, v[36:37]
	v_add_nc_u32_e32 v72, s3, v58
	v_add_co_u32 v36, vcc_lo, s0, v73
	v_add_co_ci_u32_e32 v37, vcc_lo, s1, v74, vcc_lo
	s_delay_alu instid0(VALU_DEP_3)
	v_add_nc_u32_e32 v82, s3, v72
	v_ashrrev_i32_e32 v57, 31, v56
	v_lshlrev_b64 v[85:86], 3, v[38:39]
	v_ashrrev_i32_e32 v59, 31, v58
	v_ashrrev_i32_e32 v73, 31, v72
	v_add_nc_u32_e32 v84, s3, v82
	v_lshlrev_b64 v[56:57], 3, v[56:57]
	global_load_b64 v[68:69], v[28:29], off
	v_ashrrev_i32_e32 v83, 31, v82
	v_add_nc_u32_e32 v90, s3, v84
	s_delay_alu instid0(VALU_DEP_1) | instskip(SKIP_1) | instid1(VALU_DEP_2)
	v_add_nc_u32_e32 v92, s3, v90
	v_ashrrev_i32_e32 v91, 31, v90
	v_add_nc_u32_e32 v94, s3, v92
	v_ashrrev_i32_e32 v93, 31, v92
	s_delay_alu instid0(VALU_DEP_2) | instskip(SKIP_1) | instid1(VALU_DEP_2)
	v_add_nc_u32_e32 v1, s3, v94
	v_ashrrev_i32_e32 v95, 31, v94
	v_add_nc_u32_e32 v70, s3, v1
	v_ashrrev_i32_e32 v2, 31, v1
	s_delay_alu instid0(VALU_DEP_2) | instskip(NEXT) | instid1(VALU_DEP_2)
	v_ashrrev_i32_e32 v71, 31, v70
	v_lshlrev_b64 v[1:2], 3, v[1:2]
	s_delay_alu instid0(VALU_DEP_2) | instskip(NEXT) | instid1(VALU_DEP_1)
	v_lshlrev_b64 v[32:33], 3, v[70:71]
	v_add_co_u32 v32, vcc_lo, s0, v32
	s_delay_alu instid0(VALU_DEP_2)
	v_add_co_ci_u32_e32 v33, vcc_lo, s1, v33, vcc_lo
	v_add_co_u32 v38, vcc_lo, s0, v75
	v_add_co_ci_u32_e32 v39, vcc_lo, s1, v76, vcc_lo
	global_load_b64 v[74:75], v[32:33], off
	s_waitcnt vmcnt(12)
	scratch_store_b128 off, v[40:43], off
	s_waitcnt vmcnt(10)
	scratch_store_b128 off, v[44:47], off offset:16
	v_add_co_u32 v40, vcc_lo, s0, v85
	v_lshlrev_b64 v[44:45], 3, v[58:59]
	v_add_co_ci_u32_e32 v41, vcc_lo, s1, v86, vcc_lo
	v_add_co_u32 v42, vcc_lo, s0, v56
	v_lshlrev_b64 v[46:47], 3, v[72:73]
	v_ashrrev_i32_e32 v85, 31, v84
	v_add_co_ci_u32_e32 v43, vcc_lo, s1, v57, vcc_lo
	v_add_co_u32 v44, vcc_lo, s0, v44
	v_lshlrev_b64 v[56:57], 3, v[82:83]
	v_add_co_ci_u32_e32 v45, vcc_lo, s1, v45, vcc_lo
	v_add_co_u32 v46, vcc_lo, s0, v46
	v_lshlrev_b64 v[58:59], 3, v[84:85]
	v_add_co_ci_u32_e32 v47, vcc_lo, s1, v47, vcc_lo
	s_clause 0x3
	global_load_b64 v[70:71], v[30:31], off
	global_load_b64 v[76:77], v[34:35], off
	;; [unrolled: 1-line block ×4, first 2 shown]
	s_waitcnt vmcnt(12)
	scratch_store_b128 off, v[48:51], off offset:32
	s_waitcnt vmcnt(10)
	scratch_store_b128 off, v[52:55], off offset:48
	v_add_co_u32 v48, vcc_lo, s0, v56
	v_lshlrev_b64 v[52:53], 3, v[90:91]
	v_add_co_ci_u32_e32 v49, vcc_lo, s1, v57, vcc_lo
	v_add_co_u32 v50, vcc_lo, s0, v58
	v_lshlrev_b64 v[54:55], 3, v[92:93]
	v_add_co_ci_u32_e32 v51, vcc_lo, s1, v59, vcc_lo
	;; [unrolled: 3-line block ×3, first 2 shown]
	v_add_co_u32 v54, vcc_lo, s0, v54
	v_add_co_ci_u32_e32 v55, vcc_lo, s1, v55, vcc_lo
	s_delay_alu instid0(VALU_DEP_4)
	v_add_co_u32 v56, vcc_lo, s0, v56
	v_add_co_ci_u32_e32 v57, vcc_lo, s1, v57, vcc_lo
	v_add_co_u32 v58, vcc_lo, s0, v1
	v_add_co_ci_u32_e32 v59, vcc_lo, s1, v2, vcc_lo
	s_clause 0x3
	global_load_b64 v[82:83], v[40:41], off
	global_load_b64 v[84:85], v[42:43], off
	;; [unrolled: 1-line block ×4, first 2 shown]
	s_waitcnt vmcnt(12)
	scratch_store_b128 off, v[60:63], off offset:64
	s_clause 0x2
	global_load_b64 v[90:91], v[48:49], off
	global_load_b64 v[60:61], v[50:51], off
	;; [unrolled: 1-line block ×3, first 2 shown]
	s_waitcnt vmcnt(13)
	scratch_store_b128 off, v[64:67], off offset:80
	s_clause 0x2
	global_load_b64 v[64:65], v[54:55], off
	global_load_b64 v[66:67], v[56:57], off
	;; [unrolled: 1-line block ×3, first 2 shown]
	s_mov_b32 s1, -1
	s_waitcnt vmcnt(13)
	scratch_store_b128 off, v[68:71], off offset:96
	s_waitcnt vmcnt(11)
	scratch_store_b128 off, v[76:79], off offset:112
	;; [unrolled: 2-line block ×8, first 2 shown]
	s_cbranch_scc1 .LBB27_120
; %bb.4:
	v_cmp_eq_u32_e64 s0, 0, v0
	s_delay_alu instid0(VALU_DEP_1)
	s_and_saveexec_b32 s1, s0
	s_cbranch_execz .LBB27_6
; %bb.5:
	v_mov_b32_e32 v1, 0
	ds_store_b32 v1, v1 offset:448
.LBB27_6:
	s_or_b32 exec_lo, exec_lo, s1
	s_waitcnt lgkmcnt(0)
	s_waitcnt_vscnt null, 0x0
	s_barrier
	buffer_gl0_inv
	scratch_load_b64 v[1:2], v3, off
	s_mov_b32 s2, exec_lo
	s_waitcnt vmcnt(0)
	v_cmpx_eq_f64_e32 0, v[1:2]
	s_cbranch_execz .LBB27_10
; %bb.7:
	v_mov_b32_e32 v1, 0
	s_mov_b32 s3, 0
	ds_load_b32 v2, v1 offset:448
	s_waitcnt lgkmcnt(0)
	v_readfirstlane_b32 s1, v2
	v_add_nc_u32_e32 v2, 1, v0
	s_delay_alu instid0(VALU_DEP_2) | instskip(NEXT) | instid1(VALU_DEP_1)
	s_cmp_eq_u32 s1, 0
	v_cmp_gt_i32_e32 vcc_lo, s1, v2
	s_cselect_b32 s4, -1, 0
	s_delay_alu instid0(SALU_CYCLE_1) | instskip(NEXT) | instid1(SALU_CYCLE_1)
	s_or_b32 s4, s4, vcc_lo
	s_and_b32 exec_lo, exec_lo, s4
	s_cbranch_execz .LBB27_10
; %bb.8:
	v_mov_b32_e32 v60, s1
.LBB27_9:                               ; =>This Inner Loop Header: Depth=1
	ds_cmpstore_rtn_b32 v60, v1, v2, v60 offset:448
	s_waitcnt lgkmcnt(0)
	v_cmp_ne_u32_e32 vcc_lo, 0, v60
	v_cmp_le_i32_e64 s1, v60, v2
	s_delay_alu instid0(VALU_DEP_1) | instskip(NEXT) | instid1(SALU_CYCLE_1)
	s_and_b32 s1, vcc_lo, s1
	s_and_b32 s1, exec_lo, s1
	s_delay_alu instid0(SALU_CYCLE_1) | instskip(NEXT) | instid1(SALU_CYCLE_1)
	s_or_b32 s3, s1, s3
	s_and_not1_b32 exec_lo, exec_lo, s3
	s_cbranch_execnz .LBB27_9
.LBB27_10:
	s_or_b32 exec_lo, exec_lo, s2
	v_mov_b32_e32 v1, 0
	s_barrier
	buffer_gl0_inv
	ds_load_b32 v2, v1 offset:448
	s_and_saveexec_b32 s1, s0
	s_cbranch_execz .LBB27_12
; %bb.11:
	s_lshl_b64 s[2:3], s[14:15], 2
	s_delay_alu instid0(SALU_CYCLE_1)
	s_add_u32 s2, s6, s2
	s_addc_u32 s3, s7, s3
	s_waitcnt lgkmcnt(0)
	global_store_b32 v1, v2, s[2:3]
.LBB27_12:
	s_or_b32 exec_lo, exec_lo, s1
	s_waitcnt lgkmcnt(0)
	v_cmp_ne_u32_e32 vcc_lo, 0, v2
	s_mov_b32 s1, 0
	s_cbranch_vccnz .LBB27_120
; %bb.13:
	v_add_nc_u32_e32 v60, 0, v3
	scratch_load_b64 v[1:2], v60, off
	s_waitcnt vmcnt(0)
	v_div_scale_f64 v[61:62], null, v[1:2], v[1:2], 1.0
	v_div_scale_f64 v[67:68], vcc_lo, 1.0, v[1:2], 1.0
	s_delay_alu instid0(VALU_DEP_2) | instskip(SKIP_2) | instid1(VALU_DEP_1)
	v_rcp_f64_e32 v[63:64], v[61:62]
	s_waitcnt_depctr 0xfff
	v_fma_f64 v[65:66], -v[61:62], v[63:64], 1.0
	v_fma_f64 v[63:64], v[63:64], v[65:66], v[63:64]
	s_delay_alu instid0(VALU_DEP_1) | instskip(NEXT) | instid1(VALU_DEP_1)
	v_fma_f64 v[65:66], -v[61:62], v[63:64], 1.0
	v_fma_f64 v[63:64], v[63:64], v[65:66], v[63:64]
	s_delay_alu instid0(VALU_DEP_1) | instskip(NEXT) | instid1(VALU_DEP_1)
	v_mul_f64 v[65:66], v[67:68], v[63:64]
	v_fma_f64 v[61:62], -v[61:62], v[65:66], v[67:68]
	s_delay_alu instid0(VALU_DEP_1) | instskip(NEXT) | instid1(VALU_DEP_1)
	v_div_fmas_f64 v[61:62], v[61:62], v[63:64], v[65:66]
	v_div_fixup_f64 v[1:2], v[61:62], v[1:2], 1.0
	v_add_nc_u32_e32 v61, 0xe0, v3
	scratch_store_b64 v60, v[1:2], off
	scratch_load_b64 v[62:63], off, off offset:8
	v_xor_b32_e32 v2, 0x80000000, v2
	s_waitcnt vmcnt(0)
	ds_store_2addr_b64 v3, v[1:2], v[62:63] offset1:28
	s_waitcnt lgkmcnt(0)
	s_waitcnt_vscnt null, 0x0
	s_barrier
	buffer_gl0_inv
	s_and_saveexec_b32 s1, s0
	s_cbranch_execz .LBB27_15
; %bb.14:
	scratch_load_b64 v[1:2], v60, off
	ds_load_b64 v[62:63], v61
	s_waitcnt vmcnt(0) lgkmcnt(0)
	v_fma_f64 v[1:2], v[1:2], v[62:63], 0
	v_mov_b32_e32 v62, 0
	ds_load_b64 v[62:63], v62 offset:8
	s_waitcnt lgkmcnt(0)
	v_mul_f64 v[1:2], v[1:2], v[62:63]
	scratch_store_b64 off, v[1:2], off offset:8
.LBB27_15:
	s_or_b32 exec_lo, exec_lo, s1
	s_waitcnt_vscnt null, 0x0
	s_barrier
	buffer_gl0_inv
	scratch_load_b64 v[1:2], off, off offset:16
	s_mov_b32 s1, exec_lo
	s_waitcnt vmcnt(0)
	ds_store_b64 v61, v[1:2]
	s_waitcnt lgkmcnt(0)
	s_barrier
	buffer_gl0_inv
	v_cmpx_gt_u32_e32 2, v0
	s_cbranch_execz .LBB27_19
; %bb.16:
	scratch_load_b64 v[1:2], v60, off
	ds_load_b64 v[62:63], v61
	s_waitcnt vmcnt(0) lgkmcnt(0)
	v_fma_f64 v[1:2], v[1:2], v[62:63], 0
	s_and_saveexec_b32 s2, s0
	s_cbranch_execz .LBB27_18
; %bb.17:
	scratch_load_b64 v[62:63], off, off offset:8
	v_mov_b32_e32 v64, 0
	ds_load_b64 v[64:65], v64 offset:232
	s_waitcnt vmcnt(0) lgkmcnt(0)
	v_fma_f64 v[1:2], v[62:63], v[64:65], v[1:2]
.LBB27_18:
	s_or_b32 exec_lo, exec_lo, s2
	v_mov_b32_e32 v62, 0
	ds_load_b64 v[62:63], v62 offset:16
	s_waitcnt lgkmcnt(0)
	v_mul_f64 v[1:2], v[1:2], v[62:63]
	scratch_store_b64 off, v[1:2], off offset:16
.LBB27_19:
	s_or_b32 exec_lo, exec_lo, s1
	s_waitcnt_vscnt null, 0x0
	s_barrier
	buffer_gl0_inv
	scratch_load_b64 v[1:2], off, off offset:24
	v_add_nc_u32_e32 v62, -1, v0
	s_mov_b32 s0, exec_lo
	s_waitcnt vmcnt(0)
	ds_store_b64 v61, v[1:2]
	s_waitcnt lgkmcnt(0)
	s_barrier
	buffer_gl0_inv
	v_cmpx_gt_u32_e32 3, v0
	s_cbranch_execz .LBB27_23
; %bb.20:
	v_dual_mov_b32 v1, 0 :: v_dual_add_nc_u32 v64, 0xe0, v3
	v_dual_mov_b32 v2, 0 :: v_dual_add_nc_u32 v63, -1, v0
	v_add_nc_u32_e32 v65, 0, v3
	s_mov_b32 s1, 0
.LBB27_21:                              ; =>This Inner Loop Header: Depth=1
	scratch_load_b64 v[66:67], v65, off
	ds_load_b64 v[68:69], v64
	v_add_nc_u32_e32 v63, 1, v63
	v_add_nc_u32_e32 v64, 8, v64
	v_add_nc_u32_e32 v65, 8, v65
	s_delay_alu instid0(VALU_DEP_3)
	v_cmp_lt_u32_e32 vcc_lo, 1, v63
	s_or_b32 s1, vcc_lo, s1
	s_waitcnt vmcnt(0) lgkmcnt(0)
	v_fma_f64 v[1:2], v[66:67], v[68:69], v[1:2]
	s_and_not1_b32 exec_lo, exec_lo, s1
	s_cbranch_execnz .LBB27_21
; %bb.22:
	s_or_b32 exec_lo, exec_lo, s1
	v_mov_b32_e32 v63, 0
	ds_load_b64 v[63:64], v63 offset:24
	s_waitcnt lgkmcnt(0)
	v_mul_f64 v[1:2], v[1:2], v[63:64]
	scratch_store_b64 off, v[1:2], off offset:24
.LBB27_23:
	s_or_b32 exec_lo, exec_lo, s0
	s_waitcnt_vscnt null, 0x0
	s_barrier
	buffer_gl0_inv
	scratch_load_b64 v[1:2], off, off offset:32
	s_mov_b32 s0, exec_lo
	s_waitcnt vmcnt(0)
	ds_store_b64 v61, v[1:2]
	s_waitcnt lgkmcnt(0)
	s_barrier
	buffer_gl0_inv
	v_cmpx_gt_u32_e32 4, v0
	s_cbranch_execz .LBB27_27
; %bb.24:
	v_dual_mov_b32 v1, 0 :: v_dual_add_nc_u32 v64, 0xe0, v3
	v_dual_mov_b32 v2, 0 :: v_dual_add_nc_u32 v63, -1, v0
	v_add_nc_u32_e32 v65, 0, v3
	s_mov_b32 s1, 0
.LBB27_25:                              ; =>This Inner Loop Header: Depth=1
	scratch_load_b64 v[66:67], v65, off
	ds_load_b64 v[68:69], v64
	v_add_nc_u32_e32 v63, 1, v63
	v_add_nc_u32_e32 v64, 8, v64
	v_add_nc_u32_e32 v65, 8, v65
	s_delay_alu instid0(VALU_DEP_3)
	v_cmp_lt_u32_e32 vcc_lo, 2, v63
	s_or_b32 s1, vcc_lo, s1
	s_waitcnt vmcnt(0) lgkmcnt(0)
	v_fma_f64 v[1:2], v[66:67], v[68:69], v[1:2]
	s_and_not1_b32 exec_lo, exec_lo, s1
	s_cbranch_execnz .LBB27_25
; %bb.26:
	s_or_b32 exec_lo, exec_lo, s1
	v_mov_b32_e32 v63, 0
	ds_load_b64 v[63:64], v63 offset:32
	s_waitcnt lgkmcnt(0)
	v_mul_f64 v[1:2], v[1:2], v[63:64]
	scratch_store_b64 off, v[1:2], off offset:32
.LBB27_27:
	s_or_b32 exec_lo, exec_lo, s0
	s_waitcnt_vscnt null, 0x0
	s_barrier
	buffer_gl0_inv
	scratch_load_b64 v[1:2], off, off offset:40
	;; [unrolled: 39-line block ×20, first 2 shown]
	s_mov_b32 s0, exec_lo
	s_waitcnt vmcnt(0)
	ds_store_b64 v61, v[1:2]
	s_waitcnt lgkmcnt(0)
	s_barrier
	buffer_gl0_inv
	v_cmpx_gt_u32_e32 23, v0
	s_cbranch_execz .LBB27_103
; %bb.100:
	v_dual_mov_b32 v1, 0 :: v_dual_add_nc_u32 v64, 0xe0, v3
	v_dual_mov_b32 v2, 0 :: v_dual_add_nc_u32 v63, -1, v0
	v_add_nc_u32_e32 v65, 0, v3
	s_mov_b32 s1, 0
.LBB27_101:                             ; =>This Inner Loop Header: Depth=1
	scratch_load_b64 v[66:67], v65, off
	ds_load_b64 v[68:69], v64
	v_add_nc_u32_e32 v63, 1, v63
	v_add_nc_u32_e32 v64, 8, v64
	v_add_nc_u32_e32 v65, 8, v65
	s_delay_alu instid0(VALU_DEP_3)
	v_cmp_lt_u32_e32 vcc_lo, 21, v63
	s_or_b32 s1, vcc_lo, s1
	s_waitcnt vmcnt(0) lgkmcnt(0)
	v_fma_f64 v[1:2], v[66:67], v[68:69], v[1:2]
	s_and_not1_b32 exec_lo, exec_lo, s1
	s_cbranch_execnz .LBB27_101
; %bb.102:
	s_or_b32 exec_lo, exec_lo, s1
	v_mov_b32_e32 v63, 0
	ds_load_b64 v[63:64], v63 offset:184
	s_waitcnt lgkmcnt(0)
	v_mul_f64 v[1:2], v[1:2], v[63:64]
	scratch_store_b64 off, v[1:2], off offset:184
.LBB27_103:
	s_or_b32 exec_lo, exec_lo, s0
	s_waitcnt_vscnt null, 0x0
	s_barrier
	buffer_gl0_inv
	scratch_load_b64 v[1:2], off, off offset:192
	s_mov_b32 s0, exec_lo
	s_waitcnt vmcnt(0)
	ds_store_b64 v61, v[1:2]
	s_waitcnt lgkmcnt(0)
	s_barrier
	buffer_gl0_inv
	v_cmpx_gt_u32_e32 24, v0
	s_cbranch_execz .LBB27_107
; %bb.104:
	v_dual_mov_b32 v1, 0 :: v_dual_add_nc_u32 v64, 0xe0, v3
	v_dual_mov_b32 v2, 0 :: v_dual_add_nc_u32 v63, -1, v0
	v_add_nc_u32_e32 v65, 0, v3
	s_mov_b32 s1, 0
.LBB27_105:                             ; =>This Inner Loop Header: Depth=1
	scratch_load_b64 v[66:67], v65, off
	ds_load_b64 v[68:69], v64
	v_add_nc_u32_e32 v63, 1, v63
	v_add_nc_u32_e32 v64, 8, v64
	v_add_nc_u32_e32 v65, 8, v65
	s_delay_alu instid0(VALU_DEP_3)
	v_cmp_lt_u32_e32 vcc_lo, 22, v63
	s_or_b32 s1, vcc_lo, s1
	s_waitcnt vmcnt(0) lgkmcnt(0)
	v_fma_f64 v[1:2], v[66:67], v[68:69], v[1:2]
	s_and_not1_b32 exec_lo, exec_lo, s1
	s_cbranch_execnz .LBB27_105
; %bb.106:
	s_or_b32 exec_lo, exec_lo, s1
	v_mov_b32_e32 v63, 0
	ds_load_b64 v[63:64], v63 offset:192
	s_waitcnt lgkmcnt(0)
	v_mul_f64 v[1:2], v[1:2], v[63:64]
	scratch_store_b64 off, v[1:2], off offset:192
.LBB27_107:
	s_or_b32 exec_lo, exec_lo, s0
	s_waitcnt_vscnt null, 0x0
	s_barrier
	buffer_gl0_inv
	scratch_load_b64 v[1:2], off, off offset:200
	;; [unrolled: 39-line block ×4, first 2 shown]
	s_mov_b32 s0, exec_lo
	s_waitcnt vmcnt(0)
	ds_store_b64 v61, v[1:2]
	s_waitcnt lgkmcnt(0)
	s_barrier
	buffer_gl0_inv
	v_cmpx_ne_u32_e32 27, v0
	s_cbranch_execz .LBB27_119
; %bb.116:
	v_mov_b32_e32 v1, 0
	v_mov_b32_e32 v2, 0
	s_mov_b32 s1, 0
.LBB27_117:                             ; =>This Inner Loop Header: Depth=1
	scratch_load_b64 v[63:64], v60, off
	ds_load_b64 v[65:66], v61
	v_add_nc_u32_e32 v62, 1, v62
	v_add_nc_u32_e32 v61, 8, v61
	v_add_nc_u32_e32 v60, 8, v60
	s_delay_alu instid0(VALU_DEP_3)
	v_cmp_lt_u32_e32 vcc_lo, 25, v62
	s_or_b32 s1, vcc_lo, s1
	s_waitcnt vmcnt(0) lgkmcnt(0)
	v_fma_f64 v[1:2], v[63:64], v[65:66], v[1:2]
	s_and_not1_b32 exec_lo, exec_lo, s1
	s_cbranch_execnz .LBB27_117
; %bb.118:
	s_or_b32 exec_lo, exec_lo, s1
	v_mov_b32_e32 v3, 0
	ds_load_b64 v[60:61], v3 offset:216
	s_waitcnt lgkmcnt(0)
	v_mul_f64 v[1:2], v[1:2], v[60:61]
	scratch_store_b64 off, v[1:2], off offset:216
.LBB27_119:
	s_or_b32 exec_lo, exec_lo, s0
	s_mov_b32 s1, -1
	s_waitcnt_vscnt null, 0x0
	s_barrier
	buffer_gl0_inv
.LBB27_120:
	s_and_b32 vcc_lo, exec_lo, s1
	s_cbranch_vccz .LBB27_122
; %bb.121:
	s_lshl_b64 s[0:1], s[14:15], 2
	v_mov_b32_e32 v1, 0
	s_add_u32 s0, s6, s0
	s_addc_u32 s1, s7, s1
	global_load_b32 v1, v1, s[0:1]
	s_waitcnt vmcnt(0)
	v_cmp_ne_u32_e32 vcc_lo, 0, v1
	s_cbranch_vccz .LBB27_123
.LBB27_122:
	s_endpgm
.LBB27_123:
	v_lshl_add_u32 v3, v0, 3, 0xe0
	s_mov_b32 s0, exec_lo
	v_cmpx_eq_u32_e32 27, v0
	s_cbranch_execz .LBB27_125
; %bb.124:
	scratch_load_b64 v[1:2], off, off offset:208
	v_mov_b32_e32 v60, 0
	s_delay_alu instid0(VALU_DEP_1)
	v_mov_b32_e32 v61, v60
	scratch_store_b64 off, v[60:61], off offset:208
	s_waitcnt vmcnt(0)
	ds_store_b64 v3, v[1:2]
.LBB27_125:
	s_or_b32 exec_lo, exec_lo, s0
	s_waitcnt lgkmcnt(0)
	s_waitcnt_vscnt null, 0x0
	s_barrier
	buffer_gl0_inv
	scratch_load_b128 v[60:63], off, off offset:208
	v_mov_b32_e32 v1, 0
	s_mov_b32 s0, exec_lo
	ds_load_b64 v[64:65], v1 offset:440
	s_waitcnt vmcnt(0) lgkmcnt(0)
	v_fma_f64 v[62:63], v[62:63], v[64:65], 0
	s_delay_alu instid0(VALU_DEP_1)
	v_add_f64 v[60:61], v[60:61], -v[62:63]
	scratch_store_b64 off, v[60:61], off offset:208
	v_cmpx_lt_u32_e32 25, v0
	s_cbranch_execz .LBB27_127
; %bb.126:
	scratch_load_b64 v[60:61], off, off offset:200
	v_mov_b32_e32 v2, v1
	scratch_store_b64 off, v[1:2], off offset:200
	s_waitcnt vmcnt(0)
	ds_store_b64 v3, v[60:61]
.LBB27_127:
	s_or_b32 exec_lo, exec_lo, s0
	s_waitcnt lgkmcnt(0)
	s_waitcnt_vscnt null, 0x0
	s_barrier
	buffer_gl0_inv
	s_clause 0x1
	scratch_load_b128 v[60:63], off, off offset:200
	scratch_load_b64 v[68:69], off, off offset:216
	ds_load_b128 v[64:67], v1 offset:432
	s_mov_b32 s0, exec_lo
	s_waitcnt vmcnt(1) lgkmcnt(0)
	v_fma_f64 v[1:2], v[62:63], v[64:65], 0
	s_waitcnt vmcnt(0)
	s_delay_alu instid0(VALU_DEP_1) | instskip(NEXT) | instid1(VALU_DEP_1)
	v_fma_f64 v[1:2], v[68:69], v[66:67], v[1:2]
	v_add_f64 v[1:2], v[60:61], -v[1:2]
	scratch_store_b64 off, v[1:2], off offset:200
	v_cmpx_lt_u32_e32 24, v0
	s_cbranch_execz .LBB27_129
; %bb.128:
	scratch_load_b64 v[1:2], off, off offset:192
	v_mov_b32_e32 v60, 0
	s_delay_alu instid0(VALU_DEP_1)
	v_mov_b32_e32 v61, v60
	scratch_store_b64 off, v[60:61], off offset:192
	s_waitcnt vmcnt(0)
	ds_store_b64 v3, v[1:2]
.LBB27_129:
	s_or_b32 exec_lo, exec_lo, s0
	s_waitcnt lgkmcnt(0)
	s_waitcnt_vscnt null, 0x0
	s_barrier
	buffer_gl0_inv
	s_clause 0x1
	scratch_load_b128 v[60:63], off, off offset:192
	scratch_load_b128 v[64:67], off, off offset:208
	v_mov_b32_e32 v1, 0
	ds_load_2addr_b64 v[68:71], v1 offset0:53 offset1:54
	ds_load_b64 v[72:73], v1 offset:440
	s_mov_b32 s0, exec_lo
	s_waitcnt vmcnt(1) lgkmcnt(1)
	v_fma_f64 v[62:63], v[62:63], v[68:69], 0
	s_waitcnt vmcnt(0)
	s_delay_alu instid0(VALU_DEP_1) | instskip(SKIP_1) | instid1(VALU_DEP_1)
	v_fma_f64 v[62:63], v[64:65], v[70:71], v[62:63]
	s_waitcnt lgkmcnt(0)
	v_fma_f64 v[62:63], v[66:67], v[72:73], v[62:63]
	s_delay_alu instid0(VALU_DEP_1)
	v_add_f64 v[60:61], v[60:61], -v[62:63]
	scratch_store_b64 off, v[60:61], off offset:192
	v_cmpx_lt_u32_e32 23, v0
	s_cbranch_execz .LBB27_131
; %bb.130:
	scratch_load_b64 v[60:61], off, off offset:184
	v_mov_b32_e32 v2, v1
	scratch_store_b64 off, v[1:2], off offset:184
	s_waitcnt vmcnt(0)
	ds_store_b64 v3, v[60:61]
.LBB27_131:
	s_or_b32 exec_lo, exec_lo, s0
	s_waitcnt lgkmcnt(0)
	s_waitcnt_vscnt null, 0x0
	s_barrier
	buffer_gl0_inv
	s_clause 0x2
	scratch_load_b128 v[60:63], off, off offset:184
	scratch_load_b128 v[64:67], off, off offset:200
	scratch_load_b64 v[76:77], off, off offset:216
	ds_load_b128 v[68:71], v1 offset:416
	ds_load_b128 v[72:75], v1 offset:432
	s_mov_b32 s0, exec_lo
	s_waitcnt vmcnt(2) lgkmcnt(1)
	v_fma_f64 v[1:2], v[62:63], v[68:69], 0
	s_waitcnt vmcnt(1)
	s_delay_alu instid0(VALU_DEP_1) | instskip(SKIP_1) | instid1(VALU_DEP_1)
	v_fma_f64 v[1:2], v[64:65], v[70:71], v[1:2]
	s_waitcnt lgkmcnt(0)
	v_fma_f64 v[1:2], v[66:67], v[72:73], v[1:2]
	s_waitcnt vmcnt(0)
	s_delay_alu instid0(VALU_DEP_1) | instskip(NEXT) | instid1(VALU_DEP_1)
	v_fma_f64 v[1:2], v[76:77], v[74:75], v[1:2]
	v_add_f64 v[1:2], v[60:61], -v[1:2]
	scratch_store_b64 off, v[1:2], off offset:184
	v_cmpx_lt_u32_e32 22, v0
	s_cbranch_execz .LBB27_133
; %bb.132:
	scratch_load_b64 v[1:2], off, off offset:176
	v_mov_b32_e32 v60, 0
	s_delay_alu instid0(VALU_DEP_1)
	v_mov_b32_e32 v61, v60
	scratch_store_b64 off, v[60:61], off offset:176
	s_waitcnt vmcnt(0)
	ds_store_b64 v3, v[1:2]
.LBB27_133:
	s_or_b32 exec_lo, exec_lo, s0
	s_waitcnt lgkmcnt(0)
	s_waitcnt_vscnt null, 0x0
	s_barrier
	buffer_gl0_inv
	s_clause 0x2
	scratch_load_b128 v[60:63], off, off offset:176
	scratch_load_b128 v[64:67], off, off offset:192
	;; [unrolled: 1-line block ×3, first 2 shown]
	v_mov_b32_e32 v1, 0
	ds_load_2addr_b64 v[72:75], v1 offset0:51 offset1:52
	ds_load_2addr_b64 v[76:79], v1 offset0:53 offset1:54
	s_mov_b32 s0, exec_lo
	s_waitcnt vmcnt(2) lgkmcnt(1)
	v_fma_f64 v[62:63], v[62:63], v[72:73], 0
	s_waitcnt vmcnt(1)
	s_delay_alu instid0(VALU_DEP_1) | instskip(SKIP_4) | instid1(VALU_DEP_1)
	v_fma_f64 v[62:63], v[64:65], v[74:75], v[62:63]
	ds_load_b64 v[64:65], v1 offset:440
	s_waitcnt lgkmcnt(1)
	v_fma_f64 v[62:63], v[66:67], v[76:77], v[62:63]
	s_waitcnt vmcnt(0)
	v_fma_f64 v[62:63], v[68:69], v[78:79], v[62:63]
	s_waitcnt lgkmcnt(0)
	s_delay_alu instid0(VALU_DEP_1) | instskip(NEXT) | instid1(VALU_DEP_1)
	v_fma_f64 v[62:63], v[70:71], v[64:65], v[62:63]
	v_add_f64 v[60:61], v[60:61], -v[62:63]
	scratch_store_b64 off, v[60:61], off offset:176
	v_cmpx_lt_u32_e32 21, v0
	s_cbranch_execz .LBB27_135
; %bb.134:
	scratch_load_b64 v[60:61], off, off offset:168
	v_mov_b32_e32 v2, v1
	scratch_store_b64 off, v[1:2], off offset:168
	s_waitcnt vmcnt(0)
	ds_store_b64 v3, v[60:61]
.LBB27_135:
	s_or_b32 exec_lo, exec_lo, s0
	s_waitcnt lgkmcnt(0)
	s_waitcnt_vscnt null, 0x0
	s_barrier
	buffer_gl0_inv
	s_clause 0x3
	scratch_load_b128 v[60:63], off, off offset:168
	scratch_load_b128 v[64:67], off, off offset:184
	;; [unrolled: 1-line block ×3, first 2 shown]
	scratch_load_b64 v[80:81], off, off offset:216
	ds_load_b128 v[72:75], v1 offset:400
	ds_load_b128 v[76:79], v1 offset:416
	s_mov_b32 s0, exec_lo
	s_waitcnt vmcnt(3) lgkmcnt(1)
	v_fma_f64 v[62:63], v[62:63], v[72:73], 0
	s_waitcnt vmcnt(2)
	s_delay_alu instid0(VALU_DEP_1) | instskip(SKIP_1) | instid1(VALU_DEP_1)
	v_fma_f64 v[62:63], v[64:65], v[74:75], v[62:63]
	s_waitcnt lgkmcnt(0)
	v_fma_f64 v[62:63], v[66:67], v[76:77], v[62:63]
	s_waitcnt vmcnt(1)
	s_delay_alu instid0(VALU_DEP_1) | instskip(SKIP_4) | instid1(VALU_DEP_1)
	v_fma_f64 v[66:67], v[68:69], v[78:79], v[62:63]
	ds_load_b128 v[62:65], v1 offset:432
	s_waitcnt lgkmcnt(0)
	v_fma_f64 v[1:2], v[70:71], v[62:63], v[66:67]
	s_waitcnt vmcnt(0)
	v_fma_f64 v[1:2], v[80:81], v[64:65], v[1:2]
	s_delay_alu instid0(VALU_DEP_1)
	v_add_f64 v[1:2], v[60:61], -v[1:2]
	scratch_store_b64 off, v[1:2], off offset:168
	v_cmpx_lt_u32_e32 20, v0
	s_cbranch_execz .LBB27_137
; %bb.136:
	scratch_load_b64 v[1:2], off, off offset:160
	v_mov_b32_e32 v60, 0
	s_delay_alu instid0(VALU_DEP_1)
	v_mov_b32_e32 v61, v60
	scratch_store_b64 off, v[60:61], off offset:160
	s_waitcnt vmcnt(0)
	ds_store_b64 v3, v[1:2]
.LBB27_137:
	s_or_b32 exec_lo, exec_lo, s0
	s_waitcnt lgkmcnt(0)
	s_waitcnt_vscnt null, 0x0
	s_barrier
	buffer_gl0_inv
	s_clause 0x3
	scratch_load_b128 v[60:63], off, off offset:160
	scratch_load_b128 v[64:67], off, off offset:176
	;; [unrolled: 1-line block ×4, first 2 shown]
	v_mov_b32_e32 v1, 0
	ds_load_2addr_b64 v[76:79], v1 offset0:49 offset1:50
	ds_load_2addr_b64 v[80:83], v1 offset0:51 offset1:52
	s_mov_b32 s0, exec_lo
	s_waitcnt vmcnt(3) lgkmcnt(1)
	v_fma_f64 v[62:63], v[62:63], v[76:77], 0
	s_waitcnt vmcnt(2)
	s_delay_alu instid0(VALU_DEP_1) | instskip(SKIP_1) | instid1(VALU_DEP_1)
	v_fma_f64 v[62:63], v[64:65], v[78:79], v[62:63]
	s_waitcnt lgkmcnt(0)
	v_fma_f64 v[62:63], v[66:67], v[80:81], v[62:63]
	s_waitcnt vmcnt(1)
	s_delay_alu instid0(VALU_DEP_1)
	v_fma_f64 v[66:67], v[68:69], v[82:83], v[62:63]
	ds_load_2addr_b64 v[62:65], v1 offset0:53 offset1:54
	ds_load_b64 v[68:69], v1 offset:440
	s_waitcnt lgkmcnt(1)
	v_fma_f64 v[62:63], v[70:71], v[62:63], v[66:67]
	s_waitcnt vmcnt(0)
	s_delay_alu instid0(VALU_DEP_1) | instskip(SKIP_1) | instid1(VALU_DEP_1)
	v_fma_f64 v[62:63], v[72:73], v[64:65], v[62:63]
	s_waitcnt lgkmcnt(0)
	v_fma_f64 v[62:63], v[74:75], v[68:69], v[62:63]
	s_delay_alu instid0(VALU_DEP_1)
	v_add_f64 v[60:61], v[60:61], -v[62:63]
	scratch_store_b64 off, v[60:61], off offset:160
	v_cmpx_lt_u32_e32 19, v0
	s_cbranch_execz .LBB27_139
; %bb.138:
	scratch_load_b64 v[60:61], off, off offset:152
	v_mov_b32_e32 v2, v1
	scratch_store_b64 off, v[1:2], off offset:152
	s_waitcnt vmcnt(0)
	ds_store_b64 v3, v[60:61]
.LBB27_139:
	s_or_b32 exec_lo, exec_lo, s0
	s_waitcnt lgkmcnt(0)
	s_waitcnt_vscnt null, 0x0
	s_barrier
	buffer_gl0_inv
	s_clause 0x4
	scratch_load_b128 v[60:63], off, off offset:152
	scratch_load_b128 v[64:67], off, off offset:168
	scratch_load_b128 v[68:71], off, off offset:184
	scratch_load_b128 v[72:75], off, off offset:200
	scratch_load_b64 v[84:85], off, off offset:216
	ds_load_b128 v[76:79], v1 offset:384
	ds_load_b128 v[80:83], v1 offset:400
	s_mov_b32 s0, exec_lo
	s_waitcnt vmcnt(4) lgkmcnt(1)
	v_fma_f64 v[62:63], v[62:63], v[76:77], 0
	s_waitcnt vmcnt(3)
	s_delay_alu instid0(VALU_DEP_1) | instskip(SKIP_1) | instid1(VALU_DEP_1)
	v_fma_f64 v[62:63], v[64:65], v[78:79], v[62:63]
	s_waitcnt lgkmcnt(0)
	v_fma_f64 v[62:63], v[66:67], v[80:81], v[62:63]
	s_waitcnt vmcnt(2)
	s_delay_alu instid0(VALU_DEP_1)
	v_fma_f64 v[76:77], v[68:69], v[82:83], v[62:63]
	ds_load_b128 v[62:65], v1 offset:416
	ds_load_b128 v[66:69], v1 offset:432
	s_waitcnt lgkmcnt(1)
	v_fma_f64 v[1:2], v[70:71], v[62:63], v[76:77]
	s_waitcnt vmcnt(1)
	s_delay_alu instid0(VALU_DEP_1) | instskip(SKIP_1) | instid1(VALU_DEP_1)
	v_fma_f64 v[1:2], v[72:73], v[64:65], v[1:2]
	s_waitcnt lgkmcnt(0)
	v_fma_f64 v[1:2], v[74:75], v[66:67], v[1:2]
	s_waitcnt vmcnt(0)
	s_delay_alu instid0(VALU_DEP_1) | instskip(NEXT) | instid1(VALU_DEP_1)
	v_fma_f64 v[1:2], v[84:85], v[68:69], v[1:2]
	v_add_f64 v[1:2], v[60:61], -v[1:2]
	scratch_store_b64 off, v[1:2], off offset:152
	v_cmpx_lt_u32_e32 18, v0
	s_cbranch_execz .LBB27_141
; %bb.140:
	scratch_load_b64 v[1:2], off, off offset:144
	v_mov_b32_e32 v60, 0
	s_delay_alu instid0(VALU_DEP_1)
	v_mov_b32_e32 v61, v60
	scratch_store_b64 off, v[60:61], off offset:144
	s_waitcnt vmcnt(0)
	ds_store_b64 v3, v[1:2]
.LBB27_141:
	s_or_b32 exec_lo, exec_lo, s0
	s_waitcnt lgkmcnt(0)
	s_waitcnt_vscnt null, 0x0
	s_barrier
	buffer_gl0_inv
	s_clause 0x4
	scratch_load_b128 v[60:63], off, off offset:144
	scratch_load_b128 v[64:67], off, off offset:160
	;; [unrolled: 1-line block ×5, first 2 shown]
	v_mov_b32_e32 v1, 0
	ds_load_2addr_b64 v[80:83], v1 offset0:47 offset1:48
	ds_load_2addr_b64 v[84:87], v1 offset0:49 offset1:50
	s_mov_b32 s0, exec_lo
	s_waitcnt vmcnt(4) lgkmcnt(1)
	v_fma_f64 v[62:63], v[62:63], v[80:81], 0
	s_waitcnt vmcnt(3)
	s_delay_alu instid0(VALU_DEP_1) | instskip(SKIP_1) | instid1(VALU_DEP_1)
	v_fma_f64 v[62:63], v[64:65], v[82:83], v[62:63]
	s_waitcnt lgkmcnt(0)
	v_fma_f64 v[62:63], v[66:67], v[84:85], v[62:63]
	s_waitcnt vmcnt(2)
	s_delay_alu instid0(VALU_DEP_1)
	v_fma_f64 v[80:81], v[68:69], v[86:87], v[62:63]
	ds_load_2addr_b64 v[62:65], v1 offset0:51 offset1:52
	ds_load_2addr_b64 v[66:69], v1 offset0:53 offset1:54
	s_waitcnt lgkmcnt(1)
	v_fma_f64 v[62:63], v[70:71], v[62:63], v[80:81]
	s_waitcnt vmcnt(1)
	s_delay_alu instid0(VALU_DEP_1) | instskip(SKIP_4) | instid1(VALU_DEP_1)
	v_fma_f64 v[62:63], v[72:73], v[64:65], v[62:63]
	ds_load_b64 v[64:65], v1 offset:440
	s_waitcnt lgkmcnt(1)
	v_fma_f64 v[62:63], v[74:75], v[66:67], v[62:63]
	s_waitcnt vmcnt(0)
	v_fma_f64 v[62:63], v[76:77], v[68:69], v[62:63]
	s_waitcnt lgkmcnt(0)
	s_delay_alu instid0(VALU_DEP_1) | instskip(NEXT) | instid1(VALU_DEP_1)
	v_fma_f64 v[62:63], v[78:79], v[64:65], v[62:63]
	v_add_f64 v[60:61], v[60:61], -v[62:63]
	scratch_store_b64 off, v[60:61], off offset:144
	v_cmpx_lt_u32_e32 17, v0
	s_cbranch_execz .LBB27_143
; %bb.142:
	scratch_load_b64 v[60:61], off, off offset:136
	v_mov_b32_e32 v2, v1
	scratch_store_b64 off, v[1:2], off offset:136
	s_waitcnt vmcnt(0)
	ds_store_b64 v3, v[60:61]
.LBB27_143:
	s_or_b32 exec_lo, exec_lo, s0
	s_waitcnt lgkmcnt(0)
	s_waitcnt_vscnt null, 0x0
	s_barrier
	buffer_gl0_inv
	s_clause 0x4
	scratch_load_b128 v[60:63], off, off offset:136
	scratch_load_b128 v[64:67], off, off offset:152
	scratch_load_b128 v[68:71], off, off offset:168
	scratch_load_b128 v[72:75], off, off offset:184
	scratch_load_b128 v[76:79], off, off offset:200
	ds_load_b128 v[80:83], v1 offset:368
	ds_load_b128 v[84:87], v1 offset:384
	s_mov_b32 s0, exec_lo
	s_waitcnt vmcnt(4) lgkmcnt(1)
	v_fma_f64 v[62:63], v[62:63], v[80:81], 0
	scratch_load_b64 v[80:81], off, off offset:216
	s_waitcnt vmcnt(4)
	v_fma_f64 v[62:63], v[64:65], v[82:83], v[62:63]
	s_waitcnt lgkmcnt(0)
	s_delay_alu instid0(VALU_DEP_1) | instskip(SKIP_1) | instid1(VALU_DEP_1)
	v_fma_f64 v[62:63], v[66:67], v[84:85], v[62:63]
	s_waitcnt vmcnt(3)
	v_fma_f64 v[82:83], v[68:69], v[86:87], v[62:63]
	ds_load_b128 v[62:65], v1 offset:400
	ds_load_b128 v[66:69], v1 offset:416
	s_waitcnt lgkmcnt(1)
	v_fma_f64 v[62:63], v[70:71], v[62:63], v[82:83]
	s_waitcnt vmcnt(2)
	s_delay_alu instid0(VALU_DEP_1) | instskip(SKIP_1) | instid1(VALU_DEP_1)
	v_fma_f64 v[62:63], v[72:73], v[64:65], v[62:63]
	s_waitcnt lgkmcnt(0)
	v_fma_f64 v[62:63], v[74:75], v[66:67], v[62:63]
	s_waitcnt vmcnt(1)
	s_delay_alu instid0(VALU_DEP_1) | instskip(SKIP_4) | instid1(VALU_DEP_1)
	v_fma_f64 v[66:67], v[76:77], v[68:69], v[62:63]
	ds_load_b128 v[62:65], v1 offset:432
	s_waitcnt lgkmcnt(0)
	v_fma_f64 v[1:2], v[78:79], v[62:63], v[66:67]
	s_waitcnt vmcnt(0)
	v_fma_f64 v[1:2], v[80:81], v[64:65], v[1:2]
	s_delay_alu instid0(VALU_DEP_1)
	v_add_f64 v[1:2], v[60:61], -v[1:2]
	scratch_store_b64 off, v[1:2], off offset:136
	v_cmpx_lt_u32_e32 16, v0
	s_cbranch_execz .LBB27_145
; %bb.144:
	scratch_load_b64 v[1:2], off, off offset:128
	v_mov_b32_e32 v60, 0
	s_delay_alu instid0(VALU_DEP_1)
	v_mov_b32_e32 v61, v60
	scratch_store_b64 off, v[60:61], off offset:128
	s_waitcnt vmcnt(0)
	ds_store_b64 v3, v[1:2]
.LBB27_145:
	s_or_b32 exec_lo, exec_lo, s0
	s_waitcnt lgkmcnt(0)
	s_waitcnt_vscnt null, 0x0
	s_barrier
	buffer_gl0_inv
	s_clause 0x4
	scratch_load_b128 v[60:63], off, off offset:128
	scratch_load_b128 v[64:67], off, off offset:144
	;; [unrolled: 1-line block ×5, first 2 shown]
	v_mov_b32_e32 v1, 0
	ds_load_2addr_b64 v[80:83], v1 offset0:45 offset1:46
	ds_load_2addr_b64 v[84:87], v1 offset0:47 offset1:48
	scratch_load_b128 v[88:91], off, off offset:208
	s_mov_b32 s0, exec_lo
	s_waitcnt vmcnt(5) lgkmcnt(1)
	v_fma_f64 v[62:63], v[62:63], v[80:81], 0
	s_waitcnt vmcnt(4)
	s_delay_alu instid0(VALU_DEP_1) | instskip(SKIP_1) | instid1(VALU_DEP_1)
	v_fma_f64 v[62:63], v[64:65], v[82:83], v[62:63]
	s_waitcnt lgkmcnt(0)
	v_fma_f64 v[62:63], v[66:67], v[84:85], v[62:63]
	s_waitcnt vmcnt(3)
	s_delay_alu instid0(VALU_DEP_1)
	v_fma_f64 v[80:81], v[68:69], v[86:87], v[62:63]
	ds_load_2addr_b64 v[62:65], v1 offset0:49 offset1:50
	ds_load_2addr_b64 v[66:69], v1 offset0:51 offset1:52
	s_waitcnt lgkmcnt(1)
	v_fma_f64 v[62:63], v[70:71], v[62:63], v[80:81]
	s_waitcnt vmcnt(2)
	s_delay_alu instid0(VALU_DEP_1) | instskip(SKIP_1) | instid1(VALU_DEP_1)
	v_fma_f64 v[62:63], v[72:73], v[64:65], v[62:63]
	s_waitcnt lgkmcnt(0)
	v_fma_f64 v[62:63], v[74:75], v[66:67], v[62:63]
	s_waitcnt vmcnt(1)
	s_delay_alu instid0(VALU_DEP_1)
	v_fma_f64 v[66:67], v[76:77], v[68:69], v[62:63]
	ds_load_2addr_b64 v[62:65], v1 offset0:53 offset1:54
	ds_load_b64 v[68:69], v1 offset:440
	s_waitcnt lgkmcnt(1)
	v_fma_f64 v[62:63], v[78:79], v[62:63], v[66:67]
	s_waitcnt vmcnt(0)
	s_delay_alu instid0(VALU_DEP_1) | instskip(SKIP_1) | instid1(VALU_DEP_1)
	v_fma_f64 v[62:63], v[88:89], v[64:65], v[62:63]
	s_waitcnt lgkmcnt(0)
	v_fma_f64 v[62:63], v[90:91], v[68:69], v[62:63]
	s_delay_alu instid0(VALU_DEP_1)
	v_add_f64 v[60:61], v[60:61], -v[62:63]
	scratch_store_b64 off, v[60:61], off offset:128
	v_cmpx_lt_u32_e32 15, v0
	s_cbranch_execz .LBB27_147
; %bb.146:
	scratch_load_b64 v[60:61], off, off offset:120
	v_mov_b32_e32 v2, v1
	scratch_store_b64 off, v[1:2], off offset:120
	s_waitcnt vmcnt(0)
	ds_store_b64 v3, v[60:61]
.LBB27_147:
	s_or_b32 exec_lo, exec_lo, s0
	s_waitcnt lgkmcnt(0)
	s_waitcnt_vscnt null, 0x0
	s_barrier
	buffer_gl0_inv
	s_clause 0x4
	scratch_load_b128 v[60:63], off, off offset:120
	scratch_load_b128 v[64:67], off, off offset:136
	;; [unrolled: 1-line block ×5, first 2 shown]
	ds_load_b128 v[80:83], v1 offset:352
	ds_load_b128 v[84:87], v1 offset:368
	scratch_load_b128 v[88:91], off, off offset:200
	s_mov_b32 s0, exec_lo
	s_waitcnt vmcnt(5) lgkmcnt(1)
	v_fma_f64 v[62:63], v[62:63], v[80:81], 0
	scratch_load_b64 v[80:81], off, off offset:216
	s_waitcnt vmcnt(5)
	v_fma_f64 v[62:63], v[64:65], v[82:83], v[62:63]
	s_waitcnt lgkmcnt(0)
	s_delay_alu instid0(VALU_DEP_1) | instskip(SKIP_1) | instid1(VALU_DEP_1)
	v_fma_f64 v[62:63], v[66:67], v[84:85], v[62:63]
	s_waitcnt vmcnt(4)
	v_fma_f64 v[82:83], v[68:69], v[86:87], v[62:63]
	ds_load_b128 v[62:65], v1 offset:384
	ds_load_b128 v[66:69], v1 offset:400
	s_waitcnt lgkmcnt(1)
	v_fma_f64 v[62:63], v[70:71], v[62:63], v[82:83]
	s_waitcnt vmcnt(3)
	s_delay_alu instid0(VALU_DEP_1) | instskip(SKIP_1) | instid1(VALU_DEP_1)
	v_fma_f64 v[62:63], v[72:73], v[64:65], v[62:63]
	s_waitcnt lgkmcnt(0)
	v_fma_f64 v[62:63], v[74:75], v[66:67], v[62:63]
	s_waitcnt vmcnt(2)
	s_delay_alu instid0(VALU_DEP_1)
	v_fma_f64 v[70:71], v[76:77], v[68:69], v[62:63]
	ds_load_b128 v[62:65], v1 offset:416
	ds_load_b128 v[66:69], v1 offset:432
	s_waitcnt lgkmcnt(1)
	v_fma_f64 v[1:2], v[78:79], v[62:63], v[70:71]
	s_waitcnt vmcnt(1)
	s_delay_alu instid0(VALU_DEP_1) | instskip(SKIP_1) | instid1(VALU_DEP_1)
	v_fma_f64 v[1:2], v[88:89], v[64:65], v[1:2]
	s_waitcnt lgkmcnt(0)
	v_fma_f64 v[1:2], v[90:91], v[66:67], v[1:2]
	s_waitcnt vmcnt(0)
	s_delay_alu instid0(VALU_DEP_1) | instskip(NEXT) | instid1(VALU_DEP_1)
	v_fma_f64 v[1:2], v[80:81], v[68:69], v[1:2]
	v_add_f64 v[1:2], v[60:61], -v[1:2]
	scratch_store_b64 off, v[1:2], off offset:120
	v_cmpx_lt_u32_e32 14, v0
	s_cbranch_execz .LBB27_149
; %bb.148:
	scratch_load_b64 v[1:2], off, off offset:112
	v_mov_b32_e32 v60, 0
	s_delay_alu instid0(VALU_DEP_1)
	v_mov_b32_e32 v61, v60
	scratch_store_b64 off, v[60:61], off offset:112
	s_waitcnt vmcnt(0)
	ds_store_b64 v3, v[1:2]
.LBB27_149:
	s_or_b32 exec_lo, exec_lo, s0
	s_waitcnt lgkmcnt(0)
	s_waitcnt_vscnt null, 0x0
	s_barrier
	buffer_gl0_inv
	s_clause 0x4
	scratch_load_b128 v[60:63], off, off offset:112
	scratch_load_b128 v[64:67], off, off offset:128
	;; [unrolled: 1-line block ×5, first 2 shown]
	v_mov_b32_e32 v1, 0
	ds_load_2addr_b64 v[80:83], v1 offset0:43 offset1:44
	ds_load_2addr_b64 v[84:87], v1 offset0:45 offset1:46
	scratch_load_b128 v[88:91], off, off offset:192
	s_mov_b32 s0, exec_lo
	s_waitcnt vmcnt(5) lgkmcnt(1)
	v_fma_f64 v[62:63], v[62:63], v[80:81], 0
	s_waitcnt vmcnt(4)
	s_delay_alu instid0(VALU_DEP_1) | instskip(SKIP_1) | instid1(VALU_DEP_1)
	v_fma_f64 v[62:63], v[64:65], v[82:83], v[62:63]
	s_waitcnt lgkmcnt(0)
	v_fma_f64 v[66:67], v[66:67], v[84:85], v[62:63]
	scratch_load_b128 v[62:65], off, off offset:208
	s_waitcnt vmcnt(4)
	v_fma_f64 v[84:85], v[68:69], v[86:87], v[66:67]
	ds_load_2addr_b64 v[66:69], v1 offset0:47 offset1:48
	ds_load_2addr_b64 v[80:83], v1 offset0:49 offset1:50
	s_waitcnt lgkmcnt(1)
	v_fma_f64 v[66:67], v[70:71], v[66:67], v[84:85]
	s_waitcnt vmcnt(3)
	s_delay_alu instid0(VALU_DEP_1) | instskip(SKIP_1) | instid1(VALU_DEP_1)
	v_fma_f64 v[66:67], v[72:73], v[68:69], v[66:67]
	s_waitcnt lgkmcnt(0)
	v_fma_f64 v[66:67], v[74:75], v[80:81], v[66:67]
	s_waitcnt vmcnt(2)
	s_delay_alu instid0(VALU_DEP_1)
	v_fma_f64 v[74:75], v[76:77], v[82:83], v[66:67]
	ds_load_2addr_b64 v[66:69], v1 offset0:51 offset1:52
	ds_load_2addr_b64 v[70:73], v1 offset0:53 offset1:54
	s_waitcnt lgkmcnt(1)
	v_fma_f64 v[66:67], v[78:79], v[66:67], v[74:75]
	s_waitcnt vmcnt(1)
	s_delay_alu instid0(VALU_DEP_1) | instskip(SKIP_1) | instid1(VALU_DEP_1)
	v_fma_f64 v[66:67], v[88:89], v[68:69], v[66:67]
	s_waitcnt lgkmcnt(0)
	v_fma_f64 v[66:67], v[90:91], v[70:71], v[66:67]
	s_waitcnt vmcnt(0)
	s_delay_alu instid0(VALU_DEP_1) | instskip(SKIP_3) | instid1(VALU_DEP_1)
	v_fma_f64 v[62:63], v[62:63], v[72:73], v[66:67]
	ds_load_b64 v[66:67], v1 offset:440
	s_waitcnt lgkmcnt(0)
	v_fma_f64 v[62:63], v[64:65], v[66:67], v[62:63]
	v_add_f64 v[60:61], v[60:61], -v[62:63]
	scratch_store_b64 off, v[60:61], off offset:112
	v_cmpx_lt_u32_e32 13, v0
	s_cbranch_execz .LBB27_151
; %bb.150:
	scratch_load_b64 v[60:61], off, off offset:104
	v_mov_b32_e32 v2, v1
	scratch_store_b64 off, v[1:2], off offset:104
	s_waitcnt vmcnt(0)
	ds_store_b64 v3, v[60:61]
.LBB27_151:
	s_or_b32 exec_lo, exec_lo, s0
	s_waitcnt lgkmcnt(0)
	s_waitcnt_vscnt null, 0x0
	s_barrier
	buffer_gl0_inv
	s_clause 0x4
	scratch_load_b128 v[60:63], off, off offset:104
	scratch_load_b128 v[64:67], off, off offset:120
	;; [unrolled: 1-line block ×5, first 2 shown]
	ds_load_b128 v[80:83], v1 offset:336
	ds_load_b128 v[84:87], v1 offset:352
	scratch_load_b128 v[88:91], off, off offset:184
	s_mov_b32 s0, exec_lo
	s_waitcnt vmcnt(5) lgkmcnt(1)
	v_fma_f64 v[62:63], v[62:63], v[80:81], 0
	s_waitcnt vmcnt(4)
	s_delay_alu instid0(VALU_DEP_1) | instskip(SKIP_1) | instid1(VALU_DEP_1)
	v_fma_f64 v[62:63], v[64:65], v[82:83], v[62:63]
	s_waitcnt lgkmcnt(0)
	v_fma_f64 v[66:67], v[66:67], v[84:85], v[62:63]
	scratch_load_b128 v[62:65], off, off offset:200
	s_waitcnt vmcnt(4)
	v_fma_f64 v[84:85], v[68:69], v[86:87], v[66:67]
	ds_load_b128 v[66:69], v1 offset:368
	ds_load_b128 v[80:83], v1 offset:384
	s_waitcnt lgkmcnt(1)
	v_fma_f64 v[66:67], v[70:71], v[66:67], v[84:85]
	scratch_load_b64 v[84:85], off, off offset:216
	s_waitcnt vmcnt(4)
	v_fma_f64 v[66:67], v[72:73], v[68:69], v[66:67]
	s_waitcnt lgkmcnt(0)
	s_delay_alu instid0(VALU_DEP_1) | instskip(SKIP_1) | instid1(VALU_DEP_1)
	v_fma_f64 v[66:67], v[74:75], v[80:81], v[66:67]
	s_waitcnt vmcnt(3)
	v_fma_f64 v[74:75], v[76:77], v[82:83], v[66:67]
	ds_load_b128 v[66:69], v1 offset:400
	ds_load_b128 v[70:73], v1 offset:416
	s_waitcnt lgkmcnt(1)
	v_fma_f64 v[66:67], v[78:79], v[66:67], v[74:75]
	s_waitcnt vmcnt(2)
	s_delay_alu instid0(VALU_DEP_1) | instskip(SKIP_1) | instid1(VALU_DEP_1)
	v_fma_f64 v[66:67], v[88:89], v[68:69], v[66:67]
	s_waitcnt lgkmcnt(0)
	v_fma_f64 v[66:67], v[90:91], v[70:71], v[66:67]
	s_waitcnt vmcnt(1)
	s_delay_alu instid0(VALU_DEP_1) | instskip(SKIP_4) | instid1(VALU_DEP_1)
	v_fma_f64 v[62:63], v[62:63], v[72:73], v[66:67]
	ds_load_b128 v[66:69], v1 offset:432
	s_waitcnt lgkmcnt(0)
	v_fma_f64 v[1:2], v[64:65], v[66:67], v[62:63]
	s_waitcnt vmcnt(0)
	v_fma_f64 v[1:2], v[84:85], v[68:69], v[1:2]
	s_delay_alu instid0(VALU_DEP_1)
	v_add_f64 v[1:2], v[60:61], -v[1:2]
	scratch_store_b64 off, v[1:2], off offset:104
	v_cmpx_lt_u32_e32 12, v0
	s_cbranch_execz .LBB27_153
; %bb.152:
	scratch_load_b64 v[1:2], off, off offset:96
	v_mov_b32_e32 v60, 0
	s_delay_alu instid0(VALU_DEP_1)
	v_mov_b32_e32 v61, v60
	scratch_store_b64 off, v[60:61], off offset:96
	s_waitcnt vmcnt(0)
	ds_store_b64 v3, v[1:2]
.LBB27_153:
	s_or_b32 exec_lo, exec_lo, s0
	s_waitcnt lgkmcnt(0)
	s_waitcnt_vscnt null, 0x0
	s_barrier
	buffer_gl0_inv
	s_clause 0x4
	scratch_load_b128 v[60:63], off, off offset:96
	scratch_load_b128 v[64:67], off, off offset:112
	;; [unrolled: 1-line block ×5, first 2 shown]
	v_mov_b32_e32 v1, 0
	ds_load_2addr_b64 v[80:83], v1 offset0:41 offset1:42
	ds_load_2addr_b64 v[84:87], v1 offset0:43 offset1:44
	scratch_load_b128 v[88:91], off, off offset:176
	s_mov_b32 s0, exec_lo
	s_waitcnt vmcnt(5) lgkmcnt(1)
	v_fma_f64 v[62:63], v[62:63], v[80:81], 0
	s_waitcnt vmcnt(4)
	s_delay_alu instid0(VALU_DEP_1) | instskip(SKIP_1) | instid1(VALU_DEP_1)
	v_fma_f64 v[62:63], v[64:65], v[82:83], v[62:63]
	s_waitcnt lgkmcnt(0)
	v_fma_f64 v[66:67], v[66:67], v[84:85], v[62:63]
	scratch_load_b128 v[62:65], off, off offset:192
	s_waitcnt vmcnt(4)
	v_fma_f64 v[84:85], v[68:69], v[86:87], v[66:67]
	ds_load_2addr_b64 v[66:69], v1 offset0:45 offset1:46
	ds_load_2addr_b64 v[80:83], v1 offset0:47 offset1:48
	s_waitcnt lgkmcnt(1)
	v_fma_f64 v[66:67], v[70:71], v[66:67], v[84:85]
	scratch_load_b128 v[84:87], off, off offset:208
	s_waitcnt vmcnt(4)
	v_fma_f64 v[66:67], v[72:73], v[68:69], v[66:67]
	s_waitcnt lgkmcnt(0)
	s_delay_alu instid0(VALU_DEP_1) | instskip(SKIP_1) | instid1(VALU_DEP_1)
	v_fma_f64 v[66:67], v[74:75], v[80:81], v[66:67]
	s_waitcnt vmcnt(3)
	v_fma_f64 v[74:75], v[76:77], v[82:83], v[66:67]
	ds_load_2addr_b64 v[66:69], v1 offset0:49 offset1:50
	ds_load_2addr_b64 v[70:73], v1 offset0:51 offset1:52
	s_waitcnt lgkmcnt(1)
	v_fma_f64 v[66:67], v[78:79], v[66:67], v[74:75]
	s_waitcnt vmcnt(2)
	s_delay_alu instid0(VALU_DEP_1) | instskip(SKIP_1) | instid1(VALU_DEP_1)
	v_fma_f64 v[66:67], v[88:89], v[68:69], v[66:67]
	s_waitcnt lgkmcnt(0)
	v_fma_f64 v[66:67], v[90:91], v[70:71], v[66:67]
	s_waitcnt vmcnt(1)
	s_delay_alu instid0(VALU_DEP_1)
	v_fma_f64 v[62:63], v[62:63], v[72:73], v[66:67]
	ds_load_2addr_b64 v[66:69], v1 offset0:53 offset1:54
	ds_load_b64 v[70:71], v1 offset:440
	s_waitcnt lgkmcnt(1)
	v_fma_f64 v[62:63], v[64:65], v[66:67], v[62:63]
	s_waitcnt vmcnt(0)
	s_delay_alu instid0(VALU_DEP_1) | instskip(SKIP_1) | instid1(VALU_DEP_1)
	v_fma_f64 v[62:63], v[84:85], v[68:69], v[62:63]
	s_waitcnt lgkmcnt(0)
	v_fma_f64 v[62:63], v[86:87], v[70:71], v[62:63]
	s_delay_alu instid0(VALU_DEP_1)
	v_add_f64 v[60:61], v[60:61], -v[62:63]
	scratch_store_b64 off, v[60:61], off offset:96
	v_cmpx_lt_u32_e32 11, v0
	s_cbranch_execz .LBB27_155
; %bb.154:
	scratch_load_b64 v[60:61], off, off offset:88
	v_mov_b32_e32 v2, v1
	scratch_store_b64 off, v[1:2], off offset:88
	s_waitcnt vmcnt(0)
	ds_store_b64 v3, v[60:61]
.LBB27_155:
	s_or_b32 exec_lo, exec_lo, s0
	s_waitcnt lgkmcnt(0)
	s_waitcnt_vscnt null, 0x0
	s_barrier
	buffer_gl0_inv
	s_clause 0x4
	scratch_load_b128 v[60:63], off, off offset:88
	scratch_load_b128 v[64:67], off, off offset:104
	;; [unrolled: 1-line block ×5, first 2 shown]
	ds_load_b128 v[80:83], v1 offset:320
	ds_load_b128 v[84:87], v1 offset:336
	scratch_load_b128 v[88:91], off, off offset:168
	s_mov_b32 s0, exec_lo
	s_waitcnt vmcnt(5) lgkmcnt(1)
	v_fma_f64 v[62:63], v[62:63], v[80:81], 0
	s_waitcnt vmcnt(4)
	s_delay_alu instid0(VALU_DEP_1) | instskip(SKIP_1) | instid1(VALU_DEP_1)
	v_fma_f64 v[62:63], v[64:65], v[82:83], v[62:63]
	s_waitcnt lgkmcnt(0)
	v_fma_f64 v[66:67], v[66:67], v[84:85], v[62:63]
	scratch_load_b128 v[62:65], off, off offset:184
	s_waitcnt vmcnt(4)
	v_fma_f64 v[84:85], v[68:69], v[86:87], v[66:67]
	ds_load_b128 v[66:69], v1 offset:352
	ds_load_b128 v[80:83], v1 offset:368
	s_waitcnt lgkmcnt(1)
	v_fma_f64 v[66:67], v[70:71], v[66:67], v[84:85]
	scratch_load_b128 v[84:87], off, off offset:200
	s_waitcnt vmcnt(4)
	v_fma_f64 v[66:67], v[72:73], v[68:69], v[66:67]
	s_waitcnt lgkmcnt(0)
	s_delay_alu instid0(VALU_DEP_1)
	v_fma_f64 v[66:67], v[74:75], v[80:81], v[66:67]
	scratch_load_b64 v[74:75], off, off offset:216
	s_waitcnt vmcnt(4)
	v_fma_f64 v[76:77], v[76:77], v[82:83], v[66:67]
	ds_load_b128 v[66:69], v1 offset:384
	ds_load_b128 v[70:73], v1 offset:400
	s_waitcnt lgkmcnt(1)
	v_fma_f64 v[66:67], v[78:79], v[66:67], v[76:77]
	s_waitcnt vmcnt(3)
	s_delay_alu instid0(VALU_DEP_1) | instskip(SKIP_1) | instid1(VALU_DEP_1)
	v_fma_f64 v[66:67], v[88:89], v[68:69], v[66:67]
	s_waitcnt lgkmcnt(0)
	v_fma_f64 v[66:67], v[90:91], v[70:71], v[66:67]
	s_waitcnt vmcnt(2)
	s_delay_alu instid0(VALU_DEP_1)
	v_fma_f64 v[62:63], v[62:63], v[72:73], v[66:67]
	ds_load_b128 v[66:69], v1 offset:416
	ds_load_b128 v[70:73], v1 offset:432
	s_waitcnt lgkmcnt(1)
	v_fma_f64 v[1:2], v[64:65], v[66:67], v[62:63]
	s_waitcnt vmcnt(1)
	s_delay_alu instid0(VALU_DEP_1) | instskip(SKIP_1) | instid1(VALU_DEP_1)
	v_fma_f64 v[1:2], v[84:85], v[68:69], v[1:2]
	s_waitcnt lgkmcnt(0)
	v_fma_f64 v[1:2], v[86:87], v[70:71], v[1:2]
	s_waitcnt vmcnt(0)
	s_delay_alu instid0(VALU_DEP_1) | instskip(NEXT) | instid1(VALU_DEP_1)
	v_fma_f64 v[1:2], v[74:75], v[72:73], v[1:2]
	v_add_f64 v[1:2], v[60:61], -v[1:2]
	scratch_store_b64 off, v[1:2], off offset:88
	v_cmpx_lt_u32_e32 10, v0
	s_cbranch_execz .LBB27_157
; %bb.156:
	scratch_load_b64 v[1:2], off, off offset:80
	v_mov_b32_e32 v60, 0
	s_delay_alu instid0(VALU_DEP_1)
	v_mov_b32_e32 v61, v60
	scratch_store_b64 off, v[60:61], off offset:80
	s_waitcnt vmcnt(0)
	ds_store_b64 v3, v[1:2]
.LBB27_157:
	s_or_b32 exec_lo, exec_lo, s0
	s_waitcnt lgkmcnt(0)
	s_waitcnt_vscnt null, 0x0
	s_barrier
	buffer_gl0_inv
	s_clause 0x4
	scratch_load_b128 v[60:63], off, off offset:80
	scratch_load_b128 v[64:67], off, off offset:96
	;; [unrolled: 1-line block ×5, first 2 shown]
	v_mov_b32_e32 v1, 0
	ds_load_2addr_b64 v[80:83], v1 offset0:39 offset1:40
	ds_load_2addr_b64 v[84:87], v1 offset0:41 offset1:42
	scratch_load_b128 v[88:91], off, off offset:160
	s_mov_b32 s0, exec_lo
	s_waitcnt vmcnt(5) lgkmcnt(1)
	v_fma_f64 v[62:63], v[62:63], v[80:81], 0
	s_waitcnt vmcnt(4)
	s_delay_alu instid0(VALU_DEP_1) | instskip(SKIP_1) | instid1(VALU_DEP_1)
	v_fma_f64 v[62:63], v[64:65], v[82:83], v[62:63]
	s_waitcnt lgkmcnt(0)
	v_fma_f64 v[66:67], v[66:67], v[84:85], v[62:63]
	scratch_load_b128 v[62:65], off, off offset:176
	s_waitcnt vmcnt(4)
	v_fma_f64 v[84:85], v[68:69], v[86:87], v[66:67]
	ds_load_2addr_b64 v[66:69], v1 offset0:43 offset1:44
	ds_load_2addr_b64 v[80:83], v1 offset0:45 offset1:46
	s_waitcnt lgkmcnt(1)
	v_fma_f64 v[66:67], v[70:71], v[66:67], v[84:85]
	scratch_load_b128 v[84:87], off, off offset:192
	s_waitcnt vmcnt(4)
	v_fma_f64 v[66:67], v[72:73], v[68:69], v[66:67]
	s_waitcnt lgkmcnt(0)
	s_delay_alu instid0(VALU_DEP_1)
	v_fma_f64 v[70:71], v[74:75], v[80:81], v[66:67]
	scratch_load_b128 v[66:69], off, off offset:208
	s_waitcnt vmcnt(4)
	v_fma_f64 v[80:81], v[76:77], v[82:83], v[70:71]
	ds_load_2addr_b64 v[70:73], v1 offset0:47 offset1:48
	ds_load_2addr_b64 v[74:77], v1 offset0:49 offset1:50
	s_waitcnt lgkmcnt(1)
	v_fma_f64 v[70:71], v[78:79], v[70:71], v[80:81]
	s_waitcnt vmcnt(3)
	s_delay_alu instid0(VALU_DEP_1) | instskip(SKIP_1) | instid1(VALU_DEP_1)
	v_fma_f64 v[70:71], v[88:89], v[72:73], v[70:71]
	s_waitcnt lgkmcnt(0)
	v_fma_f64 v[70:71], v[90:91], v[74:75], v[70:71]
	s_waitcnt vmcnt(2)
	s_delay_alu instid0(VALU_DEP_1)
	v_fma_f64 v[62:63], v[62:63], v[76:77], v[70:71]
	ds_load_2addr_b64 v[70:73], v1 offset0:51 offset1:52
	ds_load_2addr_b64 v[74:77], v1 offset0:53 offset1:54
	s_waitcnt lgkmcnt(1)
	v_fma_f64 v[62:63], v[64:65], v[70:71], v[62:63]
	ds_load_b64 v[64:65], v1 offset:440
	s_waitcnt vmcnt(1)
	v_fma_f64 v[62:63], v[84:85], v[72:73], v[62:63]
	s_waitcnt lgkmcnt(1)
	s_delay_alu instid0(VALU_DEP_1) | instskip(SKIP_1) | instid1(VALU_DEP_1)
	v_fma_f64 v[62:63], v[86:87], v[74:75], v[62:63]
	s_waitcnt vmcnt(0)
	v_fma_f64 v[62:63], v[66:67], v[76:77], v[62:63]
	s_waitcnt lgkmcnt(0)
	s_delay_alu instid0(VALU_DEP_1) | instskip(NEXT) | instid1(VALU_DEP_1)
	v_fma_f64 v[62:63], v[68:69], v[64:65], v[62:63]
	v_add_f64 v[60:61], v[60:61], -v[62:63]
	scratch_store_b64 off, v[60:61], off offset:80
	v_cmpx_lt_u32_e32 9, v0
	s_cbranch_execz .LBB27_159
; %bb.158:
	scratch_load_b64 v[60:61], off, off offset:72
	v_mov_b32_e32 v2, v1
	scratch_store_b64 off, v[1:2], off offset:72
	s_waitcnt vmcnt(0)
	ds_store_b64 v3, v[60:61]
.LBB27_159:
	s_or_b32 exec_lo, exec_lo, s0
	s_waitcnt lgkmcnt(0)
	s_waitcnt_vscnt null, 0x0
	s_barrier
	buffer_gl0_inv
	s_clause 0x4
	scratch_load_b128 v[60:63], off, off offset:72
	scratch_load_b128 v[64:67], off, off offset:88
	;; [unrolled: 1-line block ×5, first 2 shown]
	ds_load_b128 v[80:83], v1 offset:304
	ds_load_b128 v[84:87], v1 offset:320
	scratch_load_b128 v[88:91], off, off offset:152
	s_mov_b32 s0, exec_lo
	s_waitcnt vmcnt(5) lgkmcnt(1)
	v_fma_f64 v[62:63], v[62:63], v[80:81], 0
	s_waitcnt vmcnt(4)
	s_delay_alu instid0(VALU_DEP_1) | instskip(SKIP_1) | instid1(VALU_DEP_1)
	v_fma_f64 v[62:63], v[64:65], v[82:83], v[62:63]
	s_waitcnt lgkmcnt(0)
	v_fma_f64 v[66:67], v[66:67], v[84:85], v[62:63]
	scratch_load_b128 v[62:65], off, off offset:168
	s_waitcnt vmcnt(4)
	v_fma_f64 v[84:85], v[68:69], v[86:87], v[66:67]
	ds_load_b128 v[66:69], v1 offset:336
	ds_load_b128 v[80:83], v1 offset:352
	s_waitcnt lgkmcnt(1)
	v_fma_f64 v[66:67], v[70:71], v[66:67], v[84:85]
	scratch_load_b128 v[84:87], off, off offset:184
	s_waitcnt vmcnt(4)
	v_fma_f64 v[66:67], v[72:73], v[68:69], v[66:67]
	s_waitcnt lgkmcnt(0)
	s_delay_alu instid0(VALU_DEP_1)
	v_fma_f64 v[70:71], v[74:75], v[80:81], v[66:67]
	scratch_load_b128 v[66:69], off, off offset:200
	s_waitcnt vmcnt(4)
	v_fma_f64 v[80:81], v[76:77], v[82:83], v[70:71]
	ds_load_b128 v[70:73], v1 offset:368
	ds_load_b128 v[74:77], v1 offset:384
	s_waitcnt lgkmcnt(1)
	v_fma_f64 v[70:71], v[78:79], v[70:71], v[80:81]
	scratch_load_b64 v[78:79], off, off offset:216
	s_waitcnt vmcnt(4)
	v_fma_f64 v[70:71], v[88:89], v[72:73], v[70:71]
	s_waitcnt lgkmcnt(0)
	s_delay_alu instid0(VALU_DEP_1) | instskip(SKIP_1) | instid1(VALU_DEP_1)
	v_fma_f64 v[70:71], v[90:91], v[74:75], v[70:71]
	s_waitcnt vmcnt(3)
	v_fma_f64 v[62:63], v[62:63], v[76:77], v[70:71]
	ds_load_b128 v[70:73], v1 offset:400
	ds_load_b128 v[74:77], v1 offset:416
	s_waitcnt lgkmcnt(1)
	v_fma_f64 v[62:63], v[64:65], v[70:71], v[62:63]
	s_waitcnt vmcnt(2)
	s_delay_alu instid0(VALU_DEP_1) | instskip(SKIP_1) | instid1(VALU_DEP_1)
	v_fma_f64 v[62:63], v[84:85], v[72:73], v[62:63]
	s_waitcnt lgkmcnt(0)
	v_fma_f64 v[62:63], v[86:87], v[74:75], v[62:63]
	s_waitcnt vmcnt(1)
	s_delay_alu instid0(VALU_DEP_1) | instskip(SKIP_4) | instid1(VALU_DEP_1)
	v_fma_f64 v[66:67], v[66:67], v[76:77], v[62:63]
	ds_load_b128 v[62:65], v1 offset:432
	s_waitcnt lgkmcnt(0)
	v_fma_f64 v[1:2], v[68:69], v[62:63], v[66:67]
	s_waitcnt vmcnt(0)
	v_fma_f64 v[1:2], v[78:79], v[64:65], v[1:2]
	s_delay_alu instid0(VALU_DEP_1)
	v_add_f64 v[1:2], v[60:61], -v[1:2]
	scratch_store_b64 off, v[1:2], off offset:72
	v_cmpx_lt_u32_e32 8, v0
	s_cbranch_execz .LBB27_161
; %bb.160:
	scratch_load_b64 v[1:2], off, off offset:64
	v_mov_b32_e32 v60, 0
	s_delay_alu instid0(VALU_DEP_1)
	v_mov_b32_e32 v61, v60
	scratch_store_b64 off, v[60:61], off offset:64
	s_waitcnt vmcnt(0)
	ds_store_b64 v3, v[1:2]
.LBB27_161:
	s_or_b32 exec_lo, exec_lo, s0
	s_waitcnt lgkmcnt(0)
	s_waitcnt_vscnt null, 0x0
	s_barrier
	buffer_gl0_inv
	s_clause 0x4
	scratch_load_b128 v[60:63], off, off offset:64
	scratch_load_b128 v[64:67], off, off offset:80
	;; [unrolled: 1-line block ×5, first 2 shown]
	v_mov_b32_e32 v1, 0
	ds_load_2addr_b64 v[80:83], v1 offset0:37 offset1:38
	ds_load_2addr_b64 v[84:87], v1 offset0:39 offset1:40
	scratch_load_b128 v[88:91], off, off offset:144
	s_mov_b32 s0, exec_lo
	s_waitcnt vmcnt(5) lgkmcnt(1)
	v_fma_f64 v[62:63], v[62:63], v[80:81], 0
	s_waitcnt vmcnt(4)
	s_delay_alu instid0(VALU_DEP_1) | instskip(SKIP_1) | instid1(VALU_DEP_1)
	v_fma_f64 v[62:63], v[64:65], v[82:83], v[62:63]
	s_waitcnt lgkmcnt(0)
	v_fma_f64 v[66:67], v[66:67], v[84:85], v[62:63]
	scratch_load_b128 v[62:65], off, off offset:160
	s_waitcnt vmcnt(4)
	v_fma_f64 v[84:85], v[68:69], v[86:87], v[66:67]
	ds_load_2addr_b64 v[66:69], v1 offset0:41 offset1:42
	ds_load_2addr_b64 v[80:83], v1 offset0:43 offset1:44
	s_waitcnt lgkmcnt(1)
	v_fma_f64 v[66:67], v[70:71], v[66:67], v[84:85]
	scratch_load_b128 v[84:87], off, off offset:176
	s_waitcnt vmcnt(4)
	v_fma_f64 v[66:67], v[72:73], v[68:69], v[66:67]
	s_waitcnt lgkmcnt(0)
	s_delay_alu instid0(VALU_DEP_1)
	v_fma_f64 v[70:71], v[74:75], v[80:81], v[66:67]
	scratch_load_b128 v[66:69], off, off offset:192
	s_waitcnt vmcnt(4)
	v_fma_f64 v[80:81], v[76:77], v[82:83], v[70:71]
	ds_load_2addr_b64 v[70:73], v1 offset0:45 offset1:46
	ds_load_2addr_b64 v[74:77], v1 offset0:47 offset1:48
	s_waitcnt lgkmcnt(1)
	v_fma_f64 v[70:71], v[78:79], v[70:71], v[80:81]
	scratch_load_b128 v[78:81], off, off offset:208
	s_waitcnt vmcnt(4)
	v_fma_f64 v[70:71], v[88:89], v[72:73], v[70:71]
	s_waitcnt lgkmcnt(0)
	s_delay_alu instid0(VALU_DEP_1) | instskip(SKIP_1) | instid1(VALU_DEP_1)
	v_fma_f64 v[70:71], v[90:91], v[74:75], v[70:71]
	s_waitcnt vmcnt(3)
	v_fma_f64 v[62:63], v[62:63], v[76:77], v[70:71]
	ds_load_2addr_b64 v[70:73], v1 offset0:49 offset1:50
	ds_load_2addr_b64 v[74:77], v1 offset0:51 offset1:52
	s_waitcnt lgkmcnt(1)
	v_fma_f64 v[62:63], v[64:65], v[70:71], v[62:63]
	s_waitcnt vmcnt(2)
	s_delay_alu instid0(VALU_DEP_1) | instskip(SKIP_1) | instid1(VALU_DEP_1)
	v_fma_f64 v[62:63], v[84:85], v[72:73], v[62:63]
	s_waitcnt lgkmcnt(0)
	v_fma_f64 v[62:63], v[86:87], v[74:75], v[62:63]
	s_waitcnt vmcnt(1)
	s_delay_alu instid0(VALU_DEP_1)
	v_fma_f64 v[66:67], v[66:67], v[76:77], v[62:63]
	ds_load_2addr_b64 v[62:65], v1 offset0:53 offset1:54
	ds_load_b64 v[70:71], v1 offset:440
	s_waitcnt lgkmcnt(1)
	v_fma_f64 v[62:63], v[68:69], v[62:63], v[66:67]
	s_waitcnt vmcnt(0)
	s_delay_alu instid0(VALU_DEP_1) | instskip(SKIP_1) | instid1(VALU_DEP_1)
	v_fma_f64 v[62:63], v[78:79], v[64:65], v[62:63]
	s_waitcnt lgkmcnt(0)
	v_fma_f64 v[62:63], v[80:81], v[70:71], v[62:63]
	s_delay_alu instid0(VALU_DEP_1)
	v_add_f64 v[60:61], v[60:61], -v[62:63]
	scratch_store_b64 off, v[60:61], off offset:64
	v_cmpx_lt_u32_e32 7, v0
	s_cbranch_execz .LBB27_163
; %bb.162:
	scratch_load_b64 v[60:61], off, off offset:56
	v_mov_b32_e32 v2, v1
	scratch_store_b64 off, v[1:2], off offset:56
	s_waitcnt vmcnt(0)
	ds_store_b64 v3, v[60:61]
.LBB27_163:
	s_or_b32 exec_lo, exec_lo, s0
	s_waitcnt lgkmcnt(0)
	s_waitcnt_vscnt null, 0x0
	s_barrier
	buffer_gl0_inv
	s_clause 0x4
	scratch_load_b128 v[60:63], off, off offset:56
	scratch_load_b128 v[64:67], off, off offset:72
	;; [unrolled: 1-line block ×5, first 2 shown]
	ds_load_b128 v[80:83], v1 offset:288
	ds_load_b128 v[84:87], v1 offset:304
	scratch_load_b128 v[88:91], off, off offset:136
	s_mov_b32 s0, exec_lo
	s_waitcnt vmcnt(5) lgkmcnt(1)
	v_fma_f64 v[62:63], v[62:63], v[80:81], 0
	s_waitcnt vmcnt(4)
	s_delay_alu instid0(VALU_DEP_1) | instskip(SKIP_1) | instid1(VALU_DEP_1)
	v_fma_f64 v[62:63], v[64:65], v[82:83], v[62:63]
	s_waitcnt lgkmcnt(0)
	v_fma_f64 v[66:67], v[66:67], v[84:85], v[62:63]
	scratch_load_b128 v[62:65], off, off offset:152
	s_waitcnt vmcnt(4)
	v_fma_f64 v[84:85], v[68:69], v[86:87], v[66:67]
	ds_load_b128 v[66:69], v1 offset:320
	ds_load_b128 v[80:83], v1 offset:336
	s_waitcnt lgkmcnt(1)
	v_fma_f64 v[66:67], v[70:71], v[66:67], v[84:85]
	scratch_load_b128 v[84:87], off, off offset:168
	s_waitcnt vmcnt(4)
	v_fma_f64 v[66:67], v[72:73], v[68:69], v[66:67]
	s_waitcnt lgkmcnt(0)
	s_delay_alu instid0(VALU_DEP_1)
	v_fma_f64 v[70:71], v[74:75], v[80:81], v[66:67]
	scratch_load_b128 v[66:69], off, off offset:184
	s_waitcnt vmcnt(4)
	v_fma_f64 v[80:81], v[76:77], v[82:83], v[70:71]
	ds_load_b128 v[70:73], v1 offset:352
	ds_load_b128 v[74:77], v1 offset:368
	scratch_load_b64 v[82:83], off, off offset:216
	s_waitcnt lgkmcnt(1)
	v_fma_f64 v[70:71], v[78:79], v[70:71], v[80:81]
	scratch_load_b128 v[78:81], off, off offset:200
	s_waitcnt vmcnt(5)
	v_fma_f64 v[70:71], v[88:89], v[72:73], v[70:71]
	s_waitcnt lgkmcnt(0)
	s_delay_alu instid0(VALU_DEP_1) | instskip(SKIP_1) | instid1(VALU_DEP_1)
	v_fma_f64 v[70:71], v[90:91], v[74:75], v[70:71]
	s_waitcnt vmcnt(4)
	v_fma_f64 v[62:63], v[62:63], v[76:77], v[70:71]
	ds_load_b128 v[70:73], v1 offset:384
	ds_load_b128 v[74:77], v1 offset:400
	s_waitcnt lgkmcnt(1)
	v_fma_f64 v[62:63], v[64:65], v[70:71], v[62:63]
	s_waitcnt vmcnt(3)
	s_delay_alu instid0(VALU_DEP_1) | instskip(SKIP_1) | instid1(VALU_DEP_1)
	v_fma_f64 v[62:63], v[84:85], v[72:73], v[62:63]
	s_waitcnt lgkmcnt(0)
	v_fma_f64 v[62:63], v[86:87], v[74:75], v[62:63]
	s_waitcnt vmcnt(2)
	s_delay_alu instid0(VALU_DEP_1)
	v_fma_f64 v[66:67], v[66:67], v[76:77], v[62:63]
	ds_load_b128 v[62:65], v1 offset:416
	ds_load_b128 v[70:73], v1 offset:432
	s_waitcnt lgkmcnt(1)
	v_fma_f64 v[1:2], v[68:69], v[62:63], v[66:67]
	s_waitcnt vmcnt(0)
	s_delay_alu instid0(VALU_DEP_1) | instskip(SKIP_1) | instid1(VALU_DEP_1)
	v_fma_f64 v[1:2], v[78:79], v[64:65], v[1:2]
	s_waitcnt lgkmcnt(0)
	v_fma_f64 v[1:2], v[80:81], v[70:71], v[1:2]
	s_delay_alu instid0(VALU_DEP_1) | instskip(NEXT) | instid1(VALU_DEP_1)
	v_fma_f64 v[1:2], v[82:83], v[72:73], v[1:2]
	v_add_f64 v[1:2], v[60:61], -v[1:2]
	scratch_store_b64 off, v[1:2], off offset:56
	v_cmpx_lt_u32_e32 6, v0
	s_cbranch_execz .LBB27_165
; %bb.164:
	scratch_load_b64 v[1:2], off, off offset:48
	v_mov_b32_e32 v60, 0
	s_delay_alu instid0(VALU_DEP_1)
	v_mov_b32_e32 v61, v60
	scratch_store_b64 off, v[60:61], off offset:48
	s_waitcnt vmcnt(0)
	ds_store_b64 v3, v[1:2]
.LBB27_165:
	s_or_b32 exec_lo, exec_lo, s0
	s_waitcnt lgkmcnt(0)
	s_waitcnt_vscnt null, 0x0
	s_barrier
	buffer_gl0_inv
	s_clause 0x4
	scratch_load_b128 v[60:63], off, off offset:48
	scratch_load_b128 v[64:67], off, off offset:64
	;; [unrolled: 1-line block ×5, first 2 shown]
	v_mov_b32_e32 v1, 0
	ds_load_2addr_b64 v[80:83], v1 offset0:35 offset1:36
	ds_load_2addr_b64 v[84:87], v1 offset0:37 offset1:38
	scratch_load_b128 v[88:91], off, off offset:128
	s_mov_b32 s0, exec_lo
	s_waitcnt vmcnt(5) lgkmcnt(1)
	v_fma_f64 v[62:63], v[62:63], v[80:81], 0
	s_waitcnt vmcnt(4)
	s_delay_alu instid0(VALU_DEP_1) | instskip(SKIP_1) | instid1(VALU_DEP_1)
	v_fma_f64 v[62:63], v[64:65], v[82:83], v[62:63]
	s_waitcnt lgkmcnt(0)
	v_fma_f64 v[66:67], v[66:67], v[84:85], v[62:63]
	scratch_load_b128 v[62:65], off, off offset:144
	s_waitcnt vmcnt(4)
	v_fma_f64 v[84:85], v[68:69], v[86:87], v[66:67]
	ds_load_2addr_b64 v[66:69], v1 offset0:39 offset1:40
	ds_load_2addr_b64 v[80:83], v1 offset0:41 offset1:42
	s_waitcnt lgkmcnt(1)
	v_fma_f64 v[66:67], v[70:71], v[66:67], v[84:85]
	scratch_load_b128 v[84:87], off, off offset:160
	s_waitcnt vmcnt(4)
	v_fma_f64 v[66:67], v[72:73], v[68:69], v[66:67]
	s_waitcnt lgkmcnt(0)
	s_delay_alu instid0(VALU_DEP_1)
	v_fma_f64 v[70:71], v[74:75], v[80:81], v[66:67]
	scratch_load_b128 v[66:69], off, off offset:176
	s_waitcnt vmcnt(4)
	v_fma_f64 v[80:81], v[76:77], v[82:83], v[70:71]
	ds_load_2addr_b64 v[70:73], v1 offset0:43 offset1:44
	ds_load_2addr_b64 v[74:77], v1 offset0:45 offset1:46
	s_waitcnt lgkmcnt(1)
	v_fma_f64 v[70:71], v[78:79], v[70:71], v[80:81]
	scratch_load_b128 v[78:81], off, off offset:192
	s_waitcnt vmcnt(4)
	v_fma_f64 v[70:71], v[88:89], v[72:73], v[70:71]
	s_waitcnt lgkmcnt(0)
	s_delay_alu instid0(VALU_DEP_1)
	v_fma_f64 v[74:75], v[90:91], v[74:75], v[70:71]
	scratch_load_b128 v[70:73], off, off offset:208
	s_waitcnt vmcnt(4)
	v_fma_f64 v[62:63], v[62:63], v[76:77], v[74:75]
	ds_load_2addr_b64 v[74:77], v1 offset0:47 offset1:48
	ds_load_2addr_b64 v[88:91], v1 offset0:49 offset1:50
	s_waitcnt lgkmcnt(1)
	v_fma_f64 v[62:63], v[64:65], v[74:75], v[62:63]
	s_waitcnt vmcnt(3)
	s_delay_alu instid0(VALU_DEP_1) | instskip(SKIP_1) | instid1(VALU_DEP_1)
	v_fma_f64 v[62:63], v[84:85], v[76:77], v[62:63]
	s_waitcnt lgkmcnt(0)
	v_fma_f64 v[62:63], v[86:87], v[88:89], v[62:63]
	s_waitcnt vmcnt(2)
	s_delay_alu instid0(VALU_DEP_1)
	v_fma_f64 v[66:67], v[66:67], v[90:91], v[62:63]
	ds_load_2addr_b64 v[62:65], v1 offset0:51 offset1:52
	ds_load_2addr_b64 v[74:77], v1 offset0:53 offset1:54
	s_waitcnt lgkmcnt(1)
	v_fma_f64 v[62:63], v[68:69], v[62:63], v[66:67]
	s_waitcnt vmcnt(1)
	s_delay_alu instid0(VALU_DEP_1) | instskip(SKIP_4) | instid1(VALU_DEP_1)
	v_fma_f64 v[62:63], v[78:79], v[64:65], v[62:63]
	ds_load_b64 v[64:65], v1 offset:440
	s_waitcnt lgkmcnt(1)
	v_fma_f64 v[62:63], v[80:81], v[74:75], v[62:63]
	s_waitcnt vmcnt(0)
	v_fma_f64 v[62:63], v[70:71], v[76:77], v[62:63]
	s_waitcnt lgkmcnt(0)
	s_delay_alu instid0(VALU_DEP_1) | instskip(NEXT) | instid1(VALU_DEP_1)
	v_fma_f64 v[62:63], v[72:73], v[64:65], v[62:63]
	v_add_f64 v[60:61], v[60:61], -v[62:63]
	scratch_store_b64 off, v[60:61], off offset:48
	v_cmpx_lt_u32_e32 5, v0
	s_cbranch_execz .LBB27_167
; %bb.166:
	scratch_load_b64 v[60:61], off, off offset:40
	v_mov_b32_e32 v2, v1
	scratch_store_b64 off, v[1:2], off offset:40
	s_waitcnt vmcnt(0)
	ds_store_b64 v3, v[60:61]
.LBB27_167:
	s_or_b32 exec_lo, exec_lo, s0
	s_waitcnt lgkmcnt(0)
	s_waitcnt_vscnt null, 0x0
	s_barrier
	buffer_gl0_inv
	s_clause 0x4
	scratch_load_b128 v[60:63], off, off offset:40
	scratch_load_b128 v[64:67], off, off offset:56
	scratch_load_b128 v[68:71], off, off offset:72
	scratch_load_b128 v[72:75], off, off offset:88
	scratch_load_b128 v[76:79], off, off offset:104
	ds_load_b128 v[80:83], v1 offset:272
	ds_load_b128 v[84:87], v1 offset:288
	scratch_load_b128 v[88:91], off, off offset:120
	s_mov_b32 s0, exec_lo
	s_waitcnt vmcnt(5) lgkmcnt(1)
	v_fma_f64 v[62:63], v[62:63], v[80:81], 0
	s_waitcnt vmcnt(4)
	s_delay_alu instid0(VALU_DEP_1) | instskip(SKIP_1) | instid1(VALU_DEP_1)
	v_fma_f64 v[62:63], v[64:65], v[82:83], v[62:63]
	s_waitcnt lgkmcnt(0)
	v_fma_f64 v[66:67], v[66:67], v[84:85], v[62:63]
	scratch_load_b128 v[62:65], off, off offset:136
	s_waitcnt vmcnt(4)
	v_fma_f64 v[84:85], v[68:69], v[86:87], v[66:67]
	ds_load_b128 v[66:69], v1 offset:304
	ds_load_b128 v[80:83], v1 offset:320
	s_waitcnt lgkmcnt(1)
	v_fma_f64 v[66:67], v[70:71], v[66:67], v[84:85]
	scratch_load_b128 v[84:87], off, off offset:152
	s_waitcnt vmcnt(4)
	v_fma_f64 v[66:67], v[72:73], v[68:69], v[66:67]
	s_waitcnt lgkmcnt(0)
	s_delay_alu instid0(VALU_DEP_1)
	v_fma_f64 v[70:71], v[74:75], v[80:81], v[66:67]
	scratch_load_b128 v[66:69], off, off offset:168
	s_waitcnt vmcnt(4)
	v_fma_f64 v[80:81], v[76:77], v[82:83], v[70:71]
	ds_load_b128 v[70:73], v1 offset:336
	ds_load_b128 v[74:77], v1 offset:352
	s_waitcnt lgkmcnt(1)
	v_fma_f64 v[70:71], v[78:79], v[70:71], v[80:81]
	scratch_load_b128 v[78:81], off, off offset:184
	s_waitcnt vmcnt(4)
	v_fma_f64 v[70:71], v[88:89], v[72:73], v[70:71]
	s_waitcnt lgkmcnt(0)
	s_delay_alu instid0(VALU_DEP_1)
	v_fma_f64 v[74:75], v[90:91], v[74:75], v[70:71]
	scratch_load_b128 v[70:73], off, off offset:200
	s_waitcnt vmcnt(4)
	v_fma_f64 v[62:63], v[62:63], v[76:77], v[74:75]
	ds_load_b128 v[74:77], v1 offset:368
	ds_load_b128 v[88:91], v1 offset:384
	scratch_load_b64 v[82:83], off, off offset:216
	s_waitcnt lgkmcnt(1)
	v_fma_f64 v[62:63], v[64:65], v[74:75], v[62:63]
	s_waitcnt vmcnt(4)
	s_delay_alu instid0(VALU_DEP_1) | instskip(SKIP_1) | instid1(VALU_DEP_1)
	v_fma_f64 v[62:63], v[84:85], v[76:77], v[62:63]
	s_waitcnt lgkmcnt(0)
	v_fma_f64 v[62:63], v[86:87], v[88:89], v[62:63]
	s_waitcnt vmcnt(3)
	s_delay_alu instid0(VALU_DEP_1)
	v_fma_f64 v[66:67], v[66:67], v[90:91], v[62:63]
	ds_load_b128 v[62:65], v1 offset:400
	ds_load_b128 v[74:77], v1 offset:416
	s_waitcnt lgkmcnt(1)
	v_fma_f64 v[62:63], v[68:69], v[62:63], v[66:67]
	s_waitcnt vmcnt(2)
	s_delay_alu instid0(VALU_DEP_1) | instskip(SKIP_1) | instid1(VALU_DEP_1)
	v_fma_f64 v[62:63], v[78:79], v[64:65], v[62:63]
	s_waitcnt lgkmcnt(0)
	v_fma_f64 v[62:63], v[80:81], v[74:75], v[62:63]
	s_waitcnt vmcnt(1)
	s_delay_alu instid0(VALU_DEP_1) | instskip(SKIP_4) | instid1(VALU_DEP_1)
	v_fma_f64 v[66:67], v[70:71], v[76:77], v[62:63]
	ds_load_b128 v[62:65], v1 offset:432
	s_waitcnt lgkmcnt(0)
	v_fma_f64 v[1:2], v[72:73], v[62:63], v[66:67]
	s_waitcnt vmcnt(0)
	v_fma_f64 v[1:2], v[82:83], v[64:65], v[1:2]
	s_delay_alu instid0(VALU_DEP_1)
	v_add_f64 v[1:2], v[60:61], -v[1:2]
	scratch_store_b64 off, v[1:2], off offset:40
	v_cmpx_lt_u32_e32 4, v0
	s_cbranch_execz .LBB27_169
; %bb.168:
	scratch_load_b64 v[1:2], off, off offset:32
	v_mov_b32_e32 v60, 0
	s_delay_alu instid0(VALU_DEP_1)
	v_mov_b32_e32 v61, v60
	scratch_store_b64 off, v[60:61], off offset:32
	s_waitcnt vmcnt(0)
	ds_store_b64 v3, v[1:2]
.LBB27_169:
	s_or_b32 exec_lo, exec_lo, s0
	s_waitcnt lgkmcnt(0)
	s_waitcnt_vscnt null, 0x0
	s_barrier
	buffer_gl0_inv
	s_clause 0x4
	scratch_load_b128 v[60:63], off, off offset:32
	scratch_load_b128 v[64:67], off, off offset:48
	scratch_load_b128 v[68:71], off, off offset:64
	scratch_load_b128 v[72:75], off, off offset:80
	scratch_load_b128 v[76:79], off, off offset:96
	v_mov_b32_e32 v1, 0
	ds_load_2addr_b64 v[80:83], v1 offset0:33 offset1:34
	ds_load_2addr_b64 v[84:87], v1 offset0:35 offset1:36
	scratch_load_b128 v[88:91], off, off offset:112
	s_mov_b32 s0, exec_lo
	s_waitcnt vmcnt(5) lgkmcnt(1)
	v_fma_f64 v[62:63], v[62:63], v[80:81], 0
	s_waitcnt vmcnt(4)
	s_delay_alu instid0(VALU_DEP_1) | instskip(SKIP_1) | instid1(VALU_DEP_1)
	v_fma_f64 v[62:63], v[64:65], v[82:83], v[62:63]
	s_waitcnt lgkmcnt(0)
	v_fma_f64 v[66:67], v[66:67], v[84:85], v[62:63]
	scratch_load_b128 v[62:65], off, off offset:128
	s_waitcnt vmcnt(4)
	v_fma_f64 v[84:85], v[68:69], v[86:87], v[66:67]
	ds_load_2addr_b64 v[66:69], v1 offset0:37 offset1:38
	ds_load_2addr_b64 v[80:83], v1 offset0:39 offset1:40
	s_waitcnt lgkmcnt(1)
	v_fma_f64 v[66:67], v[70:71], v[66:67], v[84:85]
	scratch_load_b128 v[84:87], off, off offset:144
	s_waitcnt vmcnt(4)
	v_fma_f64 v[66:67], v[72:73], v[68:69], v[66:67]
	s_waitcnt lgkmcnt(0)
	s_delay_alu instid0(VALU_DEP_1)
	v_fma_f64 v[70:71], v[74:75], v[80:81], v[66:67]
	scratch_load_b128 v[66:69], off, off offset:160
	s_waitcnt vmcnt(4)
	v_fma_f64 v[80:81], v[76:77], v[82:83], v[70:71]
	ds_load_2addr_b64 v[70:73], v1 offset0:41 offset1:42
	ds_load_2addr_b64 v[74:77], v1 offset0:43 offset1:44
	s_waitcnt lgkmcnt(1)
	v_fma_f64 v[70:71], v[78:79], v[70:71], v[80:81]
	scratch_load_b128 v[78:81], off, off offset:176
	s_waitcnt vmcnt(4)
	v_fma_f64 v[70:71], v[88:89], v[72:73], v[70:71]
	s_waitcnt lgkmcnt(0)
	s_delay_alu instid0(VALU_DEP_1)
	v_fma_f64 v[74:75], v[90:91], v[74:75], v[70:71]
	scratch_load_b128 v[70:73], off, off offset:192
	s_waitcnt vmcnt(4)
	v_fma_f64 v[62:63], v[62:63], v[76:77], v[74:75]
	ds_load_2addr_b64 v[74:77], v1 offset0:45 offset1:46
	ds_load_2addr_b64 v[88:91], v1 offset0:47 offset1:48
	s_waitcnt lgkmcnt(1)
	v_fma_f64 v[74:75], v[64:65], v[74:75], v[62:63]
	scratch_load_b128 v[62:65], off, off offset:208
	s_waitcnt vmcnt(4)
	v_fma_f64 v[74:75], v[84:85], v[76:77], v[74:75]
	s_waitcnt lgkmcnt(0)
	s_delay_alu instid0(VALU_DEP_1) | instskip(SKIP_1) | instid1(VALU_DEP_1)
	v_fma_f64 v[74:75], v[86:87], v[88:89], v[74:75]
	s_waitcnt vmcnt(3)
	v_fma_f64 v[66:67], v[66:67], v[90:91], v[74:75]
	ds_load_2addr_b64 v[74:77], v1 offset0:49 offset1:50
	ds_load_2addr_b64 v[82:85], v1 offset0:51 offset1:52
	s_waitcnt lgkmcnt(1)
	v_fma_f64 v[66:67], v[68:69], v[74:75], v[66:67]
	s_waitcnt vmcnt(2)
	s_delay_alu instid0(VALU_DEP_1) | instskip(SKIP_1) | instid1(VALU_DEP_1)
	v_fma_f64 v[66:67], v[78:79], v[76:77], v[66:67]
	s_waitcnt lgkmcnt(0)
	v_fma_f64 v[66:67], v[80:81], v[82:83], v[66:67]
	s_waitcnt vmcnt(1)
	s_delay_alu instid0(VALU_DEP_1)
	v_fma_f64 v[70:71], v[70:71], v[84:85], v[66:67]
	ds_load_2addr_b64 v[66:69], v1 offset0:53 offset1:54
	ds_load_b64 v[74:75], v1 offset:440
	s_waitcnt lgkmcnt(1)
	v_fma_f64 v[66:67], v[72:73], v[66:67], v[70:71]
	s_waitcnt vmcnt(0)
	s_delay_alu instid0(VALU_DEP_1) | instskip(SKIP_1) | instid1(VALU_DEP_1)
	v_fma_f64 v[62:63], v[62:63], v[68:69], v[66:67]
	s_waitcnt lgkmcnt(0)
	v_fma_f64 v[62:63], v[64:65], v[74:75], v[62:63]
	s_delay_alu instid0(VALU_DEP_1)
	v_add_f64 v[60:61], v[60:61], -v[62:63]
	scratch_store_b64 off, v[60:61], off offset:32
	v_cmpx_lt_u32_e32 3, v0
	s_cbranch_execz .LBB27_171
; %bb.170:
	scratch_load_b64 v[60:61], off, off offset:24
	v_mov_b32_e32 v2, v1
	scratch_store_b64 off, v[1:2], off offset:24
	s_waitcnt vmcnt(0)
	ds_store_b64 v3, v[60:61]
.LBB27_171:
	s_or_b32 exec_lo, exec_lo, s0
	s_waitcnt lgkmcnt(0)
	s_waitcnt_vscnt null, 0x0
	s_barrier
	buffer_gl0_inv
	s_clause 0x4
	scratch_load_b128 v[60:63], off, off offset:24
	scratch_load_b128 v[64:67], off, off offset:40
	;; [unrolled: 1-line block ×5, first 2 shown]
	ds_load_b128 v[80:83], v1 offset:256
	ds_load_b128 v[84:87], v1 offset:272
	scratch_load_b128 v[88:91], off, off offset:104
	s_mov_b32 s0, exec_lo
	s_waitcnt vmcnt(5) lgkmcnt(1)
	v_fma_f64 v[62:63], v[62:63], v[80:81], 0
	s_waitcnt vmcnt(4)
	s_delay_alu instid0(VALU_DEP_1) | instskip(SKIP_1) | instid1(VALU_DEP_1)
	v_fma_f64 v[62:63], v[64:65], v[82:83], v[62:63]
	s_waitcnt lgkmcnt(0)
	v_fma_f64 v[66:67], v[66:67], v[84:85], v[62:63]
	scratch_load_b128 v[62:65], off, off offset:120
	s_waitcnt vmcnt(4)
	v_fma_f64 v[84:85], v[68:69], v[86:87], v[66:67]
	ds_load_b128 v[66:69], v1 offset:288
	ds_load_b128 v[80:83], v1 offset:304
	s_waitcnt lgkmcnt(1)
	v_fma_f64 v[66:67], v[70:71], v[66:67], v[84:85]
	scratch_load_b128 v[84:87], off, off offset:136
	s_waitcnt vmcnt(4)
	v_fma_f64 v[66:67], v[72:73], v[68:69], v[66:67]
	s_waitcnt lgkmcnt(0)
	s_delay_alu instid0(VALU_DEP_1)
	v_fma_f64 v[70:71], v[74:75], v[80:81], v[66:67]
	scratch_load_b128 v[66:69], off, off offset:152
	s_waitcnt vmcnt(4)
	v_fma_f64 v[80:81], v[76:77], v[82:83], v[70:71]
	ds_load_b128 v[70:73], v1 offset:320
	ds_load_b128 v[74:77], v1 offset:336
	s_waitcnt lgkmcnt(1)
	v_fma_f64 v[70:71], v[78:79], v[70:71], v[80:81]
	scratch_load_b128 v[78:81], off, off offset:168
	s_waitcnt vmcnt(4)
	v_fma_f64 v[70:71], v[88:89], v[72:73], v[70:71]
	s_waitcnt lgkmcnt(0)
	s_delay_alu instid0(VALU_DEP_1)
	;; [unrolled: 13-line block ×3, first 2 shown]
	v_fma_f64 v[74:75], v[86:87], v[88:89], v[74:75]
	scratch_load_b64 v[86:87], off, off offset:216
	s_waitcnt vmcnt(4)
	v_fma_f64 v[66:67], v[66:67], v[90:91], v[74:75]
	ds_load_b128 v[74:77], v1 offset:384
	ds_load_b128 v[82:85], v1 offset:400
	s_waitcnt lgkmcnt(1)
	v_fma_f64 v[66:67], v[68:69], v[74:75], v[66:67]
	s_waitcnt vmcnt(3)
	s_delay_alu instid0(VALU_DEP_1) | instskip(SKIP_1) | instid1(VALU_DEP_1)
	v_fma_f64 v[66:67], v[78:79], v[76:77], v[66:67]
	s_waitcnt lgkmcnt(0)
	v_fma_f64 v[66:67], v[80:81], v[82:83], v[66:67]
	s_waitcnt vmcnt(2)
	s_delay_alu instid0(VALU_DEP_1)
	v_fma_f64 v[70:71], v[70:71], v[84:85], v[66:67]
	ds_load_b128 v[66:69], v1 offset:416
	ds_load_b128 v[74:77], v1 offset:432
	s_waitcnt lgkmcnt(1)
	v_fma_f64 v[1:2], v[72:73], v[66:67], v[70:71]
	s_waitcnt vmcnt(1)
	s_delay_alu instid0(VALU_DEP_1) | instskip(SKIP_1) | instid1(VALU_DEP_1)
	v_fma_f64 v[1:2], v[62:63], v[68:69], v[1:2]
	s_waitcnt lgkmcnt(0)
	v_fma_f64 v[1:2], v[64:65], v[74:75], v[1:2]
	s_waitcnt vmcnt(0)
	s_delay_alu instid0(VALU_DEP_1) | instskip(NEXT) | instid1(VALU_DEP_1)
	v_fma_f64 v[1:2], v[86:87], v[76:77], v[1:2]
	v_add_f64 v[1:2], v[60:61], -v[1:2]
	scratch_store_b64 off, v[1:2], off offset:24
	v_cmpx_lt_u32_e32 2, v0
	s_cbranch_execz .LBB27_173
; %bb.172:
	scratch_load_b64 v[1:2], off, off offset:16
	v_mov_b32_e32 v60, 0
	s_delay_alu instid0(VALU_DEP_1)
	v_mov_b32_e32 v61, v60
	scratch_store_b64 off, v[60:61], off offset:16
	s_waitcnt vmcnt(0)
	ds_store_b64 v3, v[1:2]
.LBB27_173:
	s_or_b32 exec_lo, exec_lo, s0
	s_waitcnt lgkmcnt(0)
	s_waitcnt_vscnt null, 0x0
	s_barrier
	buffer_gl0_inv
	s_clause 0x4
	scratch_load_b128 v[60:63], off, off offset:16
	scratch_load_b128 v[64:67], off, off offset:32
	scratch_load_b128 v[68:71], off, off offset:48
	scratch_load_b128 v[72:75], off, off offset:64
	scratch_load_b128 v[76:79], off, off offset:80
	v_mov_b32_e32 v1, 0
	ds_load_2addr_b64 v[80:83], v1 offset0:31 offset1:32
	ds_load_2addr_b64 v[84:87], v1 offset0:33 offset1:34
	scratch_load_b128 v[88:91], off, off offset:96
	s_mov_b32 s0, exec_lo
	s_waitcnt vmcnt(5) lgkmcnt(1)
	v_fma_f64 v[62:63], v[62:63], v[80:81], 0
	s_waitcnt vmcnt(4)
	s_delay_alu instid0(VALU_DEP_1) | instskip(SKIP_1) | instid1(VALU_DEP_1)
	v_fma_f64 v[62:63], v[64:65], v[82:83], v[62:63]
	s_waitcnt lgkmcnt(0)
	v_fma_f64 v[66:67], v[66:67], v[84:85], v[62:63]
	scratch_load_b128 v[62:65], off, off offset:112
	s_waitcnt vmcnt(4)
	v_fma_f64 v[84:85], v[68:69], v[86:87], v[66:67]
	ds_load_2addr_b64 v[66:69], v1 offset0:35 offset1:36
	ds_load_2addr_b64 v[80:83], v1 offset0:37 offset1:38
	s_waitcnt lgkmcnt(1)
	v_fma_f64 v[66:67], v[70:71], v[66:67], v[84:85]
	scratch_load_b128 v[84:87], off, off offset:128
	s_waitcnt vmcnt(4)
	v_fma_f64 v[66:67], v[72:73], v[68:69], v[66:67]
	s_waitcnt lgkmcnt(0)
	s_delay_alu instid0(VALU_DEP_1)
	v_fma_f64 v[70:71], v[74:75], v[80:81], v[66:67]
	scratch_load_b128 v[66:69], off, off offset:144
	s_waitcnt vmcnt(4)
	v_fma_f64 v[80:81], v[76:77], v[82:83], v[70:71]
	ds_load_2addr_b64 v[70:73], v1 offset0:39 offset1:40
	ds_load_2addr_b64 v[74:77], v1 offset0:41 offset1:42
	s_waitcnt lgkmcnt(1)
	v_fma_f64 v[70:71], v[78:79], v[70:71], v[80:81]
	scratch_load_b128 v[78:81], off, off offset:160
	s_waitcnt vmcnt(4)
	v_fma_f64 v[70:71], v[88:89], v[72:73], v[70:71]
	s_waitcnt lgkmcnt(0)
	s_delay_alu instid0(VALU_DEP_1)
	;; [unrolled: 13-line block ×3, first 2 shown]
	v_fma_f64 v[82:83], v[86:87], v[88:89], v[74:75]
	scratch_load_b128 v[74:77], off, off offset:208
	s_waitcnt vmcnt(4)
	v_fma_f64 v[66:67], v[66:67], v[90:91], v[82:83]
	ds_load_2addr_b64 v[82:85], v1 offset0:47 offset1:48
	ds_load_2addr_b64 v[86:89], v1 offset0:49 offset1:50
	s_waitcnt lgkmcnt(1)
	v_fma_f64 v[66:67], v[68:69], v[82:83], v[66:67]
	s_waitcnt vmcnt(3)
	s_delay_alu instid0(VALU_DEP_1) | instskip(SKIP_1) | instid1(VALU_DEP_1)
	v_fma_f64 v[66:67], v[78:79], v[84:85], v[66:67]
	s_waitcnt lgkmcnt(0)
	v_fma_f64 v[66:67], v[80:81], v[86:87], v[66:67]
	s_waitcnt vmcnt(2)
	s_delay_alu instid0(VALU_DEP_1)
	v_fma_f64 v[70:71], v[70:71], v[88:89], v[66:67]
	ds_load_2addr_b64 v[66:69], v1 offset0:51 offset1:52
	ds_load_2addr_b64 v[78:81], v1 offset0:53 offset1:54
	s_waitcnt lgkmcnt(1)
	v_fma_f64 v[66:67], v[72:73], v[66:67], v[70:71]
	s_waitcnt vmcnt(1)
	s_delay_alu instid0(VALU_DEP_1) | instskip(SKIP_1) | instid1(VALU_DEP_1)
	v_fma_f64 v[62:63], v[62:63], v[68:69], v[66:67]
	s_waitcnt lgkmcnt(0)
	v_fma_f64 v[62:63], v[64:65], v[78:79], v[62:63]
	ds_load_b64 v[64:65], v1 offset:440
	s_waitcnt vmcnt(0)
	v_fma_f64 v[62:63], v[74:75], v[80:81], v[62:63]
	s_waitcnt lgkmcnt(0)
	s_delay_alu instid0(VALU_DEP_1) | instskip(NEXT) | instid1(VALU_DEP_1)
	v_fma_f64 v[62:63], v[76:77], v[64:65], v[62:63]
	v_add_f64 v[60:61], v[60:61], -v[62:63]
	scratch_store_b64 off, v[60:61], off offset:16
	v_cmpx_lt_u32_e32 1, v0
	s_cbranch_execz .LBB27_175
; %bb.174:
	scratch_load_b64 v[60:61], off, off offset:8
	v_mov_b32_e32 v2, v1
	scratch_store_b64 off, v[1:2], off offset:8
	s_waitcnt vmcnt(0)
	ds_store_b64 v3, v[60:61]
.LBB27_175:
	s_or_b32 exec_lo, exec_lo, s0
	s_waitcnt lgkmcnt(0)
	s_waitcnt_vscnt null, 0x0
	s_barrier
	buffer_gl0_inv
	s_clause 0x4
	scratch_load_b128 v[60:63], off, off offset:8
	scratch_load_b128 v[64:67], off, off offset:24
	;; [unrolled: 1-line block ×5, first 2 shown]
	ds_load_b128 v[80:83], v1 offset:240
	ds_load_b128 v[84:87], v1 offset:256
	scratch_load_b128 v[88:91], off, off offset:88
	s_mov_b32 s0, exec_lo
	s_waitcnt vmcnt(5) lgkmcnt(1)
	v_fma_f64 v[62:63], v[62:63], v[80:81], 0
	s_waitcnt vmcnt(4)
	s_delay_alu instid0(VALU_DEP_1) | instskip(SKIP_1) | instid1(VALU_DEP_1)
	v_fma_f64 v[62:63], v[64:65], v[82:83], v[62:63]
	s_waitcnt lgkmcnt(0)
	v_fma_f64 v[66:67], v[66:67], v[84:85], v[62:63]
	scratch_load_b128 v[62:65], off, off offset:104
	s_waitcnt vmcnt(4)
	v_fma_f64 v[84:85], v[68:69], v[86:87], v[66:67]
	ds_load_b128 v[66:69], v1 offset:272
	ds_load_b128 v[80:83], v1 offset:288
	s_waitcnt lgkmcnt(1)
	v_fma_f64 v[66:67], v[70:71], v[66:67], v[84:85]
	scratch_load_b128 v[84:87], off, off offset:120
	s_waitcnt vmcnt(4)
	v_fma_f64 v[66:67], v[72:73], v[68:69], v[66:67]
	s_waitcnt lgkmcnt(0)
	s_delay_alu instid0(VALU_DEP_1)
	v_fma_f64 v[70:71], v[74:75], v[80:81], v[66:67]
	scratch_load_b128 v[66:69], off, off offset:136
	s_waitcnt vmcnt(4)
	v_fma_f64 v[80:81], v[76:77], v[82:83], v[70:71]
	ds_load_b128 v[70:73], v1 offset:304
	ds_load_b128 v[74:77], v1 offset:320
	s_waitcnt lgkmcnt(1)
	v_fma_f64 v[70:71], v[78:79], v[70:71], v[80:81]
	scratch_load_b128 v[78:81], off, off offset:152
	s_waitcnt vmcnt(4)
	v_fma_f64 v[70:71], v[88:89], v[72:73], v[70:71]
	s_waitcnt lgkmcnt(0)
	s_delay_alu instid0(VALU_DEP_1)
	;; [unrolled: 13-line block ×3, first 2 shown]
	v_fma_f64 v[82:83], v[86:87], v[88:89], v[74:75]
	scratch_load_b128 v[74:77], off, off offset:200
	s_waitcnt vmcnt(4)
	v_fma_f64 v[66:67], v[66:67], v[90:91], v[82:83]
	ds_load_b128 v[82:85], v1 offset:368
	ds_load_b128 v[86:89], v1 offset:384
	s_waitcnt lgkmcnt(1)
	v_fma_f64 v[66:67], v[68:69], v[82:83], v[66:67]
	scratch_load_b64 v[82:83], off, off offset:216
	s_waitcnt vmcnt(4)
	v_fma_f64 v[66:67], v[78:79], v[84:85], v[66:67]
	s_waitcnt lgkmcnt(0)
	s_delay_alu instid0(VALU_DEP_1) | instskip(SKIP_1) | instid1(VALU_DEP_1)
	v_fma_f64 v[66:67], v[80:81], v[86:87], v[66:67]
	s_waitcnt vmcnt(3)
	v_fma_f64 v[70:71], v[70:71], v[88:89], v[66:67]
	ds_load_b128 v[66:69], v1 offset:400
	ds_load_b128 v[78:81], v1 offset:416
	s_waitcnt lgkmcnt(1)
	v_fma_f64 v[66:67], v[72:73], v[66:67], v[70:71]
	s_waitcnt vmcnt(2)
	s_delay_alu instid0(VALU_DEP_1) | instskip(SKIP_1) | instid1(VALU_DEP_1)
	v_fma_f64 v[62:63], v[62:63], v[68:69], v[66:67]
	s_waitcnt lgkmcnt(0)
	v_fma_f64 v[62:63], v[64:65], v[78:79], v[62:63]
	s_waitcnt vmcnt(1)
	s_delay_alu instid0(VALU_DEP_1) | instskip(SKIP_4) | instid1(VALU_DEP_1)
	v_fma_f64 v[66:67], v[74:75], v[80:81], v[62:63]
	ds_load_b128 v[62:65], v1 offset:432
	s_waitcnt lgkmcnt(0)
	v_fma_f64 v[1:2], v[76:77], v[62:63], v[66:67]
	s_waitcnt vmcnt(0)
	v_fma_f64 v[1:2], v[82:83], v[64:65], v[1:2]
	s_delay_alu instid0(VALU_DEP_1)
	v_add_f64 v[1:2], v[60:61], -v[1:2]
	scratch_store_b64 off, v[1:2], off offset:8
	v_cmpx_ne_u32_e32 0, v0
	s_cbranch_execz .LBB27_177
; %bb.176:
	scratch_load_b64 v[0:1], off, off
	v_mov_b32_e32 v60, 0
	s_delay_alu instid0(VALU_DEP_1)
	v_mov_b32_e32 v61, v60
	scratch_store_b64 off, v[60:61], off
	s_waitcnt vmcnt(0)
	ds_store_b64 v3, v[0:1]
.LBB27_177:
	s_or_b32 exec_lo, exec_lo, s0
	s_waitcnt lgkmcnt(0)
	s_waitcnt_vscnt null, 0x0
	s_barrier
	buffer_gl0_inv
	s_clause 0x4
	scratch_load_b128 v[60:63], off, off
	scratch_load_b128 v[0:3], off, off offset:16
	scratch_load_b128 v[64:67], off, off offset:32
	;; [unrolled: 1-line block ×4, first 2 shown]
	v_mov_b32_e32 v92, 0
	ds_load_2addr_b64 v[76:79], v92 offset0:29 offset1:30
	ds_load_2addr_b64 v[80:83], v92 offset0:31 offset1:32
	scratch_load_b128 v[84:87], off, off offset:80
	s_and_b32 vcc_lo, exec_lo, s16
	s_waitcnt vmcnt(5) lgkmcnt(1)
	v_fma_f64 v[62:63], v[62:63], v[76:77], 0
	s_waitcnt vmcnt(4)
	s_delay_alu instid0(VALU_DEP_1) | instskip(SKIP_1) | instid1(VALU_DEP_1)
	v_fma_f64 v[0:1], v[0:1], v[78:79], v[62:63]
	s_waitcnt lgkmcnt(0)
	v_fma_f64 v[62:63], v[2:3], v[80:81], v[0:1]
	scratch_load_b128 v[0:3], off, off offset:96
	s_waitcnt vmcnt(4)
	v_fma_f64 v[80:81], v[64:65], v[82:83], v[62:63]
	ds_load_2addr_b64 v[62:65], v92 offset0:33 offset1:34
	ds_load_2addr_b64 v[76:79], v92 offset0:35 offset1:36
	s_waitcnt lgkmcnt(1)
	v_fma_f64 v[62:63], v[66:67], v[62:63], v[80:81]
	scratch_load_b128 v[80:83], off, off offset:112
	s_waitcnt vmcnt(4)
	v_fma_f64 v[62:63], v[68:69], v[64:65], v[62:63]
	s_waitcnt lgkmcnt(0)
	s_delay_alu instid0(VALU_DEP_1)
	v_fma_f64 v[66:67], v[70:71], v[76:77], v[62:63]
	scratch_load_b128 v[62:65], off, off offset:128
	s_waitcnt vmcnt(4)
	v_fma_f64 v[76:77], v[72:73], v[78:79], v[66:67]
	ds_load_2addr_b64 v[66:69], v92 offset0:37 offset1:38
	ds_load_2addr_b64 v[70:73], v92 offset0:39 offset1:40
	s_waitcnt lgkmcnt(1)
	v_fma_f64 v[66:67], v[74:75], v[66:67], v[76:77]
	scratch_load_b128 v[74:77], off, off offset:144
	s_waitcnt vmcnt(4)
	v_fma_f64 v[66:67], v[84:85], v[68:69], v[66:67]
	s_waitcnt lgkmcnt(0)
	s_delay_alu instid0(VALU_DEP_1)
	v_fma_f64 v[70:71], v[86:87], v[70:71], v[66:67]
	scratch_load_b128 v[66:69], off, off offset:160
	s_waitcnt vmcnt(4)
	v_fma_f64 v[0:1], v[0:1], v[72:73], v[70:71]
	ds_load_2addr_b64 v[70:73], v92 offset0:41 offset1:42
	ds_load_2addr_b64 v[84:87], v92 offset0:43 offset1:44
	scratch_load_b128 v[88:91], off, off offset:176
	s_waitcnt lgkmcnt(1)
	v_fma_f64 v[0:1], v[2:3], v[70:71], v[0:1]
	s_waitcnt vmcnt(4)
	s_delay_alu instid0(VALU_DEP_1)
	v_fma_f64 v[0:1], v[80:81], v[72:73], v[0:1]
	scratch_load_b128 v[70:73], off, off offset:192
	s_waitcnt lgkmcnt(0)
	v_fma_f64 v[0:1], v[82:83], v[84:85], v[0:1]
	ds_load_2addr_b64 v[78:81], v92 offset0:45 offset1:46
	ds_load_2addr_b64 v[82:85], v92 offset0:47 offset1:48
	s_waitcnt vmcnt(4)
	v_fma_f64 v[0:1], v[62:63], v[86:87], v[0:1]
	s_waitcnt lgkmcnt(1)
	s_delay_alu instid0(VALU_DEP_1) | instskip(SKIP_4) | instid1(VALU_DEP_1)
	v_fma_f64 v[62:63], v[64:65], v[78:79], v[0:1]
	scratch_load_b128 v[0:3], off, off offset:208
	s_waitcnt vmcnt(4)
	v_fma_f64 v[62:63], v[74:75], v[80:81], v[62:63]
	s_waitcnt lgkmcnt(0)
	v_fma_f64 v[62:63], v[76:77], v[82:83], v[62:63]
	s_waitcnt vmcnt(3)
	s_delay_alu instid0(VALU_DEP_1)
	v_fma_f64 v[66:67], v[66:67], v[84:85], v[62:63]
	ds_load_2addr_b64 v[62:65], v92 offset0:49 offset1:50
	ds_load_2addr_b64 v[74:77], v92 offset0:51 offset1:52
	s_waitcnt lgkmcnt(1)
	v_fma_f64 v[62:63], v[68:69], v[62:63], v[66:67]
	s_waitcnt vmcnt(2)
	s_delay_alu instid0(VALU_DEP_1) | instskip(SKIP_1) | instid1(VALU_DEP_1)
	v_fma_f64 v[62:63], v[88:89], v[64:65], v[62:63]
	s_waitcnt lgkmcnt(0)
	v_fma_f64 v[62:63], v[90:91], v[74:75], v[62:63]
	s_waitcnt vmcnt(1)
	s_delay_alu instid0(VALU_DEP_1)
	v_fma_f64 v[66:67], v[70:71], v[76:77], v[62:63]
	ds_load_2addr_b64 v[62:65], v92 offset0:53 offset1:54
	ds_load_b64 v[68:69], v92 offset:440
	s_waitcnt lgkmcnt(1)
	v_fma_f64 v[62:63], v[72:73], v[62:63], v[66:67]
	s_waitcnt vmcnt(0)
	s_delay_alu instid0(VALU_DEP_1) | instskip(SKIP_1) | instid1(VALU_DEP_1)
	v_fma_f64 v[62:63], v[0:1], v[64:65], v[62:63]
	s_waitcnt lgkmcnt(0)
	v_fma_f64 v[2:3], v[2:3], v[68:69], v[62:63]
	s_delay_alu instid0(VALU_DEP_1)
	v_add_f64 v[2:3], v[60:61], -v[2:3]
	scratch_store_b64 off, v[2:3], off
	s_cbranch_vccz .LBB27_233
; %bb.178:
	v_dual_mov_b32 v2, s12 :: v_dual_mov_b32 v3, s13
	s_mov_b32 s0, exec_lo
	flat_load_b32 v2, v[2:3] offset:104
	s_waitcnt vmcnt(0) lgkmcnt(0)
	v_cmpx_ne_u32_e32 27, v2
	s_cbranch_execz .LBB27_180
; %bb.179:
	v_lshl_add_u32 v60, v2, 3, 0
	scratch_load_b64 v[2:3], v60, off offset:-8
	s_waitcnt vmcnt(0)
	scratch_store_b64 off, v[2:3], off offset:208
	scratch_store_b64 v60, v[0:1], off offset:-8
.LBB27_180:
	s_or_b32 exec_lo, exec_lo, s0
	v_dual_mov_b32 v0, s12 :: v_dual_mov_b32 v1, s13
	s_mov_b32 s0, exec_lo
	flat_load_b32 v0, v[0:1] offset:100
	s_waitcnt vmcnt(0) lgkmcnt(0)
	v_cmpx_ne_u32_e32 26, v0
	s_cbranch_execz .LBB27_182
; %bb.181:
	v_lshl_add_u32 v60, v0, 3, 0
	scratch_load_b64 v[0:1], v60, off offset:-8
	scratch_load_b64 v[2:3], off, off offset:200
	s_waitcnt vmcnt(1)
	scratch_store_b64 off, v[0:1], off offset:200
	s_waitcnt vmcnt(0)
	scratch_store_b64 v60, v[2:3], off offset:-8
.LBB27_182:
	s_or_b32 exec_lo, exec_lo, s0
	v_dual_mov_b32 v0, s12 :: v_dual_mov_b32 v1, s13
	s_mov_b32 s0, exec_lo
	flat_load_b32 v0, v[0:1] offset:96
	s_waitcnt vmcnt(0) lgkmcnt(0)
	v_cmpx_ne_u32_e32 25, v0
	s_cbranch_execz .LBB27_184
; %bb.183:
	v_lshl_add_u32 v60, v0, 3, 0
	scratch_load_b64 v[0:1], v60, off offset:-8
	scratch_load_b64 v[2:3], off, off offset:192
	s_waitcnt vmcnt(1)
	scratch_store_b64 off, v[0:1], off offset:192
	s_waitcnt vmcnt(0)
	scratch_store_b64 v60, v[2:3], off offset:-8
.LBB27_184:
	;; [unrolled: 16-line block ×25, first 2 shown]
	s_or_b32 exec_lo, exec_lo, s0
	v_dual_mov_b32 v0, s12 :: v_dual_mov_b32 v1, s13
	s_mov_b32 s0, exec_lo
	flat_load_b32 v0, v[0:1]
	scratch_load_b64 v[2:3], off, off
	s_waitcnt vmcnt(1) lgkmcnt(0)
	v_cmpx_ne_u32_e32 1, v0
	s_cbranch_execz .LBB27_232
; %bb.231:
	v_lshl_add_u32 v60, v0, 3, 0
	scratch_load_b64 v[0:1], v60, off offset:-8
	s_waitcnt vmcnt(0)
	scratch_store_b64 off, v[0:1], off
	scratch_store_b64 v60, v[2:3], off offset:-8
	scratch_load_b64 v[2:3], off, off
.LBB27_232:
	s_or_b32 exec_lo, exec_lo, s0
.LBB27_233:
	s_clause 0x7
	scratch_load_b128 v[60:63], off, off offset:8
	scratch_load_b128 v[64:67], off, off offset:24
	;; [unrolled: 1-line block ×8, first 2 shown]
	s_waitcnt vmcnt(8)
	global_store_b64 v[6:7], v[2:3], off
	s_clause 0x1
	scratch_load_b128 v[0:3], off, off offset:136
	scratch_load_b128 v[92:95], off, off offset:152
	s_waitcnt vmcnt(9)
	s_clause 0x1
	global_store_b64 v[12:13], v[60:61], off
	global_store_b64 v[8:9], v[62:63], off
	s_waitcnt vmcnt(8)
	s_clause 0x1
	global_store_b64 v[4:5], v[64:65], off
	global_store_b64 v[18:19], v[66:67], off
	s_clause 0x3
	scratch_load_b128 v[6:9], off, off offset:168
	scratch_load_b128 v[60:63], off, off offset:184
	;; [unrolled: 1-line block ×3, first 2 shown]
	scratch_load_b64 v[4:5], off, off offset:216
	s_waitcnt vmcnt(11)
	s_clause 0x1
	global_store_b64 v[10:11], v[68:69], off
	global_store_b64 v[14:15], v[70:71], off
	s_waitcnt vmcnt(10)
	s_clause 0x1
	global_store_b64 v[16:17], v[72:73], off
	global_store_b64 v[20:21], v[74:75], off
	;; [unrolled: 4-line block ×11, first 2 shown]
	s_waitcnt vmcnt(0)
	global_store_b64 v[32:33], v[4:5], off
	s_endpgm
	.section	.rodata,"a",@progbits
	.p2align	6, 0x0
	.amdhsa_kernel _ZN9rocsolver6v33100L18getri_kernel_smallILi28EdPdEEvT1_iilPiilS4_bb
		.amdhsa_group_segment_fixed_size 456
		.amdhsa_private_segment_fixed_size 240
		.amdhsa_kernarg_size 60
		.amdhsa_user_sgpr_count 15
		.amdhsa_user_sgpr_dispatch_ptr 0
		.amdhsa_user_sgpr_queue_ptr 0
		.amdhsa_user_sgpr_kernarg_segment_ptr 1
		.amdhsa_user_sgpr_dispatch_id 0
		.amdhsa_user_sgpr_private_segment_size 0
		.amdhsa_wavefront_size32 1
		.amdhsa_uses_dynamic_stack 0
		.amdhsa_enable_private_segment 1
		.amdhsa_system_sgpr_workgroup_id_x 1
		.amdhsa_system_sgpr_workgroup_id_y 0
		.amdhsa_system_sgpr_workgroup_id_z 0
		.amdhsa_system_sgpr_workgroup_info 0
		.amdhsa_system_vgpr_workitem_id 0
		.amdhsa_next_free_vgpr 96
		.amdhsa_next_free_sgpr 18
		.amdhsa_reserve_vcc 1
		.amdhsa_float_round_mode_32 0
		.amdhsa_float_round_mode_16_64 0
		.amdhsa_float_denorm_mode_32 3
		.amdhsa_float_denorm_mode_16_64 3
		.amdhsa_dx10_clamp 1
		.amdhsa_ieee_mode 1
		.amdhsa_fp16_overflow 0
		.amdhsa_workgroup_processor_mode 1
		.amdhsa_memory_ordered 1
		.amdhsa_forward_progress 0
		.amdhsa_shared_vgpr_count 0
		.amdhsa_exception_fp_ieee_invalid_op 0
		.amdhsa_exception_fp_denorm_src 0
		.amdhsa_exception_fp_ieee_div_zero 0
		.amdhsa_exception_fp_ieee_overflow 0
		.amdhsa_exception_fp_ieee_underflow 0
		.amdhsa_exception_fp_ieee_inexact 0
		.amdhsa_exception_int_div_zero 0
	.end_amdhsa_kernel
	.section	.text._ZN9rocsolver6v33100L18getri_kernel_smallILi28EdPdEEvT1_iilPiilS4_bb,"axG",@progbits,_ZN9rocsolver6v33100L18getri_kernel_smallILi28EdPdEEvT1_iilPiilS4_bb,comdat
.Lfunc_end27:
	.size	_ZN9rocsolver6v33100L18getri_kernel_smallILi28EdPdEEvT1_iilPiilS4_bb, .Lfunc_end27-_ZN9rocsolver6v33100L18getri_kernel_smallILi28EdPdEEvT1_iilPiilS4_bb
                                        ; -- End function
	.section	.AMDGPU.csdata,"",@progbits
; Kernel info:
; codeLenInByte = 20696
; NumSgprs: 20
; NumVgprs: 96
; ScratchSize: 240
; MemoryBound: 0
; FloatMode: 240
; IeeeMode: 1
; LDSByteSize: 456 bytes/workgroup (compile time only)
; SGPRBlocks: 2
; VGPRBlocks: 11
; NumSGPRsForWavesPerEU: 20
; NumVGPRsForWavesPerEU: 96
; Occupancy: 16
; WaveLimiterHint : 1
; COMPUTE_PGM_RSRC2:SCRATCH_EN: 1
; COMPUTE_PGM_RSRC2:USER_SGPR: 15
; COMPUTE_PGM_RSRC2:TRAP_HANDLER: 0
; COMPUTE_PGM_RSRC2:TGID_X_EN: 1
; COMPUTE_PGM_RSRC2:TGID_Y_EN: 0
; COMPUTE_PGM_RSRC2:TGID_Z_EN: 0
; COMPUTE_PGM_RSRC2:TIDIG_COMP_CNT: 0
	.section	.text._ZN9rocsolver6v33100L18getri_kernel_smallILi29EdPdEEvT1_iilPiilS4_bb,"axG",@progbits,_ZN9rocsolver6v33100L18getri_kernel_smallILi29EdPdEEvT1_iilPiilS4_bb,comdat
	.globl	_ZN9rocsolver6v33100L18getri_kernel_smallILi29EdPdEEvT1_iilPiilS4_bb ; -- Begin function _ZN9rocsolver6v33100L18getri_kernel_smallILi29EdPdEEvT1_iilPiilS4_bb
	.p2align	8
	.type	_ZN9rocsolver6v33100L18getri_kernel_smallILi29EdPdEEvT1_iilPiilS4_bb,@function
_ZN9rocsolver6v33100L18getri_kernel_smallILi29EdPdEEvT1_iilPiilS4_bb: ; @_ZN9rocsolver6v33100L18getri_kernel_smallILi29EdPdEEvT1_iilPiilS4_bb
; %bb.0:
	s_mov_b32 s2, exec_lo
	v_cmpx_gt_u32_e32 29, v0
	s_cbranch_execz .LBB28_126
; %bb.1:
	s_clause 0x2
	s_load_b32 s17, s[0:1], 0x38
	s_load_b128 s[8:11], s[0:1], 0x10
	s_load_b128 s[4:7], s[0:1], 0x28
	s_mov_b32 s14, s15
                                        ; implicit-def: $sgpr12_sgpr13
	s_waitcnt lgkmcnt(0)
	s_bitcmp1_b32 s17, 8
	s_cselect_b32 s16, -1, 0
	s_bfe_u32 s2, s17, 0x10008
	s_ashr_i32 s15, s15, 31
	s_cmp_eq_u32 s2, 0
	s_cbranch_scc1 .LBB28_3
; %bb.2:
	s_load_b32 s2, s[0:1], 0x20
	s_mul_i32 s3, s14, s5
	s_mul_hi_u32 s5, s14, s4
	s_mul_i32 s12, s15, s4
	s_add_i32 s3, s5, s3
	s_mul_i32 s4, s14, s4
	s_add_i32 s5, s3, s12
	s_delay_alu instid0(SALU_CYCLE_1)
	s_lshl_b64 s[4:5], s[4:5], 2
	s_waitcnt lgkmcnt(0)
	s_ashr_i32 s3, s2, 31
	s_add_u32 s4, s10, s4
	s_addc_u32 s5, s11, s5
	s_lshl_b64 s[2:3], s[2:3], 2
	s_delay_alu instid0(SALU_CYCLE_1)
	s_add_u32 s12, s4, s2
	s_addc_u32 s13, s5, s3
.LBB28_3:
	s_load_b128 s[0:3], s[0:1], 0x0
	s_mul_i32 s4, s14, s9
	s_mul_hi_u32 s5, s14, s8
	s_mul_i32 s9, s15, s8
	s_add_i32 s5, s5, s4
	s_mul_i32 s4, s14, s8
	s_add_i32 s5, s5, s9
	v_lshlrev_b32_e32 v3, 3, v0
	s_lshl_b64 s[4:5], s[4:5], 3
	s_waitcnt lgkmcnt(0)
	v_add3_u32 v1, s3, s3, v0
	s_ashr_i32 s9, s2, 31
	s_mov_b32 s8, s2
	s_add_u32 s2, s0, s4
	s_addc_u32 s5, s1, s5
	v_add_nc_u32_e32 v6, s3, v1
	s_lshl_b64 s[0:1], s[8:9], 3
	v_ashrrev_i32_e32 v2, 31, v1
	s_add_u32 s0, s2, s0
	s_addc_u32 s1, s5, s1
	v_add_co_u32 v4, s2, s0, v3
	v_add_nc_u32_e32 v8, s3, v6
	s_mov_b32 s4, s3
	s_ashr_i32 s5, s3, 31
	v_add_co_ci_u32_e64 v5, null, s1, 0, s2
	v_lshlrev_b64 v[1:2], 3, v[1:2]
	v_ashrrev_i32_e32 v7, 31, v6
	s_lshl_b64 s[4:5], s[4:5], 3
	v_ashrrev_i32_e32 v9, 31, v8
	v_add_co_u32 v10, vcc_lo, v4, s4
	v_add_co_ci_u32_e32 v11, vcc_lo, s5, v5, vcc_lo
	v_lshlrev_b64 v[12:13], 3, v[6:7]
	v_add_co_u32 v6, vcc_lo, s0, v1
	v_add_nc_u32_e32 v14, s3, v8
	v_add_co_ci_u32_e32 v7, vcc_lo, s1, v2, vcc_lo
	v_lshlrev_b64 v[1:2], 3, v[8:9]
	v_add_co_u32 v8, vcc_lo, s0, v12
	s_delay_alu instid0(VALU_DEP_4)
	v_ashrrev_i32_e32 v15, 31, v14
	v_add_nc_u32_e32 v16, s3, v14
	v_add_co_ci_u32_e32 v9, vcc_lo, s1, v13, vcc_lo
	v_add_co_u32 v12, vcc_lo, s0, v1
	v_add_co_ci_u32_e32 v13, vcc_lo, s1, v2, vcc_lo
	v_lshlrev_b64 v[1:2], 3, v[14:15]
	v_add_nc_u32_e32 v14, s3, v16
	v_ashrrev_i32_e32 v17, 31, v16
	s_clause 0x4
	global_load_b64 v[62:63], v3, s[0:1]
	global_load_b64 v[64:65], v[10:11], off
	global_load_b64 v[66:67], v[6:7], off
	;; [unrolled: 1-line block ×4, first 2 shown]
	s_bitcmp0_b32 s17, 0
	v_add_nc_u32_e32 v20, s3, v14
	v_ashrrev_i32_e32 v15, 31, v14
	v_lshlrev_b64 v[18:19], 3, v[16:17]
	v_add_co_u32 v16, vcc_lo, s0, v1
	s_delay_alu instid0(VALU_DEP_4)
	v_add_nc_u32_e32 v22, s3, v20
	v_add_co_ci_u32_e32 v17, vcc_lo, s1, v2, vcc_lo
	v_lshlrev_b64 v[1:2], 3, v[14:15]
	v_ashrrev_i32_e32 v21, 31, v20
	v_add_co_u32 v18, vcc_lo, s0, v18
	v_ashrrev_i32_e32 v23, 31, v22
	v_add_nc_u32_e32 v24, s3, v22
	v_add_co_ci_u32_e32 v19, vcc_lo, s1, v19, vcc_lo
	v_lshlrev_b64 v[20:21], 3, v[20:21]
	v_add_co_u32 v14, vcc_lo, s0, v1
	v_add_co_ci_u32_e32 v15, vcc_lo, s1, v2, vcc_lo
	v_lshlrev_b64 v[1:2], 3, v[22:23]
	v_add_nc_u32_e32 v26, s3, v24
	v_add_co_u32 v20, vcc_lo, s0, v20
	v_add_co_ci_u32_e32 v21, vcc_lo, s1, v21, vcc_lo
	s_delay_alu instid0(VALU_DEP_4) | instskip(NEXT) | instid1(VALU_DEP_4)
	v_add_co_u32 v22, vcc_lo, s0, v1
	v_add_nc_u32_e32 v1, s3, v26
	v_ashrrev_i32_e32 v25, 31, v24
	v_ashrrev_i32_e32 v27, 31, v26
	v_add_co_ci_u32_e32 v23, vcc_lo, s1, v2, vcc_lo
	s_delay_alu instid0(VALU_DEP_4) | instskip(NEXT) | instid1(VALU_DEP_4)
	v_add_nc_u32_e32 v32, s3, v1
	v_lshlrev_b64 v[24:25], 3, v[24:25]
	v_ashrrev_i32_e32 v2, 31, v1
	v_lshlrev_b64 v[26:27], 3, v[26:27]
	s_clause 0x3
	global_load_b64 v[72:73], v[16:17], off
	global_load_b64 v[74:75], v[18:19], off
	;; [unrolled: 1-line block ×4, first 2 shown]
	v_ashrrev_i32_e32 v33, 31, v32
	global_load_b64 v[80:81], v[22:23], off
	v_add_co_u32 v24, vcc_lo, s0, v24
	v_lshlrev_b64 v[1:2], 3, v[1:2]
	v_add_co_ci_u32_e32 v25, vcc_lo, s1, v25, vcc_lo
	v_add_co_u32 v26, vcc_lo, s0, v26
	v_lshlrev_b64 v[30:31], 3, v[32:33]
	v_add_co_ci_u32_e32 v27, vcc_lo, s1, v27, vcc_lo
	v_add_co_u32 v28, vcc_lo, s0, v1
	v_add_co_ci_u32_e32 v29, vcc_lo, s1, v2, vcc_lo
	s_delay_alu instid0(VALU_DEP_4)
	v_add_co_u32 v30, vcc_lo, s0, v30
	v_add_co_ci_u32_e32 v31, vcc_lo, s1, v31, vcc_lo
	s_clause 0x3
	global_load_b64 v[82:83], v[24:25], off
	global_load_b64 v[84:85], v[26:27], off
	;; [unrolled: 1-line block ×4, first 2 shown]
	v_add_nc_u32_e32 v1, s3, v32
	s_delay_alu instid0(VALU_DEP_1) | instskip(SKIP_1) | instid1(VALU_DEP_2)
	v_add_nc_u32_e32 v32, s3, v1
	v_ashrrev_i32_e32 v2, 31, v1
	v_add_nc_u32_e32 v34, s3, v32
	v_ashrrev_i32_e32 v33, 31, v32
	s_delay_alu instid0(VALU_DEP_3) | instskip(NEXT) | instid1(VALU_DEP_3)
	v_lshlrev_b64 v[1:2], 3, v[1:2]
	v_add_nc_u32_e32 v38, s3, v34
	v_ashrrev_i32_e32 v35, 31, v34
	s_delay_alu instid0(VALU_DEP_4) | instskip(NEXT) | instid1(VALU_DEP_4)
	v_lshlrev_b64 v[36:37], 3, v[32:33]
	v_add_co_u32 v32, vcc_lo, s0, v1
	s_delay_alu instid0(VALU_DEP_4) | instskip(SKIP_3) | instid1(VALU_DEP_4)
	v_add_nc_u32_e32 v40, s3, v38
	v_add_co_ci_u32_e32 v33, vcc_lo, s1, v2, vcc_lo
	v_lshlrev_b64 v[1:2], 3, v[34:35]
	v_ashrrev_i32_e32 v39, 31, v38
	v_add_nc_u32_e32 v42, s3, v40
	v_add_co_u32 v34, vcc_lo, s0, v36
	v_ashrrev_i32_e32 v41, 31, v40
	v_add_co_ci_u32_e32 v35, vcc_lo, s1, v37, vcc_lo
	s_delay_alu instid0(VALU_DEP_4) | instskip(SKIP_3) | instid1(VALU_DEP_4)
	v_add_nc_u32_e32 v44, s3, v42
	v_lshlrev_b64 v[38:39], 3, v[38:39]
	v_add_co_u32 v36, vcc_lo, s0, v1
	v_add_co_ci_u32_e32 v37, vcc_lo, s1, v2, vcc_lo
	v_add_nc_u32_e32 v46, s3, v44
	v_lshlrev_b64 v[1:2], 3, v[40:41]
	v_ashrrev_i32_e32 v43, 31, v42
	v_add_co_u32 v38, vcc_lo, s0, v38
	s_delay_alu instid0(VALU_DEP_4) | instskip(SKIP_3) | instid1(VALU_DEP_4)
	v_add_nc_u32_e32 v48, s3, v46
	v_ashrrev_i32_e32 v45, 31, v44
	v_add_co_ci_u32_e32 v39, vcc_lo, s1, v39, vcc_lo
	v_lshlrev_b64 v[42:43], 3, v[42:43]
	v_add_nc_u32_e32 v50, s3, v48
	v_add_co_u32 v40, vcc_lo, s0, v1
	v_add_co_ci_u32_e32 v41, vcc_lo, s1, v2, vcc_lo
	v_lshlrev_b64 v[1:2], 3, v[44:45]
	v_ashrrev_i32_e32 v47, 31, v46
	v_add_nc_u32_e32 v52, s3, v50
	v_add_co_u32 v42, vcc_lo, s0, v42
	v_ashrrev_i32_e32 v49, 31, v48
	v_add_co_ci_u32_e32 v43, vcc_lo, s1, v43, vcc_lo
	v_lshlrev_b64 v[46:47], 3, v[46:47]
	v_add_co_u32 v44, vcc_lo, s0, v1
	v_add_nc_u32_e32 v54, s3, v52
	v_add_co_ci_u32_e32 v45, vcc_lo, s1, v2, vcc_lo
	v_lshlrev_b64 v[1:2], 3, v[48:49]
	v_ashrrev_i32_e32 v51, 31, v50
	v_add_co_u32 v46, vcc_lo, s0, v46
	v_ashrrev_i32_e32 v53, 31, v52
	v_add_nc_u32_e32 v56, s3, v54
	v_add_co_ci_u32_e32 v47, vcc_lo, s1, v47, vcc_lo
	v_lshlrev_b64 v[50:51], 3, v[50:51]
	v_add_co_u32 v48, vcc_lo, s0, v1
	v_add_co_ci_u32_e32 v49, vcc_lo, s1, v2, vcc_lo
	v_lshlrev_b64 v[1:2], 3, v[52:53]
	v_ashrrev_i32_e32 v55, 31, v54
	v_add_nc_u32_e32 v58, s3, v56
	v_add_co_u32 v50, vcc_lo, s0, v50
	v_ashrrev_i32_e32 v57, 31, v56
	v_add_co_ci_u32_e32 v51, vcc_lo, s1, v51, vcc_lo
	v_lshlrev_b64 v[54:55], 3, v[54:55]
	v_add_co_u32 v52, vcc_lo, s0, v1
	v_add_nc_u32_e32 v90, s3, v58
	v_add_co_ci_u32_e32 v53, vcc_lo, s1, v2, vcc_lo
	v_lshlrev_b64 v[1:2], 3, v[56:57]
	v_ashrrev_i32_e32 v59, 31, v58
	v_add_co_u32 v56, vcc_lo, s0, v54
	v_ashrrev_i32_e32 v91, 31, v90
	v_add_co_ci_u32_e32 v57, vcc_lo, s1, v55, vcc_lo
	s_delay_alu instid0(VALU_DEP_4) | instskip(SKIP_3) | instid1(VALU_DEP_4)
	v_lshlrev_b64 v[54:55], 3, v[58:59]
	v_add_co_u32 v60, vcc_lo, s0, v1
	v_add_co_ci_u32_e32 v61, vcc_lo, s1, v2, vcc_lo
	v_lshlrev_b64 v[1:2], 3, v[90:91]
	v_add_co_u32 v54, vcc_lo, s0, v54
	v_add_co_ci_u32_e32 v55, vcc_lo, s1, v55, vcc_lo
	s_delay_alu instid0(VALU_DEP_3) | instskip(NEXT) | instid1(VALU_DEP_4)
	v_add_co_u32 v58, vcc_lo, s0, v1
	v_add_co_ci_u32_e32 v59, vcc_lo, s1, v2, vcc_lo
	s_mov_b32 s1, -1
	s_waitcnt vmcnt(12)
	scratch_store_b128 off, v[62:65], off
	s_clause 0x2
	global_load_b64 v[62:63], v[32:33], off
	global_load_b64 v[64:65], v[34:35], off
	;; [unrolled: 1-line block ×3, first 2 shown]
	s_waitcnt vmcnt(13)
	scratch_store_b128 off, v[66:69], off offset:16
	s_waitcnt vmcnt(11)
	scratch_store_b128 off, v[70:73], off offset:32
	s_clause 0x3
	global_load_b64 v[92:93], v[38:39], off
	global_load_b64 v[66:67], v[40:41], off
	;; [unrolled: 1-line block ×4, first 2 shown]
	s_waitcnt vmcnt(13)
	scratch_store_b128 off, v[74:77], off offset:48
	s_waitcnt vmcnt(11)
	scratch_store_b128 off, v[78:81], off offset:64
	s_clause 0x3
	global_load_b64 v[72:73], v[46:47], off
	global_load_b64 v[74:75], v[48:49], off
	;; [unrolled: 1-line block ×4, first 2 shown]
	s_waitcnt vmcnt(13)
	scratch_store_b128 off, v[82:85], off offset:80
	s_clause 0x3
	global_load_b64 v[80:81], v[56:57], off
	global_load_b64 v[82:83], v[60:61], off
	;; [unrolled: 1-line block ×4, first 2 shown]
	s_waitcnt vmcnt(15)
	scratch_store_b128 off, v[86:89], off offset:96
	s_waitcnt vmcnt(13)
	scratch_store_b128 off, v[62:65], off offset:112
	;; [unrolled: 2-line block ×8, first 2 shown]
	s_waitcnt vmcnt(0)
	scratch_store_b64 off, v[1:2], off offset:224
	s_cbranch_scc1 .LBB28_124
; %bb.4:
	v_cmp_eq_u32_e64 s0, 0, v0
	s_delay_alu instid0(VALU_DEP_1)
	s_and_saveexec_b32 s1, s0
	s_cbranch_execz .LBB28_6
; %bb.5:
	v_mov_b32_e32 v1, 0
	ds_store_b32 v1, v1 offset:232
.LBB28_6:
	s_or_b32 exec_lo, exec_lo, s1
	s_waitcnt lgkmcnt(0)
	s_waitcnt_vscnt null, 0x0
	s_barrier
	buffer_gl0_inv
	scratch_load_b64 v[1:2], v3, off
	s_mov_b32 s2, exec_lo
	s_waitcnt vmcnt(0)
	v_cmpx_eq_f64_e32 0, v[1:2]
	s_cbranch_execz .LBB28_10
; %bb.7:
	v_mov_b32_e32 v1, 0
	s_mov_b32 s3, 0
	ds_load_b32 v2, v1 offset:232
	s_waitcnt lgkmcnt(0)
	v_readfirstlane_b32 s1, v2
	v_add_nc_u32_e32 v2, 1, v0
	s_delay_alu instid0(VALU_DEP_2) | instskip(NEXT) | instid1(VALU_DEP_1)
	s_cmp_eq_u32 s1, 0
	v_cmp_gt_i32_e32 vcc_lo, s1, v2
	s_cselect_b32 s4, -1, 0
	s_delay_alu instid0(SALU_CYCLE_1) | instskip(NEXT) | instid1(SALU_CYCLE_1)
	s_or_b32 s4, s4, vcc_lo
	s_and_b32 exec_lo, exec_lo, s4
	s_cbranch_execz .LBB28_10
; %bb.8:
	v_mov_b32_e32 v62, s1
.LBB28_9:                               ; =>This Inner Loop Header: Depth=1
	ds_cmpstore_rtn_b32 v62, v1, v2, v62 offset:232
	s_waitcnt lgkmcnt(0)
	v_cmp_ne_u32_e32 vcc_lo, 0, v62
	v_cmp_le_i32_e64 s1, v62, v2
	s_delay_alu instid0(VALU_DEP_1) | instskip(NEXT) | instid1(SALU_CYCLE_1)
	s_and_b32 s1, vcc_lo, s1
	s_and_b32 s1, exec_lo, s1
	s_delay_alu instid0(SALU_CYCLE_1) | instskip(NEXT) | instid1(SALU_CYCLE_1)
	s_or_b32 s3, s1, s3
	s_and_not1_b32 exec_lo, exec_lo, s3
	s_cbranch_execnz .LBB28_9
.LBB28_10:
	s_or_b32 exec_lo, exec_lo, s2
	v_mov_b32_e32 v1, 0
	s_barrier
	buffer_gl0_inv
	ds_load_b32 v2, v1 offset:232
	s_and_saveexec_b32 s1, s0
	s_cbranch_execz .LBB28_12
; %bb.11:
	s_lshl_b64 s[2:3], s[14:15], 2
	s_delay_alu instid0(SALU_CYCLE_1)
	s_add_u32 s2, s6, s2
	s_addc_u32 s3, s7, s3
	s_waitcnt lgkmcnt(0)
	global_store_b32 v1, v2, s[2:3]
.LBB28_12:
	s_or_b32 exec_lo, exec_lo, s1
	s_waitcnt lgkmcnt(0)
	v_cmp_ne_u32_e32 vcc_lo, 0, v2
	s_mov_b32 s1, 0
	s_cbranch_vccnz .LBB28_124
; %bb.13:
	v_add_nc_u32_e32 v62, 0, v3
	scratch_load_b64 v[1:2], v62, off
	s_waitcnt vmcnt(0)
	v_div_scale_f64 v[63:64], null, v[1:2], v[1:2], 1.0
	v_div_scale_f64 v[69:70], vcc_lo, 1.0, v[1:2], 1.0
	s_delay_alu instid0(VALU_DEP_2) | instskip(SKIP_2) | instid1(VALU_DEP_1)
	v_rcp_f64_e32 v[65:66], v[63:64]
	s_waitcnt_depctr 0xfff
	v_fma_f64 v[67:68], -v[63:64], v[65:66], 1.0
	v_fma_f64 v[65:66], v[65:66], v[67:68], v[65:66]
	s_delay_alu instid0(VALU_DEP_1) | instskip(NEXT) | instid1(VALU_DEP_1)
	v_fma_f64 v[67:68], -v[63:64], v[65:66], 1.0
	v_fma_f64 v[65:66], v[65:66], v[67:68], v[65:66]
	s_delay_alu instid0(VALU_DEP_1) | instskip(NEXT) | instid1(VALU_DEP_1)
	v_mul_f64 v[67:68], v[69:70], v[65:66]
	v_fma_f64 v[63:64], -v[63:64], v[67:68], v[69:70]
	s_delay_alu instid0(VALU_DEP_1) | instskip(NEXT) | instid1(VALU_DEP_1)
	v_div_fmas_f64 v[63:64], v[63:64], v[65:66], v[67:68]
	v_div_fixup_f64 v[1:2], v[63:64], v[1:2], 1.0
	v_add_nc_u32_e32 v63, 0xf0, v3
	scratch_store_b64 v62, v[1:2], off
	scratch_load_b64 v[64:65], off, off offset:8
	v_xor_b32_e32 v2, 0x80000000, v2
	s_waitcnt vmcnt(0)
	ds_store_2addr_b64 v3, v[1:2], v[64:65] offset1:30
	s_waitcnt lgkmcnt(0)
	s_waitcnt_vscnt null, 0x0
	s_barrier
	buffer_gl0_inv
	s_and_saveexec_b32 s1, s0
	s_cbranch_execz .LBB28_15
; %bb.14:
	scratch_load_b64 v[1:2], v62, off
	ds_load_b64 v[64:65], v63
	s_waitcnt vmcnt(0) lgkmcnt(0)
	v_fma_f64 v[1:2], v[1:2], v[64:65], 0
	v_mov_b32_e32 v64, 0
	ds_load_b64 v[64:65], v64 offset:8
	s_waitcnt lgkmcnt(0)
	v_mul_f64 v[1:2], v[1:2], v[64:65]
	scratch_store_b64 off, v[1:2], off offset:8
.LBB28_15:
	s_or_b32 exec_lo, exec_lo, s1
	s_waitcnt_vscnt null, 0x0
	s_barrier
	buffer_gl0_inv
	scratch_load_b64 v[1:2], off, off offset:16
	s_mov_b32 s1, exec_lo
	s_waitcnt vmcnt(0)
	ds_store_b64 v63, v[1:2]
	s_waitcnt lgkmcnt(0)
	s_barrier
	buffer_gl0_inv
	v_cmpx_gt_u32_e32 2, v0
	s_cbranch_execz .LBB28_19
; %bb.16:
	scratch_load_b64 v[1:2], v62, off
	ds_load_b64 v[64:65], v63
	s_waitcnt vmcnt(0) lgkmcnt(0)
	v_fma_f64 v[1:2], v[1:2], v[64:65], 0
	s_and_saveexec_b32 s2, s0
	s_cbranch_execz .LBB28_18
; %bb.17:
	scratch_load_b64 v[64:65], off, off offset:8
	v_mov_b32_e32 v66, 0
	ds_load_b64 v[66:67], v66 offset:248
	s_waitcnt vmcnt(0) lgkmcnt(0)
	v_fma_f64 v[1:2], v[64:65], v[66:67], v[1:2]
.LBB28_18:
	s_or_b32 exec_lo, exec_lo, s2
	v_mov_b32_e32 v64, 0
	ds_load_b64 v[64:65], v64 offset:16
	s_waitcnt lgkmcnt(0)
	v_mul_f64 v[1:2], v[1:2], v[64:65]
	scratch_store_b64 off, v[1:2], off offset:16
.LBB28_19:
	s_or_b32 exec_lo, exec_lo, s1
	s_waitcnt_vscnt null, 0x0
	s_barrier
	buffer_gl0_inv
	scratch_load_b64 v[1:2], off, off offset:24
	v_add_nc_u32_e32 v64, -1, v0
	s_mov_b32 s0, exec_lo
	s_waitcnt vmcnt(0)
	ds_store_b64 v63, v[1:2]
	s_waitcnt lgkmcnt(0)
	s_barrier
	buffer_gl0_inv
	v_cmpx_gt_u32_e32 3, v0
	s_cbranch_execz .LBB28_23
; %bb.20:
	v_dual_mov_b32 v1, 0 :: v_dual_add_nc_u32 v66, 0xf0, v3
	v_dual_mov_b32 v2, 0 :: v_dual_add_nc_u32 v65, -1, v0
	v_add_nc_u32_e32 v67, 0, v3
	s_mov_b32 s1, 0
.LBB28_21:                              ; =>This Inner Loop Header: Depth=1
	scratch_load_b64 v[68:69], v67, off
	ds_load_b64 v[70:71], v66
	v_add_nc_u32_e32 v65, 1, v65
	v_add_nc_u32_e32 v66, 8, v66
	v_add_nc_u32_e32 v67, 8, v67
	s_delay_alu instid0(VALU_DEP_3)
	v_cmp_lt_u32_e32 vcc_lo, 1, v65
	s_or_b32 s1, vcc_lo, s1
	s_waitcnt vmcnt(0) lgkmcnt(0)
	v_fma_f64 v[1:2], v[68:69], v[70:71], v[1:2]
	s_and_not1_b32 exec_lo, exec_lo, s1
	s_cbranch_execnz .LBB28_21
; %bb.22:
	s_or_b32 exec_lo, exec_lo, s1
	v_mov_b32_e32 v65, 0
	ds_load_b64 v[65:66], v65 offset:24
	s_waitcnt lgkmcnt(0)
	v_mul_f64 v[1:2], v[1:2], v[65:66]
	scratch_store_b64 off, v[1:2], off offset:24
.LBB28_23:
	s_or_b32 exec_lo, exec_lo, s0
	s_waitcnt_vscnt null, 0x0
	s_barrier
	buffer_gl0_inv
	scratch_load_b64 v[1:2], off, off offset:32
	s_mov_b32 s0, exec_lo
	s_waitcnt vmcnt(0)
	ds_store_b64 v63, v[1:2]
	s_waitcnt lgkmcnt(0)
	s_barrier
	buffer_gl0_inv
	v_cmpx_gt_u32_e32 4, v0
	s_cbranch_execz .LBB28_27
; %bb.24:
	v_dual_mov_b32 v1, 0 :: v_dual_add_nc_u32 v66, 0xf0, v3
	v_dual_mov_b32 v2, 0 :: v_dual_add_nc_u32 v65, -1, v0
	v_add_nc_u32_e32 v67, 0, v3
	s_mov_b32 s1, 0
.LBB28_25:                              ; =>This Inner Loop Header: Depth=1
	scratch_load_b64 v[68:69], v67, off
	ds_load_b64 v[70:71], v66
	v_add_nc_u32_e32 v65, 1, v65
	v_add_nc_u32_e32 v66, 8, v66
	v_add_nc_u32_e32 v67, 8, v67
	s_delay_alu instid0(VALU_DEP_3)
	v_cmp_lt_u32_e32 vcc_lo, 2, v65
	s_or_b32 s1, vcc_lo, s1
	s_waitcnt vmcnt(0) lgkmcnt(0)
	v_fma_f64 v[1:2], v[68:69], v[70:71], v[1:2]
	s_and_not1_b32 exec_lo, exec_lo, s1
	s_cbranch_execnz .LBB28_25
; %bb.26:
	s_or_b32 exec_lo, exec_lo, s1
	v_mov_b32_e32 v65, 0
	ds_load_b64 v[65:66], v65 offset:32
	s_waitcnt lgkmcnt(0)
	v_mul_f64 v[1:2], v[1:2], v[65:66]
	scratch_store_b64 off, v[1:2], off offset:32
.LBB28_27:
	s_or_b32 exec_lo, exec_lo, s0
	s_waitcnt_vscnt null, 0x0
	s_barrier
	buffer_gl0_inv
	scratch_load_b64 v[1:2], off, off offset:40
	;; [unrolled: 39-line block ×20, first 2 shown]
	s_mov_b32 s0, exec_lo
	s_waitcnt vmcnt(0)
	ds_store_b64 v63, v[1:2]
	s_waitcnt lgkmcnt(0)
	s_barrier
	buffer_gl0_inv
	v_cmpx_gt_u32_e32 23, v0
	s_cbranch_execz .LBB28_103
; %bb.100:
	v_dual_mov_b32 v1, 0 :: v_dual_add_nc_u32 v66, 0xf0, v3
	v_dual_mov_b32 v2, 0 :: v_dual_add_nc_u32 v65, -1, v0
	v_add_nc_u32_e32 v67, 0, v3
	s_mov_b32 s1, 0
.LBB28_101:                             ; =>This Inner Loop Header: Depth=1
	scratch_load_b64 v[68:69], v67, off
	ds_load_b64 v[70:71], v66
	v_add_nc_u32_e32 v65, 1, v65
	v_add_nc_u32_e32 v66, 8, v66
	v_add_nc_u32_e32 v67, 8, v67
	s_delay_alu instid0(VALU_DEP_3)
	v_cmp_lt_u32_e32 vcc_lo, 21, v65
	s_or_b32 s1, vcc_lo, s1
	s_waitcnt vmcnt(0) lgkmcnt(0)
	v_fma_f64 v[1:2], v[68:69], v[70:71], v[1:2]
	s_and_not1_b32 exec_lo, exec_lo, s1
	s_cbranch_execnz .LBB28_101
; %bb.102:
	s_or_b32 exec_lo, exec_lo, s1
	v_mov_b32_e32 v65, 0
	ds_load_b64 v[65:66], v65 offset:184
	s_waitcnt lgkmcnt(0)
	v_mul_f64 v[1:2], v[1:2], v[65:66]
	scratch_store_b64 off, v[1:2], off offset:184
.LBB28_103:
	s_or_b32 exec_lo, exec_lo, s0
	s_waitcnt_vscnt null, 0x0
	s_barrier
	buffer_gl0_inv
	scratch_load_b64 v[1:2], off, off offset:192
	s_mov_b32 s0, exec_lo
	s_waitcnt vmcnt(0)
	ds_store_b64 v63, v[1:2]
	s_waitcnt lgkmcnt(0)
	s_barrier
	buffer_gl0_inv
	v_cmpx_gt_u32_e32 24, v0
	s_cbranch_execz .LBB28_107
; %bb.104:
	v_dual_mov_b32 v1, 0 :: v_dual_add_nc_u32 v66, 0xf0, v3
	v_dual_mov_b32 v2, 0 :: v_dual_add_nc_u32 v65, -1, v0
	v_add_nc_u32_e32 v67, 0, v3
	s_mov_b32 s1, 0
.LBB28_105:                             ; =>This Inner Loop Header: Depth=1
	scratch_load_b64 v[68:69], v67, off
	ds_load_b64 v[70:71], v66
	v_add_nc_u32_e32 v65, 1, v65
	v_add_nc_u32_e32 v66, 8, v66
	v_add_nc_u32_e32 v67, 8, v67
	s_delay_alu instid0(VALU_DEP_3)
	v_cmp_lt_u32_e32 vcc_lo, 22, v65
	s_or_b32 s1, vcc_lo, s1
	s_waitcnt vmcnt(0) lgkmcnt(0)
	v_fma_f64 v[1:2], v[68:69], v[70:71], v[1:2]
	s_and_not1_b32 exec_lo, exec_lo, s1
	s_cbranch_execnz .LBB28_105
; %bb.106:
	s_or_b32 exec_lo, exec_lo, s1
	v_mov_b32_e32 v65, 0
	ds_load_b64 v[65:66], v65 offset:192
	s_waitcnt lgkmcnt(0)
	v_mul_f64 v[1:2], v[1:2], v[65:66]
	scratch_store_b64 off, v[1:2], off offset:192
.LBB28_107:
	s_or_b32 exec_lo, exec_lo, s0
	s_waitcnt_vscnt null, 0x0
	s_barrier
	buffer_gl0_inv
	scratch_load_b64 v[1:2], off, off offset:200
	;; [unrolled: 39-line block ×5, first 2 shown]
	s_mov_b32 s0, exec_lo
	s_waitcnt vmcnt(0)
	ds_store_b64 v63, v[1:2]
	s_waitcnt lgkmcnt(0)
	s_barrier
	buffer_gl0_inv
	v_cmpx_ne_u32_e32 28, v0
	s_cbranch_execz .LBB28_123
; %bb.120:
	v_mov_b32_e32 v1, 0
	v_mov_b32_e32 v2, 0
	s_mov_b32 s1, 0
.LBB28_121:                             ; =>This Inner Loop Header: Depth=1
	scratch_load_b64 v[65:66], v62, off
	ds_load_b64 v[67:68], v63
	v_add_nc_u32_e32 v64, 1, v64
	v_add_nc_u32_e32 v63, 8, v63
	v_add_nc_u32_e32 v62, 8, v62
	s_delay_alu instid0(VALU_DEP_3)
	v_cmp_lt_u32_e32 vcc_lo, 26, v64
	s_or_b32 s1, vcc_lo, s1
	s_waitcnt vmcnt(0) lgkmcnt(0)
	v_fma_f64 v[1:2], v[65:66], v[67:68], v[1:2]
	s_and_not1_b32 exec_lo, exec_lo, s1
	s_cbranch_execnz .LBB28_121
; %bb.122:
	s_or_b32 exec_lo, exec_lo, s1
	v_mov_b32_e32 v3, 0
	ds_load_b64 v[62:63], v3 offset:224
	s_waitcnt lgkmcnt(0)
	v_mul_f64 v[1:2], v[1:2], v[62:63]
	scratch_store_b64 off, v[1:2], off offset:224
.LBB28_123:
	s_or_b32 exec_lo, exec_lo, s0
	s_mov_b32 s1, -1
	s_waitcnt_vscnt null, 0x0
	s_barrier
	buffer_gl0_inv
.LBB28_124:
	s_and_b32 vcc_lo, exec_lo, s1
	s_cbranch_vccz .LBB28_126
; %bb.125:
	s_lshl_b64 s[0:1], s[14:15], 2
	v_mov_b32_e32 v1, 0
	s_add_u32 s0, s6, s0
	s_addc_u32 s1, s7, s1
	global_load_b32 v1, v1, s[0:1]
	s_waitcnt vmcnt(0)
	v_cmp_ne_u32_e32 vcc_lo, 0, v1
	s_cbranch_vccz .LBB28_127
.LBB28_126:
	s_endpgm
.LBB28_127:
	v_lshl_add_u32 v3, v0, 3, 0xf0
	s_mov_b32 s0, exec_lo
	v_cmpx_eq_u32_e32 28, v0
	s_cbranch_execz .LBB28_129
; %bb.128:
	scratch_load_b64 v[1:2], off, off offset:216
	v_mov_b32_e32 v62, 0
	s_delay_alu instid0(VALU_DEP_1)
	v_mov_b32_e32 v63, v62
	scratch_store_b64 off, v[62:63], off offset:216
	s_waitcnt vmcnt(0)
	ds_store_b64 v3, v[1:2]
.LBB28_129:
	s_or_b32 exec_lo, exec_lo, s0
	s_waitcnt lgkmcnt(0)
	s_waitcnt_vscnt null, 0x0
	s_barrier
	buffer_gl0_inv
	scratch_load_b128 v[62:65], off, off offset:216
	v_mov_b32_e32 v1, 0
	s_mov_b32 s0, exec_lo
	ds_load_b64 v[66:67], v1 offset:464
	s_waitcnt vmcnt(0) lgkmcnt(0)
	v_fma_f64 v[64:65], v[64:65], v[66:67], 0
	s_delay_alu instid0(VALU_DEP_1)
	v_add_f64 v[62:63], v[62:63], -v[64:65]
	scratch_store_b64 off, v[62:63], off offset:216
	v_cmpx_lt_u32_e32 26, v0
	s_cbranch_execz .LBB28_131
; %bb.130:
	scratch_load_b64 v[62:63], off, off offset:208
	v_mov_b32_e32 v2, v1
	scratch_store_b64 off, v[1:2], off offset:208
	s_waitcnt vmcnt(0)
	ds_store_b64 v3, v[62:63]
.LBB28_131:
	s_or_b32 exec_lo, exec_lo, s0
	s_waitcnt lgkmcnt(0)
	s_waitcnt_vscnt null, 0x0
	s_barrier
	buffer_gl0_inv
	s_clause 0x1
	scratch_load_b128 v[62:65], off, off offset:208
	scratch_load_b64 v[70:71], off, off offset:224
	ds_load_2addr_b64 v[66:69], v1 offset0:57 offset1:58
	s_mov_b32 s0, exec_lo
	s_waitcnt vmcnt(1) lgkmcnt(0)
	v_fma_f64 v[1:2], v[64:65], v[66:67], 0
	s_waitcnt vmcnt(0)
	s_delay_alu instid0(VALU_DEP_1) | instskip(NEXT) | instid1(VALU_DEP_1)
	v_fma_f64 v[1:2], v[70:71], v[68:69], v[1:2]
	v_add_f64 v[1:2], v[62:63], -v[1:2]
	scratch_store_b64 off, v[1:2], off offset:208
	v_cmpx_lt_u32_e32 25, v0
	s_cbranch_execz .LBB28_133
; %bb.132:
	scratch_load_b64 v[1:2], off, off offset:200
	v_mov_b32_e32 v62, 0
	s_delay_alu instid0(VALU_DEP_1)
	v_mov_b32_e32 v63, v62
	scratch_store_b64 off, v[62:63], off offset:200
	s_waitcnt vmcnt(0)
	ds_store_b64 v3, v[1:2]
.LBB28_133:
	s_or_b32 exec_lo, exec_lo, s0
	s_waitcnt lgkmcnt(0)
	s_waitcnt_vscnt null, 0x0
	s_barrier
	buffer_gl0_inv
	s_clause 0x1
	scratch_load_b128 v[62:65], off, off offset:200
	scratch_load_b128 v[66:69], off, off offset:216
	v_mov_b32_e32 v1, 0
	ds_load_b128 v[70:73], v1 offset:448
	ds_load_b64 v[74:75], v1 offset:464
	s_mov_b32 s0, exec_lo
	s_waitcnt vmcnt(1) lgkmcnt(1)
	v_fma_f64 v[64:65], v[64:65], v[70:71], 0
	s_waitcnt vmcnt(0)
	s_delay_alu instid0(VALU_DEP_1) | instskip(SKIP_1) | instid1(VALU_DEP_1)
	v_fma_f64 v[64:65], v[66:67], v[72:73], v[64:65]
	s_waitcnt lgkmcnt(0)
	v_fma_f64 v[64:65], v[68:69], v[74:75], v[64:65]
	s_delay_alu instid0(VALU_DEP_1)
	v_add_f64 v[62:63], v[62:63], -v[64:65]
	scratch_store_b64 off, v[62:63], off offset:200
	v_cmpx_lt_u32_e32 24, v0
	s_cbranch_execz .LBB28_135
; %bb.134:
	scratch_load_b64 v[62:63], off, off offset:192
	v_mov_b32_e32 v2, v1
	scratch_store_b64 off, v[1:2], off offset:192
	s_waitcnt vmcnt(0)
	ds_store_b64 v3, v[62:63]
.LBB28_135:
	s_or_b32 exec_lo, exec_lo, s0
	s_waitcnt lgkmcnt(0)
	s_waitcnt_vscnt null, 0x0
	s_barrier
	buffer_gl0_inv
	s_clause 0x2
	scratch_load_b128 v[62:65], off, off offset:192
	scratch_load_b128 v[66:69], off, off offset:208
	scratch_load_b64 v[78:79], off, off offset:224
	ds_load_2addr_b64 v[70:73], v1 offset0:55 offset1:56
	ds_load_2addr_b64 v[74:77], v1 offset0:57 offset1:58
	s_mov_b32 s0, exec_lo
	s_waitcnt vmcnt(2) lgkmcnt(1)
	v_fma_f64 v[1:2], v[64:65], v[70:71], 0
	s_waitcnt vmcnt(1)
	s_delay_alu instid0(VALU_DEP_1) | instskip(SKIP_1) | instid1(VALU_DEP_1)
	v_fma_f64 v[1:2], v[66:67], v[72:73], v[1:2]
	s_waitcnt lgkmcnt(0)
	v_fma_f64 v[1:2], v[68:69], v[74:75], v[1:2]
	s_waitcnt vmcnt(0)
	s_delay_alu instid0(VALU_DEP_1) | instskip(NEXT) | instid1(VALU_DEP_1)
	v_fma_f64 v[1:2], v[78:79], v[76:77], v[1:2]
	v_add_f64 v[1:2], v[62:63], -v[1:2]
	scratch_store_b64 off, v[1:2], off offset:192
	v_cmpx_lt_u32_e32 23, v0
	s_cbranch_execz .LBB28_137
; %bb.136:
	scratch_load_b64 v[1:2], off, off offset:184
	v_mov_b32_e32 v62, 0
	s_delay_alu instid0(VALU_DEP_1)
	v_mov_b32_e32 v63, v62
	scratch_store_b64 off, v[62:63], off offset:184
	s_waitcnt vmcnt(0)
	ds_store_b64 v3, v[1:2]
.LBB28_137:
	s_or_b32 exec_lo, exec_lo, s0
	s_waitcnt lgkmcnt(0)
	s_waitcnt_vscnt null, 0x0
	s_barrier
	buffer_gl0_inv
	s_clause 0x2
	scratch_load_b128 v[62:65], off, off offset:184
	scratch_load_b128 v[66:69], off, off offset:200
	;; [unrolled: 1-line block ×3, first 2 shown]
	v_mov_b32_e32 v1, 0
	ds_load_b128 v[74:77], v1 offset:432
	ds_load_b128 v[78:81], v1 offset:448
	s_mov_b32 s0, exec_lo
	s_waitcnt vmcnt(2) lgkmcnt(1)
	v_fma_f64 v[64:65], v[64:65], v[74:75], 0
	s_waitcnt vmcnt(1)
	s_delay_alu instid0(VALU_DEP_1) | instskip(SKIP_4) | instid1(VALU_DEP_1)
	v_fma_f64 v[64:65], v[66:67], v[76:77], v[64:65]
	ds_load_b64 v[66:67], v1 offset:464
	s_waitcnt lgkmcnt(1)
	v_fma_f64 v[64:65], v[68:69], v[78:79], v[64:65]
	s_waitcnt vmcnt(0)
	v_fma_f64 v[64:65], v[70:71], v[80:81], v[64:65]
	s_waitcnt lgkmcnt(0)
	s_delay_alu instid0(VALU_DEP_1) | instskip(NEXT) | instid1(VALU_DEP_1)
	v_fma_f64 v[64:65], v[72:73], v[66:67], v[64:65]
	v_add_f64 v[62:63], v[62:63], -v[64:65]
	scratch_store_b64 off, v[62:63], off offset:184
	v_cmpx_lt_u32_e32 22, v0
	s_cbranch_execz .LBB28_139
; %bb.138:
	scratch_load_b64 v[62:63], off, off offset:176
	v_mov_b32_e32 v2, v1
	scratch_store_b64 off, v[1:2], off offset:176
	s_waitcnt vmcnt(0)
	ds_store_b64 v3, v[62:63]
.LBB28_139:
	s_or_b32 exec_lo, exec_lo, s0
	s_waitcnt lgkmcnt(0)
	s_waitcnt_vscnt null, 0x0
	s_barrier
	buffer_gl0_inv
	s_clause 0x3
	scratch_load_b128 v[62:65], off, off offset:176
	scratch_load_b128 v[66:69], off, off offset:192
	;; [unrolled: 1-line block ×3, first 2 shown]
	scratch_load_b64 v[82:83], off, off offset:224
	ds_load_2addr_b64 v[74:77], v1 offset0:53 offset1:54
	ds_load_2addr_b64 v[78:81], v1 offset0:55 offset1:56
	s_mov_b32 s0, exec_lo
	s_waitcnt vmcnt(3) lgkmcnt(1)
	v_fma_f64 v[64:65], v[64:65], v[74:75], 0
	s_waitcnt vmcnt(2)
	s_delay_alu instid0(VALU_DEP_1) | instskip(SKIP_1) | instid1(VALU_DEP_1)
	v_fma_f64 v[64:65], v[66:67], v[76:77], v[64:65]
	s_waitcnt lgkmcnt(0)
	v_fma_f64 v[64:65], v[68:69], v[78:79], v[64:65]
	s_waitcnt vmcnt(1)
	s_delay_alu instid0(VALU_DEP_1) | instskip(SKIP_4) | instid1(VALU_DEP_1)
	v_fma_f64 v[68:69], v[70:71], v[80:81], v[64:65]
	ds_load_2addr_b64 v[64:67], v1 offset0:57 offset1:58
	s_waitcnt lgkmcnt(0)
	v_fma_f64 v[1:2], v[72:73], v[64:65], v[68:69]
	s_waitcnt vmcnt(0)
	v_fma_f64 v[1:2], v[82:83], v[66:67], v[1:2]
	s_delay_alu instid0(VALU_DEP_1)
	v_add_f64 v[1:2], v[62:63], -v[1:2]
	scratch_store_b64 off, v[1:2], off offset:176
	v_cmpx_lt_u32_e32 21, v0
	s_cbranch_execz .LBB28_141
; %bb.140:
	scratch_load_b64 v[1:2], off, off offset:168
	v_mov_b32_e32 v62, 0
	s_delay_alu instid0(VALU_DEP_1)
	v_mov_b32_e32 v63, v62
	scratch_store_b64 off, v[62:63], off offset:168
	s_waitcnt vmcnt(0)
	ds_store_b64 v3, v[1:2]
.LBB28_141:
	s_or_b32 exec_lo, exec_lo, s0
	s_waitcnt lgkmcnt(0)
	s_waitcnt_vscnt null, 0x0
	s_barrier
	buffer_gl0_inv
	s_clause 0x3
	scratch_load_b128 v[62:65], off, off offset:168
	scratch_load_b128 v[66:69], off, off offset:184
	scratch_load_b128 v[70:73], off, off offset:200
	scratch_load_b128 v[74:77], off, off offset:216
	v_mov_b32_e32 v1, 0
	ds_load_b128 v[78:81], v1 offset:416
	ds_load_b128 v[82:85], v1 offset:432
	s_mov_b32 s0, exec_lo
	s_waitcnt vmcnt(3) lgkmcnt(1)
	v_fma_f64 v[64:65], v[64:65], v[78:79], 0
	s_waitcnt vmcnt(2)
	s_delay_alu instid0(VALU_DEP_1) | instskip(SKIP_1) | instid1(VALU_DEP_1)
	v_fma_f64 v[64:65], v[66:67], v[80:81], v[64:65]
	s_waitcnt lgkmcnt(0)
	v_fma_f64 v[64:65], v[68:69], v[82:83], v[64:65]
	s_waitcnt vmcnt(1)
	s_delay_alu instid0(VALU_DEP_1)
	v_fma_f64 v[68:69], v[70:71], v[84:85], v[64:65]
	ds_load_b128 v[64:67], v1 offset:448
	ds_load_b64 v[70:71], v1 offset:464
	s_waitcnt lgkmcnt(1)
	v_fma_f64 v[64:65], v[72:73], v[64:65], v[68:69]
	s_waitcnt vmcnt(0)
	s_delay_alu instid0(VALU_DEP_1) | instskip(SKIP_1) | instid1(VALU_DEP_1)
	v_fma_f64 v[64:65], v[74:75], v[66:67], v[64:65]
	s_waitcnt lgkmcnt(0)
	v_fma_f64 v[64:65], v[76:77], v[70:71], v[64:65]
	s_delay_alu instid0(VALU_DEP_1)
	v_add_f64 v[62:63], v[62:63], -v[64:65]
	scratch_store_b64 off, v[62:63], off offset:168
	v_cmpx_lt_u32_e32 20, v0
	s_cbranch_execz .LBB28_143
; %bb.142:
	scratch_load_b64 v[62:63], off, off offset:160
	v_mov_b32_e32 v2, v1
	scratch_store_b64 off, v[1:2], off offset:160
	s_waitcnt vmcnt(0)
	ds_store_b64 v3, v[62:63]
.LBB28_143:
	s_or_b32 exec_lo, exec_lo, s0
	s_waitcnt lgkmcnt(0)
	s_waitcnt_vscnt null, 0x0
	s_barrier
	buffer_gl0_inv
	s_clause 0x4
	scratch_load_b128 v[62:65], off, off offset:160
	scratch_load_b128 v[66:69], off, off offset:176
	;; [unrolled: 1-line block ×4, first 2 shown]
	scratch_load_b64 v[86:87], off, off offset:224
	ds_load_2addr_b64 v[78:81], v1 offset0:51 offset1:52
	ds_load_2addr_b64 v[82:85], v1 offset0:53 offset1:54
	s_mov_b32 s0, exec_lo
	s_waitcnt vmcnt(4) lgkmcnt(1)
	v_fma_f64 v[64:65], v[64:65], v[78:79], 0
	s_waitcnt vmcnt(3)
	s_delay_alu instid0(VALU_DEP_1) | instskip(SKIP_1) | instid1(VALU_DEP_1)
	v_fma_f64 v[64:65], v[66:67], v[80:81], v[64:65]
	s_waitcnt lgkmcnt(0)
	v_fma_f64 v[64:65], v[68:69], v[82:83], v[64:65]
	s_waitcnt vmcnt(2)
	s_delay_alu instid0(VALU_DEP_1)
	v_fma_f64 v[78:79], v[70:71], v[84:85], v[64:65]
	ds_load_2addr_b64 v[64:67], v1 offset0:55 offset1:56
	ds_load_2addr_b64 v[68:71], v1 offset0:57 offset1:58
	s_waitcnt lgkmcnt(1)
	v_fma_f64 v[1:2], v[72:73], v[64:65], v[78:79]
	s_waitcnt vmcnt(1)
	s_delay_alu instid0(VALU_DEP_1) | instskip(SKIP_1) | instid1(VALU_DEP_1)
	v_fma_f64 v[1:2], v[74:75], v[66:67], v[1:2]
	s_waitcnt lgkmcnt(0)
	v_fma_f64 v[1:2], v[76:77], v[68:69], v[1:2]
	s_waitcnt vmcnt(0)
	s_delay_alu instid0(VALU_DEP_1) | instskip(NEXT) | instid1(VALU_DEP_1)
	v_fma_f64 v[1:2], v[86:87], v[70:71], v[1:2]
	v_add_f64 v[1:2], v[62:63], -v[1:2]
	scratch_store_b64 off, v[1:2], off offset:160
	v_cmpx_lt_u32_e32 19, v0
	s_cbranch_execz .LBB28_145
; %bb.144:
	scratch_load_b64 v[1:2], off, off offset:152
	v_mov_b32_e32 v62, 0
	s_delay_alu instid0(VALU_DEP_1)
	v_mov_b32_e32 v63, v62
	scratch_store_b64 off, v[62:63], off offset:152
	s_waitcnt vmcnt(0)
	ds_store_b64 v3, v[1:2]
.LBB28_145:
	s_or_b32 exec_lo, exec_lo, s0
	s_waitcnt lgkmcnt(0)
	s_waitcnt_vscnt null, 0x0
	s_barrier
	buffer_gl0_inv
	s_clause 0x4
	scratch_load_b128 v[62:65], off, off offset:152
	scratch_load_b128 v[66:69], off, off offset:168
	;; [unrolled: 1-line block ×5, first 2 shown]
	v_mov_b32_e32 v1, 0
	ds_load_b128 v[82:85], v1 offset:400
	ds_load_b128 v[86:89], v1 offset:416
	s_mov_b32 s0, exec_lo
	s_waitcnt vmcnt(4) lgkmcnt(1)
	v_fma_f64 v[64:65], v[64:65], v[82:83], 0
	s_waitcnt vmcnt(3)
	s_delay_alu instid0(VALU_DEP_1) | instskip(SKIP_1) | instid1(VALU_DEP_1)
	v_fma_f64 v[64:65], v[66:67], v[84:85], v[64:65]
	s_waitcnt lgkmcnt(0)
	v_fma_f64 v[64:65], v[68:69], v[86:87], v[64:65]
	s_waitcnt vmcnt(2)
	s_delay_alu instid0(VALU_DEP_1)
	v_fma_f64 v[82:83], v[70:71], v[88:89], v[64:65]
	ds_load_b128 v[64:67], v1 offset:432
	ds_load_b128 v[68:71], v1 offset:448
	s_waitcnt lgkmcnt(1)
	v_fma_f64 v[64:65], v[72:73], v[64:65], v[82:83]
	s_waitcnt vmcnt(1)
	s_delay_alu instid0(VALU_DEP_1) | instskip(SKIP_4) | instid1(VALU_DEP_1)
	v_fma_f64 v[64:65], v[74:75], v[66:67], v[64:65]
	ds_load_b64 v[66:67], v1 offset:464
	s_waitcnt lgkmcnt(1)
	v_fma_f64 v[64:65], v[76:77], v[68:69], v[64:65]
	s_waitcnt vmcnt(0)
	v_fma_f64 v[64:65], v[78:79], v[70:71], v[64:65]
	s_waitcnt lgkmcnt(0)
	s_delay_alu instid0(VALU_DEP_1) | instskip(NEXT) | instid1(VALU_DEP_1)
	v_fma_f64 v[64:65], v[80:81], v[66:67], v[64:65]
	v_add_f64 v[62:63], v[62:63], -v[64:65]
	scratch_store_b64 off, v[62:63], off offset:152
	v_cmpx_lt_u32_e32 18, v0
	s_cbranch_execz .LBB28_147
; %bb.146:
	scratch_load_b64 v[62:63], off, off offset:144
	v_mov_b32_e32 v2, v1
	scratch_store_b64 off, v[1:2], off offset:144
	s_waitcnt vmcnt(0)
	ds_store_b64 v3, v[62:63]
.LBB28_147:
	s_or_b32 exec_lo, exec_lo, s0
	s_waitcnt lgkmcnt(0)
	s_waitcnt_vscnt null, 0x0
	s_barrier
	buffer_gl0_inv
	s_clause 0x4
	scratch_load_b128 v[62:65], off, off offset:144
	scratch_load_b128 v[66:69], off, off offset:160
	;; [unrolled: 1-line block ×5, first 2 shown]
	ds_load_2addr_b64 v[82:85], v1 offset0:49 offset1:50
	ds_load_2addr_b64 v[86:89], v1 offset0:51 offset1:52
	s_mov_b32 s0, exec_lo
	s_waitcnt vmcnt(4) lgkmcnt(1)
	v_fma_f64 v[64:65], v[64:65], v[82:83], 0
	scratch_load_b64 v[82:83], off, off offset:224
	s_waitcnt vmcnt(4)
	v_fma_f64 v[64:65], v[66:67], v[84:85], v[64:65]
	s_waitcnt lgkmcnt(0)
	s_delay_alu instid0(VALU_DEP_1) | instskip(SKIP_1) | instid1(VALU_DEP_1)
	v_fma_f64 v[64:65], v[68:69], v[86:87], v[64:65]
	s_waitcnt vmcnt(3)
	v_fma_f64 v[84:85], v[70:71], v[88:89], v[64:65]
	ds_load_2addr_b64 v[64:67], v1 offset0:53 offset1:54
	ds_load_2addr_b64 v[68:71], v1 offset0:55 offset1:56
	s_waitcnt lgkmcnt(1)
	v_fma_f64 v[64:65], v[72:73], v[64:65], v[84:85]
	s_waitcnt vmcnt(2)
	s_delay_alu instid0(VALU_DEP_1) | instskip(SKIP_1) | instid1(VALU_DEP_1)
	v_fma_f64 v[64:65], v[74:75], v[66:67], v[64:65]
	s_waitcnt lgkmcnt(0)
	v_fma_f64 v[64:65], v[76:77], v[68:69], v[64:65]
	s_waitcnt vmcnt(1)
	s_delay_alu instid0(VALU_DEP_1) | instskip(SKIP_4) | instid1(VALU_DEP_1)
	v_fma_f64 v[68:69], v[78:79], v[70:71], v[64:65]
	ds_load_2addr_b64 v[64:67], v1 offset0:57 offset1:58
	s_waitcnt lgkmcnt(0)
	v_fma_f64 v[1:2], v[80:81], v[64:65], v[68:69]
	s_waitcnt vmcnt(0)
	v_fma_f64 v[1:2], v[82:83], v[66:67], v[1:2]
	s_delay_alu instid0(VALU_DEP_1)
	v_add_f64 v[1:2], v[62:63], -v[1:2]
	scratch_store_b64 off, v[1:2], off offset:144
	v_cmpx_lt_u32_e32 17, v0
	s_cbranch_execz .LBB28_149
; %bb.148:
	scratch_load_b64 v[1:2], off, off offset:136
	v_mov_b32_e32 v62, 0
	s_delay_alu instid0(VALU_DEP_1)
	v_mov_b32_e32 v63, v62
	scratch_store_b64 off, v[62:63], off offset:136
	s_waitcnt vmcnt(0)
	ds_store_b64 v3, v[1:2]
.LBB28_149:
	s_or_b32 exec_lo, exec_lo, s0
	s_waitcnt lgkmcnt(0)
	s_waitcnt_vscnt null, 0x0
	s_barrier
	buffer_gl0_inv
	s_clause 0x4
	scratch_load_b128 v[62:65], off, off offset:136
	scratch_load_b128 v[66:69], off, off offset:152
	;; [unrolled: 1-line block ×5, first 2 shown]
	v_mov_b32_e32 v1, 0
	ds_load_b128 v[82:85], v1 offset:384
	ds_load_b128 v[86:89], v1 offset:400
	scratch_load_b128 v[90:93], off, off offset:216
	s_mov_b32 s0, exec_lo
	s_waitcnt vmcnt(5) lgkmcnt(1)
	v_fma_f64 v[64:65], v[64:65], v[82:83], 0
	s_waitcnt vmcnt(4)
	s_delay_alu instid0(VALU_DEP_1) | instskip(SKIP_1) | instid1(VALU_DEP_1)
	v_fma_f64 v[64:65], v[66:67], v[84:85], v[64:65]
	s_waitcnt lgkmcnt(0)
	v_fma_f64 v[64:65], v[68:69], v[86:87], v[64:65]
	s_waitcnt vmcnt(3)
	s_delay_alu instid0(VALU_DEP_1)
	v_fma_f64 v[82:83], v[70:71], v[88:89], v[64:65]
	ds_load_b128 v[64:67], v1 offset:416
	ds_load_b128 v[68:71], v1 offset:432
	s_waitcnt lgkmcnt(1)
	v_fma_f64 v[64:65], v[72:73], v[64:65], v[82:83]
	s_waitcnt vmcnt(2)
	s_delay_alu instid0(VALU_DEP_1) | instskip(SKIP_1) | instid1(VALU_DEP_1)
	v_fma_f64 v[64:65], v[74:75], v[66:67], v[64:65]
	s_waitcnt lgkmcnt(0)
	v_fma_f64 v[64:65], v[76:77], v[68:69], v[64:65]
	s_waitcnt vmcnt(1)
	s_delay_alu instid0(VALU_DEP_1)
	v_fma_f64 v[68:69], v[78:79], v[70:71], v[64:65]
	ds_load_b128 v[64:67], v1 offset:448
	ds_load_b64 v[70:71], v1 offset:464
	s_waitcnt lgkmcnt(1)
	v_fma_f64 v[64:65], v[80:81], v[64:65], v[68:69]
	s_waitcnt vmcnt(0)
	s_delay_alu instid0(VALU_DEP_1) | instskip(SKIP_1) | instid1(VALU_DEP_1)
	v_fma_f64 v[64:65], v[90:91], v[66:67], v[64:65]
	s_waitcnt lgkmcnt(0)
	v_fma_f64 v[64:65], v[92:93], v[70:71], v[64:65]
	s_delay_alu instid0(VALU_DEP_1)
	v_add_f64 v[62:63], v[62:63], -v[64:65]
	scratch_store_b64 off, v[62:63], off offset:136
	v_cmpx_lt_u32_e32 16, v0
	s_cbranch_execz .LBB28_151
; %bb.150:
	scratch_load_b64 v[62:63], off, off offset:128
	v_mov_b32_e32 v2, v1
	scratch_store_b64 off, v[1:2], off offset:128
	s_waitcnt vmcnt(0)
	ds_store_b64 v3, v[62:63]
.LBB28_151:
	s_or_b32 exec_lo, exec_lo, s0
	s_waitcnt lgkmcnt(0)
	s_waitcnt_vscnt null, 0x0
	s_barrier
	buffer_gl0_inv
	s_clause 0x4
	scratch_load_b128 v[62:65], off, off offset:128
	scratch_load_b128 v[66:69], off, off offset:144
	;; [unrolled: 1-line block ×5, first 2 shown]
	ds_load_2addr_b64 v[82:85], v1 offset0:47 offset1:48
	ds_load_2addr_b64 v[86:89], v1 offset0:49 offset1:50
	scratch_load_b128 v[90:93], off, off offset:208
	s_mov_b32 s0, exec_lo
	s_waitcnt vmcnt(5) lgkmcnt(1)
	v_fma_f64 v[64:65], v[64:65], v[82:83], 0
	scratch_load_b64 v[82:83], off, off offset:224
	s_waitcnt vmcnt(5)
	v_fma_f64 v[64:65], v[66:67], v[84:85], v[64:65]
	s_waitcnt lgkmcnt(0)
	s_delay_alu instid0(VALU_DEP_1) | instskip(SKIP_1) | instid1(VALU_DEP_1)
	v_fma_f64 v[64:65], v[68:69], v[86:87], v[64:65]
	s_waitcnt vmcnt(4)
	v_fma_f64 v[84:85], v[70:71], v[88:89], v[64:65]
	ds_load_2addr_b64 v[64:67], v1 offset0:51 offset1:52
	ds_load_2addr_b64 v[68:71], v1 offset0:53 offset1:54
	s_waitcnt lgkmcnt(1)
	v_fma_f64 v[64:65], v[72:73], v[64:65], v[84:85]
	s_waitcnt vmcnt(3)
	s_delay_alu instid0(VALU_DEP_1) | instskip(SKIP_1) | instid1(VALU_DEP_1)
	v_fma_f64 v[64:65], v[74:75], v[66:67], v[64:65]
	s_waitcnt lgkmcnt(0)
	v_fma_f64 v[64:65], v[76:77], v[68:69], v[64:65]
	s_waitcnt vmcnt(2)
	s_delay_alu instid0(VALU_DEP_1)
	v_fma_f64 v[72:73], v[78:79], v[70:71], v[64:65]
	ds_load_2addr_b64 v[64:67], v1 offset0:55 offset1:56
	ds_load_2addr_b64 v[68:71], v1 offset0:57 offset1:58
	s_waitcnt lgkmcnt(1)
	v_fma_f64 v[1:2], v[80:81], v[64:65], v[72:73]
	s_waitcnt vmcnt(1)
	s_delay_alu instid0(VALU_DEP_1) | instskip(SKIP_1) | instid1(VALU_DEP_1)
	v_fma_f64 v[1:2], v[90:91], v[66:67], v[1:2]
	s_waitcnt lgkmcnt(0)
	v_fma_f64 v[1:2], v[92:93], v[68:69], v[1:2]
	s_waitcnt vmcnt(0)
	s_delay_alu instid0(VALU_DEP_1) | instskip(NEXT) | instid1(VALU_DEP_1)
	v_fma_f64 v[1:2], v[82:83], v[70:71], v[1:2]
	v_add_f64 v[1:2], v[62:63], -v[1:2]
	scratch_store_b64 off, v[1:2], off offset:128
	v_cmpx_lt_u32_e32 15, v0
	s_cbranch_execz .LBB28_153
; %bb.152:
	scratch_load_b64 v[1:2], off, off offset:120
	v_mov_b32_e32 v62, 0
	s_delay_alu instid0(VALU_DEP_1)
	v_mov_b32_e32 v63, v62
	scratch_store_b64 off, v[62:63], off offset:120
	s_waitcnt vmcnt(0)
	ds_store_b64 v3, v[1:2]
.LBB28_153:
	s_or_b32 exec_lo, exec_lo, s0
	s_waitcnt lgkmcnt(0)
	s_waitcnt_vscnt null, 0x0
	s_barrier
	buffer_gl0_inv
	s_clause 0x4
	scratch_load_b128 v[62:65], off, off offset:120
	scratch_load_b128 v[66:69], off, off offset:136
	;; [unrolled: 1-line block ×5, first 2 shown]
	v_mov_b32_e32 v1, 0
	ds_load_b128 v[82:85], v1 offset:368
	ds_load_b128 v[86:89], v1 offset:384
	scratch_load_b128 v[90:93], off, off offset:200
	s_mov_b32 s0, exec_lo
	s_waitcnt vmcnt(5) lgkmcnt(1)
	v_fma_f64 v[64:65], v[64:65], v[82:83], 0
	s_waitcnt vmcnt(4)
	s_delay_alu instid0(VALU_DEP_1) | instskip(SKIP_1) | instid1(VALU_DEP_1)
	v_fma_f64 v[64:65], v[66:67], v[84:85], v[64:65]
	s_waitcnt lgkmcnt(0)
	v_fma_f64 v[68:69], v[68:69], v[86:87], v[64:65]
	scratch_load_b128 v[64:67], off, off offset:216
	s_waitcnt vmcnt(4)
	v_fma_f64 v[86:87], v[70:71], v[88:89], v[68:69]
	ds_load_b128 v[68:71], v1 offset:400
	ds_load_b128 v[82:85], v1 offset:416
	s_waitcnt lgkmcnt(1)
	v_fma_f64 v[68:69], v[72:73], v[68:69], v[86:87]
	s_waitcnt vmcnt(3)
	s_delay_alu instid0(VALU_DEP_1) | instskip(SKIP_1) | instid1(VALU_DEP_1)
	v_fma_f64 v[68:69], v[74:75], v[70:71], v[68:69]
	s_waitcnt lgkmcnt(0)
	v_fma_f64 v[68:69], v[76:77], v[82:83], v[68:69]
	s_waitcnt vmcnt(2)
	s_delay_alu instid0(VALU_DEP_1)
	v_fma_f64 v[76:77], v[78:79], v[84:85], v[68:69]
	ds_load_b128 v[68:71], v1 offset:432
	ds_load_b128 v[72:75], v1 offset:448
	s_waitcnt lgkmcnt(1)
	v_fma_f64 v[68:69], v[80:81], v[68:69], v[76:77]
	s_waitcnt vmcnt(1)
	s_delay_alu instid0(VALU_DEP_1) | instskip(SKIP_1) | instid1(VALU_DEP_1)
	v_fma_f64 v[68:69], v[90:91], v[70:71], v[68:69]
	s_waitcnt lgkmcnt(0)
	v_fma_f64 v[68:69], v[92:93], v[72:73], v[68:69]
	s_waitcnt vmcnt(0)
	s_delay_alu instid0(VALU_DEP_1) | instskip(SKIP_3) | instid1(VALU_DEP_1)
	v_fma_f64 v[64:65], v[64:65], v[74:75], v[68:69]
	ds_load_b64 v[68:69], v1 offset:464
	s_waitcnt lgkmcnt(0)
	v_fma_f64 v[64:65], v[66:67], v[68:69], v[64:65]
	v_add_f64 v[62:63], v[62:63], -v[64:65]
	scratch_store_b64 off, v[62:63], off offset:120
	v_cmpx_lt_u32_e32 14, v0
	s_cbranch_execz .LBB28_155
; %bb.154:
	scratch_load_b64 v[62:63], off, off offset:112
	v_mov_b32_e32 v2, v1
	scratch_store_b64 off, v[1:2], off offset:112
	s_waitcnt vmcnt(0)
	ds_store_b64 v3, v[62:63]
.LBB28_155:
	s_or_b32 exec_lo, exec_lo, s0
	s_waitcnt lgkmcnt(0)
	s_waitcnt_vscnt null, 0x0
	s_barrier
	buffer_gl0_inv
	s_clause 0x4
	scratch_load_b128 v[62:65], off, off offset:112
	scratch_load_b128 v[66:69], off, off offset:128
	;; [unrolled: 1-line block ×5, first 2 shown]
	ds_load_2addr_b64 v[82:85], v1 offset0:45 offset1:46
	ds_load_2addr_b64 v[86:89], v1 offset0:47 offset1:48
	scratch_load_b128 v[90:93], off, off offset:192
	s_mov_b32 s0, exec_lo
	s_waitcnt vmcnt(5) lgkmcnt(1)
	v_fma_f64 v[64:65], v[64:65], v[82:83], 0
	s_waitcnt vmcnt(4)
	s_delay_alu instid0(VALU_DEP_1) | instskip(SKIP_1) | instid1(VALU_DEP_1)
	v_fma_f64 v[64:65], v[66:67], v[84:85], v[64:65]
	s_waitcnt lgkmcnt(0)
	v_fma_f64 v[68:69], v[68:69], v[86:87], v[64:65]
	scratch_load_b128 v[64:67], off, off offset:208
	s_waitcnt vmcnt(4)
	v_fma_f64 v[86:87], v[70:71], v[88:89], v[68:69]
	ds_load_2addr_b64 v[68:71], v1 offset0:49 offset1:50
	ds_load_2addr_b64 v[82:85], v1 offset0:51 offset1:52
	s_waitcnt lgkmcnt(1)
	v_fma_f64 v[68:69], v[72:73], v[68:69], v[86:87]
	scratch_load_b64 v[86:87], off, off offset:224
	s_waitcnt vmcnt(4)
	v_fma_f64 v[68:69], v[74:75], v[70:71], v[68:69]
	s_waitcnt lgkmcnt(0)
	s_delay_alu instid0(VALU_DEP_1) | instskip(SKIP_1) | instid1(VALU_DEP_1)
	v_fma_f64 v[68:69], v[76:77], v[82:83], v[68:69]
	s_waitcnt vmcnt(3)
	v_fma_f64 v[76:77], v[78:79], v[84:85], v[68:69]
	ds_load_2addr_b64 v[68:71], v1 offset0:53 offset1:54
	ds_load_2addr_b64 v[72:75], v1 offset0:55 offset1:56
	s_waitcnt lgkmcnt(1)
	v_fma_f64 v[68:69], v[80:81], v[68:69], v[76:77]
	s_waitcnt vmcnt(2)
	s_delay_alu instid0(VALU_DEP_1) | instskip(SKIP_1) | instid1(VALU_DEP_1)
	v_fma_f64 v[68:69], v[90:91], v[70:71], v[68:69]
	s_waitcnt lgkmcnt(0)
	v_fma_f64 v[68:69], v[92:93], v[72:73], v[68:69]
	s_waitcnt vmcnt(1)
	s_delay_alu instid0(VALU_DEP_1) | instskip(SKIP_4) | instid1(VALU_DEP_1)
	v_fma_f64 v[64:65], v[64:65], v[74:75], v[68:69]
	ds_load_2addr_b64 v[68:71], v1 offset0:57 offset1:58
	s_waitcnt lgkmcnt(0)
	v_fma_f64 v[1:2], v[66:67], v[68:69], v[64:65]
	s_waitcnt vmcnt(0)
	v_fma_f64 v[1:2], v[86:87], v[70:71], v[1:2]
	s_delay_alu instid0(VALU_DEP_1)
	v_add_f64 v[1:2], v[62:63], -v[1:2]
	scratch_store_b64 off, v[1:2], off offset:112
	v_cmpx_lt_u32_e32 13, v0
	s_cbranch_execz .LBB28_157
; %bb.156:
	scratch_load_b64 v[1:2], off, off offset:104
	v_mov_b32_e32 v62, 0
	s_delay_alu instid0(VALU_DEP_1)
	v_mov_b32_e32 v63, v62
	scratch_store_b64 off, v[62:63], off offset:104
	s_waitcnt vmcnt(0)
	ds_store_b64 v3, v[1:2]
.LBB28_157:
	s_or_b32 exec_lo, exec_lo, s0
	s_waitcnt lgkmcnt(0)
	s_waitcnt_vscnt null, 0x0
	s_barrier
	buffer_gl0_inv
	s_clause 0x4
	scratch_load_b128 v[62:65], off, off offset:104
	scratch_load_b128 v[66:69], off, off offset:120
	;; [unrolled: 1-line block ×5, first 2 shown]
	v_mov_b32_e32 v1, 0
	ds_load_b128 v[82:85], v1 offset:352
	ds_load_b128 v[86:89], v1 offset:368
	scratch_load_b128 v[90:93], off, off offset:184
	s_mov_b32 s0, exec_lo
	s_waitcnt vmcnt(5) lgkmcnt(1)
	v_fma_f64 v[64:65], v[64:65], v[82:83], 0
	s_waitcnt vmcnt(4)
	s_delay_alu instid0(VALU_DEP_1) | instskip(SKIP_1) | instid1(VALU_DEP_1)
	v_fma_f64 v[64:65], v[66:67], v[84:85], v[64:65]
	s_waitcnt lgkmcnt(0)
	v_fma_f64 v[68:69], v[68:69], v[86:87], v[64:65]
	scratch_load_b128 v[64:67], off, off offset:200
	s_waitcnt vmcnt(4)
	v_fma_f64 v[86:87], v[70:71], v[88:89], v[68:69]
	ds_load_b128 v[68:71], v1 offset:384
	ds_load_b128 v[82:85], v1 offset:400
	s_waitcnt lgkmcnt(1)
	v_fma_f64 v[68:69], v[72:73], v[68:69], v[86:87]
	scratch_load_b128 v[86:89], off, off offset:216
	s_waitcnt vmcnt(4)
	v_fma_f64 v[68:69], v[74:75], v[70:71], v[68:69]
	s_waitcnt lgkmcnt(0)
	s_delay_alu instid0(VALU_DEP_1) | instskip(SKIP_1) | instid1(VALU_DEP_1)
	v_fma_f64 v[68:69], v[76:77], v[82:83], v[68:69]
	s_waitcnt vmcnt(3)
	v_fma_f64 v[76:77], v[78:79], v[84:85], v[68:69]
	ds_load_b128 v[68:71], v1 offset:416
	ds_load_b128 v[72:75], v1 offset:432
	s_waitcnt lgkmcnt(1)
	v_fma_f64 v[68:69], v[80:81], v[68:69], v[76:77]
	s_waitcnt vmcnt(2)
	s_delay_alu instid0(VALU_DEP_1) | instskip(SKIP_1) | instid1(VALU_DEP_1)
	v_fma_f64 v[68:69], v[90:91], v[70:71], v[68:69]
	s_waitcnt lgkmcnt(0)
	v_fma_f64 v[68:69], v[92:93], v[72:73], v[68:69]
	s_waitcnt vmcnt(1)
	s_delay_alu instid0(VALU_DEP_1)
	v_fma_f64 v[64:65], v[64:65], v[74:75], v[68:69]
	ds_load_b128 v[68:71], v1 offset:448
	ds_load_b64 v[72:73], v1 offset:464
	s_waitcnt lgkmcnt(1)
	v_fma_f64 v[64:65], v[66:67], v[68:69], v[64:65]
	s_waitcnt vmcnt(0)
	s_delay_alu instid0(VALU_DEP_1) | instskip(SKIP_1) | instid1(VALU_DEP_1)
	v_fma_f64 v[64:65], v[86:87], v[70:71], v[64:65]
	s_waitcnt lgkmcnt(0)
	v_fma_f64 v[64:65], v[88:89], v[72:73], v[64:65]
	s_delay_alu instid0(VALU_DEP_1)
	v_add_f64 v[62:63], v[62:63], -v[64:65]
	scratch_store_b64 off, v[62:63], off offset:104
	v_cmpx_lt_u32_e32 12, v0
	s_cbranch_execz .LBB28_159
; %bb.158:
	scratch_load_b64 v[62:63], off, off offset:96
	v_mov_b32_e32 v2, v1
	scratch_store_b64 off, v[1:2], off offset:96
	s_waitcnt vmcnt(0)
	ds_store_b64 v3, v[62:63]
.LBB28_159:
	s_or_b32 exec_lo, exec_lo, s0
	s_waitcnt lgkmcnt(0)
	s_waitcnt_vscnt null, 0x0
	s_barrier
	buffer_gl0_inv
	s_clause 0x4
	scratch_load_b128 v[62:65], off, off offset:96
	scratch_load_b128 v[66:69], off, off offset:112
	;; [unrolled: 1-line block ×5, first 2 shown]
	ds_load_2addr_b64 v[82:85], v1 offset0:43 offset1:44
	ds_load_2addr_b64 v[86:89], v1 offset0:45 offset1:46
	scratch_load_b128 v[90:93], off, off offset:176
	s_mov_b32 s0, exec_lo
	s_waitcnt vmcnt(5) lgkmcnt(1)
	v_fma_f64 v[64:65], v[64:65], v[82:83], 0
	s_waitcnt vmcnt(4)
	s_delay_alu instid0(VALU_DEP_1) | instskip(SKIP_1) | instid1(VALU_DEP_1)
	v_fma_f64 v[64:65], v[66:67], v[84:85], v[64:65]
	s_waitcnt lgkmcnt(0)
	v_fma_f64 v[68:69], v[68:69], v[86:87], v[64:65]
	scratch_load_b128 v[64:67], off, off offset:192
	s_waitcnt vmcnt(4)
	v_fma_f64 v[86:87], v[70:71], v[88:89], v[68:69]
	ds_load_2addr_b64 v[68:71], v1 offset0:47 offset1:48
	ds_load_2addr_b64 v[82:85], v1 offset0:49 offset1:50
	s_waitcnt lgkmcnt(1)
	v_fma_f64 v[68:69], v[72:73], v[68:69], v[86:87]
	scratch_load_b128 v[86:89], off, off offset:208
	s_waitcnt vmcnt(4)
	v_fma_f64 v[68:69], v[74:75], v[70:71], v[68:69]
	s_waitcnt lgkmcnt(0)
	s_delay_alu instid0(VALU_DEP_1)
	v_fma_f64 v[68:69], v[76:77], v[82:83], v[68:69]
	scratch_load_b64 v[76:77], off, off offset:224
	s_waitcnt vmcnt(4)
	v_fma_f64 v[78:79], v[78:79], v[84:85], v[68:69]
	ds_load_2addr_b64 v[68:71], v1 offset0:51 offset1:52
	ds_load_2addr_b64 v[72:75], v1 offset0:53 offset1:54
	s_waitcnt lgkmcnt(1)
	v_fma_f64 v[68:69], v[80:81], v[68:69], v[78:79]
	s_waitcnt vmcnt(3)
	s_delay_alu instid0(VALU_DEP_1) | instskip(SKIP_1) | instid1(VALU_DEP_1)
	v_fma_f64 v[68:69], v[90:91], v[70:71], v[68:69]
	s_waitcnt lgkmcnt(0)
	v_fma_f64 v[68:69], v[92:93], v[72:73], v[68:69]
	s_waitcnt vmcnt(2)
	s_delay_alu instid0(VALU_DEP_1)
	v_fma_f64 v[64:65], v[64:65], v[74:75], v[68:69]
	ds_load_2addr_b64 v[68:71], v1 offset0:55 offset1:56
	ds_load_2addr_b64 v[72:75], v1 offset0:57 offset1:58
	s_waitcnt lgkmcnt(1)
	v_fma_f64 v[1:2], v[66:67], v[68:69], v[64:65]
	s_waitcnt vmcnt(1)
	s_delay_alu instid0(VALU_DEP_1) | instskip(SKIP_1) | instid1(VALU_DEP_1)
	v_fma_f64 v[1:2], v[86:87], v[70:71], v[1:2]
	s_waitcnt lgkmcnt(0)
	v_fma_f64 v[1:2], v[88:89], v[72:73], v[1:2]
	s_waitcnt vmcnt(0)
	s_delay_alu instid0(VALU_DEP_1) | instskip(NEXT) | instid1(VALU_DEP_1)
	v_fma_f64 v[1:2], v[76:77], v[74:75], v[1:2]
	v_add_f64 v[1:2], v[62:63], -v[1:2]
	scratch_store_b64 off, v[1:2], off offset:96
	v_cmpx_lt_u32_e32 11, v0
	s_cbranch_execz .LBB28_161
; %bb.160:
	scratch_load_b64 v[1:2], off, off offset:88
	v_mov_b32_e32 v62, 0
	s_delay_alu instid0(VALU_DEP_1)
	v_mov_b32_e32 v63, v62
	scratch_store_b64 off, v[62:63], off offset:88
	s_waitcnt vmcnt(0)
	ds_store_b64 v3, v[1:2]
.LBB28_161:
	s_or_b32 exec_lo, exec_lo, s0
	s_waitcnt lgkmcnt(0)
	s_waitcnt_vscnt null, 0x0
	s_barrier
	buffer_gl0_inv
	s_clause 0x4
	scratch_load_b128 v[62:65], off, off offset:88
	scratch_load_b128 v[66:69], off, off offset:104
	;; [unrolled: 1-line block ×5, first 2 shown]
	v_mov_b32_e32 v1, 0
	ds_load_b128 v[82:85], v1 offset:336
	ds_load_b128 v[86:89], v1 offset:352
	scratch_load_b128 v[90:93], off, off offset:168
	s_mov_b32 s0, exec_lo
	s_waitcnt vmcnt(5) lgkmcnt(1)
	v_fma_f64 v[64:65], v[64:65], v[82:83], 0
	s_waitcnt vmcnt(4)
	s_delay_alu instid0(VALU_DEP_1) | instskip(SKIP_1) | instid1(VALU_DEP_1)
	v_fma_f64 v[64:65], v[66:67], v[84:85], v[64:65]
	s_waitcnt lgkmcnt(0)
	v_fma_f64 v[68:69], v[68:69], v[86:87], v[64:65]
	scratch_load_b128 v[64:67], off, off offset:184
	s_waitcnt vmcnt(4)
	v_fma_f64 v[86:87], v[70:71], v[88:89], v[68:69]
	ds_load_b128 v[68:71], v1 offset:368
	ds_load_b128 v[82:85], v1 offset:384
	s_waitcnt lgkmcnt(1)
	v_fma_f64 v[68:69], v[72:73], v[68:69], v[86:87]
	scratch_load_b128 v[86:89], off, off offset:200
	s_waitcnt vmcnt(4)
	v_fma_f64 v[68:69], v[74:75], v[70:71], v[68:69]
	s_waitcnt lgkmcnt(0)
	s_delay_alu instid0(VALU_DEP_1)
	v_fma_f64 v[72:73], v[76:77], v[82:83], v[68:69]
	scratch_load_b128 v[68:71], off, off offset:216
	s_waitcnt vmcnt(4)
	v_fma_f64 v[82:83], v[78:79], v[84:85], v[72:73]
	ds_load_b128 v[72:75], v1 offset:400
	ds_load_b128 v[76:79], v1 offset:416
	s_waitcnt lgkmcnt(1)
	v_fma_f64 v[72:73], v[80:81], v[72:73], v[82:83]
	s_waitcnt vmcnt(3)
	s_delay_alu instid0(VALU_DEP_1) | instskip(SKIP_1) | instid1(VALU_DEP_1)
	v_fma_f64 v[72:73], v[90:91], v[74:75], v[72:73]
	s_waitcnt lgkmcnt(0)
	v_fma_f64 v[72:73], v[92:93], v[76:77], v[72:73]
	s_waitcnt vmcnt(2)
	s_delay_alu instid0(VALU_DEP_1)
	v_fma_f64 v[64:65], v[64:65], v[78:79], v[72:73]
	ds_load_b128 v[72:75], v1 offset:432
	ds_load_b128 v[76:79], v1 offset:448
	s_waitcnt lgkmcnt(1)
	v_fma_f64 v[64:65], v[66:67], v[72:73], v[64:65]
	ds_load_b64 v[66:67], v1 offset:464
	s_waitcnt vmcnt(1)
	v_fma_f64 v[64:65], v[86:87], v[74:75], v[64:65]
	s_waitcnt lgkmcnt(1)
	s_delay_alu instid0(VALU_DEP_1) | instskip(SKIP_1) | instid1(VALU_DEP_1)
	v_fma_f64 v[64:65], v[88:89], v[76:77], v[64:65]
	s_waitcnt vmcnt(0)
	v_fma_f64 v[64:65], v[68:69], v[78:79], v[64:65]
	s_waitcnt lgkmcnt(0)
	s_delay_alu instid0(VALU_DEP_1) | instskip(NEXT) | instid1(VALU_DEP_1)
	v_fma_f64 v[64:65], v[70:71], v[66:67], v[64:65]
	v_add_f64 v[62:63], v[62:63], -v[64:65]
	scratch_store_b64 off, v[62:63], off offset:88
	v_cmpx_lt_u32_e32 10, v0
	s_cbranch_execz .LBB28_163
; %bb.162:
	scratch_load_b64 v[62:63], off, off offset:80
	v_mov_b32_e32 v2, v1
	scratch_store_b64 off, v[1:2], off offset:80
	s_waitcnt vmcnt(0)
	ds_store_b64 v3, v[62:63]
.LBB28_163:
	s_or_b32 exec_lo, exec_lo, s0
	s_waitcnt lgkmcnt(0)
	s_waitcnt_vscnt null, 0x0
	s_barrier
	buffer_gl0_inv
	s_clause 0x4
	scratch_load_b128 v[62:65], off, off offset:80
	scratch_load_b128 v[66:69], off, off offset:96
	;; [unrolled: 1-line block ×5, first 2 shown]
	ds_load_2addr_b64 v[82:85], v1 offset0:41 offset1:42
	ds_load_2addr_b64 v[86:89], v1 offset0:43 offset1:44
	scratch_load_b128 v[90:93], off, off offset:160
	s_mov_b32 s0, exec_lo
	s_waitcnt vmcnt(5) lgkmcnt(1)
	v_fma_f64 v[64:65], v[64:65], v[82:83], 0
	s_waitcnt vmcnt(4)
	s_delay_alu instid0(VALU_DEP_1) | instskip(SKIP_1) | instid1(VALU_DEP_1)
	v_fma_f64 v[64:65], v[66:67], v[84:85], v[64:65]
	s_waitcnt lgkmcnt(0)
	v_fma_f64 v[68:69], v[68:69], v[86:87], v[64:65]
	scratch_load_b128 v[64:67], off, off offset:176
	s_waitcnt vmcnt(4)
	v_fma_f64 v[86:87], v[70:71], v[88:89], v[68:69]
	ds_load_2addr_b64 v[68:71], v1 offset0:45 offset1:46
	ds_load_2addr_b64 v[82:85], v1 offset0:47 offset1:48
	s_waitcnt lgkmcnt(1)
	v_fma_f64 v[68:69], v[72:73], v[68:69], v[86:87]
	scratch_load_b128 v[86:89], off, off offset:192
	s_waitcnt vmcnt(4)
	v_fma_f64 v[68:69], v[74:75], v[70:71], v[68:69]
	s_waitcnt lgkmcnt(0)
	s_delay_alu instid0(VALU_DEP_1)
	v_fma_f64 v[72:73], v[76:77], v[82:83], v[68:69]
	scratch_load_b128 v[68:71], off, off offset:208
	s_waitcnt vmcnt(4)
	v_fma_f64 v[82:83], v[78:79], v[84:85], v[72:73]
	ds_load_2addr_b64 v[72:75], v1 offset0:49 offset1:50
	ds_load_2addr_b64 v[76:79], v1 offset0:51 offset1:52
	s_waitcnt lgkmcnt(1)
	v_fma_f64 v[72:73], v[80:81], v[72:73], v[82:83]
	scratch_load_b64 v[80:81], off, off offset:224
	s_waitcnt vmcnt(4)
	v_fma_f64 v[72:73], v[90:91], v[74:75], v[72:73]
	s_waitcnt lgkmcnt(0)
	s_delay_alu instid0(VALU_DEP_1) | instskip(SKIP_1) | instid1(VALU_DEP_1)
	v_fma_f64 v[72:73], v[92:93], v[76:77], v[72:73]
	s_waitcnt vmcnt(3)
	v_fma_f64 v[64:65], v[64:65], v[78:79], v[72:73]
	ds_load_2addr_b64 v[72:75], v1 offset0:53 offset1:54
	ds_load_2addr_b64 v[76:79], v1 offset0:55 offset1:56
	s_waitcnt lgkmcnt(1)
	v_fma_f64 v[64:65], v[66:67], v[72:73], v[64:65]
	s_waitcnt vmcnt(2)
	s_delay_alu instid0(VALU_DEP_1) | instskip(SKIP_1) | instid1(VALU_DEP_1)
	v_fma_f64 v[64:65], v[86:87], v[74:75], v[64:65]
	s_waitcnt lgkmcnt(0)
	v_fma_f64 v[64:65], v[88:89], v[76:77], v[64:65]
	s_waitcnt vmcnt(1)
	s_delay_alu instid0(VALU_DEP_1) | instskip(SKIP_4) | instid1(VALU_DEP_1)
	v_fma_f64 v[68:69], v[68:69], v[78:79], v[64:65]
	ds_load_2addr_b64 v[64:67], v1 offset0:57 offset1:58
	s_waitcnt lgkmcnt(0)
	v_fma_f64 v[1:2], v[70:71], v[64:65], v[68:69]
	s_waitcnt vmcnt(0)
	v_fma_f64 v[1:2], v[80:81], v[66:67], v[1:2]
	s_delay_alu instid0(VALU_DEP_1)
	v_add_f64 v[1:2], v[62:63], -v[1:2]
	scratch_store_b64 off, v[1:2], off offset:80
	v_cmpx_lt_u32_e32 9, v0
	s_cbranch_execz .LBB28_165
; %bb.164:
	scratch_load_b64 v[1:2], off, off offset:72
	v_mov_b32_e32 v62, 0
	s_delay_alu instid0(VALU_DEP_1)
	v_mov_b32_e32 v63, v62
	scratch_store_b64 off, v[62:63], off offset:72
	s_waitcnt vmcnt(0)
	ds_store_b64 v3, v[1:2]
.LBB28_165:
	s_or_b32 exec_lo, exec_lo, s0
	s_waitcnt lgkmcnt(0)
	s_waitcnt_vscnt null, 0x0
	s_barrier
	buffer_gl0_inv
	s_clause 0x4
	scratch_load_b128 v[62:65], off, off offset:72
	scratch_load_b128 v[66:69], off, off offset:88
	;; [unrolled: 1-line block ×5, first 2 shown]
	v_mov_b32_e32 v1, 0
	ds_load_b128 v[82:85], v1 offset:320
	ds_load_b128 v[86:89], v1 offset:336
	scratch_load_b128 v[90:93], off, off offset:152
	s_mov_b32 s0, exec_lo
	s_waitcnt vmcnt(5) lgkmcnt(1)
	v_fma_f64 v[64:65], v[64:65], v[82:83], 0
	s_waitcnt vmcnt(4)
	s_delay_alu instid0(VALU_DEP_1) | instskip(SKIP_1) | instid1(VALU_DEP_1)
	v_fma_f64 v[64:65], v[66:67], v[84:85], v[64:65]
	s_waitcnt lgkmcnt(0)
	v_fma_f64 v[68:69], v[68:69], v[86:87], v[64:65]
	scratch_load_b128 v[64:67], off, off offset:168
	s_waitcnt vmcnt(4)
	v_fma_f64 v[86:87], v[70:71], v[88:89], v[68:69]
	ds_load_b128 v[68:71], v1 offset:352
	ds_load_b128 v[82:85], v1 offset:368
	s_waitcnt lgkmcnt(1)
	v_fma_f64 v[68:69], v[72:73], v[68:69], v[86:87]
	scratch_load_b128 v[86:89], off, off offset:184
	s_waitcnt vmcnt(4)
	v_fma_f64 v[68:69], v[74:75], v[70:71], v[68:69]
	s_waitcnt lgkmcnt(0)
	s_delay_alu instid0(VALU_DEP_1)
	v_fma_f64 v[72:73], v[76:77], v[82:83], v[68:69]
	scratch_load_b128 v[68:71], off, off offset:200
	s_waitcnt vmcnt(4)
	v_fma_f64 v[82:83], v[78:79], v[84:85], v[72:73]
	ds_load_b128 v[72:75], v1 offset:384
	ds_load_b128 v[76:79], v1 offset:400
	s_waitcnt lgkmcnt(1)
	v_fma_f64 v[72:73], v[80:81], v[72:73], v[82:83]
	scratch_load_b128 v[80:83], off, off offset:216
	s_waitcnt vmcnt(4)
	v_fma_f64 v[72:73], v[90:91], v[74:75], v[72:73]
	s_waitcnt lgkmcnt(0)
	s_delay_alu instid0(VALU_DEP_1) | instskip(SKIP_1) | instid1(VALU_DEP_1)
	v_fma_f64 v[72:73], v[92:93], v[76:77], v[72:73]
	s_waitcnt vmcnt(3)
	v_fma_f64 v[64:65], v[64:65], v[78:79], v[72:73]
	ds_load_b128 v[72:75], v1 offset:416
	ds_load_b128 v[76:79], v1 offset:432
	s_waitcnt lgkmcnt(1)
	v_fma_f64 v[64:65], v[66:67], v[72:73], v[64:65]
	s_waitcnt vmcnt(2)
	s_delay_alu instid0(VALU_DEP_1) | instskip(SKIP_1) | instid1(VALU_DEP_1)
	v_fma_f64 v[64:65], v[86:87], v[74:75], v[64:65]
	s_waitcnt lgkmcnt(0)
	v_fma_f64 v[64:65], v[88:89], v[76:77], v[64:65]
	s_waitcnt vmcnt(1)
	s_delay_alu instid0(VALU_DEP_1)
	v_fma_f64 v[68:69], v[68:69], v[78:79], v[64:65]
	ds_load_b128 v[64:67], v1 offset:448
	ds_load_b64 v[72:73], v1 offset:464
	s_waitcnt lgkmcnt(1)
	v_fma_f64 v[64:65], v[70:71], v[64:65], v[68:69]
	s_waitcnt vmcnt(0)
	s_delay_alu instid0(VALU_DEP_1) | instskip(SKIP_1) | instid1(VALU_DEP_1)
	v_fma_f64 v[64:65], v[80:81], v[66:67], v[64:65]
	s_waitcnt lgkmcnt(0)
	v_fma_f64 v[64:65], v[82:83], v[72:73], v[64:65]
	s_delay_alu instid0(VALU_DEP_1)
	v_add_f64 v[62:63], v[62:63], -v[64:65]
	scratch_store_b64 off, v[62:63], off offset:72
	v_cmpx_lt_u32_e32 8, v0
	s_cbranch_execz .LBB28_167
; %bb.166:
	scratch_load_b64 v[62:63], off, off offset:64
	v_mov_b32_e32 v2, v1
	scratch_store_b64 off, v[1:2], off offset:64
	s_waitcnt vmcnt(0)
	ds_store_b64 v3, v[62:63]
.LBB28_167:
	s_or_b32 exec_lo, exec_lo, s0
	s_waitcnt lgkmcnt(0)
	s_waitcnt_vscnt null, 0x0
	s_barrier
	buffer_gl0_inv
	s_clause 0x4
	scratch_load_b128 v[62:65], off, off offset:64
	scratch_load_b128 v[66:69], off, off offset:80
	;; [unrolled: 1-line block ×5, first 2 shown]
	ds_load_2addr_b64 v[82:85], v1 offset0:39 offset1:40
	ds_load_2addr_b64 v[86:89], v1 offset0:41 offset1:42
	scratch_load_b128 v[90:93], off, off offset:144
	s_mov_b32 s0, exec_lo
	s_waitcnt vmcnt(5) lgkmcnt(1)
	v_fma_f64 v[64:65], v[64:65], v[82:83], 0
	s_waitcnt vmcnt(4)
	s_delay_alu instid0(VALU_DEP_1) | instskip(SKIP_1) | instid1(VALU_DEP_1)
	v_fma_f64 v[64:65], v[66:67], v[84:85], v[64:65]
	s_waitcnt lgkmcnt(0)
	v_fma_f64 v[68:69], v[68:69], v[86:87], v[64:65]
	scratch_load_b128 v[64:67], off, off offset:160
	s_waitcnt vmcnt(4)
	v_fma_f64 v[86:87], v[70:71], v[88:89], v[68:69]
	ds_load_2addr_b64 v[68:71], v1 offset0:43 offset1:44
	ds_load_2addr_b64 v[82:85], v1 offset0:45 offset1:46
	s_waitcnt lgkmcnt(1)
	v_fma_f64 v[68:69], v[72:73], v[68:69], v[86:87]
	scratch_load_b128 v[86:89], off, off offset:176
	s_waitcnt vmcnt(4)
	v_fma_f64 v[68:69], v[74:75], v[70:71], v[68:69]
	s_waitcnt lgkmcnt(0)
	s_delay_alu instid0(VALU_DEP_1)
	v_fma_f64 v[72:73], v[76:77], v[82:83], v[68:69]
	scratch_load_b128 v[68:71], off, off offset:192
	s_waitcnt vmcnt(4)
	v_fma_f64 v[82:83], v[78:79], v[84:85], v[72:73]
	ds_load_2addr_b64 v[72:75], v1 offset0:47 offset1:48
	ds_load_2addr_b64 v[76:79], v1 offset0:49 offset1:50
	scratch_load_b64 v[84:85], off, off offset:224
	s_waitcnt lgkmcnt(1)
	v_fma_f64 v[72:73], v[80:81], v[72:73], v[82:83]
	scratch_load_b128 v[80:83], off, off offset:208
	s_waitcnt vmcnt(5)
	v_fma_f64 v[72:73], v[90:91], v[74:75], v[72:73]
	s_waitcnt lgkmcnt(0)
	s_delay_alu instid0(VALU_DEP_1) | instskip(SKIP_1) | instid1(VALU_DEP_1)
	v_fma_f64 v[72:73], v[92:93], v[76:77], v[72:73]
	s_waitcnt vmcnt(4)
	v_fma_f64 v[64:65], v[64:65], v[78:79], v[72:73]
	ds_load_2addr_b64 v[72:75], v1 offset0:51 offset1:52
	ds_load_2addr_b64 v[76:79], v1 offset0:53 offset1:54
	s_waitcnt lgkmcnt(1)
	v_fma_f64 v[64:65], v[66:67], v[72:73], v[64:65]
	s_waitcnt vmcnt(3)
	s_delay_alu instid0(VALU_DEP_1) | instskip(SKIP_1) | instid1(VALU_DEP_1)
	v_fma_f64 v[64:65], v[86:87], v[74:75], v[64:65]
	s_waitcnt lgkmcnt(0)
	v_fma_f64 v[64:65], v[88:89], v[76:77], v[64:65]
	s_waitcnt vmcnt(2)
	s_delay_alu instid0(VALU_DEP_1)
	v_fma_f64 v[68:69], v[68:69], v[78:79], v[64:65]
	ds_load_2addr_b64 v[64:67], v1 offset0:55 offset1:56
	ds_load_2addr_b64 v[72:75], v1 offset0:57 offset1:58
	s_waitcnt lgkmcnt(1)
	v_fma_f64 v[1:2], v[70:71], v[64:65], v[68:69]
	s_waitcnt vmcnt(0)
	s_delay_alu instid0(VALU_DEP_1) | instskip(SKIP_1) | instid1(VALU_DEP_1)
	v_fma_f64 v[1:2], v[80:81], v[66:67], v[1:2]
	s_waitcnt lgkmcnt(0)
	v_fma_f64 v[1:2], v[82:83], v[72:73], v[1:2]
	s_delay_alu instid0(VALU_DEP_1) | instskip(NEXT) | instid1(VALU_DEP_1)
	v_fma_f64 v[1:2], v[84:85], v[74:75], v[1:2]
	v_add_f64 v[1:2], v[62:63], -v[1:2]
	scratch_store_b64 off, v[1:2], off offset:64
	v_cmpx_lt_u32_e32 7, v0
	s_cbranch_execz .LBB28_169
; %bb.168:
	scratch_load_b64 v[1:2], off, off offset:56
	v_mov_b32_e32 v62, 0
	s_delay_alu instid0(VALU_DEP_1)
	v_mov_b32_e32 v63, v62
	scratch_store_b64 off, v[62:63], off offset:56
	s_waitcnt vmcnt(0)
	ds_store_b64 v3, v[1:2]
.LBB28_169:
	s_or_b32 exec_lo, exec_lo, s0
	s_waitcnt lgkmcnt(0)
	s_waitcnt_vscnt null, 0x0
	s_barrier
	buffer_gl0_inv
	s_clause 0x4
	scratch_load_b128 v[62:65], off, off offset:56
	scratch_load_b128 v[66:69], off, off offset:72
	;; [unrolled: 1-line block ×5, first 2 shown]
	v_mov_b32_e32 v1, 0
	ds_load_b128 v[82:85], v1 offset:304
	ds_load_b128 v[86:89], v1 offset:320
	scratch_load_b128 v[90:93], off, off offset:136
	s_mov_b32 s0, exec_lo
	s_waitcnt vmcnt(5) lgkmcnt(1)
	v_fma_f64 v[64:65], v[64:65], v[82:83], 0
	s_waitcnt vmcnt(4)
	s_delay_alu instid0(VALU_DEP_1) | instskip(SKIP_1) | instid1(VALU_DEP_1)
	v_fma_f64 v[64:65], v[66:67], v[84:85], v[64:65]
	s_waitcnt lgkmcnt(0)
	v_fma_f64 v[68:69], v[68:69], v[86:87], v[64:65]
	scratch_load_b128 v[64:67], off, off offset:152
	s_waitcnt vmcnt(4)
	v_fma_f64 v[86:87], v[70:71], v[88:89], v[68:69]
	ds_load_b128 v[68:71], v1 offset:336
	ds_load_b128 v[82:85], v1 offset:352
	s_waitcnt lgkmcnt(1)
	v_fma_f64 v[68:69], v[72:73], v[68:69], v[86:87]
	scratch_load_b128 v[86:89], off, off offset:168
	s_waitcnt vmcnt(4)
	v_fma_f64 v[68:69], v[74:75], v[70:71], v[68:69]
	s_waitcnt lgkmcnt(0)
	s_delay_alu instid0(VALU_DEP_1)
	v_fma_f64 v[72:73], v[76:77], v[82:83], v[68:69]
	scratch_load_b128 v[68:71], off, off offset:184
	s_waitcnt vmcnt(4)
	v_fma_f64 v[82:83], v[78:79], v[84:85], v[72:73]
	ds_load_b128 v[72:75], v1 offset:368
	ds_load_b128 v[76:79], v1 offset:384
	s_waitcnt lgkmcnt(1)
	v_fma_f64 v[72:73], v[80:81], v[72:73], v[82:83]
	scratch_load_b128 v[80:83], off, off offset:200
	s_waitcnt vmcnt(4)
	v_fma_f64 v[72:73], v[90:91], v[74:75], v[72:73]
	s_waitcnt lgkmcnt(0)
	s_delay_alu instid0(VALU_DEP_1)
	v_fma_f64 v[76:77], v[92:93], v[76:77], v[72:73]
	scratch_load_b128 v[72:75], off, off offset:216
	s_waitcnt vmcnt(4)
	v_fma_f64 v[64:65], v[64:65], v[78:79], v[76:77]
	ds_load_b128 v[76:79], v1 offset:400
	ds_load_b128 v[90:93], v1 offset:416
	s_waitcnt lgkmcnt(1)
	v_fma_f64 v[64:65], v[66:67], v[76:77], v[64:65]
	s_waitcnt vmcnt(3)
	s_delay_alu instid0(VALU_DEP_1) | instskip(SKIP_1) | instid1(VALU_DEP_1)
	v_fma_f64 v[64:65], v[86:87], v[78:79], v[64:65]
	s_waitcnt lgkmcnt(0)
	v_fma_f64 v[64:65], v[88:89], v[90:91], v[64:65]
	s_waitcnt vmcnt(2)
	s_delay_alu instid0(VALU_DEP_1)
	v_fma_f64 v[68:69], v[68:69], v[92:93], v[64:65]
	ds_load_b128 v[64:67], v1 offset:432
	ds_load_b128 v[76:79], v1 offset:448
	s_waitcnt lgkmcnt(1)
	v_fma_f64 v[64:65], v[70:71], v[64:65], v[68:69]
	s_waitcnt vmcnt(1)
	s_delay_alu instid0(VALU_DEP_1) | instskip(SKIP_4) | instid1(VALU_DEP_1)
	v_fma_f64 v[64:65], v[80:81], v[66:67], v[64:65]
	ds_load_b64 v[66:67], v1 offset:464
	s_waitcnt lgkmcnt(1)
	v_fma_f64 v[64:65], v[82:83], v[76:77], v[64:65]
	s_waitcnt vmcnt(0)
	v_fma_f64 v[64:65], v[72:73], v[78:79], v[64:65]
	s_waitcnt lgkmcnt(0)
	s_delay_alu instid0(VALU_DEP_1) | instskip(NEXT) | instid1(VALU_DEP_1)
	v_fma_f64 v[64:65], v[74:75], v[66:67], v[64:65]
	v_add_f64 v[62:63], v[62:63], -v[64:65]
	scratch_store_b64 off, v[62:63], off offset:56
	v_cmpx_lt_u32_e32 6, v0
	s_cbranch_execz .LBB28_171
; %bb.170:
	scratch_load_b64 v[62:63], off, off offset:48
	v_mov_b32_e32 v2, v1
	scratch_store_b64 off, v[1:2], off offset:48
	s_waitcnt vmcnt(0)
	ds_store_b64 v3, v[62:63]
.LBB28_171:
	s_or_b32 exec_lo, exec_lo, s0
	s_waitcnt lgkmcnt(0)
	s_waitcnt_vscnt null, 0x0
	s_barrier
	buffer_gl0_inv
	s_clause 0x4
	scratch_load_b128 v[62:65], off, off offset:48
	scratch_load_b128 v[66:69], off, off offset:64
	;; [unrolled: 1-line block ×5, first 2 shown]
	ds_load_2addr_b64 v[82:85], v1 offset0:37 offset1:38
	ds_load_2addr_b64 v[86:89], v1 offset0:39 offset1:40
	scratch_load_b128 v[90:93], off, off offset:128
	s_mov_b32 s0, exec_lo
	s_waitcnt vmcnt(5) lgkmcnt(1)
	v_fma_f64 v[64:65], v[64:65], v[82:83], 0
	s_waitcnt vmcnt(4)
	s_delay_alu instid0(VALU_DEP_1) | instskip(SKIP_1) | instid1(VALU_DEP_1)
	v_fma_f64 v[64:65], v[66:67], v[84:85], v[64:65]
	s_waitcnt lgkmcnt(0)
	v_fma_f64 v[68:69], v[68:69], v[86:87], v[64:65]
	scratch_load_b128 v[64:67], off, off offset:144
	s_waitcnt vmcnt(4)
	v_fma_f64 v[86:87], v[70:71], v[88:89], v[68:69]
	ds_load_2addr_b64 v[68:71], v1 offset0:41 offset1:42
	ds_load_2addr_b64 v[82:85], v1 offset0:43 offset1:44
	s_waitcnt lgkmcnt(1)
	v_fma_f64 v[68:69], v[72:73], v[68:69], v[86:87]
	scratch_load_b128 v[86:89], off, off offset:160
	s_waitcnt vmcnt(4)
	v_fma_f64 v[68:69], v[74:75], v[70:71], v[68:69]
	s_waitcnt lgkmcnt(0)
	s_delay_alu instid0(VALU_DEP_1)
	v_fma_f64 v[72:73], v[76:77], v[82:83], v[68:69]
	scratch_load_b128 v[68:71], off, off offset:176
	s_waitcnt vmcnt(4)
	v_fma_f64 v[82:83], v[78:79], v[84:85], v[72:73]
	ds_load_2addr_b64 v[72:75], v1 offset0:45 offset1:46
	ds_load_2addr_b64 v[76:79], v1 offset0:47 offset1:48
	s_waitcnt lgkmcnt(1)
	v_fma_f64 v[72:73], v[80:81], v[72:73], v[82:83]
	scratch_load_b128 v[80:83], off, off offset:192
	s_waitcnt vmcnt(4)
	v_fma_f64 v[72:73], v[90:91], v[74:75], v[72:73]
	s_waitcnt lgkmcnt(0)
	s_delay_alu instid0(VALU_DEP_1)
	v_fma_f64 v[76:77], v[92:93], v[76:77], v[72:73]
	scratch_load_b128 v[72:75], off, off offset:208
	s_waitcnt vmcnt(4)
	v_fma_f64 v[64:65], v[64:65], v[78:79], v[76:77]
	ds_load_2addr_b64 v[76:79], v1 offset0:49 offset1:50
	ds_load_2addr_b64 v[90:93], v1 offset0:51 offset1:52
	scratch_load_b64 v[84:85], off, off offset:224
	s_waitcnt lgkmcnt(1)
	v_fma_f64 v[64:65], v[66:67], v[76:77], v[64:65]
	s_waitcnt vmcnt(4)
	s_delay_alu instid0(VALU_DEP_1) | instskip(SKIP_1) | instid1(VALU_DEP_1)
	v_fma_f64 v[64:65], v[86:87], v[78:79], v[64:65]
	s_waitcnt lgkmcnt(0)
	v_fma_f64 v[64:65], v[88:89], v[90:91], v[64:65]
	s_waitcnt vmcnt(3)
	s_delay_alu instid0(VALU_DEP_1)
	v_fma_f64 v[68:69], v[68:69], v[92:93], v[64:65]
	ds_load_2addr_b64 v[64:67], v1 offset0:53 offset1:54
	ds_load_2addr_b64 v[76:79], v1 offset0:55 offset1:56
	s_waitcnt lgkmcnt(1)
	v_fma_f64 v[64:65], v[70:71], v[64:65], v[68:69]
	s_waitcnt vmcnt(2)
	s_delay_alu instid0(VALU_DEP_1) | instskip(SKIP_1) | instid1(VALU_DEP_1)
	v_fma_f64 v[64:65], v[80:81], v[66:67], v[64:65]
	s_waitcnt lgkmcnt(0)
	v_fma_f64 v[64:65], v[82:83], v[76:77], v[64:65]
	s_waitcnt vmcnt(1)
	s_delay_alu instid0(VALU_DEP_1) | instskip(SKIP_4) | instid1(VALU_DEP_1)
	v_fma_f64 v[68:69], v[72:73], v[78:79], v[64:65]
	ds_load_2addr_b64 v[64:67], v1 offset0:57 offset1:58
	s_waitcnt lgkmcnt(0)
	v_fma_f64 v[1:2], v[74:75], v[64:65], v[68:69]
	s_waitcnt vmcnt(0)
	v_fma_f64 v[1:2], v[84:85], v[66:67], v[1:2]
	s_delay_alu instid0(VALU_DEP_1)
	v_add_f64 v[1:2], v[62:63], -v[1:2]
	scratch_store_b64 off, v[1:2], off offset:48
	v_cmpx_lt_u32_e32 5, v0
	s_cbranch_execz .LBB28_173
; %bb.172:
	scratch_load_b64 v[1:2], off, off offset:40
	v_mov_b32_e32 v62, 0
	s_delay_alu instid0(VALU_DEP_1)
	v_mov_b32_e32 v63, v62
	scratch_store_b64 off, v[62:63], off offset:40
	s_waitcnt vmcnt(0)
	ds_store_b64 v3, v[1:2]
.LBB28_173:
	s_or_b32 exec_lo, exec_lo, s0
	s_waitcnt lgkmcnt(0)
	s_waitcnt_vscnt null, 0x0
	s_barrier
	buffer_gl0_inv
	s_clause 0x4
	scratch_load_b128 v[62:65], off, off offset:40
	scratch_load_b128 v[66:69], off, off offset:56
	;; [unrolled: 1-line block ×5, first 2 shown]
	v_mov_b32_e32 v1, 0
	ds_load_b128 v[82:85], v1 offset:288
	ds_load_b128 v[86:89], v1 offset:304
	scratch_load_b128 v[90:93], off, off offset:120
	s_mov_b32 s0, exec_lo
	s_waitcnt vmcnt(5) lgkmcnt(1)
	v_fma_f64 v[64:65], v[64:65], v[82:83], 0
	s_waitcnt vmcnt(4)
	s_delay_alu instid0(VALU_DEP_1) | instskip(SKIP_1) | instid1(VALU_DEP_1)
	v_fma_f64 v[64:65], v[66:67], v[84:85], v[64:65]
	s_waitcnt lgkmcnt(0)
	v_fma_f64 v[68:69], v[68:69], v[86:87], v[64:65]
	scratch_load_b128 v[64:67], off, off offset:136
	s_waitcnt vmcnt(4)
	v_fma_f64 v[86:87], v[70:71], v[88:89], v[68:69]
	ds_load_b128 v[68:71], v1 offset:320
	ds_load_b128 v[82:85], v1 offset:336
	s_waitcnt lgkmcnt(1)
	v_fma_f64 v[68:69], v[72:73], v[68:69], v[86:87]
	scratch_load_b128 v[86:89], off, off offset:152
	s_waitcnt vmcnt(4)
	v_fma_f64 v[68:69], v[74:75], v[70:71], v[68:69]
	s_waitcnt lgkmcnt(0)
	s_delay_alu instid0(VALU_DEP_1)
	v_fma_f64 v[72:73], v[76:77], v[82:83], v[68:69]
	scratch_load_b128 v[68:71], off, off offset:168
	s_waitcnt vmcnt(4)
	v_fma_f64 v[82:83], v[78:79], v[84:85], v[72:73]
	ds_load_b128 v[72:75], v1 offset:352
	ds_load_b128 v[76:79], v1 offset:368
	s_waitcnt lgkmcnt(1)
	v_fma_f64 v[72:73], v[80:81], v[72:73], v[82:83]
	scratch_load_b128 v[80:83], off, off offset:184
	s_waitcnt vmcnt(4)
	v_fma_f64 v[72:73], v[90:91], v[74:75], v[72:73]
	s_waitcnt lgkmcnt(0)
	s_delay_alu instid0(VALU_DEP_1)
	v_fma_f64 v[76:77], v[92:93], v[76:77], v[72:73]
	scratch_load_b128 v[72:75], off, off offset:200
	s_waitcnt vmcnt(4)
	v_fma_f64 v[64:65], v[64:65], v[78:79], v[76:77]
	ds_load_b128 v[76:79], v1 offset:384
	ds_load_b128 v[90:93], v1 offset:400
	s_waitcnt lgkmcnt(1)
	v_fma_f64 v[76:77], v[66:67], v[76:77], v[64:65]
	scratch_load_b128 v[64:67], off, off offset:216
	s_waitcnt vmcnt(4)
	v_fma_f64 v[76:77], v[86:87], v[78:79], v[76:77]
	s_waitcnt lgkmcnt(0)
	s_delay_alu instid0(VALU_DEP_1) | instskip(SKIP_1) | instid1(VALU_DEP_1)
	v_fma_f64 v[76:77], v[88:89], v[90:91], v[76:77]
	s_waitcnt vmcnt(3)
	v_fma_f64 v[68:69], v[68:69], v[92:93], v[76:77]
	ds_load_b128 v[76:79], v1 offset:416
	ds_load_b128 v[84:87], v1 offset:432
	s_waitcnt lgkmcnt(1)
	v_fma_f64 v[68:69], v[70:71], v[76:77], v[68:69]
	s_waitcnt vmcnt(2)
	s_delay_alu instid0(VALU_DEP_1) | instskip(SKIP_1) | instid1(VALU_DEP_1)
	v_fma_f64 v[68:69], v[80:81], v[78:79], v[68:69]
	s_waitcnt lgkmcnt(0)
	v_fma_f64 v[68:69], v[82:83], v[84:85], v[68:69]
	s_waitcnt vmcnt(1)
	s_delay_alu instid0(VALU_DEP_1)
	v_fma_f64 v[72:73], v[72:73], v[86:87], v[68:69]
	ds_load_b128 v[68:71], v1 offset:448
	ds_load_b64 v[76:77], v1 offset:464
	s_waitcnt lgkmcnt(1)
	v_fma_f64 v[68:69], v[74:75], v[68:69], v[72:73]
	s_waitcnt vmcnt(0)
	s_delay_alu instid0(VALU_DEP_1) | instskip(SKIP_1) | instid1(VALU_DEP_1)
	v_fma_f64 v[64:65], v[64:65], v[70:71], v[68:69]
	s_waitcnt lgkmcnt(0)
	v_fma_f64 v[64:65], v[66:67], v[76:77], v[64:65]
	s_delay_alu instid0(VALU_DEP_1)
	v_add_f64 v[62:63], v[62:63], -v[64:65]
	scratch_store_b64 off, v[62:63], off offset:40
	v_cmpx_lt_u32_e32 4, v0
	s_cbranch_execz .LBB28_175
; %bb.174:
	scratch_load_b64 v[62:63], off, off offset:32
	v_mov_b32_e32 v2, v1
	scratch_store_b64 off, v[1:2], off offset:32
	s_waitcnt vmcnt(0)
	ds_store_b64 v3, v[62:63]
.LBB28_175:
	s_or_b32 exec_lo, exec_lo, s0
	s_waitcnt lgkmcnt(0)
	s_waitcnt_vscnt null, 0x0
	s_barrier
	buffer_gl0_inv
	s_clause 0x4
	scratch_load_b128 v[62:65], off, off offset:32
	scratch_load_b128 v[66:69], off, off offset:48
	;; [unrolled: 1-line block ×5, first 2 shown]
	ds_load_2addr_b64 v[82:85], v1 offset0:35 offset1:36
	ds_load_2addr_b64 v[86:89], v1 offset0:37 offset1:38
	scratch_load_b128 v[90:93], off, off offset:112
	s_mov_b32 s0, exec_lo
	s_waitcnt vmcnt(5) lgkmcnt(1)
	v_fma_f64 v[64:65], v[64:65], v[82:83], 0
	s_waitcnt vmcnt(4)
	s_delay_alu instid0(VALU_DEP_1) | instskip(SKIP_1) | instid1(VALU_DEP_1)
	v_fma_f64 v[64:65], v[66:67], v[84:85], v[64:65]
	s_waitcnt lgkmcnt(0)
	v_fma_f64 v[68:69], v[68:69], v[86:87], v[64:65]
	scratch_load_b128 v[64:67], off, off offset:128
	s_waitcnt vmcnt(4)
	v_fma_f64 v[86:87], v[70:71], v[88:89], v[68:69]
	ds_load_2addr_b64 v[68:71], v1 offset0:39 offset1:40
	ds_load_2addr_b64 v[82:85], v1 offset0:41 offset1:42
	s_waitcnt lgkmcnt(1)
	v_fma_f64 v[68:69], v[72:73], v[68:69], v[86:87]
	scratch_load_b128 v[86:89], off, off offset:144
	s_waitcnt vmcnt(4)
	v_fma_f64 v[68:69], v[74:75], v[70:71], v[68:69]
	s_waitcnt lgkmcnt(0)
	s_delay_alu instid0(VALU_DEP_1)
	v_fma_f64 v[72:73], v[76:77], v[82:83], v[68:69]
	scratch_load_b128 v[68:71], off, off offset:160
	s_waitcnt vmcnt(4)
	v_fma_f64 v[82:83], v[78:79], v[84:85], v[72:73]
	ds_load_2addr_b64 v[72:75], v1 offset0:43 offset1:44
	ds_load_2addr_b64 v[76:79], v1 offset0:45 offset1:46
	s_waitcnt lgkmcnt(1)
	v_fma_f64 v[72:73], v[80:81], v[72:73], v[82:83]
	scratch_load_b128 v[80:83], off, off offset:176
	s_waitcnt vmcnt(4)
	v_fma_f64 v[72:73], v[90:91], v[74:75], v[72:73]
	s_waitcnt lgkmcnt(0)
	s_delay_alu instid0(VALU_DEP_1)
	;; [unrolled: 13-line block ×3, first 2 shown]
	v_fma_f64 v[76:77], v[88:89], v[90:91], v[76:77]
	scratch_load_b64 v[88:89], off, off offset:224
	s_waitcnt vmcnt(4)
	v_fma_f64 v[68:69], v[68:69], v[92:93], v[76:77]
	ds_load_2addr_b64 v[76:79], v1 offset0:51 offset1:52
	ds_load_2addr_b64 v[84:87], v1 offset0:53 offset1:54
	s_waitcnt lgkmcnt(1)
	v_fma_f64 v[68:69], v[70:71], v[76:77], v[68:69]
	s_waitcnt vmcnt(3)
	s_delay_alu instid0(VALU_DEP_1) | instskip(SKIP_1) | instid1(VALU_DEP_1)
	v_fma_f64 v[68:69], v[80:81], v[78:79], v[68:69]
	s_waitcnt lgkmcnt(0)
	v_fma_f64 v[68:69], v[82:83], v[84:85], v[68:69]
	s_waitcnt vmcnt(2)
	s_delay_alu instid0(VALU_DEP_1)
	v_fma_f64 v[72:73], v[72:73], v[86:87], v[68:69]
	ds_load_2addr_b64 v[68:71], v1 offset0:55 offset1:56
	ds_load_2addr_b64 v[76:79], v1 offset0:57 offset1:58
	s_waitcnt lgkmcnt(1)
	v_fma_f64 v[1:2], v[74:75], v[68:69], v[72:73]
	s_waitcnt vmcnt(1)
	s_delay_alu instid0(VALU_DEP_1) | instskip(SKIP_1) | instid1(VALU_DEP_1)
	v_fma_f64 v[1:2], v[64:65], v[70:71], v[1:2]
	s_waitcnt lgkmcnt(0)
	v_fma_f64 v[1:2], v[66:67], v[76:77], v[1:2]
	s_waitcnt vmcnt(0)
	s_delay_alu instid0(VALU_DEP_1) | instskip(NEXT) | instid1(VALU_DEP_1)
	v_fma_f64 v[1:2], v[88:89], v[78:79], v[1:2]
	v_add_f64 v[1:2], v[62:63], -v[1:2]
	scratch_store_b64 off, v[1:2], off offset:32
	v_cmpx_lt_u32_e32 3, v0
	s_cbranch_execz .LBB28_177
; %bb.176:
	scratch_load_b64 v[1:2], off, off offset:24
	v_mov_b32_e32 v62, 0
	s_delay_alu instid0(VALU_DEP_1)
	v_mov_b32_e32 v63, v62
	scratch_store_b64 off, v[62:63], off offset:24
	s_waitcnt vmcnt(0)
	ds_store_b64 v3, v[1:2]
.LBB28_177:
	s_or_b32 exec_lo, exec_lo, s0
	s_waitcnt lgkmcnt(0)
	s_waitcnt_vscnt null, 0x0
	s_barrier
	buffer_gl0_inv
	s_clause 0x4
	scratch_load_b128 v[62:65], off, off offset:24
	scratch_load_b128 v[66:69], off, off offset:40
	scratch_load_b128 v[70:73], off, off offset:56
	scratch_load_b128 v[74:77], off, off offset:72
	scratch_load_b128 v[78:81], off, off offset:88
	v_mov_b32_e32 v1, 0
	ds_load_b128 v[82:85], v1 offset:272
	ds_load_b128 v[86:89], v1 offset:288
	scratch_load_b128 v[90:93], off, off offset:104
	s_mov_b32 s0, exec_lo
	s_waitcnt vmcnt(5) lgkmcnt(1)
	v_fma_f64 v[64:65], v[64:65], v[82:83], 0
	s_waitcnt vmcnt(4)
	s_delay_alu instid0(VALU_DEP_1) | instskip(SKIP_1) | instid1(VALU_DEP_1)
	v_fma_f64 v[64:65], v[66:67], v[84:85], v[64:65]
	s_waitcnt lgkmcnt(0)
	v_fma_f64 v[68:69], v[68:69], v[86:87], v[64:65]
	scratch_load_b128 v[64:67], off, off offset:120
	s_waitcnt vmcnt(4)
	v_fma_f64 v[86:87], v[70:71], v[88:89], v[68:69]
	ds_load_b128 v[68:71], v1 offset:304
	ds_load_b128 v[82:85], v1 offset:320
	s_waitcnt lgkmcnt(1)
	v_fma_f64 v[68:69], v[72:73], v[68:69], v[86:87]
	scratch_load_b128 v[86:89], off, off offset:136
	s_waitcnt vmcnt(4)
	v_fma_f64 v[68:69], v[74:75], v[70:71], v[68:69]
	s_waitcnt lgkmcnt(0)
	s_delay_alu instid0(VALU_DEP_1)
	v_fma_f64 v[72:73], v[76:77], v[82:83], v[68:69]
	scratch_load_b128 v[68:71], off, off offset:152
	s_waitcnt vmcnt(4)
	v_fma_f64 v[82:83], v[78:79], v[84:85], v[72:73]
	ds_load_b128 v[72:75], v1 offset:336
	ds_load_b128 v[76:79], v1 offset:352
	s_waitcnt lgkmcnt(1)
	v_fma_f64 v[72:73], v[80:81], v[72:73], v[82:83]
	scratch_load_b128 v[80:83], off, off offset:168
	s_waitcnt vmcnt(4)
	v_fma_f64 v[72:73], v[90:91], v[74:75], v[72:73]
	s_waitcnt lgkmcnt(0)
	s_delay_alu instid0(VALU_DEP_1)
	;; [unrolled: 13-line block ×3, first 2 shown]
	v_fma_f64 v[84:85], v[88:89], v[90:91], v[76:77]
	scratch_load_b128 v[76:79], off, off offset:216
	s_waitcnt vmcnt(4)
	v_fma_f64 v[68:69], v[68:69], v[92:93], v[84:85]
	ds_load_b128 v[84:87], v1 offset:400
	ds_load_b128 v[88:91], v1 offset:416
	s_waitcnt lgkmcnt(1)
	v_fma_f64 v[68:69], v[70:71], v[84:85], v[68:69]
	s_waitcnt vmcnt(3)
	s_delay_alu instid0(VALU_DEP_1) | instskip(SKIP_1) | instid1(VALU_DEP_1)
	v_fma_f64 v[68:69], v[80:81], v[86:87], v[68:69]
	s_waitcnt lgkmcnt(0)
	v_fma_f64 v[68:69], v[82:83], v[88:89], v[68:69]
	s_waitcnt vmcnt(2)
	s_delay_alu instid0(VALU_DEP_1)
	v_fma_f64 v[72:73], v[72:73], v[90:91], v[68:69]
	ds_load_b128 v[68:71], v1 offset:432
	ds_load_b128 v[80:83], v1 offset:448
	s_waitcnt lgkmcnt(1)
	v_fma_f64 v[68:69], v[74:75], v[68:69], v[72:73]
	s_waitcnt vmcnt(1)
	s_delay_alu instid0(VALU_DEP_1) | instskip(SKIP_1) | instid1(VALU_DEP_1)
	v_fma_f64 v[64:65], v[64:65], v[70:71], v[68:69]
	s_waitcnt lgkmcnt(0)
	v_fma_f64 v[64:65], v[66:67], v[80:81], v[64:65]
	ds_load_b64 v[66:67], v1 offset:464
	s_waitcnt vmcnt(0)
	v_fma_f64 v[64:65], v[76:77], v[82:83], v[64:65]
	s_waitcnt lgkmcnt(0)
	s_delay_alu instid0(VALU_DEP_1) | instskip(NEXT) | instid1(VALU_DEP_1)
	v_fma_f64 v[64:65], v[78:79], v[66:67], v[64:65]
	v_add_f64 v[62:63], v[62:63], -v[64:65]
	scratch_store_b64 off, v[62:63], off offset:24
	v_cmpx_lt_u32_e32 2, v0
	s_cbranch_execz .LBB28_179
; %bb.178:
	scratch_load_b64 v[62:63], off, off offset:16
	v_mov_b32_e32 v2, v1
	scratch_store_b64 off, v[1:2], off offset:16
	s_waitcnt vmcnt(0)
	ds_store_b64 v3, v[62:63]
.LBB28_179:
	s_or_b32 exec_lo, exec_lo, s0
	s_waitcnt lgkmcnt(0)
	s_waitcnt_vscnt null, 0x0
	s_barrier
	buffer_gl0_inv
	s_clause 0x4
	scratch_load_b128 v[62:65], off, off offset:16
	scratch_load_b128 v[66:69], off, off offset:32
	;; [unrolled: 1-line block ×5, first 2 shown]
	ds_load_2addr_b64 v[82:85], v1 offset0:33 offset1:34
	ds_load_2addr_b64 v[86:89], v1 offset0:35 offset1:36
	scratch_load_b128 v[90:93], off, off offset:96
	s_mov_b32 s0, exec_lo
	s_waitcnt vmcnt(5) lgkmcnt(1)
	v_fma_f64 v[64:65], v[64:65], v[82:83], 0
	s_waitcnt vmcnt(4)
	s_delay_alu instid0(VALU_DEP_1) | instskip(SKIP_1) | instid1(VALU_DEP_1)
	v_fma_f64 v[64:65], v[66:67], v[84:85], v[64:65]
	s_waitcnt lgkmcnt(0)
	v_fma_f64 v[68:69], v[68:69], v[86:87], v[64:65]
	scratch_load_b128 v[64:67], off, off offset:112
	s_waitcnt vmcnt(4)
	v_fma_f64 v[86:87], v[70:71], v[88:89], v[68:69]
	ds_load_2addr_b64 v[68:71], v1 offset0:37 offset1:38
	ds_load_2addr_b64 v[82:85], v1 offset0:39 offset1:40
	s_waitcnt lgkmcnt(1)
	v_fma_f64 v[68:69], v[72:73], v[68:69], v[86:87]
	scratch_load_b128 v[86:89], off, off offset:128
	s_waitcnt vmcnt(4)
	v_fma_f64 v[68:69], v[74:75], v[70:71], v[68:69]
	s_waitcnt lgkmcnt(0)
	s_delay_alu instid0(VALU_DEP_1)
	v_fma_f64 v[72:73], v[76:77], v[82:83], v[68:69]
	scratch_load_b128 v[68:71], off, off offset:144
	s_waitcnt vmcnt(4)
	v_fma_f64 v[82:83], v[78:79], v[84:85], v[72:73]
	ds_load_2addr_b64 v[72:75], v1 offset0:41 offset1:42
	ds_load_2addr_b64 v[76:79], v1 offset0:43 offset1:44
	s_waitcnt lgkmcnt(1)
	v_fma_f64 v[72:73], v[80:81], v[72:73], v[82:83]
	scratch_load_b128 v[80:83], off, off offset:160
	s_waitcnt vmcnt(4)
	v_fma_f64 v[72:73], v[90:91], v[74:75], v[72:73]
	s_waitcnt lgkmcnt(0)
	s_delay_alu instid0(VALU_DEP_1)
	;; [unrolled: 13-line block ×3, first 2 shown]
	v_fma_f64 v[84:85], v[88:89], v[90:91], v[76:77]
	scratch_load_b128 v[76:79], off, off offset:208
	s_waitcnt vmcnt(4)
	v_fma_f64 v[68:69], v[68:69], v[92:93], v[84:85]
	ds_load_2addr_b64 v[84:87], v1 offset0:49 offset1:50
	ds_load_2addr_b64 v[88:91], v1 offset0:51 offset1:52
	s_waitcnt lgkmcnt(1)
	v_fma_f64 v[68:69], v[70:71], v[84:85], v[68:69]
	scratch_load_b64 v[84:85], off, off offset:224
	s_waitcnt vmcnt(4)
	v_fma_f64 v[68:69], v[80:81], v[86:87], v[68:69]
	s_waitcnt lgkmcnt(0)
	s_delay_alu instid0(VALU_DEP_1) | instskip(SKIP_1) | instid1(VALU_DEP_1)
	v_fma_f64 v[68:69], v[82:83], v[88:89], v[68:69]
	s_waitcnt vmcnt(3)
	v_fma_f64 v[72:73], v[72:73], v[90:91], v[68:69]
	ds_load_2addr_b64 v[68:71], v1 offset0:53 offset1:54
	ds_load_2addr_b64 v[80:83], v1 offset0:55 offset1:56
	s_waitcnt lgkmcnt(1)
	v_fma_f64 v[68:69], v[74:75], v[68:69], v[72:73]
	s_waitcnt vmcnt(2)
	s_delay_alu instid0(VALU_DEP_1) | instskip(SKIP_1) | instid1(VALU_DEP_1)
	v_fma_f64 v[64:65], v[64:65], v[70:71], v[68:69]
	s_waitcnt lgkmcnt(0)
	v_fma_f64 v[64:65], v[66:67], v[80:81], v[64:65]
	s_waitcnt vmcnt(1)
	s_delay_alu instid0(VALU_DEP_1) | instskip(SKIP_4) | instid1(VALU_DEP_1)
	v_fma_f64 v[68:69], v[76:77], v[82:83], v[64:65]
	ds_load_2addr_b64 v[64:67], v1 offset0:57 offset1:58
	s_waitcnt lgkmcnt(0)
	v_fma_f64 v[1:2], v[78:79], v[64:65], v[68:69]
	s_waitcnt vmcnt(0)
	v_fma_f64 v[1:2], v[84:85], v[66:67], v[1:2]
	s_delay_alu instid0(VALU_DEP_1)
	v_add_f64 v[1:2], v[62:63], -v[1:2]
	scratch_store_b64 off, v[1:2], off offset:16
	v_cmpx_lt_u32_e32 1, v0
	s_cbranch_execz .LBB28_181
; %bb.180:
	scratch_load_b64 v[1:2], off, off offset:8
	v_mov_b32_e32 v62, 0
	s_delay_alu instid0(VALU_DEP_1)
	v_mov_b32_e32 v63, v62
	scratch_store_b64 off, v[62:63], off offset:8
	s_waitcnt vmcnt(0)
	ds_store_b64 v3, v[1:2]
.LBB28_181:
	s_or_b32 exec_lo, exec_lo, s0
	s_waitcnt lgkmcnt(0)
	s_waitcnt_vscnt null, 0x0
	s_barrier
	buffer_gl0_inv
	s_clause 0x4
	scratch_load_b128 v[63:66], off, off offset:8
	scratch_load_b128 v[67:70], off, off offset:24
	;; [unrolled: 1-line block ×5, first 2 shown]
	v_mov_b32_e32 v62, 0
	ds_load_b128 v[83:86], v62 offset:256
	ds_load_b128 v[87:90], v62 offset:272
	scratch_load_b128 v[91:94], off, off offset:88
	s_mov_b32 s0, exec_lo
	s_waitcnt vmcnt(5) lgkmcnt(1)
	v_fma_f64 v[1:2], v[65:66], v[83:84], 0
	s_waitcnt vmcnt(4)
	s_delay_alu instid0(VALU_DEP_1) | instskip(SKIP_4) | instid1(VALU_DEP_1)
	v_fma_f64 v[1:2], v[67:68], v[85:86], v[1:2]
	scratch_load_b128 v[65:68], off, off offset:104
	s_waitcnt lgkmcnt(0)
	v_fma_f64 v[1:2], v[69:70], v[87:88], v[1:2]
	s_waitcnt vmcnt(4)
	v_fma_f64 v[1:2], v[71:72], v[89:90], v[1:2]
	ds_load_b128 v[69:72], v62 offset:288
	ds_load_b128 v[83:86], v62 offset:304
	scratch_load_b128 v[87:90], off, off offset:120
	s_waitcnt lgkmcnt(1)
	v_fma_f64 v[1:2], v[73:74], v[69:70], v[1:2]
	s_waitcnt vmcnt(4)
	s_delay_alu instid0(VALU_DEP_1) | instskip(SKIP_4) | instid1(VALU_DEP_1)
	v_fma_f64 v[1:2], v[75:76], v[71:72], v[1:2]
	scratch_load_b128 v[69:72], off, off offset:136
	s_waitcnt lgkmcnt(0)
	v_fma_f64 v[1:2], v[77:78], v[83:84], v[1:2]
	s_waitcnt vmcnt(4)
	v_fma_f64 v[1:2], v[79:80], v[85:86], v[1:2]
	ds_load_b128 v[73:76], v62 offset:320
	ds_load_b128 v[77:80], v62 offset:336
	s_waitcnt lgkmcnt(1)
	v_fma_f64 v[1:2], v[81:82], v[73:74], v[1:2]
	scratch_load_b128 v[81:84], off, off offset:152
	s_waitcnt vmcnt(4)
	v_fma_f64 v[1:2], v[91:92], v[75:76], v[1:2]
	scratch_load_b128 v[73:76], off, off offset:168
	s_waitcnt lgkmcnt(0)
	v_fma_f64 v[1:2], v[93:94], v[77:78], v[1:2]
	s_waitcnt vmcnt(4)
	s_delay_alu instid0(VALU_DEP_1)
	v_fma_f64 v[1:2], v[65:66], v[79:80], v[1:2]
	ds_load_b128 v[77:80], v62 offset:352
	ds_load_b128 v[91:94], v62 offset:368
	s_waitcnt lgkmcnt(1)
	v_fma_f64 v[1:2], v[67:68], v[77:78], v[1:2]
	scratch_load_b128 v[65:68], off, off offset:184
	s_waitcnt vmcnt(4)
	v_fma_f64 v[1:2], v[87:88], v[79:80], v[1:2]
	scratch_load_b128 v[77:80], off, off offset:200
	s_waitcnt lgkmcnt(0)
	v_fma_f64 v[1:2], v[89:90], v[91:92], v[1:2]
	ds_load_b128 v[85:88], v62 offset:384
	ds_load_b128 v[89:92], v62 offset:400
	s_waitcnt vmcnt(4)
	v_fma_f64 v[1:2], v[69:70], v[93:94], v[1:2]
	s_waitcnt lgkmcnt(1)
	s_delay_alu instid0(VALU_DEP_1) | instskip(SKIP_4) | instid1(VALU_DEP_1)
	v_fma_f64 v[1:2], v[71:72], v[85:86], v[1:2]
	scratch_load_b128 v[69:72], off, off offset:216
	s_waitcnt vmcnt(4)
	v_fma_f64 v[1:2], v[81:82], v[87:88], v[1:2]
	s_waitcnt lgkmcnt(0)
	v_fma_f64 v[1:2], v[83:84], v[89:90], v[1:2]
	ds_load_b128 v[81:84], v62 offset:416
	ds_load_b128 v[85:88], v62 offset:432
	s_waitcnt vmcnt(3)
	v_fma_f64 v[1:2], v[73:74], v[91:92], v[1:2]
	s_waitcnt lgkmcnt(1)
	s_delay_alu instid0(VALU_DEP_1) | instskip(SKIP_1) | instid1(VALU_DEP_1)
	v_fma_f64 v[1:2], v[75:76], v[81:82], v[1:2]
	s_waitcnt vmcnt(2)
	v_fma_f64 v[1:2], v[65:66], v[83:84], v[1:2]
	s_waitcnt lgkmcnt(0)
	s_delay_alu instid0(VALU_DEP_1)
	v_fma_f64 v[1:2], v[67:68], v[85:86], v[1:2]
	ds_load_b128 v[65:68], v62 offset:448
	ds_load_b64 v[73:74], v62 offset:464
	s_waitcnt vmcnt(1)
	v_fma_f64 v[1:2], v[77:78], v[87:88], v[1:2]
	s_waitcnt lgkmcnt(1)
	s_delay_alu instid0(VALU_DEP_1) | instskip(SKIP_1) | instid1(VALU_DEP_1)
	v_fma_f64 v[1:2], v[79:80], v[65:66], v[1:2]
	s_waitcnt vmcnt(0)
	v_fma_f64 v[1:2], v[69:70], v[67:68], v[1:2]
	s_waitcnt lgkmcnt(0)
	s_delay_alu instid0(VALU_DEP_1) | instskip(NEXT) | instid1(VALU_DEP_1)
	v_fma_f64 v[1:2], v[71:72], v[73:74], v[1:2]
	v_add_f64 v[1:2], v[63:64], -v[1:2]
	scratch_store_b64 off, v[1:2], off offset:8
	v_cmpx_ne_u32_e32 0, v0
	s_cbranch_execz .LBB28_183
; %bb.182:
	scratch_load_b64 v[0:1], off, off
	v_mov_b32_e32 v63, v62
	scratch_store_b64 off, v[62:63], off
	s_waitcnt vmcnt(0)
	ds_store_b64 v3, v[0:1]
.LBB28_183:
	s_or_b32 exec_lo, exec_lo, s0
	s_waitcnt lgkmcnt(0)
	s_waitcnt_vscnt null, 0x0
	s_barrier
	buffer_gl0_inv
	s_clause 0x4
	scratch_load_b128 v[63:66], off, off
	scratch_load_b128 v[0:3], off, off offset:16
	scratch_load_b128 v[67:70], off, off offset:32
	;; [unrolled: 1-line block ×4, first 2 shown]
	ds_load_2addr_b64 v[79:82], v62 offset0:31 offset1:32
	ds_load_2addr_b64 v[83:86], v62 offset0:33 offset1:34
	scratch_load_b128 v[87:90], off, off offset:80
	s_and_b32 vcc_lo, exec_lo, s16
	s_waitcnt vmcnt(5) lgkmcnt(1)
	v_fma_f64 v[65:66], v[65:66], v[79:80], 0
	s_waitcnt vmcnt(4)
	s_delay_alu instid0(VALU_DEP_1) | instskip(SKIP_1) | instid1(VALU_DEP_1)
	v_fma_f64 v[0:1], v[0:1], v[81:82], v[65:66]
	s_waitcnt lgkmcnt(0)
	v_fma_f64 v[65:66], v[2:3], v[83:84], v[0:1]
	scratch_load_b128 v[0:3], off, off offset:96
	s_waitcnt vmcnt(4)
	v_fma_f64 v[83:84], v[67:68], v[85:86], v[65:66]
	ds_load_2addr_b64 v[65:68], v62 offset0:35 offset1:36
	ds_load_2addr_b64 v[79:82], v62 offset0:37 offset1:38
	s_waitcnt lgkmcnt(1)
	v_fma_f64 v[65:66], v[69:70], v[65:66], v[83:84]
	scratch_load_b128 v[83:86], off, off offset:112
	s_waitcnt vmcnt(4)
	v_fma_f64 v[65:66], v[71:72], v[67:68], v[65:66]
	s_waitcnt lgkmcnt(0)
	s_delay_alu instid0(VALU_DEP_1)
	v_fma_f64 v[69:70], v[73:74], v[79:80], v[65:66]
	scratch_load_b128 v[65:68], off, off offset:128
	s_waitcnt vmcnt(4)
	v_fma_f64 v[79:80], v[75:76], v[81:82], v[69:70]
	ds_load_2addr_b64 v[69:72], v62 offset0:39 offset1:40
	ds_load_2addr_b64 v[73:76], v62 offset0:41 offset1:42
	s_waitcnt lgkmcnt(1)
	v_fma_f64 v[69:70], v[77:78], v[69:70], v[79:80]
	scratch_load_b128 v[77:80], off, off offset:144
	s_waitcnt vmcnt(4)
	v_fma_f64 v[69:70], v[87:88], v[71:72], v[69:70]
	s_waitcnt lgkmcnt(0)
	s_delay_alu instid0(VALU_DEP_1)
	v_fma_f64 v[73:74], v[89:90], v[73:74], v[69:70]
	scratch_load_b128 v[69:72], off, off offset:160
	s_waitcnt vmcnt(4)
	v_fma_f64 v[0:1], v[0:1], v[75:76], v[73:74]
	ds_load_2addr_b64 v[73:76], v62 offset0:43 offset1:44
	ds_load_2addr_b64 v[87:90], v62 offset0:45 offset1:46
	scratch_load_b128 v[91:94], off, off offset:176
	s_waitcnt lgkmcnt(1)
	v_fma_f64 v[0:1], v[2:3], v[73:74], v[0:1]
	s_waitcnt vmcnt(4)
	s_delay_alu instid0(VALU_DEP_1)
	v_fma_f64 v[0:1], v[83:84], v[75:76], v[0:1]
	scratch_load_b128 v[73:76], off, off offset:192
	s_waitcnt lgkmcnt(0)
	v_fma_f64 v[0:1], v[85:86], v[87:88], v[0:1]
	ds_load_2addr_b64 v[81:84], v62 offset0:47 offset1:48
	ds_load_2addr_b64 v[85:88], v62 offset0:49 offset1:50
	s_waitcnt vmcnt(4)
	v_fma_f64 v[0:1], v[65:66], v[89:90], v[0:1]
	s_waitcnt lgkmcnt(1)
	s_delay_alu instid0(VALU_DEP_1)
	v_fma_f64 v[65:66], v[67:68], v[81:82], v[0:1]
	s_clause 0x1
	scratch_load_b128 v[0:3], off, off offset:208
	scratch_load_b64 v[81:82], off, off offset:224
	s_waitcnt vmcnt(5)
	v_fma_f64 v[65:66], v[77:78], v[83:84], v[65:66]
	s_waitcnt lgkmcnt(0)
	s_delay_alu instid0(VALU_DEP_1) | instskip(SKIP_1) | instid1(VALU_DEP_1)
	v_fma_f64 v[65:66], v[79:80], v[85:86], v[65:66]
	s_waitcnt vmcnt(4)
	v_fma_f64 v[69:70], v[69:70], v[87:88], v[65:66]
	ds_load_2addr_b64 v[65:68], v62 offset0:51 offset1:52
	ds_load_2addr_b64 v[77:80], v62 offset0:53 offset1:54
	s_waitcnt lgkmcnt(1)
	v_fma_f64 v[65:66], v[71:72], v[65:66], v[69:70]
	s_waitcnt vmcnt(3)
	s_delay_alu instid0(VALU_DEP_1) | instskip(SKIP_1) | instid1(VALU_DEP_1)
	v_fma_f64 v[65:66], v[91:92], v[67:68], v[65:66]
	s_waitcnt lgkmcnt(0)
	v_fma_f64 v[65:66], v[93:94], v[77:78], v[65:66]
	s_waitcnt vmcnt(2)
	s_delay_alu instid0(VALU_DEP_1)
	v_fma_f64 v[73:74], v[73:74], v[79:80], v[65:66]
	ds_load_2addr_b64 v[65:68], v62 offset0:55 offset1:56
	ds_load_2addr_b64 v[69:72], v62 offset0:57 offset1:58
	s_waitcnt lgkmcnt(1)
	v_fma_f64 v[65:66], v[75:76], v[65:66], v[73:74]
	s_waitcnt vmcnt(1)
	s_delay_alu instid0(VALU_DEP_1) | instskip(SKIP_1) | instid1(VALU_DEP_1)
	v_fma_f64 v[0:1], v[0:1], v[67:68], v[65:66]
	s_waitcnt lgkmcnt(0)
	v_fma_f64 v[0:1], v[2:3], v[69:70], v[0:1]
	s_waitcnt vmcnt(0)
	s_delay_alu instid0(VALU_DEP_1) | instskip(NEXT) | instid1(VALU_DEP_1)
	v_fma_f64 v[0:1], v[81:82], v[71:72], v[0:1]
	v_add_f64 v[0:1], v[63:64], -v[0:1]
	scratch_store_b64 off, v[0:1], off
	s_cbranch_vccz .LBB28_241
; %bb.184:
	v_dual_mov_b32 v0, s12 :: v_dual_mov_b32 v1, s13
	s_mov_b32 s0, exec_lo
	flat_load_b32 v0, v[0:1] offset:108
	s_waitcnt vmcnt(0) lgkmcnt(0)
	v_cmpx_ne_u32_e32 28, v0
	s_cbranch_execz .LBB28_186
; %bb.185:
	v_lshl_add_u32 v62, v0, 3, 0
	scratch_load_b64 v[0:1], v62, off offset:-8
	s_waitcnt vmcnt(0)
	scratch_store_b64 off, v[0:1], off offset:216
	scratch_store_b64 v62, v[2:3], off offset:-8
.LBB28_186:
	s_or_b32 exec_lo, exec_lo, s0
	v_dual_mov_b32 v0, s12 :: v_dual_mov_b32 v1, s13
	s_mov_b32 s0, exec_lo
	flat_load_b32 v0, v[0:1] offset:104
	s_waitcnt vmcnt(0) lgkmcnt(0)
	v_cmpx_ne_u32_e32 27, v0
	s_cbranch_execz .LBB28_188
; %bb.187:
	v_lshl_add_u32 v62, v0, 3, 0
	scratch_load_b64 v[0:1], v62, off offset:-8
	scratch_load_b64 v[2:3], off, off offset:208
	s_waitcnt vmcnt(1)
	scratch_store_b64 off, v[0:1], off offset:208
	s_waitcnt vmcnt(0)
	scratch_store_b64 v62, v[2:3], off offset:-8
.LBB28_188:
	s_or_b32 exec_lo, exec_lo, s0
	v_dual_mov_b32 v0, s12 :: v_dual_mov_b32 v1, s13
	s_mov_b32 s0, exec_lo
	flat_load_b32 v0, v[0:1] offset:100
	s_waitcnt vmcnt(0) lgkmcnt(0)
	v_cmpx_ne_u32_e32 26, v0
	s_cbranch_execz .LBB28_190
; %bb.189:
	v_lshl_add_u32 v62, v0, 3, 0
	scratch_load_b64 v[0:1], v62, off offset:-8
	scratch_load_b64 v[2:3], off, off offset:200
	s_waitcnt vmcnt(1)
	scratch_store_b64 off, v[0:1], off offset:200
	s_waitcnt vmcnt(0)
	scratch_store_b64 v62, v[2:3], off offset:-8
.LBB28_190:
	;; [unrolled: 16-line block ×26, first 2 shown]
	s_or_b32 exec_lo, exec_lo, s0
	v_dual_mov_b32 v0, s12 :: v_dual_mov_b32 v1, s13
	s_mov_b32 s0, exec_lo
	flat_load_b32 v2, v[0:1]
	scratch_load_b64 v[0:1], off, off
	s_waitcnt vmcnt(1) lgkmcnt(0)
	v_cmpx_ne_u32_e32 1, v2
	s_cbranch_execz .LBB28_240
; %bb.239:
	v_lshl_add_u32 v62, v2, 3, 0
	scratch_load_b64 v[2:3], v62, off offset:-8
	s_waitcnt vmcnt(0)
	scratch_store_b64 off, v[2:3], off
	scratch_store_b64 v62, v[0:1], off offset:-8
	scratch_load_b64 v[0:1], off, off
.LBB28_240:
	s_or_b32 exec_lo, exec_lo, s0
.LBB28_241:
	s_clause 0x6
	scratch_load_b128 v[62:65], off, off offset:8
	scratch_load_b128 v[66:69], off, off offset:24
	;; [unrolled: 1-line block ×7, first 2 shown]
	s_waitcnt vmcnt(7)
	global_store_b64 v[4:5], v[0:1], off
	s_clause 0x1
	scratch_load_b128 v[0:3], off, off offset:120
	scratch_load_b128 v[90:93], off, off offset:136
	s_waitcnt vmcnt(8)
	s_clause 0x1
	global_store_b64 v[10:11], v[62:63], off
	global_store_b64 v[6:7], v[64:65], off
	scratch_load_b128 v[4:7], off, off offset:152
	s_waitcnt vmcnt(8)
	global_store_b64 v[8:9], v[66:67], off
	s_clause 0x1
	scratch_load_b128 v[8:11], off, off offset:168
	scratch_load_b128 v[62:65], off, off offset:184
	global_store_b64 v[12:13], v[68:69], off
	scratch_load_b128 v[66:69], off, off offset:200
	s_waitcnt vmcnt(10)
	s_clause 0x1
	global_store_b64 v[16:17], v[70:71], off
	global_store_b64 v[18:19], v[72:73], off
	scratch_load_b128 v[16:19], off, off offset:216
	s_waitcnt vmcnt(10)
	s_clause 0x1
	global_store_b64 v[14:15], v[74:75], off
	global_store_b64 v[20:21], v[76:77], off
	s_waitcnt vmcnt(9)
	s_clause 0x1
	global_store_b64 v[22:23], v[78:79], off
	global_store_b64 v[24:25], v[80:81], off
	;; [unrolled: 4-line block ×11, first 2 shown]
	s_endpgm
	.section	.rodata,"a",@progbits
	.p2align	6, 0x0
	.amdhsa_kernel _ZN9rocsolver6v33100L18getri_kernel_smallILi29EdPdEEvT1_iilPiilS4_bb
		.amdhsa_group_segment_fixed_size 472
		.amdhsa_private_segment_fixed_size 240
		.amdhsa_kernarg_size 60
		.amdhsa_user_sgpr_count 15
		.amdhsa_user_sgpr_dispatch_ptr 0
		.amdhsa_user_sgpr_queue_ptr 0
		.amdhsa_user_sgpr_kernarg_segment_ptr 1
		.amdhsa_user_sgpr_dispatch_id 0
		.amdhsa_user_sgpr_private_segment_size 0
		.amdhsa_wavefront_size32 1
		.amdhsa_uses_dynamic_stack 0
		.amdhsa_enable_private_segment 1
		.amdhsa_system_sgpr_workgroup_id_x 1
		.amdhsa_system_sgpr_workgroup_id_y 0
		.amdhsa_system_sgpr_workgroup_id_z 0
		.amdhsa_system_sgpr_workgroup_info 0
		.amdhsa_system_vgpr_workitem_id 0
		.amdhsa_next_free_vgpr 95
		.amdhsa_next_free_sgpr 18
		.amdhsa_reserve_vcc 1
		.amdhsa_float_round_mode_32 0
		.amdhsa_float_round_mode_16_64 0
		.amdhsa_float_denorm_mode_32 3
		.amdhsa_float_denorm_mode_16_64 3
		.amdhsa_dx10_clamp 1
		.amdhsa_ieee_mode 1
		.amdhsa_fp16_overflow 0
		.amdhsa_workgroup_processor_mode 1
		.amdhsa_memory_ordered 1
		.amdhsa_forward_progress 0
		.amdhsa_shared_vgpr_count 0
		.amdhsa_exception_fp_ieee_invalid_op 0
		.amdhsa_exception_fp_denorm_src 0
		.amdhsa_exception_fp_ieee_div_zero 0
		.amdhsa_exception_fp_ieee_overflow 0
		.amdhsa_exception_fp_ieee_underflow 0
		.amdhsa_exception_fp_ieee_inexact 0
		.amdhsa_exception_int_div_zero 0
	.end_amdhsa_kernel
	.section	.text._ZN9rocsolver6v33100L18getri_kernel_smallILi29EdPdEEvT1_iilPiilS4_bb,"axG",@progbits,_ZN9rocsolver6v33100L18getri_kernel_smallILi29EdPdEEvT1_iilPiilS4_bb,comdat
.Lfunc_end28:
	.size	_ZN9rocsolver6v33100L18getri_kernel_smallILi29EdPdEEvT1_iilPiilS4_bb, .Lfunc_end28-_ZN9rocsolver6v33100L18getri_kernel_smallILi29EdPdEEvT1_iilPiilS4_bb
                                        ; -- End function
	.section	.AMDGPU.csdata,"",@progbits
; Kernel info:
; codeLenInByte = 21692
; NumSgprs: 20
; NumVgprs: 95
; ScratchSize: 240
; MemoryBound: 0
; FloatMode: 240
; IeeeMode: 1
; LDSByteSize: 472 bytes/workgroup (compile time only)
; SGPRBlocks: 2
; VGPRBlocks: 11
; NumSGPRsForWavesPerEU: 20
; NumVGPRsForWavesPerEU: 95
; Occupancy: 16
; WaveLimiterHint : 1
; COMPUTE_PGM_RSRC2:SCRATCH_EN: 1
; COMPUTE_PGM_RSRC2:USER_SGPR: 15
; COMPUTE_PGM_RSRC2:TRAP_HANDLER: 0
; COMPUTE_PGM_RSRC2:TGID_X_EN: 1
; COMPUTE_PGM_RSRC2:TGID_Y_EN: 0
; COMPUTE_PGM_RSRC2:TGID_Z_EN: 0
; COMPUTE_PGM_RSRC2:TIDIG_COMP_CNT: 0
	.section	.text._ZN9rocsolver6v33100L18getri_kernel_smallILi30EdPdEEvT1_iilPiilS4_bb,"axG",@progbits,_ZN9rocsolver6v33100L18getri_kernel_smallILi30EdPdEEvT1_iilPiilS4_bb,comdat
	.globl	_ZN9rocsolver6v33100L18getri_kernel_smallILi30EdPdEEvT1_iilPiilS4_bb ; -- Begin function _ZN9rocsolver6v33100L18getri_kernel_smallILi30EdPdEEvT1_iilPiilS4_bb
	.p2align	8
	.type	_ZN9rocsolver6v33100L18getri_kernel_smallILi30EdPdEEvT1_iilPiilS4_bb,@function
_ZN9rocsolver6v33100L18getri_kernel_smallILi30EdPdEEvT1_iilPiilS4_bb: ; @_ZN9rocsolver6v33100L18getri_kernel_smallILi30EdPdEEvT1_iilPiilS4_bb
; %bb.0:
	s_mov_b32 s2, exec_lo
	v_cmpx_gt_u32_e32 30, v0
	s_cbranch_execz .LBB29_130
; %bb.1:
	s_clause 0x2
	s_load_b32 s17, s[0:1], 0x38
	s_load_b128 s[8:11], s[0:1], 0x10
	s_load_b128 s[4:7], s[0:1], 0x28
	s_mov_b32 s14, s15
                                        ; implicit-def: $sgpr12_sgpr13
	s_waitcnt lgkmcnt(0)
	s_bitcmp1_b32 s17, 8
	s_cselect_b32 s16, -1, 0
	s_bfe_u32 s2, s17, 0x10008
	s_ashr_i32 s15, s15, 31
	s_cmp_eq_u32 s2, 0
	s_cbranch_scc1 .LBB29_3
; %bb.2:
	s_load_b32 s2, s[0:1], 0x20
	s_mul_i32 s3, s14, s5
	s_mul_hi_u32 s5, s14, s4
	s_mul_i32 s12, s15, s4
	s_add_i32 s3, s5, s3
	s_mul_i32 s4, s14, s4
	s_add_i32 s5, s3, s12
	s_delay_alu instid0(SALU_CYCLE_1)
	s_lshl_b64 s[4:5], s[4:5], 2
	s_waitcnt lgkmcnt(0)
	s_ashr_i32 s3, s2, 31
	s_add_u32 s4, s10, s4
	s_addc_u32 s5, s11, s5
	s_lshl_b64 s[2:3], s[2:3], 2
	s_delay_alu instid0(SALU_CYCLE_1)
	s_add_u32 s12, s4, s2
	s_addc_u32 s13, s5, s3
.LBB29_3:
	s_load_b128 s[0:3], s[0:1], 0x0
	s_mul_i32 s4, s14, s9
	s_mul_hi_u32 s5, s14, s8
	s_mul_i32 s9, s15, s8
	s_add_i32 s5, s5, s4
	s_mul_i32 s4, s14, s8
	s_add_i32 s5, s5, s9
	v_lshlrev_b32_e32 v3, 3, v0
	s_lshl_b64 s[4:5], s[4:5], 3
	s_waitcnt lgkmcnt(0)
	s_ashr_i32 s9, s2, 31
	s_mov_b32 s8, s2
	s_add_u32 s2, s0, s4
	s_addc_u32 s5, s1, s5
	s_lshl_b64 s[0:1], s[8:9], 3
	v_add3_u32 v1, s3, s3, v0
	s_add_u32 s0, s2, s0
	s_addc_u32 s1, s5, s1
	v_add_co_u32 v6, s2, s0, v3
	s_mov_b32 s4, s3
	s_ashr_i32 s5, s3, 31
	v_add_co_ci_u32_e64 v7, null, s1, 0, s2
	s_lshl_b64 s[4:5], s[4:5], 3
	v_add_nc_u32_e32 v12, s3, v1
	v_add_co_u32 v4, vcc_lo, v6, s4
	v_ashrrev_i32_e32 v2, 31, v1
	v_add_co_ci_u32_e32 v5, vcc_lo, s5, v7, vcc_lo
	s_delay_alu instid0(VALU_DEP_4)
	v_ashrrev_i32_e32 v13, 31, v12
	s_clause 0x1
	global_load_b64 v[34:35], v3, s[0:1]
	global_load_b64 v[36:37], v[4:5], off
	v_lshlrev_b64 v[1:2], 3, v[1:2]
	s_bitcmp0_b32 s17, 0
	v_lshlrev_b64 v[8:9], 3, v[12:13]
	s_delay_alu instid0(VALU_DEP_2) | instskip(NEXT) | instid1(VALU_DEP_3)
	v_add_co_u32 v10, vcc_lo, s0, v1
	v_add_co_ci_u32_e32 v11, vcc_lo, s1, v2, vcc_lo
	s_delay_alu instid0(VALU_DEP_3) | instskip(NEXT) | instid1(VALU_DEP_4)
	v_add_co_u32 v8, vcc_lo, s0, v8
	v_add_co_ci_u32_e32 v9, vcc_lo, s1, v9, vcc_lo
	s_clause 0x1
	global_load_b64 v[38:39], v[10:11], off
	global_load_b64 v[40:41], v[8:9], off
	v_add_nc_u32_e32 v1, s3, v12
	s_delay_alu instid0(VALU_DEP_1) | instskip(SKIP_1) | instid1(VALU_DEP_2)
	v_add_nc_u32_e32 v12, s3, v1
	v_ashrrev_i32_e32 v2, 31, v1
	v_add_nc_u32_e32 v14, s3, v12
	v_ashrrev_i32_e32 v13, 31, v12
	s_delay_alu instid0(VALU_DEP_3) | instskip(NEXT) | instid1(VALU_DEP_3)
	v_lshlrev_b64 v[1:2], 3, v[1:2]
	v_add_nc_u32_e32 v16, s3, v14
	v_ashrrev_i32_e32 v15, 31, v14
	s_delay_alu instid0(VALU_DEP_4) | instskip(NEXT) | instid1(VALU_DEP_4)
	v_lshlrev_b64 v[18:19], 3, v[12:13]
	v_add_co_u32 v12, vcc_lo, s0, v1
	s_delay_alu instid0(VALU_DEP_4) | instskip(SKIP_3) | instid1(VALU_DEP_4)
	v_add_nc_u32_e32 v20, s3, v16
	v_add_co_ci_u32_e32 v13, vcc_lo, s1, v2, vcc_lo
	v_lshlrev_b64 v[1:2], 3, v[14:15]
	v_ashrrev_i32_e32 v17, 31, v16
	v_add_nc_u32_e32 v22, s3, v20
	v_add_co_u32 v14, vcc_lo, s0, v18
	v_ashrrev_i32_e32 v21, 31, v20
	v_add_co_ci_u32_e32 v15, vcc_lo, s1, v19, vcc_lo
	s_delay_alu instid0(VALU_DEP_4) | instskip(SKIP_3) | instid1(VALU_DEP_4)
	v_add_nc_u32_e32 v24, s3, v22
	v_lshlrev_b64 v[16:17], 3, v[16:17]
	v_add_co_u32 v18, vcc_lo, s0, v1
	v_ashrrev_i32_e32 v23, 31, v22
	v_add_nc_u32_e32 v26, s3, v24
	v_add_co_ci_u32_e32 v19, vcc_lo, s1, v2, vcc_lo
	v_lshlrev_b64 v[1:2], 3, v[20:21]
	v_add_co_u32 v16, vcc_lo, s0, v16
	s_delay_alu instid0(VALU_DEP_4)
	v_add_nc_u32_e32 v28, s3, v26
	v_ashrrev_i32_e32 v25, 31, v24
	v_lshlrev_b64 v[22:23], 3, v[22:23]
	s_clause 0x1
	global_load_b64 v[42:43], v[12:13], off
	global_load_b64 v[44:45], v[14:15], off
	v_add_nc_u32_e32 v30, s3, v28
	v_add_co_ci_u32_e32 v17, vcc_lo, s1, v17, vcc_lo
	v_add_co_u32 v20, vcc_lo, s0, v1
	s_delay_alu instid0(VALU_DEP_3) | instskip(SKIP_3) | instid1(VALU_DEP_4)
	v_add_nc_u32_e32 v46, s3, v30
	v_ashrrev_i32_e32 v27, 31, v26
	v_add_co_ci_u32_e32 v21, vcc_lo, s1, v2, vcc_lo
	v_lshlrev_b64 v[1:2], 3, v[24:25]
	v_add_nc_u32_e32 v64, s3, v46
	v_add_co_u32 v22, vcc_lo, s0, v22
	v_lshlrev_b64 v[24:25], 3, v[26:27]
	v_ashrrev_i32_e32 v29, 31, v28
	s_delay_alu instid0(VALU_DEP_4) | instskip(SKIP_2) | instid1(VALU_DEP_3)
	v_add_nc_u32_e32 v72, s3, v64
	v_add_co_ci_u32_e32 v23, vcc_lo, s1, v23, vcc_lo
	v_add_co_u32 v26, vcc_lo, s0, v1
	v_add_nc_u32_e32 v74, s3, v72
	s_clause 0x2
	global_load_b64 v[48:49], v[18:19], off
	global_load_b64 v[50:51], v[16:17], off
	;; [unrolled: 1-line block ×3, first 2 shown]
	v_add_co_ci_u32_e32 v27, vcc_lo, s1, v2, vcc_lo
	v_lshlrev_b64 v[1:2], 3, v[28:29]
	v_add_nc_u32_e32 v76, s3, v74
	global_load_b64 v[54:55], v[22:23], off
	v_ashrrev_i32_e32 v31, 31, v30
	v_add_co_u32 v28, vcc_lo, s0, v24
	v_add_nc_u32_e32 v78, s3, v76
	v_add_co_ci_u32_e32 v29, vcc_lo, s1, v25, vcc_lo
	s_delay_alu instid0(VALU_DEP_4) | instskip(SKIP_1) | instid1(VALU_DEP_4)
	v_lshlrev_b64 v[56:57], 3, v[30:31]
	v_add_co_u32 v30, vcc_lo, s0, v1
	v_add_nc_u32_e32 v80, s3, v78
	v_add_co_ci_u32_e32 v31, vcc_lo, s1, v2, vcc_lo
	v_ashrrev_i32_e32 v47, 31, v46
	v_ashrrev_i32_e32 v65, 31, v64
	s_delay_alu instid0(VALU_DEP_4)
	v_add_nc_u32_e32 v82, s3, v80
	v_ashrrev_i32_e32 v73, 31, v72
	v_ashrrev_i32_e32 v75, 31, v74
	v_lshlrev_b64 v[1:2], 3, v[46:47]
	v_ashrrev_i32_e32 v77, 31, v76
	v_add_nc_u32_e32 v84, s3, v82
	v_ashrrev_i32_e32 v79, 31, v78
	v_ashrrev_i32_e32 v81, 31, v80
	;; [unrolled: 1-line block ×3, first 2 shown]
	v_lshlrev_b64 v[46:47], 3, v[76:77]
	v_add_nc_u32_e32 v86, s3, v84
	v_ashrrev_i32_e32 v85, 31, v84
	s_delay_alu instid0(VALU_DEP_2) | instskip(SKIP_1) | instid1(VALU_DEP_2)
	v_add_nc_u32_e32 v88, s3, v86
	v_ashrrev_i32_e32 v87, 31, v86
	v_add_nc_u32_e32 v90, s3, v88
	v_ashrrev_i32_e32 v89, 31, v88
	s_delay_alu instid0(VALU_DEP_2) | instskip(SKIP_1) | instid1(VALU_DEP_2)
	v_add_nc_u32_e32 v92, s3, v90
	v_ashrrev_i32_e32 v91, 31, v90
	;; [unrolled: 5-line block ×3, first 2 shown]
	v_add_nc_u32_e32 v32, s3, v96
	v_ashrrev_i32_e32 v97, 31, v96
	s_delay_alu instid0(VALU_DEP_2) | instskip(NEXT) | instid1(VALU_DEP_1)
	v_ashrrev_i32_e32 v33, 31, v32
	v_lshlrev_b64 v[24:25], 3, v[32:33]
	s_delay_alu instid0(VALU_DEP_1) | instskip(NEXT) | instid1(VALU_DEP_2)
	v_add_co_u32 v24, vcc_lo, s0, v24
	v_add_co_ci_u32_e32 v25, vcc_lo, s1, v25, vcc_lo
	v_add_co_u32 v32, vcc_lo, s0, v56
	v_add_co_ci_u32_e32 v33, vcc_lo, s1, v57, vcc_lo
	global_load_b64 v[66:67], v[24:25], off
	s_waitcnt vmcnt(9)
	scratch_store_b128 off, v[34:37], off
	s_clause 0x3
	global_load_b64 v[56:57], v[26:27], off
	global_load_b64 v[58:59], v[28:29], off
	;; [unrolled: 1-line block ×4, first 2 shown]
	v_lshlrev_b64 v[36:37], 3, v[64:65]
	v_add_co_u32 v34, vcc_lo, s0, v1
	v_add_co_ci_u32_e32 v35, vcc_lo, s1, v2, vcc_lo
	v_lshlrev_b64 v[1:2], 3, v[72:73]
	s_delay_alu instid0(VALU_DEP_4)
	v_add_co_u32 v36, vcc_lo, s0, v36
	v_add_co_ci_u32_e32 v37, vcc_lo, s1, v37, vcc_lo
	v_lshlrev_b64 v[64:65], 3, v[84:85]
	s_waitcnt vmcnt(11)
	scratch_store_b128 off, v[38:41], off offset:16
	s_clause 0x1
	global_load_b64 v[68:69], v[34:35], off
	global_load_b64 v[70:71], v[36:37], off
	v_add_co_u32 v38, vcc_lo, s0, v1
	v_add_co_ci_u32_e32 v39, vcc_lo, s1, v2, vcc_lo
	v_lshlrev_b64 v[1:2], 3, v[74:75]
	global_load_b64 v[72:73], v[38:39], off
	v_add_co_u32 v40, vcc_lo, s0, v1
	v_add_co_ci_u32_e32 v41, vcc_lo, s1, v2, vcc_lo
	v_lshlrev_b64 v[1:2], 3, v[78:79]
	s_waitcnt vmcnt(12)
	scratch_store_b128 off, v[42:45], off offset:32
	v_add_co_u32 v42, vcc_lo, s0, v46
	v_add_co_ci_u32_e32 v43, vcc_lo, s1, v47, vcc_lo
	v_lshlrev_b64 v[46:47], 3, v[80:81]
	v_add_co_u32 v44, vcc_lo, s0, v1
	v_add_co_ci_u32_e32 v45, vcc_lo, s1, v2, vcc_lo
	v_lshlrev_b64 v[1:2], 3, v[82:83]
	s_delay_alu instid0(VALU_DEP_4)
	v_add_co_u32 v46, vcc_lo, s0, v46
	v_add_co_ci_u32_e32 v47, vcc_lo, s1, v47, vcc_lo
	s_waitcnt vmcnt(10)
	scratch_store_b128 off, v[48:51], off offset:48
	s_waitcnt vmcnt(8)
	scratch_store_b128 off, v[52:55], off offset:64
	v_add_co_u32 v48, vcc_lo, s0, v1
	v_add_co_ci_u32_e32 v49, vcc_lo, s1, v2, vcc_lo
	v_lshlrev_b64 v[1:2], 3, v[86:87]
	v_add_co_u32 v50, vcc_lo, s0, v64
	v_add_co_ci_u32_e32 v51, vcc_lo, s1, v65, vcc_lo
	v_lshlrev_b64 v[54:55], 3, v[88:89]
	s_delay_alu instid0(VALU_DEP_4) | instskip(SKIP_2) | instid1(VALU_DEP_4)
	v_add_co_u32 v52, vcc_lo, s0, v1
	v_add_co_ci_u32_e32 v53, vcc_lo, s1, v2, vcc_lo
	v_lshlrev_b64 v[1:2], 3, v[90:91]
	v_add_co_u32 v54, vcc_lo, s0, v54
	v_add_co_ci_u32_e32 v55, vcc_lo, s1, v55, vcc_lo
	v_lshlrev_b64 v[64:65], 3, v[92:93]
	s_clause 0x3
	global_load_b64 v[74:75], v[40:41], off
	global_load_b64 v[76:77], v[42:43], off
	;; [unrolled: 1-line block ×4, first 2 shown]
	s_waitcnt vmcnt(9)
	scratch_store_b128 off, v[56:59], off offset:80
	s_waitcnt vmcnt(7)
	scratch_store_b128 off, v[60:63], off offset:96
	v_add_co_u32 v56, vcc_lo, s0, v1
	v_add_co_ci_u32_e32 v57, vcc_lo, s1, v2, vcc_lo
	v_lshlrev_b64 v[1:2], 3, v[94:95]
	v_add_co_u32 v58, vcc_lo, s0, v64
	v_lshlrev_b64 v[62:63], 3, v[96:97]
	v_add_co_ci_u32_e32 v59, vcc_lo, s1, v65, vcc_lo
	s_delay_alu instid0(VALU_DEP_4) | instskip(SKIP_1) | instid1(VALU_DEP_4)
	v_add_co_u32 v60, vcc_lo, s0, v1
	v_add_co_ci_u32_e32 v61, vcc_lo, s1, v2, vcc_lo
	v_add_co_u32 v62, vcc_lo, s0, v62
	v_add_co_ci_u32_e32 v63, vcc_lo, s1, v63, vcc_lo
	s_clause 0x3
	global_load_b64 v[82:83], v[48:49], off
	global_load_b64 v[84:85], v[50:51], off
	global_load_b64 v[86:87], v[52:53], off
	global_load_b64 v[88:89], v[54:55], off
	s_waitcnt vmcnt(9)
	scratch_store_b128 off, v[68:71], off offset:112
	s_clause 0x3
	global_load_b64 v[90:91], v[56:57], off
	global_load_b64 v[68:69], v[58:59], off
	;; [unrolled: 1-line block ×4, first 2 shown]
	s_mov_b32 s1, -1
	s_waitcnt vmcnt(11)
	scratch_store_b128 off, v[72:75], off offset:128
	s_waitcnt vmcnt(9)
	scratch_store_b128 off, v[76:79], off offset:144
	;; [unrolled: 2-line block ×7, first 2 shown]
	s_cbranch_scc1 .LBB29_128
; %bb.4:
	v_cmp_eq_u32_e64 s0, 0, v0
	s_delay_alu instid0(VALU_DEP_1)
	s_and_saveexec_b32 s1, s0
	s_cbranch_execz .LBB29_6
; %bb.5:
	v_mov_b32_e32 v1, 0
	ds_store_b32 v1, v1 offset:480
.LBB29_6:
	s_or_b32 exec_lo, exec_lo, s1
	s_waitcnt lgkmcnt(0)
	s_waitcnt_vscnt null, 0x0
	s_barrier
	buffer_gl0_inv
	scratch_load_b64 v[1:2], v3, off
	s_mov_b32 s2, exec_lo
	s_waitcnt vmcnt(0)
	v_cmpx_eq_f64_e32 0, v[1:2]
	s_cbranch_execz .LBB29_10
; %bb.7:
	v_mov_b32_e32 v1, 0
	s_mov_b32 s3, 0
	ds_load_b32 v2, v1 offset:480
	s_waitcnt lgkmcnt(0)
	v_readfirstlane_b32 s1, v2
	v_add_nc_u32_e32 v2, 1, v0
	s_delay_alu instid0(VALU_DEP_2) | instskip(NEXT) | instid1(VALU_DEP_1)
	s_cmp_eq_u32 s1, 0
	v_cmp_gt_i32_e32 vcc_lo, s1, v2
	s_cselect_b32 s4, -1, 0
	s_delay_alu instid0(SALU_CYCLE_1) | instskip(NEXT) | instid1(SALU_CYCLE_1)
	s_or_b32 s4, s4, vcc_lo
	s_and_b32 exec_lo, exec_lo, s4
	s_cbranch_execz .LBB29_10
; %bb.8:
	v_mov_b32_e32 v64, s1
.LBB29_9:                               ; =>This Inner Loop Header: Depth=1
	ds_cmpstore_rtn_b32 v64, v1, v2, v64 offset:480
	s_waitcnt lgkmcnt(0)
	v_cmp_ne_u32_e32 vcc_lo, 0, v64
	v_cmp_le_i32_e64 s1, v64, v2
	s_delay_alu instid0(VALU_DEP_1) | instskip(NEXT) | instid1(SALU_CYCLE_1)
	s_and_b32 s1, vcc_lo, s1
	s_and_b32 s1, exec_lo, s1
	s_delay_alu instid0(SALU_CYCLE_1) | instskip(NEXT) | instid1(SALU_CYCLE_1)
	s_or_b32 s3, s1, s3
	s_and_not1_b32 exec_lo, exec_lo, s3
	s_cbranch_execnz .LBB29_9
.LBB29_10:
	s_or_b32 exec_lo, exec_lo, s2
	v_mov_b32_e32 v1, 0
	s_barrier
	buffer_gl0_inv
	ds_load_b32 v2, v1 offset:480
	s_and_saveexec_b32 s1, s0
	s_cbranch_execz .LBB29_12
; %bb.11:
	s_lshl_b64 s[2:3], s[14:15], 2
	s_delay_alu instid0(SALU_CYCLE_1)
	s_add_u32 s2, s6, s2
	s_addc_u32 s3, s7, s3
	s_waitcnt lgkmcnt(0)
	global_store_b32 v1, v2, s[2:3]
.LBB29_12:
	s_or_b32 exec_lo, exec_lo, s1
	s_waitcnt lgkmcnt(0)
	v_cmp_ne_u32_e32 vcc_lo, 0, v2
	s_mov_b32 s1, 0
	s_cbranch_vccnz .LBB29_128
; %bb.13:
	v_add_nc_u32_e32 v64, 0, v3
	scratch_load_b64 v[1:2], v64, off
	s_waitcnt vmcnt(0)
	v_div_scale_f64 v[65:66], null, v[1:2], v[1:2], 1.0
	v_div_scale_f64 v[71:72], vcc_lo, 1.0, v[1:2], 1.0
	s_delay_alu instid0(VALU_DEP_2) | instskip(SKIP_2) | instid1(VALU_DEP_1)
	v_rcp_f64_e32 v[67:68], v[65:66]
	s_waitcnt_depctr 0xfff
	v_fma_f64 v[69:70], -v[65:66], v[67:68], 1.0
	v_fma_f64 v[67:68], v[67:68], v[69:70], v[67:68]
	s_delay_alu instid0(VALU_DEP_1) | instskip(NEXT) | instid1(VALU_DEP_1)
	v_fma_f64 v[69:70], -v[65:66], v[67:68], 1.0
	v_fma_f64 v[67:68], v[67:68], v[69:70], v[67:68]
	s_delay_alu instid0(VALU_DEP_1) | instskip(NEXT) | instid1(VALU_DEP_1)
	v_mul_f64 v[69:70], v[71:72], v[67:68]
	v_fma_f64 v[65:66], -v[65:66], v[69:70], v[71:72]
	s_delay_alu instid0(VALU_DEP_1) | instskip(NEXT) | instid1(VALU_DEP_1)
	v_div_fmas_f64 v[65:66], v[65:66], v[67:68], v[69:70]
	v_div_fixup_f64 v[1:2], v[65:66], v[1:2], 1.0
	v_add_nc_u32_e32 v65, 0xf0, v3
	scratch_store_b64 v64, v[1:2], off
	scratch_load_b64 v[66:67], off, off offset:8
	v_xor_b32_e32 v2, 0x80000000, v2
	s_waitcnt vmcnt(0)
	ds_store_2addr_b64 v3, v[1:2], v[66:67] offset1:30
	s_waitcnt lgkmcnt(0)
	s_waitcnt_vscnt null, 0x0
	s_barrier
	buffer_gl0_inv
	s_and_saveexec_b32 s1, s0
	s_cbranch_execz .LBB29_15
; %bb.14:
	scratch_load_b64 v[1:2], v64, off
	ds_load_b64 v[66:67], v65
	s_waitcnt vmcnt(0) lgkmcnt(0)
	v_fma_f64 v[1:2], v[1:2], v[66:67], 0
	v_mov_b32_e32 v66, 0
	ds_load_b64 v[66:67], v66 offset:8
	s_waitcnt lgkmcnt(0)
	v_mul_f64 v[1:2], v[1:2], v[66:67]
	scratch_store_b64 off, v[1:2], off offset:8
.LBB29_15:
	s_or_b32 exec_lo, exec_lo, s1
	s_waitcnt_vscnt null, 0x0
	s_barrier
	buffer_gl0_inv
	scratch_load_b64 v[1:2], off, off offset:16
	s_mov_b32 s1, exec_lo
	s_waitcnt vmcnt(0)
	ds_store_b64 v65, v[1:2]
	s_waitcnt lgkmcnt(0)
	s_barrier
	buffer_gl0_inv
	v_cmpx_gt_u32_e32 2, v0
	s_cbranch_execz .LBB29_19
; %bb.16:
	scratch_load_b64 v[1:2], v64, off
	ds_load_b64 v[66:67], v65
	s_waitcnt vmcnt(0) lgkmcnt(0)
	v_fma_f64 v[1:2], v[1:2], v[66:67], 0
	s_and_saveexec_b32 s2, s0
	s_cbranch_execz .LBB29_18
; %bb.17:
	scratch_load_b64 v[66:67], off, off offset:8
	v_mov_b32_e32 v68, 0
	ds_load_b64 v[68:69], v68 offset:248
	s_waitcnt vmcnt(0) lgkmcnt(0)
	v_fma_f64 v[1:2], v[66:67], v[68:69], v[1:2]
.LBB29_18:
	s_or_b32 exec_lo, exec_lo, s2
	v_mov_b32_e32 v66, 0
	ds_load_b64 v[66:67], v66 offset:16
	s_waitcnt lgkmcnt(0)
	v_mul_f64 v[1:2], v[1:2], v[66:67]
	scratch_store_b64 off, v[1:2], off offset:16
.LBB29_19:
	s_or_b32 exec_lo, exec_lo, s1
	s_waitcnt_vscnt null, 0x0
	s_barrier
	buffer_gl0_inv
	scratch_load_b64 v[1:2], off, off offset:24
	v_add_nc_u32_e32 v66, -1, v0
	s_mov_b32 s0, exec_lo
	s_waitcnt vmcnt(0)
	ds_store_b64 v65, v[1:2]
	s_waitcnt lgkmcnt(0)
	s_barrier
	buffer_gl0_inv
	v_cmpx_gt_u32_e32 3, v0
	s_cbranch_execz .LBB29_23
; %bb.20:
	v_dual_mov_b32 v1, 0 :: v_dual_add_nc_u32 v68, 0xf0, v3
	v_dual_mov_b32 v2, 0 :: v_dual_add_nc_u32 v67, -1, v0
	v_add_nc_u32_e32 v69, 0, v3
	s_mov_b32 s1, 0
.LBB29_21:                              ; =>This Inner Loop Header: Depth=1
	scratch_load_b64 v[70:71], v69, off
	ds_load_b64 v[72:73], v68
	v_add_nc_u32_e32 v67, 1, v67
	v_add_nc_u32_e32 v68, 8, v68
	v_add_nc_u32_e32 v69, 8, v69
	s_delay_alu instid0(VALU_DEP_3)
	v_cmp_lt_u32_e32 vcc_lo, 1, v67
	s_or_b32 s1, vcc_lo, s1
	s_waitcnt vmcnt(0) lgkmcnt(0)
	v_fma_f64 v[1:2], v[70:71], v[72:73], v[1:2]
	s_and_not1_b32 exec_lo, exec_lo, s1
	s_cbranch_execnz .LBB29_21
; %bb.22:
	s_or_b32 exec_lo, exec_lo, s1
	v_mov_b32_e32 v67, 0
	ds_load_b64 v[67:68], v67 offset:24
	s_waitcnt lgkmcnt(0)
	v_mul_f64 v[1:2], v[1:2], v[67:68]
	scratch_store_b64 off, v[1:2], off offset:24
.LBB29_23:
	s_or_b32 exec_lo, exec_lo, s0
	s_waitcnt_vscnt null, 0x0
	s_barrier
	buffer_gl0_inv
	scratch_load_b64 v[1:2], off, off offset:32
	s_mov_b32 s0, exec_lo
	s_waitcnt vmcnt(0)
	ds_store_b64 v65, v[1:2]
	s_waitcnt lgkmcnt(0)
	s_barrier
	buffer_gl0_inv
	v_cmpx_gt_u32_e32 4, v0
	s_cbranch_execz .LBB29_27
; %bb.24:
	v_dual_mov_b32 v1, 0 :: v_dual_add_nc_u32 v68, 0xf0, v3
	v_dual_mov_b32 v2, 0 :: v_dual_add_nc_u32 v67, -1, v0
	v_add_nc_u32_e32 v69, 0, v3
	s_mov_b32 s1, 0
.LBB29_25:                              ; =>This Inner Loop Header: Depth=1
	scratch_load_b64 v[70:71], v69, off
	ds_load_b64 v[72:73], v68
	v_add_nc_u32_e32 v67, 1, v67
	v_add_nc_u32_e32 v68, 8, v68
	v_add_nc_u32_e32 v69, 8, v69
	s_delay_alu instid0(VALU_DEP_3)
	v_cmp_lt_u32_e32 vcc_lo, 2, v67
	s_or_b32 s1, vcc_lo, s1
	s_waitcnt vmcnt(0) lgkmcnt(0)
	v_fma_f64 v[1:2], v[70:71], v[72:73], v[1:2]
	s_and_not1_b32 exec_lo, exec_lo, s1
	s_cbranch_execnz .LBB29_25
; %bb.26:
	s_or_b32 exec_lo, exec_lo, s1
	v_mov_b32_e32 v67, 0
	ds_load_b64 v[67:68], v67 offset:32
	s_waitcnt lgkmcnt(0)
	v_mul_f64 v[1:2], v[1:2], v[67:68]
	scratch_store_b64 off, v[1:2], off offset:32
.LBB29_27:
	s_or_b32 exec_lo, exec_lo, s0
	s_waitcnt_vscnt null, 0x0
	s_barrier
	buffer_gl0_inv
	scratch_load_b64 v[1:2], off, off offset:40
	;; [unrolled: 39-line block ×20, first 2 shown]
	s_mov_b32 s0, exec_lo
	s_waitcnt vmcnt(0)
	ds_store_b64 v65, v[1:2]
	s_waitcnt lgkmcnt(0)
	s_barrier
	buffer_gl0_inv
	v_cmpx_gt_u32_e32 23, v0
	s_cbranch_execz .LBB29_103
; %bb.100:
	v_dual_mov_b32 v1, 0 :: v_dual_add_nc_u32 v68, 0xf0, v3
	v_dual_mov_b32 v2, 0 :: v_dual_add_nc_u32 v67, -1, v0
	v_add_nc_u32_e32 v69, 0, v3
	s_mov_b32 s1, 0
.LBB29_101:                             ; =>This Inner Loop Header: Depth=1
	scratch_load_b64 v[70:71], v69, off
	ds_load_b64 v[72:73], v68
	v_add_nc_u32_e32 v67, 1, v67
	v_add_nc_u32_e32 v68, 8, v68
	v_add_nc_u32_e32 v69, 8, v69
	s_delay_alu instid0(VALU_DEP_3)
	v_cmp_lt_u32_e32 vcc_lo, 21, v67
	s_or_b32 s1, vcc_lo, s1
	s_waitcnt vmcnt(0) lgkmcnt(0)
	v_fma_f64 v[1:2], v[70:71], v[72:73], v[1:2]
	s_and_not1_b32 exec_lo, exec_lo, s1
	s_cbranch_execnz .LBB29_101
; %bb.102:
	s_or_b32 exec_lo, exec_lo, s1
	v_mov_b32_e32 v67, 0
	ds_load_b64 v[67:68], v67 offset:184
	s_waitcnt lgkmcnt(0)
	v_mul_f64 v[1:2], v[1:2], v[67:68]
	scratch_store_b64 off, v[1:2], off offset:184
.LBB29_103:
	s_or_b32 exec_lo, exec_lo, s0
	s_waitcnt_vscnt null, 0x0
	s_barrier
	buffer_gl0_inv
	scratch_load_b64 v[1:2], off, off offset:192
	s_mov_b32 s0, exec_lo
	s_waitcnt vmcnt(0)
	ds_store_b64 v65, v[1:2]
	s_waitcnt lgkmcnt(0)
	s_barrier
	buffer_gl0_inv
	v_cmpx_gt_u32_e32 24, v0
	s_cbranch_execz .LBB29_107
; %bb.104:
	v_dual_mov_b32 v1, 0 :: v_dual_add_nc_u32 v68, 0xf0, v3
	v_dual_mov_b32 v2, 0 :: v_dual_add_nc_u32 v67, -1, v0
	v_add_nc_u32_e32 v69, 0, v3
	s_mov_b32 s1, 0
.LBB29_105:                             ; =>This Inner Loop Header: Depth=1
	scratch_load_b64 v[70:71], v69, off
	ds_load_b64 v[72:73], v68
	v_add_nc_u32_e32 v67, 1, v67
	v_add_nc_u32_e32 v68, 8, v68
	v_add_nc_u32_e32 v69, 8, v69
	s_delay_alu instid0(VALU_DEP_3)
	v_cmp_lt_u32_e32 vcc_lo, 22, v67
	s_or_b32 s1, vcc_lo, s1
	s_waitcnt vmcnt(0) lgkmcnt(0)
	v_fma_f64 v[1:2], v[70:71], v[72:73], v[1:2]
	s_and_not1_b32 exec_lo, exec_lo, s1
	s_cbranch_execnz .LBB29_105
; %bb.106:
	s_or_b32 exec_lo, exec_lo, s1
	v_mov_b32_e32 v67, 0
	ds_load_b64 v[67:68], v67 offset:192
	s_waitcnt lgkmcnt(0)
	v_mul_f64 v[1:2], v[1:2], v[67:68]
	scratch_store_b64 off, v[1:2], off offset:192
.LBB29_107:
	s_or_b32 exec_lo, exec_lo, s0
	s_waitcnt_vscnt null, 0x0
	s_barrier
	buffer_gl0_inv
	scratch_load_b64 v[1:2], off, off offset:200
	;; [unrolled: 39-line block ×6, first 2 shown]
	s_mov_b32 s0, exec_lo
	s_waitcnt vmcnt(0)
	ds_store_b64 v65, v[1:2]
	s_waitcnt lgkmcnt(0)
	s_barrier
	buffer_gl0_inv
	v_cmpx_ne_u32_e32 29, v0
	s_cbranch_execz .LBB29_127
; %bb.124:
	v_mov_b32_e32 v1, 0
	v_mov_b32_e32 v2, 0
	s_mov_b32 s1, 0
.LBB29_125:                             ; =>This Inner Loop Header: Depth=1
	scratch_load_b64 v[67:68], v64, off
	ds_load_b64 v[69:70], v65
	v_add_nc_u32_e32 v66, 1, v66
	v_add_nc_u32_e32 v65, 8, v65
	;; [unrolled: 1-line block ×3, first 2 shown]
	s_delay_alu instid0(VALU_DEP_3)
	v_cmp_lt_u32_e32 vcc_lo, 27, v66
	s_or_b32 s1, vcc_lo, s1
	s_waitcnt vmcnt(0) lgkmcnt(0)
	v_fma_f64 v[1:2], v[67:68], v[69:70], v[1:2]
	s_and_not1_b32 exec_lo, exec_lo, s1
	s_cbranch_execnz .LBB29_125
; %bb.126:
	s_or_b32 exec_lo, exec_lo, s1
	v_mov_b32_e32 v3, 0
	ds_load_b64 v[64:65], v3 offset:232
	s_waitcnt lgkmcnt(0)
	v_mul_f64 v[1:2], v[1:2], v[64:65]
	scratch_store_b64 off, v[1:2], off offset:232
.LBB29_127:
	s_or_b32 exec_lo, exec_lo, s0
	s_mov_b32 s1, -1
	s_waitcnt_vscnt null, 0x0
	s_barrier
	buffer_gl0_inv
.LBB29_128:
	s_and_b32 vcc_lo, exec_lo, s1
	s_cbranch_vccz .LBB29_130
; %bb.129:
	s_lshl_b64 s[0:1], s[14:15], 2
	v_mov_b32_e32 v1, 0
	s_add_u32 s0, s6, s0
	s_addc_u32 s1, s7, s1
	global_load_b32 v1, v1, s[0:1]
	s_waitcnt vmcnt(0)
	v_cmp_ne_u32_e32 vcc_lo, 0, v1
	s_cbranch_vccz .LBB29_131
.LBB29_130:
	s_endpgm
.LBB29_131:
	v_lshl_add_u32 v3, v0, 3, 0xf0
	s_mov_b32 s0, exec_lo
	v_cmpx_eq_u32_e32 29, v0
	s_cbranch_execz .LBB29_133
; %bb.132:
	scratch_load_b64 v[1:2], off, off offset:224
	v_mov_b32_e32 v64, 0
	s_delay_alu instid0(VALU_DEP_1)
	v_mov_b32_e32 v65, v64
	scratch_store_b64 off, v[64:65], off offset:224
	s_waitcnt vmcnt(0)
	ds_store_b64 v3, v[1:2]
.LBB29_133:
	s_or_b32 exec_lo, exec_lo, s0
	s_waitcnt lgkmcnt(0)
	s_waitcnt_vscnt null, 0x0
	s_barrier
	buffer_gl0_inv
	scratch_load_b128 v[64:67], off, off offset:224
	v_mov_b32_e32 v1, 0
	s_mov_b32 s0, exec_lo
	ds_load_b64 v[68:69], v1 offset:472
	s_waitcnt vmcnt(0) lgkmcnt(0)
	v_fma_f64 v[66:67], v[66:67], v[68:69], 0
	s_delay_alu instid0(VALU_DEP_1)
	v_add_f64 v[64:65], v[64:65], -v[66:67]
	scratch_store_b64 off, v[64:65], off offset:224
	v_cmpx_lt_u32_e32 27, v0
	s_cbranch_execz .LBB29_135
; %bb.134:
	scratch_load_b64 v[64:65], off, off offset:216
	v_mov_b32_e32 v2, v1
	scratch_store_b64 off, v[1:2], off offset:216
	s_waitcnt vmcnt(0)
	ds_store_b64 v3, v[64:65]
.LBB29_135:
	s_or_b32 exec_lo, exec_lo, s0
	s_waitcnt lgkmcnt(0)
	s_waitcnt_vscnt null, 0x0
	s_barrier
	buffer_gl0_inv
	s_clause 0x1
	scratch_load_b128 v[64:67], off, off offset:216
	scratch_load_b64 v[72:73], off, off offset:232
	ds_load_b128 v[68:71], v1 offset:464
	s_mov_b32 s0, exec_lo
	s_waitcnt vmcnt(1) lgkmcnt(0)
	v_fma_f64 v[1:2], v[66:67], v[68:69], 0
	s_waitcnt vmcnt(0)
	s_delay_alu instid0(VALU_DEP_1) | instskip(NEXT) | instid1(VALU_DEP_1)
	v_fma_f64 v[1:2], v[72:73], v[70:71], v[1:2]
	v_add_f64 v[1:2], v[64:65], -v[1:2]
	scratch_store_b64 off, v[1:2], off offset:216
	v_cmpx_lt_u32_e32 26, v0
	s_cbranch_execz .LBB29_137
; %bb.136:
	scratch_load_b64 v[1:2], off, off offset:208
	v_mov_b32_e32 v64, 0
	s_delay_alu instid0(VALU_DEP_1)
	v_mov_b32_e32 v65, v64
	scratch_store_b64 off, v[64:65], off offset:208
	s_waitcnt vmcnt(0)
	ds_store_b64 v3, v[1:2]
.LBB29_137:
	s_or_b32 exec_lo, exec_lo, s0
	s_waitcnt lgkmcnt(0)
	s_waitcnt_vscnt null, 0x0
	s_barrier
	buffer_gl0_inv
	s_clause 0x1
	scratch_load_b128 v[64:67], off, off offset:208
	scratch_load_b128 v[68:71], off, off offset:224
	v_mov_b32_e32 v1, 0
	ds_load_2addr_b64 v[72:75], v1 offset0:57 offset1:58
	ds_load_b64 v[76:77], v1 offset:472
	s_mov_b32 s0, exec_lo
	s_waitcnt vmcnt(1) lgkmcnt(1)
	v_fma_f64 v[66:67], v[66:67], v[72:73], 0
	s_waitcnt vmcnt(0)
	s_delay_alu instid0(VALU_DEP_1) | instskip(SKIP_1) | instid1(VALU_DEP_1)
	v_fma_f64 v[66:67], v[68:69], v[74:75], v[66:67]
	s_waitcnt lgkmcnt(0)
	v_fma_f64 v[66:67], v[70:71], v[76:77], v[66:67]
	s_delay_alu instid0(VALU_DEP_1)
	v_add_f64 v[64:65], v[64:65], -v[66:67]
	scratch_store_b64 off, v[64:65], off offset:208
	v_cmpx_lt_u32_e32 25, v0
	s_cbranch_execz .LBB29_139
; %bb.138:
	scratch_load_b64 v[64:65], off, off offset:200
	v_mov_b32_e32 v2, v1
	scratch_store_b64 off, v[1:2], off offset:200
	s_waitcnt vmcnt(0)
	ds_store_b64 v3, v[64:65]
.LBB29_139:
	s_or_b32 exec_lo, exec_lo, s0
	s_waitcnt lgkmcnt(0)
	s_waitcnt_vscnt null, 0x0
	s_barrier
	buffer_gl0_inv
	s_clause 0x2
	scratch_load_b128 v[64:67], off, off offset:200
	scratch_load_b128 v[68:71], off, off offset:216
	scratch_load_b64 v[80:81], off, off offset:232
	ds_load_b128 v[72:75], v1 offset:448
	ds_load_b128 v[76:79], v1 offset:464
	s_mov_b32 s0, exec_lo
	s_waitcnt vmcnt(2) lgkmcnt(1)
	v_fma_f64 v[1:2], v[66:67], v[72:73], 0
	s_waitcnt vmcnt(1)
	s_delay_alu instid0(VALU_DEP_1) | instskip(SKIP_1) | instid1(VALU_DEP_1)
	v_fma_f64 v[1:2], v[68:69], v[74:75], v[1:2]
	s_waitcnt lgkmcnt(0)
	v_fma_f64 v[1:2], v[70:71], v[76:77], v[1:2]
	s_waitcnt vmcnt(0)
	s_delay_alu instid0(VALU_DEP_1) | instskip(NEXT) | instid1(VALU_DEP_1)
	v_fma_f64 v[1:2], v[80:81], v[78:79], v[1:2]
	v_add_f64 v[1:2], v[64:65], -v[1:2]
	scratch_store_b64 off, v[1:2], off offset:200
	v_cmpx_lt_u32_e32 24, v0
	s_cbranch_execz .LBB29_141
; %bb.140:
	scratch_load_b64 v[1:2], off, off offset:192
	v_mov_b32_e32 v64, 0
	s_delay_alu instid0(VALU_DEP_1)
	v_mov_b32_e32 v65, v64
	scratch_store_b64 off, v[64:65], off offset:192
	s_waitcnt vmcnt(0)
	ds_store_b64 v3, v[1:2]
.LBB29_141:
	s_or_b32 exec_lo, exec_lo, s0
	s_waitcnt lgkmcnt(0)
	s_waitcnt_vscnt null, 0x0
	s_barrier
	buffer_gl0_inv
	s_clause 0x2
	scratch_load_b128 v[64:67], off, off offset:192
	scratch_load_b128 v[68:71], off, off offset:208
	;; [unrolled: 1-line block ×3, first 2 shown]
	v_mov_b32_e32 v1, 0
	ds_load_2addr_b64 v[76:79], v1 offset0:55 offset1:56
	ds_load_2addr_b64 v[80:83], v1 offset0:57 offset1:58
	s_mov_b32 s0, exec_lo
	s_waitcnt vmcnt(2) lgkmcnt(1)
	v_fma_f64 v[66:67], v[66:67], v[76:77], 0
	s_waitcnt vmcnt(1)
	s_delay_alu instid0(VALU_DEP_1) | instskip(SKIP_4) | instid1(VALU_DEP_1)
	v_fma_f64 v[66:67], v[68:69], v[78:79], v[66:67]
	ds_load_b64 v[68:69], v1 offset:472
	s_waitcnt lgkmcnt(1)
	v_fma_f64 v[66:67], v[70:71], v[80:81], v[66:67]
	s_waitcnt vmcnt(0)
	v_fma_f64 v[66:67], v[72:73], v[82:83], v[66:67]
	s_waitcnt lgkmcnt(0)
	s_delay_alu instid0(VALU_DEP_1) | instskip(NEXT) | instid1(VALU_DEP_1)
	v_fma_f64 v[66:67], v[74:75], v[68:69], v[66:67]
	v_add_f64 v[64:65], v[64:65], -v[66:67]
	scratch_store_b64 off, v[64:65], off offset:192
	v_cmpx_lt_u32_e32 23, v0
	s_cbranch_execz .LBB29_143
; %bb.142:
	scratch_load_b64 v[64:65], off, off offset:184
	v_mov_b32_e32 v2, v1
	scratch_store_b64 off, v[1:2], off offset:184
	s_waitcnt vmcnt(0)
	ds_store_b64 v3, v[64:65]
.LBB29_143:
	s_or_b32 exec_lo, exec_lo, s0
	s_waitcnt lgkmcnt(0)
	s_waitcnt_vscnt null, 0x0
	s_barrier
	buffer_gl0_inv
	s_clause 0x3
	scratch_load_b128 v[64:67], off, off offset:184
	scratch_load_b128 v[68:71], off, off offset:200
	;; [unrolled: 1-line block ×3, first 2 shown]
	scratch_load_b64 v[84:85], off, off offset:232
	ds_load_b128 v[76:79], v1 offset:432
	ds_load_b128 v[80:83], v1 offset:448
	s_mov_b32 s0, exec_lo
	s_waitcnt vmcnt(3) lgkmcnt(1)
	v_fma_f64 v[66:67], v[66:67], v[76:77], 0
	s_waitcnt vmcnt(2)
	s_delay_alu instid0(VALU_DEP_1) | instskip(SKIP_1) | instid1(VALU_DEP_1)
	v_fma_f64 v[66:67], v[68:69], v[78:79], v[66:67]
	s_waitcnt lgkmcnt(0)
	v_fma_f64 v[66:67], v[70:71], v[80:81], v[66:67]
	s_waitcnt vmcnt(1)
	s_delay_alu instid0(VALU_DEP_1) | instskip(SKIP_4) | instid1(VALU_DEP_1)
	v_fma_f64 v[70:71], v[72:73], v[82:83], v[66:67]
	ds_load_b128 v[66:69], v1 offset:464
	s_waitcnt lgkmcnt(0)
	v_fma_f64 v[1:2], v[74:75], v[66:67], v[70:71]
	s_waitcnt vmcnt(0)
	v_fma_f64 v[1:2], v[84:85], v[68:69], v[1:2]
	s_delay_alu instid0(VALU_DEP_1)
	v_add_f64 v[1:2], v[64:65], -v[1:2]
	scratch_store_b64 off, v[1:2], off offset:184
	v_cmpx_lt_u32_e32 22, v0
	s_cbranch_execz .LBB29_145
; %bb.144:
	scratch_load_b64 v[1:2], off, off offset:176
	v_mov_b32_e32 v64, 0
	s_delay_alu instid0(VALU_DEP_1)
	v_mov_b32_e32 v65, v64
	scratch_store_b64 off, v[64:65], off offset:176
	s_waitcnt vmcnt(0)
	ds_store_b64 v3, v[1:2]
.LBB29_145:
	s_or_b32 exec_lo, exec_lo, s0
	s_waitcnt lgkmcnt(0)
	s_waitcnt_vscnt null, 0x0
	s_barrier
	buffer_gl0_inv
	s_clause 0x3
	scratch_load_b128 v[64:67], off, off offset:176
	scratch_load_b128 v[68:71], off, off offset:192
	;; [unrolled: 1-line block ×4, first 2 shown]
	v_mov_b32_e32 v1, 0
	ds_load_2addr_b64 v[80:83], v1 offset0:53 offset1:54
	ds_load_2addr_b64 v[84:87], v1 offset0:55 offset1:56
	s_mov_b32 s0, exec_lo
	s_waitcnt vmcnt(3) lgkmcnt(1)
	v_fma_f64 v[66:67], v[66:67], v[80:81], 0
	s_waitcnt vmcnt(2)
	s_delay_alu instid0(VALU_DEP_1) | instskip(SKIP_1) | instid1(VALU_DEP_1)
	v_fma_f64 v[66:67], v[68:69], v[82:83], v[66:67]
	s_waitcnt lgkmcnt(0)
	v_fma_f64 v[66:67], v[70:71], v[84:85], v[66:67]
	s_waitcnt vmcnt(1)
	s_delay_alu instid0(VALU_DEP_1)
	v_fma_f64 v[70:71], v[72:73], v[86:87], v[66:67]
	ds_load_2addr_b64 v[66:69], v1 offset0:57 offset1:58
	ds_load_b64 v[72:73], v1 offset:472
	s_waitcnt lgkmcnt(1)
	v_fma_f64 v[66:67], v[74:75], v[66:67], v[70:71]
	s_waitcnt vmcnt(0)
	s_delay_alu instid0(VALU_DEP_1) | instskip(SKIP_1) | instid1(VALU_DEP_1)
	v_fma_f64 v[66:67], v[76:77], v[68:69], v[66:67]
	s_waitcnt lgkmcnt(0)
	v_fma_f64 v[66:67], v[78:79], v[72:73], v[66:67]
	s_delay_alu instid0(VALU_DEP_1)
	v_add_f64 v[64:65], v[64:65], -v[66:67]
	scratch_store_b64 off, v[64:65], off offset:176
	v_cmpx_lt_u32_e32 21, v0
	s_cbranch_execz .LBB29_147
; %bb.146:
	scratch_load_b64 v[64:65], off, off offset:168
	v_mov_b32_e32 v2, v1
	scratch_store_b64 off, v[1:2], off offset:168
	s_waitcnt vmcnt(0)
	ds_store_b64 v3, v[64:65]
.LBB29_147:
	s_or_b32 exec_lo, exec_lo, s0
	s_waitcnt lgkmcnt(0)
	s_waitcnt_vscnt null, 0x0
	s_barrier
	buffer_gl0_inv
	s_clause 0x4
	scratch_load_b128 v[64:67], off, off offset:168
	scratch_load_b128 v[68:71], off, off offset:184
	;; [unrolled: 1-line block ×4, first 2 shown]
	scratch_load_b64 v[88:89], off, off offset:232
	ds_load_b128 v[80:83], v1 offset:416
	ds_load_b128 v[84:87], v1 offset:432
	s_mov_b32 s0, exec_lo
	s_waitcnt vmcnt(4) lgkmcnt(1)
	v_fma_f64 v[66:67], v[66:67], v[80:81], 0
	s_waitcnt vmcnt(3)
	s_delay_alu instid0(VALU_DEP_1) | instskip(SKIP_1) | instid1(VALU_DEP_1)
	v_fma_f64 v[66:67], v[68:69], v[82:83], v[66:67]
	s_waitcnt lgkmcnt(0)
	v_fma_f64 v[66:67], v[70:71], v[84:85], v[66:67]
	s_waitcnt vmcnt(2)
	s_delay_alu instid0(VALU_DEP_1)
	v_fma_f64 v[80:81], v[72:73], v[86:87], v[66:67]
	ds_load_b128 v[66:69], v1 offset:448
	ds_load_b128 v[70:73], v1 offset:464
	s_waitcnt lgkmcnt(1)
	v_fma_f64 v[1:2], v[74:75], v[66:67], v[80:81]
	s_waitcnt vmcnt(1)
	s_delay_alu instid0(VALU_DEP_1) | instskip(SKIP_1) | instid1(VALU_DEP_1)
	v_fma_f64 v[1:2], v[76:77], v[68:69], v[1:2]
	s_waitcnt lgkmcnt(0)
	v_fma_f64 v[1:2], v[78:79], v[70:71], v[1:2]
	s_waitcnt vmcnt(0)
	s_delay_alu instid0(VALU_DEP_1) | instskip(NEXT) | instid1(VALU_DEP_1)
	v_fma_f64 v[1:2], v[88:89], v[72:73], v[1:2]
	v_add_f64 v[1:2], v[64:65], -v[1:2]
	scratch_store_b64 off, v[1:2], off offset:168
	v_cmpx_lt_u32_e32 20, v0
	s_cbranch_execz .LBB29_149
; %bb.148:
	scratch_load_b64 v[1:2], off, off offset:160
	v_mov_b32_e32 v64, 0
	s_delay_alu instid0(VALU_DEP_1)
	v_mov_b32_e32 v65, v64
	scratch_store_b64 off, v[64:65], off offset:160
	s_waitcnt vmcnt(0)
	ds_store_b64 v3, v[1:2]
.LBB29_149:
	s_or_b32 exec_lo, exec_lo, s0
	s_waitcnt lgkmcnt(0)
	s_waitcnt_vscnt null, 0x0
	s_barrier
	buffer_gl0_inv
	s_clause 0x4
	scratch_load_b128 v[64:67], off, off offset:160
	scratch_load_b128 v[68:71], off, off offset:176
	;; [unrolled: 1-line block ×5, first 2 shown]
	v_mov_b32_e32 v1, 0
	ds_load_2addr_b64 v[84:87], v1 offset0:51 offset1:52
	ds_load_2addr_b64 v[88:91], v1 offset0:53 offset1:54
	s_mov_b32 s0, exec_lo
	s_waitcnt vmcnt(4) lgkmcnt(1)
	v_fma_f64 v[66:67], v[66:67], v[84:85], 0
	s_waitcnt vmcnt(3)
	s_delay_alu instid0(VALU_DEP_1) | instskip(SKIP_1) | instid1(VALU_DEP_1)
	v_fma_f64 v[66:67], v[68:69], v[86:87], v[66:67]
	s_waitcnt lgkmcnt(0)
	v_fma_f64 v[66:67], v[70:71], v[88:89], v[66:67]
	s_waitcnt vmcnt(2)
	s_delay_alu instid0(VALU_DEP_1)
	v_fma_f64 v[84:85], v[72:73], v[90:91], v[66:67]
	ds_load_2addr_b64 v[66:69], v1 offset0:55 offset1:56
	ds_load_2addr_b64 v[70:73], v1 offset0:57 offset1:58
	s_waitcnt lgkmcnt(1)
	v_fma_f64 v[66:67], v[74:75], v[66:67], v[84:85]
	s_waitcnt vmcnt(1)
	s_delay_alu instid0(VALU_DEP_1) | instskip(SKIP_4) | instid1(VALU_DEP_1)
	v_fma_f64 v[66:67], v[76:77], v[68:69], v[66:67]
	ds_load_b64 v[68:69], v1 offset:472
	s_waitcnt lgkmcnt(1)
	v_fma_f64 v[66:67], v[78:79], v[70:71], v[66:67]
	s_waitcnt vmcnt(0)
	v_fma_f64 v[66:67], v[80:81], v[72:73], v[66:67]
	s_waitcnt lgkmcnt(0)
	s_delay_alu instid0(VALU_DEP_1) | instskip(NEXT) | instid1(VALU_DEP_1)
	v_fma_f64 v[66:67], v[82:83], v[68:69], v[66:67]
	v_add_f64 v[64:65], v[64:65], -v[66:67]
	scratch_store_b64 off, v[64:65], off offset:160
	v_cmpx_lt_u32_e32 19, v0
	s_cbranch_execz .LBB29_151
; %bb.150:
	scratch_load_b64 v[64:65], off, off offset:152
	v_mov_b32_e32 v2, v1
	scratch_store_b64 off, v[1:2], off offset:152
	s_waitcnt vmcnt(0)
	ds_store_b64 v3, v[64:65]
.LBB29_151:
	s_or_b32 exec_lo, exec_lo, s0
	s_waitcnt lgkmcnt(0)
	s_waitcnt_vscnt null, 0x0
	s_barrier
	buffer_gl0_inv
	s_clause 0x4
	scratch_load_b128 v[64:67], off, off offset:152
	scratch_load_b128 v[68:71], off, off offset:168
	;; [unrolled: 1-line block ×5, first 2 shown]
	ds_load_b128 v[84:87], v1 offset:400
	ds_load_b128 v[88:91], v1 offset:416
	s_mov_b32 s0, exec_lo
	s_waitcnt vmcnt(4) lgkmcnt(1)
	v_fma_f64 v[66:67], v[66:67], v[84:85], 0
	scratch_load_b64 v[84:85], off, off offset:232
	s_waitcnt vmcnt(4)
	v_fma_f64 v[66:67], v[68:69], v[86:87], v[66:67]
	s_waitcnt lgkmcnt(0)
	s_delay_alu instid0(VALU_DEP_1) | instskip(SKIP_1) | instid1(VALU_DEP_1)
	v_fma_f64 v[66:67], v[70:71], v[88:89], v[66:67]
	s_waitcnt vmcnt(3)
	v_fma_f64 v[86:87], v[72:73], v[90:91], v[66:67]
	ds_load_b128 v[66:69], v1 offset:432
	ds_load_b128 v[70:73], v1 offset:448
	s_waitcnt lgkmcnt(1)
	v_fma_f64 v[66:67], v[74:75], v[66:67], v[86:87]
	s_waitcnt vmcnt(2)
	s_delay_alu instid0(VALU_DEP_1) | instskip(SKIP_1) | instid1(VALU_DEP_1)
	v_fma_f64 v[66:67], v[76:77], v[68:69], v[66:67]
	s_waitcnt lgkmcnt(0)
	v_fma_f64 v[66:67], v[78:79], v[70:71], v[66:67]
	s_waitcnt vmcnt(1)
	s_delay_alu instid0(VALU_DEP_1) | instskip(SKIP_4) | instid1(VALU_DEP_1)
	v_fma_f64 v[70:71], v[80:81], v[72:73], v[66:67]
	ds_load_b128 v[66:69], v1 offset:464
	s_waitcnt lgkmcnt(0)
	v_fma_f64 v[1:2], v[82:83], v[66:67], v[70:71]
	s_waitcnt vmcnt(0)
	v_fma_f64 v[1:2], v[84:85], v[68:69], v[1:2]
	s_delay_alu instid0(VALU_DEP_1)
	v_add_f64 v[1:2], v[64:65], -v[1:2]
	scratch_store_b64 off, v[1:2], off offset:152
	v_cmpx_lt_u32_e32 18, v0
	s_cbranch_execz .LBB29_153
; %bb.152:
	scratch_load_b64 v[1:2], off, off offset:144
	v_mov_b32_e32 v64, 0
	s_delay_alu instid0(VALU_DEP_1)
	v_mov_b32_e32 v65, v64
	scratch_store_b64 off, v[64:65], off offset:144
	s_waitcnt vmcnt(0)
	ds_store_b64 v3, v[1:2]
.LBB29_153:
	s_or_b32 exec_lo, exec_lo, s0
	s_waitcnt lgkmcnt(0)
	s_waitcnt_vscnt null, 0x0
	s_barrier
	buffer_gl0_inv
	s_clause 0x4
	scratch_load_b128 v[64:67], off, off offset:144
	scratch_load_b128 v[68:71], off, off offset:160
	scratch_load_b128 v[72:75], off, off offset:176
	scratch_load_b128 v[76:79], off, off offset:192
	scratch_load_b128 v[80:83], off, off offset:208
	v_mov_b32_e32 v1, 0
	ds_load_2addr_b64 v[84:87], v1 offset0:49 offset1:50
	ds_load_2addr_b64 v[88:91], v1 offset0:51 offset1:52
	scratch_load_b128 v[92:95], off, off offset:224
	s_mov_b32 s0, exec_lo
	s_waitcnt vmcnt(5) lgkmcnt(1)
	v_fma_f64 v[66:67], v[66:67], v[84:85], 0
	s_waitcnt vmcnt(4)
	s_delay_alu instid0(VALU_DEP_1) | instskip(SKIP_1) | instid1(VALU_DEP_1)
	v_fma_f64 v[66:67], v[68:69], v[86:87], v[66:67]
	s_waitcnt lgkmcnt(0)
	v_fma_f64 v[66:67], v[70:71], v[88:89], v[66:67]
	s_waitcnt vmcnt(3)
	s_delay_alu instid0(VALU_DEP_1)
	v_fma_f64 v[84:85], v[72:73], v[90:91], v[66:67]
	ds_load_2addr_b64 v[66:69], v1 offset0:53 offset1:54
	ds_load_2addr_b64 v[70:73], v1 offset0:55 offset1:56
	s_waitcnt lgkmcnt(1)
	v_fma_f64 v[66:67], v[74:75], v[66:67], v[84:85]
	s_waitcnt vmcnt(2)
	s_delay_alu instid0(VALU_DEP_1) | instskip(SKIP_1) | instid1(VALU_DEP_1)
	v_fma_f64 v[66:67], v[76:77], v[68:69], v[66:67]
	s_waitcnt lgkmcnt(0)
	v_fma_f64 v[66:67], v[78:79], v[70:71], v[66:67]
	s_waitcnt vmcnt(1)
	s_delay_alu instid0(VALU_DEP_1)
	v_fma_f64 v[70:71], v[80:81], v[72:73], v[66:67]
	ds_load_2addr_b64 v[66:69], v1 offset0:57 offset1:58
	ds_load_b64 v[72:73], v1 offset:472
	s_waitcnt lgkmcnt(1)
	v_fma_f64 v[66:67], v[82:83], v[66:67], v[70:71]
	s_waitcnt vmcnt(0)
	s_delay_alu instid0(VALU_DEP_1) | instskip(SKIP_1) | instid1(VALU_DEP_1)
	v_fma_f64 v[66:67], v[92:93], v[68:69], v[66:67]
	s_waitcnt lgkmcnt(0)
	v_fma_f64 v[66:67], v[94:95], v[72:73], v[66:67]
	s_delay_alu instid0(VALU_DEP_1)
	v_add_f64 v[64:65], v[64:65], -v[66:67]
	scratch_store_b64 off, v[64:65], off offset:144
	v_cmpx_lt_u32_e32 17, v0
	s_cbranch_execz .LBB29_155
; %bb.154:
	scratch_load_b64 v[64:65], off, off offset:136
	v_mov_b32_e32 v2, v1
	scratch_store_b64 off, v[1:2], off offset:136
	s_waitcnt vmcnt(0)
	ds_store_b64 v3, v[64:65]
.LBB29_155:
	s_or_b32 exec_lo, exec_lo, s0
	s_waitcnt lgkmcnt(0)
	s_waitcnt_vscnt null, 0x0
	s_barrier
	buffer_gl0_inv
	s_clause 0x4
	scratch_load_b128 v[64:67], off, off offset:136
	scratch_load_b128 v[68:71], off, off offset:152
	;; [unrolled: 1-line block ×5, first 2 shown]
	ds_load_b128 v[84:87], v1 offset:384
	ds_load_b128 v[88:91], v1 offset:400
	scratch_load_b128 v[92:95], off, off offset:216
	s_mov_b32 s0, exec_lo
	s_waitcnt vmcnt(5) lgkmcnt(1)
	v_fma_f64 v[66:67], v[66:67], v[84:85], 0
	scratch_load_b64 v[84:85], off, off offset:232
	s_waitcnt vmcnt(5)
	v_fma_f64 v[66:67], v[68:69], v[86:87], v[66:67]
	s_waitcnt lgkmcnt(0)
	s_delay_alu instid0(VALU_DEP_1) | instskip(SKIP_1) | instid1(VALU_DEP_1)
	v_fma_f64 v[66:67], v[70:71], v[88:89], v[66:67]
	s_waitcnt vmcnt(4)
	v_fma_f64 v[86:87], v[72:73], v[90:91], v[66:67]
	ds_load_b128 v[66:69], v1 offset:416
	ds_load_b128 v[70:73], v1 offset:432
	s_waitcnt lgkmcnt(1)
	v_fma_f64 v[66:67], v[74:75], v[66:67], v[86:87]
	s_waitcnt vmcnt(3)
	s_delay_alu instid0(VALU_DEP_1) | instskip(SKIP_1) | instid1(VALU_DEP_1)
	v_fma_f64 v[66:67], v[76:77], v[68:69], v[66:67]
	s_waitcnt lgkmcnt(0)
	v_fma_f64 v[66:67], v[78:79], v[70:71], v[66:67]
	s_waitcnt vmcnt(2)
	s_delay_alu instid0(VALU_DEP_1)
	v_fma_f64 v[74:75], v[80:81], v[72:73], v[66:67]
	ds_load_b128 v[66:69], v1 offset:448
	ds_load_b128 v[70:73], v1 offset:464
	s_waitcnt lgkmcnt(1)
	v_fma_f64 v[1:2], v[82:83], v[66:67], v[74:75]
	s_waitcnt vmcnt(1)
	s_delay_alu instid0(VALU_DEP_1) | instskip(SKIP_1) | instid1(VALU_DEP_1)
	v_fma_f64 v[1:2], v[92:93], v[68:69], v[1:2]
	s_waitcnt lgkmcnt(0)
	v_fma_f64 v[1:2], v[94:95], v[70:71], v[1:2]
	s_waitcnt vmcnt(0)
	s_delay_alu instid0(VALU_DEP_1) | instskip(NEXT) | instid1(VALU_DEP_1)
	v_fma_f64 v[1:2], v[84:85], v[72:73], v[1:2]
	v_add_f64 v[1:2], v[64:65], -v[1:2]
	scratch_store_b64 off, v[1:2], off offset:136
	v_cmpx_lt_u32_e32 16, v0
	s_cbranch_execz .LBB29_157
; %bb.156:
	scratch_load_b64 v[1:2], off, off offset:128
	v_mov_b32_e32 v64, 0
	s_delay_alu instid0(VALU_DEP_1)
	v_mov_b32_e32 v65, v64
	scratch_store_b64 off, v[64:65], off offset:128
	s_waitcnt vmcnt(0)
	ds_store_b64 v3, v[1:2]
.LBB29_157:
	s_or_b32 exec_lo, exec_lo, s0
	s_waitcnt lgkmcnt(0)
	s_waitcnt_vscnt null, 0x0
	s_barrier
	buffer_gl0_inv
	s_clause 0x4
	scratch_load_b128 v[64:67], off, off offset:128
	scratch_load_b128 v[68:71], off, off offset:144
	;; [unrolled: 1-line block ×5, first 2 shown]
	v_mov_b32_e32 v1, 0
	ds_load_2addr_b64 v[84:87], v1 offset0:47 offset1:48
	ds_load_2addr_b64 v[88:91], v1 offset0:49 offset1:50
	scratch_load_b128 v[92:95], off, off offset:208
	s_mov_b32 s0, exec_lo
	s_waitcnt vmcnt(5) lgkmcnt(1)
	v_fma_f64 v[66:67], v[66:67], v[84:85], 0
	s_waitcnt vmcnt(4)
	s_delay_alu instid0(VALU_DEP_1) | instskip(SKIP_1) | instid1(VALU_DEP_1)
	v_fma_f64 v[66:67], v[68:69], v[86:87], v[66:67]
	s_waitcnt lgkmcnt(0)
	v_fma_f64 v[70:71], v[70:71], v[88:89], v[66:67]
	scratch_load_b128 v[66:69], off, off offset:224
	s_waitcnt vmcnt(4)
	v_fma_f64 v[88:89], v[72:73], v[90:91], v[70:71]
	ds_load_2addr_b64 v[70:73], v1 offset0:51 offset1:52
	ds_load_2addr_b64 v[84:87], v1 offset0:53 offset1:54
	s_waitcnt lgkmcnt(1)
	v_fma_f64 v[70:71], v[74:75], v[70:71], v[88:89]
	s_waitcnt vmcnt(3)
	s_delay_alu instid0(VALU_DEP_1) | instskip(SKIP_1) | instid1(VALU_DEP_1)
	v_fma_f64 v[70:71], v[76:77], v[72:73], v[70:71]
	s_waitcnt lgkmcnt(0)
	v_fma_f64 v[70:71], v[78:79], v[84:85], v[70:71]
	s_waitcnt vmcnt(2)
	s_delay_alu instid0(VALU_DEP_1)
	v_fma_f64 v[78:79], v[80:81], v[86:87], v[70:71]
	ds_load_2addr_b64 v[70:73], v1 offset0:55 offset1:56
	ds_load_2addr_b64 v[74:77], v1 offset0:57 offset1:58
	s_waitcnt lgkmcnt(1)
	v_fma_f64 v[70:71], v[82:83], v[70:71], v[78:79]
	s_waitcnt vmcnt(1)
	s_delay_alu instid0(VALU_DEP_1) | instskip(SKIP_1) | instid1(VALU_DEP_1)
	v_fma_f64 v[70:71], v[92:93], v[72:73], v[70:71]
	s_waitcnt lgkmcnt(0)
	v_fma_f64 v[70:71], v[94:95], v[74:75], v[70:71]
	s_waitcnt vmcnt(0)
	s_delay_alu instid0(VALU_DEP_1) | instskip(SKIP_3) | instid1(VALU_DEP_1)
	v_fma_f64 v[66:67], v[66:67], v[76:77], v[70:71]
	ds_load_b64 v[70:71], v1 offset:472
	s_waitcnt lgkmcnt(0)
	v_fma_f64 v[66:67], v[68:69], v[70:71], v[66:67]
	v_add_f64 v[64:65], v[64:65], -v[66:67]
	scratch_store_b64 off, v[64:65], off offset:128
	v_cmpx_lt_u32_e32 15, v0
	s_cbranch_execz .LBB29_159
; %bb.158:
	scratch_load_b64 v[64:65], off, off offset:120
	v_mov_b32_e32 v2, v1
	scratch_store_b64 off, v[1:2], off offset:120
	s_waitcnt vmcnt(0)
	ds_store_b64 v3, v[64:65]
.LBB29_159:
	s_or_b32 exec_lo, exec_lo, s0
	s_waitcnt lgkmcnt(0)
	s_waitcnt_vscnt null, 0x0
	s_barrier
	buffer_gl0_inv
	s_clause 0x4
	scratch_load_b128 v[64:67], off, off offset:120
	scratch_load_b128 v[68:71], off, off offset:136
	;; [unrolled: 1-line block ×5, first 2 shown]
	ds_load_b128 v[84:87], v1 offset:368
	ds_load_b128 v[88:91], v1 offset:384
	scratch_load_b128 v[92:95], off, off offset:200
	s_mov_b32 s0, exec_lo
	s_waitcnt vmcnt(5) lgkmcnt(1)
	v_fma_f64 v[66:67], v[66:67], v[84:85], 0
	s_waitcnt vmcnt(4)
	s_delay_alu instid0(VALU_DEP_1) | instskip(SKIP_1) | instid1(VALU_DEP_1)
	v_fma_f64 v[66:67], v[68:69], v[86:87], v[66:67]
	s_waitcnt lgkmcnt(0)
	v_fma_f64 v[70:71], v[70:71], v[88:89], v[66:67]
	scratch_load_b128 v[66:69], off, off offset:216
	s_waitcnt vmcnt(4)
	v_fma_f64 v[88:89], v[72:73], v[90:91], v[70:71]
	ds_load_b128 v[70:73], v1 offset:400
	ds_load_b128 v[84:87], v1 offset:416
	s_waitcnt lgkmcnt(1)
	v_fma_f64 v[70:71], v[74:75], v[70:71], v[88:89]
	scratch_load_b64 v[88:89], off, off offset:232
	s_waitcnt vmcnt(4)
	v_fma_f64 v[70:71], v[76:77], v[72:73], v[70:71]
	s_waitcnt lgkmcnt(0)
	s_delay_alu instid0(VALU_DEP_1) | instskip(SKIP_1) | instid1(VALU_DEP_1)
	v_fma_f64 v[70:71], v[78:79], v[84:85], v[70:71]
	s_waitcnt vmcnt(3)
	v_fma_f64 v[78:79], v[80:81], v[86:87], v[70:71]
	ds_load_b128 v[70:73], v1 offset:432
	ds_load_b128 v[74:77], v1 offset:448
	s_waitcnt lgkmcnt(1)
	v_fma_f64 v[70:71], v[82:83], v[70:71], v[78:79]
	s_waitcnt vmcnt(2)
	s_delay_alu instid0(VALU_DEP_1) | instskip(SKIP_1) | instid1(VALU_DEP_1)
	v_fma_f64 v[70:71], v[92:93], v[72:73], v[70:71]
	s_waitcnt lgkmcnt(0)
	v_fma_f64 v[70:71], v[94:95], v[74:75], v[70:71]
	s_waitcnt vmcnt(1)
	s_delay_alu instid0(VALU_DEP_1) | instskip(SKIP_4) | instid1(VALU_DEP_1)
	v_fma_f64 v[66:67], v[66:67], v[76:77], v[70:71]
	ds_load_b128 v[70:73], v1 offset:464
	s_waitcnt lgkmcnt(0)
	v_fma_f64 v[1:2], v[68:69], v[70:71], v[66:67]
	s_waitcnt vmcnt(0)
	v_fma_f64 v[1:2], v[88:89], v[72:73], v[1:2]
	s_delay_alu instid0(VALU_DEP_1)
	v_add_f64 v[1:2], v[64:65], -v[1:2]
	scratch_store_b64 off, v[1:2], off offset:120
	v_cmpx_lt_u32_e32 14, v0
	s_cbranch_execz .LBB29_161
; %bb.160:
	scratch_load_b64 v[1:2], off, off offset:112
	v_mov_b32_e32 v64, 0
	s_delay_alu instid0(VALU_DEP_1)
	v_mov_b32_e32 v65, v64
	scratch_store_b64 off, v[64:65], off offset:112
	s_waitcnt vmcnt(0)
	ds_store_b64 v3, v[1:2]
.LBB29_161:
	s_or_b32 exec_lo, exec_lo, s0
	s_waitcnt lgkmcnt(0)
	s_waitcnt_vscnt null, 0x0
	s_barrier
	buffer_gl0_inv
	s_clause 0x4
	scratch_load_b128 v[64:67], off, off offset:112
	scratch_load_b128 v[68:71], off, off offset:128
	;; [unrolled: 1-line block ×5, first 2 shown]
	v_mov_b32_e32 v1, 0
	ds_load_2addr_b64 v[84:87], v1 offset0:45 offset1:46
	ds_load_2addr_b64 v[88:91], v1 offset0:47 offset1:48
	scratch_load_b128 v[92:95], off, off offset:192
	s_mov_b32 s0, exec_lo
	s_waitcnt vmcnt(5) lgkmcnt(1)
	v_fma_f64 v[66:67], v[66:67], v[84:85], 0
	s_waitcnt vmcnt(4)
	s_delay_alu instid0(VALU_DEP_1) | instskip(SKIP_1) | instid1(VALU_DEP_1)
	v_fma_f64 v[66:67], v[68:69], v[86:87], v[66:67]
	s_waitcnt lgkmcnt(0)
	v_fma_f64 v[70:71], v[70:71], v[88:89], v[66:67]
	scratch_load_b128 v[66:69], off, off offset:208
	s_waitcnt vmcnt(4)
	v_fma_f64 v[88:89], v[72:73], v[90:91], v[70:71]
	ds_load_2addr_b64 v[70:73], v1 offset0:49 offset1:50
	ds_load_2addr_b64 v[84:87], v1 offset0:51 offset1:52
	s_waitcnt lgkmcnt(1)
	v_fma_f64 v[70:71], v[74:75], v[70:71], v[88:89]
	scratch_load_b128 v[88:91], off, off offset:224
	s_waitcnt vmcnt(4)
	v_fma_f64 v[70:71], v[76:77], v[72:73], v[70:71]
	s_waitcnt lgkmcnt(0)
	s_delay_alu instid0(VALU_DEP_1) | instskip(SKIP_1) | instid1(VALU_DEP_1)
	v_fma_f64 v[70:71], v[78:79], v[84:85], v[70:71]
	s_waitcnt vmcnt(3)
	v_fma_f64 v[78:79], v[80:81], v[86:87], v[70:71]
	ds_load_2addr_b64 v[70:73], v1 offset0:53 offset1:54
	ds_load_2addr_b64 v[74:77], v1 offset0:55 offset1:56
	s_waitcnt lgkmcnt(1)
	v_fma_f64 v[70:71], v[82:83], v[70:71], v[78:79]
	s_waitcnt vmcnt(2)
	s_delay_alu instid0(VALU_DEP_1) | instskip(SKIP_1) | instid1(VALU_DEP_1)
	v_fma_f64 v[70:71], v[92:93], v[72:73], v[70:71]
	s_waitcnt lgkmcnt(0)
	v_fma_f64 v[70:71], v[94:95], v[74:75], v[70:71]
	s_waitcnt vmcnt(1)
	s_delay_alu instid0(VALU_DEP_1)
	v_fma_f64 v[66:67], v[66:67], v[76:77], v[70:71]
	ds_load_2addr_b64 v[70:73], v1 offset0:57 offset1:58
	ds_load_b64 v[74:75], v1 offset:472
	s_waitcnt lgkmcnt(1)
	v_fma_f64 v[66:67], v[68:69], v[70:71], v[66:67]
	s_waitcnt vmcnt(0)
	s_delay_alu instid0(VALU_DEP_1) | instskip(SKIP_1) | instid1(VALU_DEP_1)
	v_fma_f64 v[66:67], v[88:89], v[72:73], v[66:67]
	s_waitcnt lgkmcnt(0)
	v_fma_f64 v[66:67], v[90:91], v[74:75], v[66:67]
	s_delay_alu instid0(VALU_DEP_1)
	v_add_f64 v[64:65], v[64:65], -v[66:67]
	scratch_store_b64 off, v[64:65], off offset:112
	v_cmpx_lt_u32_e32 13, v0
	s_cbranch_execz .LBB29_163
; %bb.162:
	scratch_load_b64 v[64:65], off, off offset:104
	v_mov_b32_e32 v2, v1
	scratch_store_b64 off, v[1:2], off offset:104
	s_waitcnt vmcnt(0)
	ds_store_b64 v3, v[64:65]
.LBB29_163:
	s_or_b32 exec_lo, exec_lo, s0
	s_waitcnt lgkmcnt(0)
	s_waitcnt_vscnt null, 0x0
	s_barrier
	buffer_gl0_inv
	s_clause 0x4
	scratch_load_b128 v[64:67], off, off offset:104
	scratch_load_b128 v[68:71], off, off offset:120
	;; [unrolled: 1-line block ×5, first 2 shown]
	ds_load_b128 v[84:87], v1 offset:352
	ds_load_b128 v[88:91], v1 offset:368
	scratch_load_b128 v[92:95], off, off offset:184
	s_mov_b32 s0, exec_lo
	s_waitcnt vmcnt(5) lgkmcnt(1)
	v_fma_f64 v[66:67], v[66:67], v[84:85], 0
	s_waitcnt vmcnt(4)
	s_delay_alu instid0(VALU_DEP_1) | instskip(SKIP_1) | instid1(VALU_DEP_1)
	v_fma_f64 v[66:67], v[68:69], v[86:87], v[66:67]
	s_waitcnt lgkmcnt(0)
	v_fma_f64 v[70:71], v[70:71], v[88:89], v[66:67]
	scratch_load_b128 v[66:69], off, off offset:200
	s_waitcnt vmcnt(4)
	v_fma_f64 v[88:89], v[72:73], v[90:91], v[70:71]
	ds_load_b128 v[70:73], v1 offset:384
	ds_load_b128 v[84:87], v1 offset:400
	s_waitcnt lgkmcnt(1)
	v_fma_f64 v[70:71], v[74:75], v[70:71], v[88:89]
	scratch_load_b128 v[88:91], off, off offset:216
	s_waitcnt vmcnt(4)
	v_fma_f64 v[70:71], v[76:77], v[72:73], v[70:71]
	s_waitcnt lgkmcnt(0)
	s_delay_alu instid0(VALU_DEP_1)
	v_fma_f64 v[70:71], v[78:79], v[84:85], v[70:71]
	scratch_load_b64 v[78:79], off, off offset:232
	s_waitcnt vmcnt(4)
	v_fma_f64 v[80:81], v[80:81], v[86:87], v[70:71]
	ds_load_b128 v[70:73], v1 offset:416
	ds_load_b128 v[74:77], v1 offset:432
	s_waitcnt lgkmcnt(1)
	v_fma_f64 v[70:71], v[82:83], v[70:71], v[80:81]
	s_waitcnt vmcnt(3)
	s_delay_alu instid0(VALU_DEP_1) | instskip(SKIP_1) | instid1(VALU_DEP_1)
	v_fma_f64 v[70:71], v[92:93], v[72:73], v[70:71]
	s_waitcnt lgkmcnt(0)
	v_fma_f64 v[70:71], v[94:95], v[74:75], v[70:71]
	s_waitcnt vmcnt(2)
	s_delay_alu instid0(VALU_DEP_1)
	v_fma_f64 v[66:67], v[66:67], v[76:77], v[70:71]
	ds_load_b128 v[70:73], v1 offset:448
	ds_load_b128 v[74:77], v1 offset:464
	s_waitcnt lgkmcnt(1)
	v_fma_f64 v[1:2], v[68:69], v[70:71], v[66:67]
	s_waitcnt vmcnt(1)
	s_delay_alu instid0(VALU_DEP_1) | instskip(SKIP_1) | instid1(VALU_DEP_1)
	v_fma_f64 v[1:2], v[88:89], v[72:73], v[1:2]
	s_waitcnt lgkmcnt(0)
	v_fma_f64 v[1:2], v[90:91], v[74:75], v[1:2]
	s_waitcnt vmcnt(0)
	s_delay_alu instid0(VALU_DEP_1) | instskip(NEXT) | instid1(VALU_DEP_1)
	v_fma_f64 v[1:2], v[78:79], v[76:77], v[1:2]
	v_add_f64 v[1:2], v[64:65], -v[1:2]
	scratch_store_b64 off, v[1:2], off offset:104
	v_cmpx_lt_u32_e32 12, v0
	s_cbranch_execz .LBB29_165
; %bb.164:
	scratch_load_b64 v[1:2], off, off offset:96
	v_mov_b32_e32 v64, 0
	s_delay_alu instid0(VALU_DEP_1)
	v_mov_b32_e32 v65, v64
	scratch_store_b64 off, v[64:65], off offset:96
	s_waitcnt vmcnt(0)
	ds_store_b64 v3, v[1:2]
.LBB29_165:
	s_or_b32 exec_lo, exec_lo, s0
	s_waitcnt lgkmcnt(0)
	s_waitcnt_vscnt null, 0x0
	s_barrier
	buffer_gl0_inv
	s_clause 0x4
	scratch_load_b128 v[64:67], off, off offset:96
	scratch_load_b128 v[68:71], off, off offset:112
	;; [unrolled: 1-line block ×5, first 2 shown]
	v_mov_b32_e32 v1, 0
	ds_load_2addr_b64 v[84:87], v1 offset0:43 offset1:44
	ds_load_2addr_b64 v[88:91], v1 offset0:45 offset1:46
	scratch_load_b128 v[92:95], off, off offset:176
	s_mov_b32 s0, exec_lo
	s_waitcnt vmcnt(5) lgkmcnt(1)
	v_fma_f64 v[66:67], v[66:67], v[84:85], 0
	s_waitcnt vmcnt(4)
	s_delay_alu instid0(VALU_DEP_1) | instskip(SKIP_1) | instid1(VALU_DEP_1)
	v_fma_f64 v[66:67], v[68:69], v[86:87], v[66:67]
	s_waitcnt lgkmcnt(0)
	v_fma_f64 v[70:71], v[70:71], v[88:89], v[66:67]
	scratch_load_b128 v[66:69], off, off offset:192
	s_waitcnt vmcnt(4)
	v_fma_f64 v[88:89], v[72:73], v[90:91], v[70:71]
	ds_load_2addr_b64 v[70:73], v1 offset0:47 offset1:48
	ds_load_2addr_b64 v[84:87], v1 offset0:49 offset1:50
	s_waitcnt lgkmcnt(1)
	v_fma_f64 v[70:71], v[74:75], v[70:71], v[88:89]
	scratch_load_b128 v[88:91], off, off offset:208
	s_waitcnt vmcnt(4)
	v_fma_f64 v[70:71], v[76:77], v[72:73], v[70:71]
	s_waitcnt lgkmcnt(0)
	s_delay_alu instid0(VALU_DEP_1)
	v_fma_f64 v[74:75], v[78:79], v[84:85], v[70:71]
	scratch_load_b128 v[70:73], off, off offset:224
	s_waitcnt vmcnt(4)
	v_fma_f64 v[84:85], v[80:81], v[86:87], v[74:75]
	ds_load_2addr_b64 v[74:77], v1 offset0:51 offset1:52
	ds_load_2addr_b64 v[78:81], v1 offset0:53 offset1:54
	s_waitcnt lgkmcnt(1)
	v_fma_f64 v[74:75], v[82:83], v[74:75], v[84:85]
	s_waitcnt vmcnt(3)
	s_delay_alu instid0(VALU_DEP_1) | instskip(SKIP_1) | instid1(VALU_DEP_1)
	v_fma_f64 v[74:75], v[92:93], v[76:77], v[74:75]
	s_waitcnt lgkmcnt(0)
	v_fma_f64 v[74:75], v[94:95], v[78:79], v[74:75]
	s_waitcnt vmcnt(2)
	s_delay_alu instid0(VALU_DEP_1)
	v_fma_f64 v[66:67], v[66:67], v[80:81], v[74:75]
	ds_load_2addr_b64 v[74:77], v1 offset0:55 offset1:56
	ds_load_2addr_b64 v[78:81], v1 offset0:57 offset1:58
	s_waitcnt lgkmcnt(1)
	v_fma_f64 v[66:67], v[68:69], v[74:75], v[66:67]
	ds_load_b64 v[68:69], v1 offset:472
	s_waitcnt vmcnt(1)
	v_fma_f64 v[66:67], v[88:89], v[76:77], v[66:67]
	s_waitcnt lgkmcnt(1)
	s_delay_alu instid0(VALU_DEP_1) | instskip(SKIP_1) | instid1(VALU_DEP_1)
	v_fma_f64 v[66:67], v[90:91], v[78:79], v[66:67]
	s_waitcnt vmcnt(0)
	v_fma_f64 v[66:67], v[70:71], v[80:81], v[66:67]
	s_waitcnt lgkmcnt(0)
	s_delay_alu instid0(VALU_DEP_1) | instskip(NEXT) | instid1(VALU_DEP_1)
	v_fma_f64 v[66:67], v[72:73], v[68:69], v[66:67]
	v_add_f64 v[64:65], v[64:65], -v[66:67]
	scratch_store_b64 off, v[64:65], off offset:96
	v_cmpx_lt_u32_e32 11, v0
	s_cbranch_execz .LBB29_167
; %bb.166:
	scratch_load_b64 v[64:65], off, off offset:88
	v_mov_b32_e32 v2, v1
	scratch_store_b64 off, v[1:2], off offset:88
	s_waitcnt vmcnt(0)
	ds_store_b64 v3, v[64:65]
.LBB29_167:
	s_or_b32 exec_lo, exec_lo, s0
	s_waitcnt lgkmcnt(0)
	s_waitcnt_vscnt null, 0x0
	s_barrier
	buffer_gl0_inv
	s_clause 0x4
	scratch_load_b128 v[64:67], off, off offset:88
	scratch_load_b128 v[68:71], off, off offset:104
	;; [unrolled: 1-line block ×5, first 2 shown]
	ds_load_b128 v[84:87], v1 offset:336
	ds_load_b128 v[88:91], v1 offset:352
	scratch_load_b128 v[92:95], off, off offset:168
	s_mov_b32 s0, exec_lo
	s_waitcnt vmcnt(5) lgkmcnt(1)
	v_fma_f64 v[66:67], v[66:67], v[84:85], 0
	s_waitcnt vmcnt(4)
	s_delay_alu instid0(VALU_DEP_1) | instskip(SKIP_1) | instid1(VALU_DEP_1)
	v_fma_f64 v[66:67], v[68:69], v[86:87], v[66:67]
	s_waitcnt lgkmcnt(0)
	v_fma_f64 v[70:71], v[70:71], v[88:89], v[66:67]
	scratch_load_b128 v[66:69], off, off offset:184
	s_waitcnt vmcnt(4)
	v_fma_f64 v[88:89], v[72:73], v[90:91], v[70:71]
	ds_load_b128 v[70:73], v1 offset:368
	ds_load_b128 v[84:87], v1 offset:384
	s_waitcnt lgkmcnt(1)
	v_fma_f64 v[70:71], v[74:75], v[70:71], v[88:89]
	scratch_load_b128 v[88:91], off, off offset:200
	s_waitcnt vmcnt(4)
	v_fma_f64 v[70:71], v[76:77], v[72:73], v[70:71]
	s_waitcnt lgkmcnt(0)
	s_delay_alu instid0(VALU_DEP_1)
	v_fma_f64 v[74:75], v[78:79], v[84:85], v[70:71]
	scratch_load_b128 v[70:73], off, off offset:216
	s_waitcnt vmcnt(4)
	v_fma_f64 v[84:85], v[80:81], v[86:87], v[74:75]
	ds_load_b128 v[74:77], v1 offset:400
	ds_load_b128 v[78:81], v1 offset:416
	s_waitcnt lgkmcnt(1)
	v_fma_f64 v[74:75], v[82:83], v[74:75], v[84:85]
	scratch_load_b64 v[82:83], off, off offset:232
	s_waitcnt vmcnt(4)
	v_fma_f64 v[74:75], v[92:93], v[76:77], v[74:75]
	s_waitcnt lgkmcnt(0)
	s_delay_alu instid0(VALU_DEP_1) | instskip(SKIP_1) | instid1(VALU_DEP_1)
	v_fma_f64 v[74:75], v[94:95], v[78:79], v[74:75]
	s_waitcnt vmcnt(3)
	v_fma_f64 v[66:67], v[66:67], v[80:81], v[74:75]
	ds_load_b128 v[74:77], v1 offset:432
	ds_load_b128 v[78:81], v1 offset:448
	s_waitcnt lgkmcnt(1)
	v_fma_f64 v[66:67], v[68:69], v[74:75], v[66:67]
	s_waitcnt vmcnt(2)
	s_delay_alu instid0(VALU_DEP_1) | instskip(SKIP_1) | instid1(VALU_DEP_1)
	v_fma_f64 v[66:67], v[88:89], v[76:77], v[66:67]
	s_waitcnt lgkmcnt(0)
	v_fma_f64 v[66:67], v[90:91], v[78:79], v[66:67]
	s_waitcnt vmcnt(1)
	s_delay_alu instid0(VALU_DEP_1) | instskip(SKIP_4) | instid1(VALU_DEP_1)
	v_fma_f64 v[70:71], v[70:71], v[80:81], v[66:67]
	ds_load_b128 v[66:69], v1 offset:464
	s_waitcnt lgkmcnt(0)
	v_fma_f64 v[1:2], v[72:73], v[66:67], v[70:71]
	s_waitcnt vmcnt(0)
	v_fma_f64 v[1:2], v[82:83], v[68:69], v[1:2]
	s_delay_alu instid0(VALU_DEP_1)
	v_add_f64 v[1:2], v[64:65], -v[1:2]
	scratch_store_b64 off, v[1:2], off offset:88
	v_cmpx_lt_u32_e32 10, v0
	s_cbranch_execz .LBB29_169
; %bb.168:
	scratch_load_b64 v[1:2], off, off offset:80
	v_mov_b32_e32 v64, 0
	s_delay_alu instid0(VALU_DEP_1)
	v_mov_b32_e32 v65, v64
	scratch_store_b64 off, v[64:65], off offset:80
	s_waitcnt vmcnt(0)
	ds_store_b64 v3, v[1:2]
.LBB29_169:
	s_or_b32 exec_lo, exec_lo, s0
	s_waitcnt lgkmcnt(0)
	s_waitcnt_vscnt null, 0x0
	s_barrier
	buffer_gl0_inv
	s_clause 0x4
	scratch_load_b128 v[64:67], off, off offset:80
	scratch_load_b128 v[68:71], off, off offset:96
	;; [unrolled: 1-line block ×5, first 2 shown]
	v_mov_b32_e32 v1, 0
	ds_load_2addr_b64 v[84:87], v1 offset0:41 offset1:42
	ds_load_2addr_b64 v[88:91], v1 offset0:43 offset1:44
	scratch_load_b128 v[92:95], off, off offset:160
	s_mov_b32 s0, exec_lo
	s_waitcnt vmcnt(5) lgkmcnt(1)
	v_fma_f64 v[66:67], v[66:67], v[84:85], 0
	s_waitcnt vmcnt(4)
	s_delay_alu instid0(VALU_DEP_1) | instskip(SKIP_1) | instid1(VALU_DEP_1)
	v_fma_f64 v[66:67], v[68:69], v[86:87], v[66:67]
	s_waitcnt lgkmcnt(0)
	v_fma_f64 v[70:71], v[70:71], v[88:89], v[66:67]
	scratch_load_b128 v[66:69], off, off offset:176
	s_waitcnt vmcnt(4)
	v_fma_f64 v[88:89], v[72:73], v[90:91], v[70:71]
	ds_load_2addr_b64 v[70:73], v1 offset0:45 offset1:46
	ds_load_2addr_b64 v[84:87], v1 offset0:47 offset1:48
	s_waitcnt lgkmcnt(1)
	v_fma_f64 v[70:71], v[74:75], v[70:71], v[88:89]
	scratch_load_b128 v[88:91], off, off offset:192
	s_waitcnt vmcnt(4)
	v_fma_f64 v[70:71], v[76:77], v[72:73], v[70:71]
	s_waitcnt lgkmcnt(0)
	s_delay_alu instid0(VALU_DEP_1)
	v_fma_f64 v[74:75], v[78:79], v[84:85], v[70:71]
	scratch_load_b128 v[70:73], off, off offset:208
	s_waitcnt vmcnt(4)
	v_fma_f64 v[84:85], v[80:81], v[86:87], v[74:75]
	ds_load_2addr_b64 v[74:77], v1 offset0:49 offset1:50
	ds_load_2addr_b64 v[78:81], v1 offset0:51 offset1:52
	s_waitcnt lgkmcnt(1)
	v_fma_f64 v[74:75], v[82:83], v[74:75], v[84:85]
	scratch_load_b128 v[82:85], off, off offset:224
	s_waitcnt vmcnt(4)
	v_fma_f64 v[74:75], v[92:93], v[76:77], v[74:75]
	s_waitcnt lgkmcnt(0)
	s_delay_alu instid0(VALU_DEP_1) | instskip(SKIP_1) | instid1(VALU_DEP_1)
	v_fma_f64 v[74:75], v[94:95], v[78:79], v[74:75]
	s_waitcnt vmcnt(3)
	v_fma_f64 v[66:67], v[66:67], v[80:81], v[74:75]
	ds_load_2addr_b64 v[74:77], v1 offset0:53 offset1:54
	ds_load_2addr_b64 v[78:81], v1 offset0:55 offset1:56
	s_waitcnt lgkmcnt(1)
	v_fma_f64 v[66:67], v[68:69], v[74:75], v[66:67]
	s_waitcnt vmcnt(2)
	s_delay_alu instid0(VALU_DEP_1) | instskip(SKIP_1) | instid1(VALU_DEP_1)
	v_fma_f64 v[66:67], v[88:89], v[76:77], v[66:67]
	s_waitcnt lgkmcnt(0)
	v_fma_f64 v[66:67], v[90:91], v[78:79], v[66:67]
	s_waitcnt vmcnt(1)
	s_delay_alu instid0(VALU_DEP_1)
	v_fma_f64 v[70:71], v[70:71], v[80:81], v[66:67]
	ds_load_2addr_b64 v[66:69], v1 offset0:57 offset1:58
	ds_load_b64 v[74:75], v1 offset:472
	s_waitcnt lgkmcnt(1)
	v_fma_f64 v[66:67], v[72:73], v[66:67], v[70:71]
	s_waitcnt vmcnt(0)
	s_delay_alu instid0(VALU_DEP_1) | instskip(SKIP_1) | instid1(VALU_DEP_1)
	v_fma_f64 v[66:67], v[82:83], v[68:69], v[66:67]
	s_waitcnt lgkmcnt(0)
	v_fma_f64 v[66:67], v[84:85], v[74:75], v[66:67]
	s_delay_alu instid0(VALU_DEP_1)
	v_add_f64 v[64:65], v[64:65], -v[66:67]
	scratch_store_b64 off, v[64:65], off offset:80
	v_cmpx_lt_u32_e32 9, v0
	s_cbranch_execz .LBB29_171
; %bb.170:
	scratch_load_b64 v[64:65], off, off offset:72
	v_mov_b32_e32 v2, v1
	scratch_store_b64 off, v[1:2], off offset:72
	s_waitcnt vmcnt(0)
	ds_store_b64 v3, v[64:65]
.LBB29_171:
	s_or_b32 exec_lo, exec_lo, s0
	s_waitcnt lgkmcnt(0)
	s_waitcnt_vscnt null, 0x0
	s_barrier
	buffer_gl0_inv
	s_clause 0x4
	scratch_load_b128 v[64:67], off, off offset:72
	scratch_load_b128 v[68:71], off, off offset:88
	;; [unrolled: 1-line block ×5, first 2 shown]
	ds_load_b128 v[84:87], v1 offset:320
	ds_load_b128 v[88:91], v1 offset:336
	scratch_load_b128 v[92:95], off, off offset:152
	s_mov_b32 s0, exec_lo
	s_waitcnt vmcnt(5) lgkmcnt(1)
	v_fma_f64 v[66:67], v[66:67], v[84:85], 0
	s_waitcnt vmcnt(4)
	s_delay_alu instid0(VALU_DEP_1) | instskip(SKIP_1) | instid1(VALU_DEP_1)
	v_fma_f64 v[66:67], v[68:69], v[86:87], v[66:67]
	s_waitcnt lgkmcnt(0)
	v_fma_f64 v[70:71], v[70:71], v[88:89], v[66:67]
	scratch_load_b128 v[66:69], off, off offset:168
	s_waitcnt vmcnt(4)
	v_fma_f64 v[88:89], v[72:73], v[90:91], v[70:71]
	ds_load_b128 v[70:73], v1 offset:352
	ds_load_b128 v[84:87], v1 offset:368
	s_waitcnt lgkmcnt(1)
	v_fma_f64 v[70:71], v[74:75], v[70:71], v[88:89]
	scratch_load_b128 v[88:91], off, off offset:184
	s_waitcnt vmcnt(4)
	v_fma_f64 v[70:71], v[76:77], v[72:73], v[70:71]
	s_waitcnt lgkmcnt(0)
	s_delay_alu instid0(VALU_DEP_1)
	v_fma_f64 v[74:75], v[78:79], v[84:85], v[70:71]
	scratch_load_b128 v[70:73], off, off offset:200
	s_waitcnt vmcnt(4)
	v_fma_f64 v[84:85], v[80:81], v[86:87], v[74:75]
	ds_load_b128 v[74:77], v1 offset:384
	ds_load_b128 v[78:81], v1 offset:400
	scratch_load_b64 v[86:87], off, off offset:232
	s_waitcnt lgkmcnt(1)
	v_fma_f64 v[74:75], v[82:83], v[74:75], v[84:85]
	scratch_load_b128 v[82:85], off, off offset:216
	s_waitcnt vmcnt(5)
	v_fma_f64 v[74:75], v[92:93], v[76:77], v[74:75]
	s_waitcnt lgkmcnt(0)
	s_delay_alu instid0(VALU_DEP_1) | instskip(SKIP_1) | instid1(VALU_DEP_1)
	v_fma_f64 v[74:75], v[94:95], v[78:79], v[74:75]
	s_waitcnt vmcnt(4)
	v_fma_f64 v[66:67], v[66:67], v[80:81], v[74:75]
	ds_load_b128 v[74:77], v1 offset:416
	ds_load_b128 v[78:81], v1 offset:432
	s_waitcnt lgkmcnt(1)
	v_fma_f64 v[66:67], v[68:69], v[74:75], v[66:67]
	s_waitcnt vmcnt(3)
	s_delay_alu instid0(VALU_DEP_1) | instskip(SKIP_1) | instid1(VALU_DEP_1)
	v_fma_f64 v[66:67], v[88:89], v[76:77], v[66:67]
	s_waitcnt lgkmcnt(0)
	v_fma_f64 v[66:67], v[90:91], v[78:79], v[66:67]
	s_waitcnt vmcnt(2)
	s_delay_alu instid0(VALU_DEP_1)
	v_fma_f64 v[70:71], v[70:71], v[80:81], v[66:67]
	ds_load_b128 v[66:69], v1 offset:448
	ds_load_b128 v[74:77], v1 offset:464
	s_waitcnt lgkmcnt(1)
	v_fma_f64 v[1:2], v[72:73], v[66:67], v[70:71]
	s_waitcnt vmcnt(0)
	s_delay_alu instid0(VALU_DEP_1) | instskip(SKIP_1) | instid1(VALU_DEP_1)
	v_fma_f64 v[1:2], v[82:83], v[68:69], v[1:2]
	s_waitcnt lgkmcnt(0)
	v_fma_f64 v[1:2], v[84:85], v[74:75], v[1:2]
	s_delay_alu instid0(VALU_DEP_1) | instskip(NEXT) | instid1(VALU_DEP_1)
	v_fma_f64 v[1:2], v[86:87], v[76:77], v[1:2]
	v_add_f64 v[1:2], v[64:65], -v[1:2]
	scratch_store_b64 off, v[1:2], off offset:72
	v_cmpx_lt_u32_e32 8, v0
	s_cbranch_execz .LBB29_173
; %bb.172:
	scratch_load_b64 v[1:2], off, off offset:64
	v_mov_b32_e32 v64, 0
	s_delay_alu instid0(VALU_DEP_1)
	v_mov_b32_e32 v65, v64
	scratch_store_b64 off, v[64:65], off offset:64
	s_waitcnt vmcnt(0)
	ds_store_b64 v3, v[1:2]
.LBB29_173:
	s_or_b32 exec_lo, exec_lo, s0
	s_waitcnt lgkmcnt(0)
	s_waitcnt_vscnt null, 0x0
	s_barrier
	buffer_gl0_inv
	s_clause 0x4
	scratch_load_b128 v[64:67], off, off offset:64
	scratch_load_b128 v[68:71], off, off offset:80
	;; [unrolled: 1-line block ×5, first 2 shown]
	v_mov_b32_e32 v1, 0
	ds_load_2addr_b64 v[84:87], v1 offset0:39 offset1:40
	ds_load_2addr_b64 v[88:91], v1 offset0:41 offset1:42
	scratch_load_b128 v[92:95], off, off offset:144
	s_mov_b32 s0, exec_lo
	s_waitcnt vmcnt(5) lgkmcnt(1)
	v_fma_f64 v[66:67], v[66:67], v[84:85], 0
	s_waitcnt vmcnt(4)
	s_delay_alu instid0(VALU_DEP_1) | instskip(SKIP_1) | instid1(VALU_DEP_1)
	v_fma_f64 v[66:67], v[68:69], v[86:87], v[66:67]
	s_waitcnt lgkmcnt(0)
	v_fma_f64 v[70:71], v[70:71], v[88:89], v[66:67]
	scratch_load_b128 v[66:69], off, off offset:160
	s_waitcnt vmcnt(4)
	v_fma_f64 v[88:89], v[72:73], v[90:91], v[70:71]
	ds_load_2addr_b64 v[70:73], v1 offset0:43 offset1:44
	ds_load_2addr_b64 v[84:87], v1 offset0:45 offset1:46
	s_waitcnt lgkmcnt(1)
	v_fma_f64 v[70:71], v[74:75], v[70:71], v[88:89]
	scratch_load_b128 v[88:91], off, off offset:176
	s_waitcnt vmcnt(4)
	v_fma_f64 v[70:71], v[76:77], v[72:73], v[70:71]
	s_waitcnt lgkmcnt(0)
	s_delay_alu instid0(VALU_DEP_1)
	v_fma_f64 v[74:75], v[78:79], v[84:85], v[70:71]
	scratch_load_b128 v[70:73], off, off offset:192
	s_waitcnt vmcnt(4)
	v_fma_f64 v[84:85], v[80:81], v[86:87], v[74:75]
	ds_load_2addr_b64 v[74:77], v1 offset0:47 offset1:48
	ds_load_2addr_b64 v[78:81], v1 offset0:49 offset1:50
	s_waitcnt lgkmcnt(1)
	v_fma_f64 v[74:75], v[82:83], v[74:75], v[84:85]
	scratch_load_b128 v[82:85], off, off offset:208
	s_waitcnt vmcnt(4)
	v_fma_f64 v[74:75], v[92:93], v[76:77], v[74:75]
	s_waitcnt lgkmcnt(0)
	s_delay_alu instid0(VALU_DEP_1)
	v_fma_f64 v[78:79], v[94:95], v[78:79], v[74:75]
	scratch_load_b128 v[74:77], off, off offset:224
	s_waitcnt vmcnt(4)
	v_fma_f64 v[66:67], v[66:67], v[80:81], v[78:79]
	ds_load_2addr_b64 v[78:81], v1 offset0:51 offset1:52
	ds_load_2addr_b64 v[92:95], v1 offset0:53 offset1:54
	s_waitcnt lgkmcnt(1)
	v_fma_f64 v[66:67], v[68:69], v[78:79], v[66:67]
	s_waitcnt vmcnt(3)
	s_delay_alu instid0(VALU_DEP_1) | instskip(SKIP_1) | instid1(VALU_DEP_1)
	v_fma_f64 v[66:67], v[88:89], v[80:81], v[66:67]
	s_waitcnt lgkmcnt(0)
	v_fma_f64 v[66:67], v[90:91], v[92:93], v[66:67]
	s_waitcnt vmcnt(2)
	s_delay_alu instid0(VALU_DEP_1)
	v_fma_f64 v[70:71], v[70:71], v[94:95], v[66:67]
	ds_load_2addr_b64 v[66:69], v1 offset0:55 offset1:56
	ds_load_2addr_b64 v[78:81], v1 offset0:57 offset1:58
	s_waitcnt lgkmcnt(1)
	v_fma_f64 v[66:67], v[72:73], v[66:67], v[70:71]
	s_waitcnt vmcnt(1)
	s_delay_alu instid0(VALU_DEP_1) | instskip(SKIP_4) | instid1(VALU_DEP_1)
	v_fma_f64 v[66:67], v[82:83], v[68:69], v[66:67]
	ds_load_b64 v[68:69], v1 offset:472
	s_waitcnt lgkmcnt(1)
	v_fma_f64 v[66:67], v[84:85], v[78:79], v[66:67]
	s_waitcnt vmcnt(0)
	v_fma_f64 v[66:67], v[74:75], v[80:81], v[66:67]
	s_waitcnt lgkmcnt(0)
	s_delay_alu instid0(VALU_DEP_1) | instskip(NEXT) | instid1(VALU_DEP_1)
	v_fma_f64 v[66:67], v[76:77], v[68:69], v[66:67]
	v_add_f64 v[64:65], v[64:65], -v[66:67]
	scratch_store_b64 off, v[64:65], off offset:64
	v_cmpx_lt_u32_e32 7, v0
	s_cbranch_execz .LBB29_175
; %bb.174:
	scratch_load_b64 v[64:65], off, off offset:56
	v_mov_b32_e32 v2, v1
	scratch_store_b64 off, v[1:2], off offset:56
	s_waitcnt vmcnt(0)
	ds_store_b64 v3, v[64:65]
.LBB29_175:
	s_or_b32 exec_lo, exec_lo, s0
	s_waitcnt lgkmcnt(0)
	s_waitcnt_vscnt null, 0x0
	s_barrier
	buffer_gl0_inv
	s_clause 0x4
	scratch_load_b128 v[64:67], off, off offset:56
	scratch_load_b128 v[68:71], off, off offset:72
	;; [unrolled: 1-line block ×5, first 2 shown]
	ds_load_b128 v[84:87], v1 offset:304
	ds_load_b128 v[88:91], v1 offset:320
	scratch_load_b128 v[92:95], off, off offset:136
	s_mov_b32 s0, exec_lo
	s_waitcnt vmcnt(5) lgkmcnt(1)
	v_fma_f64 v[66:67], v[66:67], v[84:85], 0
	s_waitcnt vmcnt(4)
	s_delay_alu instid0(VALU_DEP_1) | instskip(SKIP_1) | instid1(VALU_DEP_1)
	v_fma_f64 v[66:67], v[68:69], v[86:87], v[66:67]
	s_waitcnt lgkmcnt(0)
	v_fma_f64 v[70:71], v[70:71], v[88:89], v[66:67]
	scratch_load_b128 v[66:69], off, off offset:152
	s_waitcnt vmcnt(4)
	v_fma_f64 v[88:89], v[72:73], v[90:91], v[70:71]
	ds_load_b128 v[70:73], v1 offset:336
	ds_load_b128 v[84:87], v1 offset:352
	s_waitcnt lgkmcnt(1)
	v_fma_f64 v[70:71], v[74:75], v[70:71], v[88:89]
	scratch_load_b128 v[88:91], off, off offset:168
	s_waitcnt vmcnt(4)
	v_fma_f64 v[70:71], v[76:77], v[72:73], v[70:71]
	s_waitcnt lgkmcnt(0)
	s_delay_alu instid0(VALU_DEP_1)
	v_fma_f64 v[74:75], v[78:79], v[84:85], v[70:71]
	scratch_load_b128 v[70:73], off, off offset:184
	s_waitcnt vmcnt(4)
	v_fma_f64 v[84:85], v[80:81], v[86:87], v[74:75]
	ds_load_b128 v[74:77], v1 offset:368
	ds_load_b128 v[78:81], v1 offset:384
	s_waitcnt lgkmcnt(1)
	v_fma_f64 v[74:75], v[82:83], v[74:75], v[84:85]
	scratch_load_b128 v[82:85], off, off offset:200
	s_waitcnt vmcnt(4)
	v_fma_f64 v[74:75], v[92:93], v[76:77], v[74:75]
	s_waitcnt lgkmcnt(0)
	s_delay_alu instid0(VALU_DEP_1)
	v_fma_f64 v[78:79], v[94:95], v[78:79], v[74:75]
	scratch_load_b128 v[74:77], off, off offset:216
	s_waitcnt vmcnt(4)
	v_fma_f64 v[66:67], v[66:67], v[80:81], v[78:79]
	ds_load_b128 v[78:81], v1 offset:400
	ds_load_b128 v[92:95], v1 offset:416
	scratch_load_b64 v[86:87], off, off offset:232
	s_waitcnt lgkmcnt(1)
	v_fma_f64 v[66:67], v[68:69], v[78:79], v[66:67]
	s_waitcnt vmcnt(4)
	s_delay_alu instid0(VALU_DEP_1) | instskip(SKIP_1) | instid1(VALU_DEP_1)
	v_fma_f64 v[66:67], v[88:89], v[80:81], v[66:67]
	s_waitcnt lgkmcnt(0)
	v_fma_f64 v[66:67], v[90:91], v[92:93], v[66:67]
	s_waitcnt vmcnt(3)
	s_delay_alu instid0(VALU_DEP_1)
	v_fma_f64 v[70:71], v[70:71], v[94:95], v[66:67]
	ds_load_b128 v[66:69], v1 offset:432
	ds_load_b128 v[78:81], v1 offset:448
	s_waitcnt lgkmcnt(1)
	v_fma_f64 v[66:67], v[72:73], v[66:67], v[70:71]
	s_waitcnt vmcnt(2)
	s_delay_alu instid0(VALU_DEP_1) | instskip(SKIP_1) | instid1(VALU_DEP_1)
	v_fma_f64 v[66:67], v[82:83], v[68:69], v[66:67]
	s_waitcnt lgkmcnt(0)
	v_fma_f64 v[66:67], v[84:85], v[78:79], v[66:67]
	s_waitcnt vmcnt(1)
	s_delay_alu instid0(VALU_DEP_1) | instskip(SKIP_4) | instid1(VALU_DEP_1)
	v_fma_f64 v[70:71], v[74:75], v[80:81], v[66:67]
	ds_load_b128 v[66:69], v1 offset:464
	s_waitcnt lgkmcnt(0)
	v_fma_f64 v[1:2], v[76:77], v[66:67], v[70:71]
	s_waitcnt vmcnt(0)
	v_fma_f64 v[1:2], v[86:87], v[68:69], v[1:2]
	s_delay_alu instid0(VALU_DEP_1)
	v_add_f64 v[1:2], v[64:65], -v[1:2]
	scratch_store_b64 off, v[1:2], off offset:56
	v_cmpx_lt_u32_e32 6, v0
	s_cbranch_execz .LBB29_177
; %bb.176:
	scratch_load_b64 v[1:2], off, off offset:48
	v_mov_b32_e32 v64, 0
	s_delay_alu instid0(VALU_DEP_1)
	v_mov_b32_e32 v65, v64
	scratch_store_b64 off, v[64:65], off offset:48
	s_waitcnt vmcnt(0)
	ds_store_b64 v3, v[1:2]
.LBB29_177:
	s_or_b32 exec_lo, exec_lo, s0
	s_waitcnt lgkmcnt(0)
	s_waitcnt_vscnt null, 0x0
	s_barrier
	buffer_gl0_inv
	s_clause 0x4
	scratch_load_b128 v[64:67], off, off offset:48
	scratch_load_b128 v[68:71], off, off offset:64
	;; [unrolled: 1-line block ×5, first 2 shown]
	v_mov_b32_e32 v1, 0
	ds_load_2addr_b64 v[84:87], v1 offset0:37 offset1:38
	ds_load_2addr_b64 v[88:91], v1 offset0:39 offset1:40
	scratch_load_b128 v[92:95], off, off offset:128
	s_mov_b32 s0, exec_lo
	s_waitcnt vmcnt(5) lgkmcnt(1)
	v_fma_f64 v[66:67], v[66:67], v[84:85], 0
	s_waitcnt vmcnt(4)
	s_delay_alu instid0(VALU_DEP_1) | instskip(SKIP_1) | instid1(VALU_DEP_1)
	v_fma_f64 v[66:67], v[68:69], v[86:87], v[66:67]
	s_waitcnt lgkmcnt(0)
	v_fma_f64 v[70:71], v[70:71], v[88:89], v[66:67]
	scratch_load_b128 v[66:69], off, off offset:144
	s_waitcnt vmcnt(4)
	v_fma_f64 v[88:89], v[72:73], v[90:91], v[70:71]
	ds_load_2addr_b64 v[70:73], v1 offset0:41 offset1:42
	ds_load_2addr_b64 v[84:87], v1 offset0:43 offset1:44
	s_waitcnt lgkmcnt(1)
	v_fma_f64 v[70:71], v[74:75], v[70:71], v[88:89]
	scratch_load_b128 v[88:91], off, off offset:160
	s_waitcnt vmcnt(4)
	v_fma_f64 v[70:71], v[76:77], v[72:73], v[70:71]
	s_waitcnt lgkmcnt(0)
	s_delay_alu instid0(VALU_DEP_1)
	v_fma_f64 v[74:75], v[78:79], v[84:85], v[70:71]
	scratch_load_b128 v[70:73], off, off offset:176
	s_waitcnt vmcnt(4)
	v_fma_f64 v[84:85], v[80:81], v[86:87], v[74:75]
	ds_load_2addr_b64 v[74:77], v1 offset0:45 offset1:46
	ds_load_2addr_b64 v[78:81], v1 offset0:47 offset1:48
	s_waitcnt lgkmcnt(1)
	v_fma_f64 v[74:75], v[82:83], v[74:75], v[84:85]
	scratch_load_b128 v[82:85], off, off offset:192
	s_waitcnt vmcnt(4)
	v_fma_f64 v[74:75], v[92:93], v[76:77], v[74:75]
	s_waitcnt lgkmcnt(0)
	s_delay_alu instid0(VALU_DEP_1)
	v_fma_f64 v[78:79], v[94:95], v[78:79], v[74:75]
	scratch_load_b128 v[74:77], off, off offset:208
	s_waitcnt vmcnt(4)
	v_fma_f64 v[66:67], v[66:67], v[80:81], v[78:79]
	ds_load_2addr_b64 v[78:81], v1 offset0:49 offset1:50
	ds_load_2addr_b64 v[92:95], v1 offset0:51 offset1:52
	s_waitcnt lgkmcnt(1)
	v_fma_f64 v[78:79], v[68:69], v[78:79], v[66:67]
	scratch_load_b128 v[66:69], off, off offset:224
	s_waitcnt vmcnt(4)
	v_fma_f64 v[78:79], v[88:89], v[80:81], v[78:79]
	s_waitcnt lgkmcnt(0)
	s_delay_alu instid0(VALU_DEP_1) | instskip(SKIP_1) | instid1(VALU_DEP_1)
	v_fma_f64 v[78:79], v[90:91], v[92:93], v[78:79]
	s_waitcnt vmcnt(3)
	v_fma_f64 v[70:71], v[70:71], v[94:95], v[78:79]
	ds_load_2addr_b64 v[78:81], v1 offset0:53 offset1:54
	ds_load_2addr_b64 v[86:89], v1 offset0:55 offset1:56
	s_waitcnt lgkmcnt(1)
	v_fma_f64 v[70:71], v[72:73], v[78:79], v[70:71]
	s_waitcnt vmcnt(2)
	s_delay_alu instid0(VALU_DEP_1) | instskip(SKIP_1) | instid1(VALU_DEP_1)
	v_fma_f64 v[70:71], v[82:83], v[80:81], v[70:71]
	s_waitcnt lgkmcnt(0)
	v_fma_f64 v[70:71], v[84:85], v[86:87], v[70:71]
	s_waitcnt vmcnt(1)
	s_delay_alu instid0(VALU_DEP_1)
	v_fma_f64 v[74:75], v[74:75], v[88:89], v[70:71]
	ds_load_2addr_b64 v[70:73], v1 offset0:57 offset1:58
	ds_load_b64 v[78:79], v1 offset:472
	s_waitcnt lgkmcnt(1)
	v_fma_f64 v[70:71], v[76:77], v[70:71], v[74:75]
	s_waitcnt vmcnt(0)
	s_delay_alu instid0(VALU_DEP_1) | instskip(SKIP_1) | instid1(VALU_DEP_1)
	v_fma_f64 v[66:67], v[66:67], v[72:73], v[70:71]
	s_waitcnt lgkmcnt(0)
	v_fma_f64 v[66:67], v[68:69], v[78:79], v[66:67]
	s_delay_alu instid0(VALU_DEP_1)
	v_add_f64 v[64:65], v[64:65], -v[66:67]
	scratch_store_b64 off, v[64:65], off offset:48
	v_cmpx_lt_u32_e32 5, v0
	s_cbranch_execz .LBB29_179
; %bb.178:
	scratch_load_b64 v[64:65], off, off offset:40
	v_mov_b32_e32 v2, v1
	scratch_store_b64 off, v[1:2], off offset:40
	s_waitcnt vmcnt(0)
	ds_store_b64 v3, v[64:65]
.LBB29_179:
	s_or_b32 exec_lo, exec_lo, s0
	s_waitcnt lgkmcnt(0)
	s_waitcnt_vscnt null, 0x0
	s_barrier
	buffer_gl0_inv
	s_clause 0x4
	scratch_load_b128 v[64:67], off, off offset:40
	scratch_load_b128 v[68:71], off, off offset:56
	;; [unrolled: 1-line block ×5, first 2 shown]
	ds_load_b128 v[84:87], v1 offset:288
	ds_load_b128 v[88:91], v1 offset:304
	scratch_load_b128 v[92:95], off, off offset:120
	s_mov_b32 s0, exec_lo
	s_waitcnt vmcnt(5) lgkmcnt(1)
	v_fma_f64 v[66:67], v[66:67], v[84:85], 0
	s_waitcnt vmcnt(4)
	s_delay_alu instid0(VALU_DEP_1) | instskip(SKIP_1) | instid1(VALU_DEP_1)
	v_fma_f64 v[66:67], v[68:69], v[86:87], v[66:67]
	s_waitcnt lgkmcnt(0)
	v_fma_f64 v[70:71], v[70:71], v[88:89], v[66:67]
	scratch_load_b128 v[66:69], off, off offset:136
	s_waitcnt vmcnt(4)
	v_fma_f64 v[88:89], v[72:73], v[90:91], v[70:71]
	ds_load_b128 v[70:73], v1 offset:320
	ds_load_b128 v[84:87], v1 offset:336
	s_waitcnt lgkmcnt(1)
	v_fma_f64 v[70:71], v[74:75], v[70:71], v[88:89]
	scratch_load_b128 v[88:91], off, off offset:152
	s_waitcnt vmcnt(4)
	v_fma_f64 v[70:71], v[76:77], v[72:73], v[70:71]
	s_waitcnt lgkmcnt(0)
	s_delay_alu instid0(VALU_DEP_1)
	v_fma_f64 v[74:75], v[78:79], v[84:85], v[70:71]
	scratch_load_b128 v[70:73], off, off offset:168
	s_waitcnt vmcnt(4)
	v_fma_f64 v[84:85], v[80:81], v[86:87], v[74:75]
	ds_load_b128 v[74:77], v1 offset:352
	ds_load_b128 v[78:81], v1 offset:368
	s_waitcnt lgkmcnt(1)
	v_fma_f64 v[74:75], v[82:83], v[74:75], v[84:85]
	scratch_load_b128 v[82:85], off, off offset:184
	s_waitcnt vmcnt(4)
	v_fma_f64 v[74:75], v[92:93], v[76:77], v[74:75]
	s_waitcnt lgkmcnt(0)
	s_delay_alu instid0(VALU_DEP_1)
	;; [unrolled: 13-line block ×3, first 2 shown]
	v_fma_f64 v[78:79], v[90:91], v[92:93], v[78:79]
	scratch_load_b64 v[90:91], off, off offset:232
	s_waitcnt vmcnt(4)
	v_fma_f64 v[70:71], v[70:71], v[94:95], v[78:79]
	ds_load_b128 v[78:81], v1 offset:416
	ds_load_b128 v[86:89], v1 offset:432
	s_waitcnt lgkmcnt(1)
	v_fma_f64 v[70:71], v[72:73], v[78:79], v[70:71]
	s_waitcnt vmcnt(3)
	s_delay_alu instid0(VALU_DEP_1) | instskip(SKIP_1) | instid1(VALU_DEP_1)
	v_fma_f64 v[70:71], v[82:83], v[80:81], v[70:71]
	s_waitcnt lgkmcnt(0)
	v_fma_f64 v[70:71], v[84:85], v[86:87], v[70:71]
	s_waitcnt vmcnt(2)
	s_delay_alu instid0(VALU_DEP_1)
	v_fma_f64 v[74:75], v[74:75], v[88:89], v[70:71]
	ds_load_b128 v[70:73], v1 offset:448
	ds_load_b128 v[78:81], v1 offset:464
	s_waitcnt lgkmcnt(1)
	v_fma_f64 v[1:2], v[76:77], v[70:71], v[74:75]
	s_waitcnt vmcnt(1)
	s_delay_alu instid0(VALU_DEP_1) | instskip(SKIP_1) | instid1(VALU_DEP_1)
	v_fma_f64 v[1:2], v[66:67], v[72:73], v[1:2]
	s_waitcnt lgkmcnt(0)
	v_fma_f64 v[1:2], v[68:69], v[78:79], v[1:2]
	s_waitcnt vmcnt(0)
	s_delay_alu instid0(VALU_DEP_1) | instskip(NEXT) | instid1(VALU_DEP_1)
	v_fma_f64 v[1:2], v[90:91], v[80:81], v[1:2]
	v_add_f64 v[1:2], v[64:65], -v[1:2]
	scratch_store_b64 off, v[1:2], off offset:40
	v_cmpx_lt_u32_e32 4, v0
	s_cbranch_execz .LBB29_181
; %bb.180:
	scratch_load_b64 v[1:2], off, off offset:32
	v_mov_b32_e32 v64, 0
	s_delay_alu instid0(VALU_DEP_1)
	v_mov_b32_e32 v65, v64
	scratch_store_b64 off, v[64:65], off offset:32
	s_waitcnt vmcnt(0)
	ds_store_b64 v3, v[1:2]
.LBB29_181:
	s_or_b32 exec_lo, exec_lo, s0
	s_waitcnt lgkmcnt(0)
	s_waitcnt_vscnt null, 0x0
	s_barrier
	buffer_gl0_inv
	s_clause 0x4
	scratch_load_b128 v[64:67], off, off offset:32
	scratch_load_b128 v[68:71], off, off offset:48
	;; [unrolled: 1-line block ×5, first 2 shown]
	v_mov_b32_e32 v1, 0
	ds_load_2addr_b64 v[84:87], v1 offset0:35 offset1:36
	ds_load_2addr_b64 v[88:91], v1 offset0:37 offset1:38
	scratch_load_b128 v[92:95], off, off offset:112
	s_mov_b32 s0, exec_lo
	s_waitcnt vmcnt(5) lgkmcnt(1)
	v_fma_f64 v[66:67], v[66:67], v[84:85], 0
	s_waitcnt vmcnt(4)
	s_delay_alu instid0(VALU_DEP_1) | instskip(SKIP_1) | instid1(VALU_DEP_1)
	v_fma_f64 v[66:67], v[68:69], v[86:87], v[66:67]
	s_waitcnt lgkmcnt(0)
	v_fma_f64 v[70:71], v[70:71], v[88:89], v[66:67]
	scratch_load_b128 v[66:69], off, off offset:128
	s_waitcnt vmcnt(4)
	v_fma_f64 v[88:89], v[72:73], v[90:91], v[70:71]
	ds_load_2addr_b64 v[70:73], v1 offset0:39 offset1:40
	ds_load_2addr_b64 v[84:87], v1 offset0:41 offset1:42
	s_waitcnt lgkmcnt(1)
	v_fma_f64 v[70:71], v[74:75], v[70:71], v[88:89]
	scratch_load_b128 v[88:91], off, off offset:144
	s_waitcnt vmcnt(4)
	v_fma_f64 v[70:71], v[76:77], v[72:73], v[70:71]
	s_waitcnt lgkmcnt(0)
	s_delay_alu instid0(VALU_DEP_1)
	v_fma_f64 v[74:75], v[78:79], v[84:85], v[70:71]
	scratch_load_b128 v[70:73], off, off offset:160
	s_waitcnt vmcnt(4)
	v_fma_f64 v[84:85], v[80:81], v[86:87], v[74:75]
	ds_load_2addr_b64 v[74:77], v1 offset0:43 offset1:44
	ds_load_2addr_b64 v[78:81], v1 offset0:45 offset1:46
	s_waitcnt lgkmcnt(1)
	v_fma_f64 v[74:75], v[82:83], v[74:75], v[84:85]
	scratch_load_b128 v[82:85], off, off offset:176
	s_waitcnt vmcnt(4)
	v_fma_f64 v[74:75], v[92:93], v[76:77], v[74:75]
	s_waitcnt lgkmcnt(0)
	s_delay_alu instid0(VALU_DEP_1)
	;; [unrolled: 13-line block ×3, first 2 shown]
	v_fma_f64 v[86:87], v[90:91], v[92:93], v[78:79]
	scratch_load_b128 v[78:81], off, off offset:224
	s_waitcnt vmcnt(4)
	v_fma_f64 v[70:71], v[70:71], v[94:95], v[86:87]
	ds_load_2addr_b64 v[86:89], v1 offset0:51 offset1:52
	ds_load_2addr_b64 v[90:93], v1 offset0:53 offset1:54
	s_waitcnt lgkmcnt(1)
	v_fma_f64 v[70:71], v[72:73], v[86:87], v[70:71]
	s_waitcnt vmcnt(3)
	s_delay_alu instid0(VALU_DEP_1) | instskip(SKIP_1) | instid1(VALU_DEP_1)
	v_fma_f64 v[70:71], v[82:83], v[88:89], v[70:71]
	s_waitcnt lgkmcnt(0)
	v_fma_f64 v[70:71], v[84:85], v[90:91], v[70:71]
	s_waitcnt vmcnt(2)
	s_delay_alu instid0(VALU_DEP_1)
	v_fma_f64 v[74:75], v[74:75], v[92:93], v[70:71]
	ds_load_2addr_b64 v[70:73], v1 offset0:55 offset1:56
	ds_load_2addr_b64 v[82:85], v1 offset0:57 offset1:58
	s_waitcnt lgkmcnt(1)
	v_fma_f64 v[70:71], v[76:77], v[70:71], v[74:75]
	s_waitcnt vmcnt(1)
	s_delay_alu instid0(VALU_DEP_1) | instskip(SKIP_1) | instid1(VALU_DEP_1)
	v_fma_f64 v[66:67], v[66:67], v[72:73], v[70:71]
	s_waitcnt lgkmcnt(0)
	v_fma_f64 v[66:67], v[68:69], v[82:83], v[66:67]
	ds_load_b64 v[68:69], v1 offset:472
	s_waitcnt vmcnt(0)
	v_fma_f64 v[66:67], v[78:79], v[84:85], v[66:67]
	s_waitcnt lgkmcnt(0)
	s_delay_alu instid0(VALU_DEP_1) | instskip(NEXT) | instid1(VALU_DEP_1)
	v_fma_f64 v[66:67], v[80:81], v[68:69], v[66:67]
	v_add_f64 v[64:65], v[64:65], -v[66:67]
	scratch_store_b64 off, v[64:65], off offset:32
	v_cmpx_lt_u32_e32 3, v0
	s_cbranch_execz .LBB29_183
; %bb.182:
	scratch_load_b64 v[64:65], off, off offset:24
	v_mov_b32_e32 v2, v1
	scratch_store_b64 off, v[1:2], off offset:24
	s_waitcnt vmcnt(0)
	ds_store_b64 v3, v[64:65]
.LBB29_183:
	s_or_b32 exec_lo, exec_lo, s0
	s_waitcnt lgkmcnt(0)
	s_waitcnt_vscnt null, 0x0
	s_barrier
	buffer_gl0_inv
	s_clause 0x4
	scratch_load_b128 v[64:67], off, off offset:24
	scratch_load_b128 v[68:71], off, off offset:40
	;; [unrolled: 1-line block ×5, first 2 shown]
	ds_load_b128 v[84:87], v1 offset:272
	ds_load_b128 v[88:91], v1 offset:288
	scratch_load_b128 v[92:95], off, off offset:104
	s_mov_b32 s0, exec_lo
	s_waitcnt vmcnt(5) lgkmcnt(1)
	v_fma_f64 v[66:67], v[66:67], v[84:85], 0
	s_waitcnt vmcnt(4)
	s_delay_alu instid0(VALU_DEP_1) | instskip(SKIP_1) | instid1(VALU_DEP_1)
	v_fma_f64 v[66:67], v[68:69], v[86:87], v[66:67]
	s_waitcnt lgkmcnt(0)
	v_fma_f64 v[70:71], v[70:71], v[88:89], v[66:67]
	scratch_load_b128 v[66:69], off, off offset:120
	s_waitcnt vmcnt(4)
	v_fma_f64 v[88:89], v[72:73], v[90:91], v[70:71]
	ds_load_b128 v[70:73], v1 offset:304
	ds_load_b128 v[84:87], v1 offset:320
	s_waitcnt lgkmcnt(1)
	v_fma_f64 v[70:71], v[74:75], v[70:71], v[88:89]
	scratch_load_b128 v[88:91], off, off offset:136
	s_waitcnt vmcnt(4)
	v_fma_f64 v[70:71], v[76:77], v[72:73], v[70:71]
	s_waitcnt lgkmcnt(0)
	s_delay_alu instid0(VALU_DEP_1)
	v_fma_f64 v[74:75], v[78:79], v[84:85], v[70:71]
	scratch_load_b128 v[70:73], off, off offset:152
	s_waitcnt vmcnt(4)
	v_fma_f64 v[84:85], v[80:81], v[86:87], v[74:75]
	ds_load_b128 v[74:77], v1 offset:336
	ds_load_b128 v[78:81], v1 offset:352
	s_waitcnt lgkmcnt(1)
	v_fma_f64 v[74:75], v[82:83], v[74:75], v[84:85]
	scratch_load_b128 v[82:85], off, off offset:168
	s_waitcnt vmcnt(4)
	v_fma_f64 v[74:75], v[92:93], v[76:77], v[74:75]
	s_waitcnt lgkmcnt(0)
	s_delay_alu instid0(VALU_DEP_1)
	;; [unrolled: 13-line block ×3, first 2 shown]
	v_fma_f64 v[86:87], v[90:91], v[92:93], v[78:79]
	scratch_load_b128 v[78:81], off, off offset:216
	s_waitcnt vmcnt(4)
	v_fma_f64 v[70:71], v[70:71], v[94:95], v[86:87]
	ds_load_b128 v[86:89], v1 offset:400
	ds_load_b128 v[90:93], v1 offset:416
	s_waitcnt lgkmcnt(1)
	v_fma_f64 v[70:71], v[72:73], v[86:87], v[70:71]
	scratch_load_b64 v[86:87], off, off offset:232
	s_waitcnt vmcnt(4)
	v_fma_f64 v[70:71], v[82:83], v[88:89], v[70:71]
	s_waitcnt lgkmcnt(0)
	s_delay_alu instid0(VALU_DEP_1) | instskip(SKIP_1) | instid1(VALU_DEP_1)
	v_fma_f64 v[70:71], v[84:85], v[90:91], v[70:71]
	s_waitcnt vmcnt(3)
	v_fma_f64 v[74:75], v[74:75], v[92:93], v[70:71]
	ds_load_b128 v[70:73], v1 offset:432
	ds_load_b128 v[82:85], v1 offset:448
	s_waitcnt lgkmcnt(1)
	v_fma_f64 v[70:71], v[76:77], v[70:71], v[74:75]
	s_waitcnt vmcnt(2)
	s_delay_alu instid0(VALU_DEP_1) | instskip(SKIP_1) | instid1(VALU_DEP_1)
	v_fma_f64 v[66:67], v[66:67], v[72:73], v[70:71]
	s_waitcnt lgkmcnt(0)
	v_fma_f64 v[66:67], v[68:69], v[82:83], v[66:67]
	s_waitcnt vmcnt(1)
	s_delay_alu instid0(VALU_DEP_1) | instskip(SKIP_4) | instid1(VALU_DEP_1)
	v_fma_f64 v[70:71], v[78:79], v[84:85], v[66:67]
	ds_load_b128 v[66:69], v1 offset:464
	s_waitcnt lgkmcnt(0)
	v_fma_f64 v[1:2], v[80:81], v[66:67], v[70:71]
	s_waitcnt vmcnt(0)
	v_fma_f64 v[1:2], v[86:87], v[68:69], v[1:2]
	s_delay_alu instid0(VALU_DEP_1)
	v_add_f64 v[1:2], v[64:65], -v[1:2]
	scratch_store_b64 off, v[1:2], off offset:24
	v_cmpx_lt_u32_e32 2, v0
	s_cbranch_execz .LBB29_185
; %bb.184:
	scratch_load_b64 v[1:2], off, off offset:16
	v_mov_b32_e32 v64, 0
	s_delay_alu instid0(VALU_DEP_1)
	v_mov_b32_e32 v65, v64
	scratch_store_b64 off, v[64:65], off offset:16
	s_waitcnt vmcnt(0)
	ds_store_b64 v3, v[1:2]
.LBB29_185:
	s_or_b32 exec_lo, exec_lo, s0
	s_waitcnt lgkmcnt(0)
	s_waitcnt_vscnt null, 0x0
	s_barrier
	buffer_gl0_inv
	s_clause 0x4
	scratch_load_b128 v[64:67], off, off offset:16
	scratch_load_b128 v[68:71], off, off offset:32
	;; [unrolled: 1-line block ×5, first 2 shown]
	v_mov_b32_e32 v1, 0
	ds_load_2addr_b64 v[84:87], v1 offset0:33 offset1:34
	ds_load_2addr_b64 v[88:91], v1 offset0:35 offset1:36
	scratch_load_b128 v[92:95], off, off offset:96
	s_mov_b32 s0, exec_lo
	s_waitcnt vmcnt(5) lgkmcnt(1)
	v_fma_f64 v[66:67], v[66:67], v[84:85], 0
	s_waitcnt vmcnt(4)
	s_delay_alu instid0(VALU_DEP_1) | instskip(SKIP_1) | instid1(VALU_DEP_1)
	v_fma_f64 v[66:67], v[68:69], v[86:87], v[66:67]
	s_waitcnt lgkmcnt(0)
	v_fma_f64 v[70:71], v[70:71], v[88:89], v[66:67]
	scratch_load_b128 v[66:69], off, off offset:112
	s_waitcnt vmcnt(4)
	v_fma_f64 v[88:89], v[72:73], v[90:91], v[70:71]
	ds_load_2addr_b64 v[70:73], v1 offset0:37 offset1:38
	ds_load_2addr_b64 v[84:87], v1 offset0:39 offset1:40
	s_waitcnt lgkmcnt(1)
	v_fma_f64 v[70:71], v[74:75], v[70:71], v[88:89]
	scratch_load_b128 v[88:91], off, off offset:128
	s_waitcnt vmcnt(4)
	v_fma_f64 v[70:71], v[76:77], v[72:73], v[70:71]
	s_waitcnt lgkmcnt(0)
	s_delay_alu instid0(VALU_DEP_1)
	v_fma_f64 v[74:75], v[78:79], v[84:85], v[70:71]
	scratch_load_b128 v[70:73], off, off offset:144
	s_waitcnt vmcnt(4)
	v_fma_f64 v[84:85], v[80:81], v[86:87], v[74:75]
	ds_load_2addr_b64 v[74:77], v1 offset0:41 offset1:42
	ds_load_2addr_b64 v[78:81], v1 offset0:43 offset1:44
	s_waitcnt lgkmcnt(1)
	v_fma_f64 v[74:75], v[82:83], v[74:75], v[84:85]
	scratch_load_b128 v[82:85], off, off offset:160
	s_waitcnt vmcnt(4)
	v_fma_f64 v[74:75], v[92:93], v[76:77], v[74:75]
	s_waitcnt lgkmcnt(0)
	s_delay_alu instid0(VALU_DEP_1)
	;; [unrolled: 13-line block ×3, first 2 shown]
	v_fma_f64 v[86:87], v[90:91], v[92:93], v[78:79]
	scratch_load_b128 v[78:81], off, off offset:208
	s_waitcnt vmcnt(4)
	v_fma_f64 v[70:71], v[70:71], v[94:95], v[86:87]
	ds_load_2addr_b64 v[86:89], v1 offset0:49 offset1:50
	ds_load_2addr_b64 v[90:93], v1 offset0:51 offset1:52
	s_waitcnt lgkmcnt(1)
	v_fma_f64 v[86:87], v[72:73], v[86:87], v[70:71]
	scratch_load_b128 v[70:73], off, off offset:224
	s_waitcnt vmcnt(4)
	v_fma_f64 v[82:83], v[82:83], v[88:89], v[86:87]
	s_waitcnt lgkmcnt(0)
	s_delay_alu instid0(VALU_DEP_1) | instskip(SKIP_1) | instid1(VALU_DEP_1)
	v_fma_f64 v[82:83], v[84:85], v[90:91], v[82:83]
	s_waitcnt vmcnt(3)
	v_fma_f64 v[74:75], v[74:75], v[92:93], v[82:83]
	ds_load_2addr_b64 v[82:85], v1 offset0:53 offset1:54
	ds_load_2addr_b64 v[86:89], v1 offset0:55 offset1:56
	s_waitcnt lgkmcnt(1)
	v_fma_f64 v[74:75], v[76:77], v[82:83], v[74:75]
	s_waitcnt vmcnt(2)
	s_delay_alu instid0(VALU_DEP_1) | instskip(SKIP_1) | instid1(VALU_DEP_1)
	v_fma_f64 v[66:67], v[66:67], v[84:85], v[74:75]
	s_waitcnt lgkmcnt(0)
	v_fma_f64 v[66:67], v[68:69], v[86:87], v[66:67]
	s_waitcnt vmcnt(1)
	s_delay_alu instid0(VALU_DEP_1)
	v_fma_f64 v[74:75], v[78:79], v[88:89], v[66:67]
	ds_load_2addr_b64 v[66:69], v1 offset0:57 offset1:58
	ds_load_b64 v[76:77], v1 offset:472
	s_waitcnt lgkmcnt(1)
	v_fma_f64 v[66:67], v[80:81], v[66:67], v[74:75]
	s_waitcnt vmcnt(0)
	s_delay_alu instid0(VALU_DEP_1) | instskip(SKIP_1) | instid1(VALU_DEP_1)
	v_fma_f64 v[66:67], v[70:71], v[68:69], v[66:67]
	s_waitcnt lgkmcnt(0)
	v_fma_f64 v[66:67], v[72:73], v[76:77], v[66:67]
	s_delay_alu instid0(VALU_DEP_1)
	v_add_f64 v[64:65], v[64:65], -v[66:67]
	scratch_store_b64 off, v[64:65], off offset:16
	v_cmpx_lt_u32_e32 1, v0
	s_cbranch_execz .LBB29_187
; %bb.186:
	scratch_load_b64 v[64:65], off, off offset:8
	v_mov_b32_e32 v2, v1
	scratch_store_b64 off, v[1:2], off offset:8
	s_waitcnt vmcnt(0)
	ds_store_b64 v3, v[64:65]
.LBB29_187:
	s_or_b32 exec_lo, exec_lo, s0
	s_waitcnt lgkmcnt(0)
	s_waitcnt_vscnt null, 0x0
	s_barrier
	buffer_gl0_inv
	s_clause 0x4
	scratch_load_b128 v[64:67], off, off offset:8
	scratch_load_b128 v[68:71], off, off offset:24
	;; [unrolled: 1-line block ×5, first 2 shown]
	ds_load_b128 v[84:87], v1 offset:256
	ds_load_b128 v[88:91], v1 offset:272
	scratch_load_b128 v[92:95], off, off offset:88
	s_mov_b32 s0, exec_lo
	s_waitcnt vmcnt(5) lgkmcnt(1)
	v_fma_f64 v[66:67], v[66:67], v[84:85], 0
	s_waitcnt vmcnt(4)
	s_delay_alu instid0(VALU_DEP_1) | instskip(SKIP_1) | instid1(VALU_DEP_1)
	v_fma_f64 v[66:67], v[68:69], v[86:87], v[66:67]
	s_waitcnt lgkmcnt(0)
	v_fma_f64 v[70:71], v[70:71], v[88:89], v[66:67]
	scratch_load_b128 v[66:69], off, off offset:104
	s_waitcnt vmcnt(4)
	v_fma_f64 v[88:89], v[72:73], v[90:91], v[70:71]
	ds_load_b128 v[70:73], v1 offset:288
	ds_load_b128 v[84:87], v1 offset:304
	s_waitcnt lgkmcnt(1)
	v_fma_f64 v[70:71], v[74:75], v[70:71], v[88:89]
	scratch_load_b128 v[88:91], off, off offset:120
	s_waitcnt vmcnt(4)
	v_fma_f64 v[70:71], v[76:77], v[72:73], v[70:71]
	s_waitcnt lgkmcnt(0)
	s_delay_alu instid0(VALU_DEP_1)
	v_fma_f64 v[74:75], v[78:79], v[84:85], v[70:71]
	scratch_load_b128 v[70:73], off, off offset:136
	s_waitcnt vmcnt(4)
	v_fma_f64 v[84:85], v[80:81], v[86:87], v[74:75]
	ds_load_b128 v[74:77], v1 offset:320
	ds_load_b128 v[78:81], v1 offset:336
	s_waitcnt lgkmcnt(1)
	v_fma_f64 v[74:75], v[82:83], v[74:75], v[84:85]
	scratch_load_b128 v[82:85], off, off offset:152
	s_waitcnt vmcnt(4)
	v_fma_f64 v[74:75], v[92:93], v[76:77], v[74:75]
	s_waitcnt lgkmcnt(0)
	s_delay_alu instid0(VALU_DEP_1)
	;; [unrolled: 13-line block ×4, first 2 shown]
	v_fma_f64 v[82:83], v[84:85], v[90:91], v[82:83]
	scratch_load_b64 v[90:91], off, off offset:232
	s_waitcnt vmcnt(4)
	v_fma_f64 v[74:75], v[74:75], v[92:93], v[82:83]
	ds_load_b128 v[82:85], v1 offset:416
	ds_load_b128 v[86:89], v1 offset:432
	s_waitcnt lgkmcnt(1)
	v_fma_f64 v[74:75], v[76:77], v[82:83], v[74:75]
	s_waitcnt vmcnt(3)
	s_delay_alu instid0(VALU_DEP_1) | instskip(SKIP_1) | instid1(VALU_DEP_1)
	v_fma_f64 v[66:67], v[66:67], v[84:85], v[74:75]
	s_waitcnt lgkmcnt(0)
	v_fma_f64 v[66:67], v[68:69], v[86:87], v[66:67]
	s_waitcnt vmcnt(2)
	s_delay_alu instid0(VALU_DEP_1)
	v_fma_f64 v[78:79], v[78:79], v[88:89], v[66:67]
	ds_load_b128 v[66:69], v1 offset:448
	ds_load_b128 v[74:77], v1 offset:464
	s_waitcnt lgkmcnt(1)
	v_fma_f64 v[1:2], v[80:81], v[66:67], v[78:79]
	s_waitcnt vmcnt(1)
	s_delay_alu instid0(VALU_DEP_1) | instskip(SKIP_1) | instid1(VALU_DEP_1)
	v_fma_f64 v[1:2], v[70:71], v[68:69], v[1:2]
	s_waitcnt lgkmcnt(0)
	v_fma_f64 v[1:2], v[72:73], v[74:75], v[1:2]
	s_waitcnt vmcnt(0)
	s_delay_alu instid0(VALU_DEP_1) | instskip(NEXT) | instid1(VALU_DEP_1)
	v_fma_f64 v[1:2], v[90:91], v[76:77], v[1:2]
	v_add_f64 v[1:2], v[64:65], -v[1:2]
	scratch_store_b64 off, v[1:2], off offset:8
	v_cmpx_ne_u32_e32 0, v0
	s_cbranch_execz .LBB29_189
; %bb.188:
	scratch_load_b64 v[0:1], off, off
	v_mov_b32_e32 v64, 0
	s_delay_alu instid0(VALU_DEP_1)
	v_mov_b32_e32 v65, v64
	scratch_store_b64 off, v[64:65], off
	s_waitcnt vmcnt(0)
	ds_store_b64 v3, v[0:1]
.LBB29_189:
	s_or_b32 exec_lo, exec_lo, s0
	s_waitcnt lgkmcnt(0)
	s_waitcnt_vscnt null, 0x0
	s_barrier
	buffer_gl0_inv
	s_clause 0x4
	scratch_load_b128 v[64:67], off, off
	scratch_load_b128 v[0:3], off, off offset:16
	scratch_load_b128 v[68:71], off, off offset:32
	;; [unrolled: 1-line block ×4, first 2 shown]
	v_mov_b32_e32 v96, 0
	ds_load_2addr_b64 v[80:83], v96 offset0:31 offset1:32
	ds_load_2addr_b64 v[84:87], v96 offset0:33 offset1:34
	scratch_load_b128 v[88:91], off, off offset:80
	s_and_b32 vcc_lo, exec_lo, s16
	s_waitcnt vmcnt(5) lgkmcnt(1)
	v_fma_f64 v[66:67], v[66:67], v[80:81], 0
	s_waitcnt vmcnt(4)
	s_delay_alu instid0(VALU_DEP_1) | instskip(SKIP_1) | instid1(VALU_DEP_1)
	v_fma_f64 v[0:1], v[0:1], v[82:83], v[66:67]
	s_waitcnt lgkmcnt(0)
	v_fma_f64 v[66:67], v[2:3], v[84:85], v[0:1]
	scratch_load_b128 v[0:3], off, off offset:96
	s_waitcnt vmcnt(4)
	v_fma_f64 v[84:85], v[68:69], v[86:87], v[66:67]
	ds_load_2addr_b64 v[66:69], v96 offset0:35 offset1:36
	ds_load_2addr_b64 v[80:83], v96 offset0:37 offset1:38
	s_waitcnt lgkmcnt(1)
	v_fma_f64 v[66:67], v[70:71], v[66:67], v[84:85]
	scratch_load_b128 v[84:87], off, off offset:112
	s_waitcnt vmcnt(4)
	v_fma_f64 v[66:67], v[72:73], v[68:69], v[66:67]
	s_waitcnt lgkmcnt(0)
	s_delay_alu instid0(VALU_DEP_1)
	v_fma_f64 v[70:71], v[74:75], v[80:81], v[66:67]
	scratch_load_b128 v[66:69], off, off offset:128
	s_waitcnt vmcnt(4)
	v_fma_f64 v[80:81], v[76:77], v[82:83], v[70:71]
	ds_load_2addr_b64 v[70:73], v96 offset0:39 offset1:40
	ds_load_2addr_b64 v[74:77], v96 offset0:41 offset1:42
	s_waitcnt lgkmcnt(1)
	v_fma_f64 v[70:71], v[78:79], v[70:71], v[80:81]
	scratch_load_b128 v[78:81], off, off offset:144
	s_waitcnt vmcnt(4)
	v_fma_f64 v[70:71], v[88:89], v[72:73], v[70:71]
	s_waitcnt lgkmcnt(0)
	s_delay_alu instid0(VALU_DEP_1)
	v_fma_f64 v[74:75], v[90:91], v[74:75], v[70:71]
	scratch_load_b128 v[70:73], off, off offset:160
	s_waitcnt vmcnt(4)
	v_fma_f64 v[0:1], v[0:1], v[76:77], v[74:75]
	ds_load_2addr_b64 v[74:77], v96 offset0:43 offset1:44
	ds_load_2addr_b64 v[88:91], v96 offset0:45 offset1:46
	scratch_load_b128 v[92:95], off, off offset:176
	s_waitcnt lgkmcnt(1)
	v_fma_f64 v[0:1], v[2:3], v[74:75], v[0:1]
	s_waitcnt vmcnt(4)
	s_delay_alu instid0(VALU_DEP_1) | instskip(SKIP_4) | instid1(VALU_DEP_1)
	v_fma_f64 v[0:1], v[84:85], v[76:77], v[0:1]
	scratch_load_b128 v[74:77], off, off offset:192
	s_waitcnt lgkmcnt(0)
	v_fma_f64 v[0:1], v[86:87], v[88:89], v[0:1]
	s_waitcnt vmcnt(4)
	v_fma_f64 v[66:67], v[66:67], v[90:91], v[0:1]
	ds_load_2addr_b64 v[0:3], v96 offset0:47 offset1:48
	ds_load_2addr_b64 v[82:85], v96 offset0:49 offset1:50
	s_waitcnt lgkmcnt(1)
	v_fma_f64 v[0:1], v[68:69], v[0:1], v[66:67]
	scratch_load_b128 v[66:69], off, off offset:208
	s_waitcnt vmcnt(4)
	v_fma_f64 v[0:1], v[78:79], v[2:3], v[0:1]
	s_waitcnt lgkmcnt(0)
	s_delay_alu instid0(VALU_DEP_1)
	v_fma_f64 v[78:79], v[80:81], v[82:83], v[0:1]
	scratch_load_b128 v[0:3], off, off offset:224
	s_waitcnt vmcnt(4)
	v_fma_f64 v[70:71], v[70:71], v[84:85], v[78:79]
	ds_load_2addr_b64 v[78:81], v96 offset0:51 offset1:52
	ds_load_2addr_b64 v[82:85], v96 offset0:53 offset1:54
	s_waitcnt lgkmcnt(1)
	v_fma_f64 v[70:71], v[72:73], v[78:79], v[70:71]
	s_waitcnt vmcnt(3)
	s_delay_alu instid0(VALU_DEP_1) | instskip(SKIP_1) | instid1(VALU_DEP_1)
	v_fma_f64 v[70:71], v[92:93], v[80:81], v[70:71]
	s_waitcnt lgkmcnt(0)
	v_fma_f64 v[70:71], v[94:95], v[82:83], v[70:71]
	s_waitcnt vmcnt(2)
	s_delay_alu instid0(VALU_DEP_1)
	v_fma_f64 v[74:75], v[74:75], v[84:85], v[70:71]
	ds_load_2addr_b64 v[70:73], v96 offset0:55 offset1:56
	ds_load_2addr_b64 v[78:81], v96 offset0:57 offset1:58
	s_waitcnt lgkmcnt(1)
	v_fma_f64 v[70:71], v[76:77], v[70:71], v[74:75]
	s_waitcnt vmcnt(1)
	s_delay_alu instid0(VALU_DEP_1) | instskip(SKIP_1) | instid1(VALU_DEP_1)
	v_fma_f64 v[66:67], v[66:67], v[72:73], v[70:71]
	s_waitcnt lgkmcnt(0)
	v_fma_f64 v[66:67], v[68:69], v[78:79], v[66:67]
	ds_load_b64 v[68:69], v96 offset:472
	s_waitcnt vmcnt(0)
	v_fma_f64 v[66:67], v[0:1], v[80:81], v[66:67]
	s_waitcnt lgkmcnt(0)
	s_delay_alu instid0(VALU_DEP_1) | instskip(NEXT) | instid1(VALU_DEP_1)
	v_fma_f64 v[2:3], v[2:3], v[68:69], v[66:67]
	v_add_f64 v[2:3], v[64:65], -v[2:3]
	scratch_store_b64 off, v[2:3], off
	s_cbranch_vccz .LBB29_249
; %bb.190:
	v_dual_mov_b32 v2, s12 :: v_dual_mov_b32 v3, s13
	s_mov_b32 s0, exec_lo
	flat_load_b32 v2, v[2:3] offset:112
	s_waitcnt vmcnt(0) lgkmcnt(0)
	v_cmpx_ne_u32_e32 29, v2
	s_cbranch_execz .LBB29_192
; %bb.191:
	v_lshl_add_u32 v64, v2, 3, 0
	scratch_load_b64 v[2:3], v64, off offset:-8
	s_waitcnt vmcnt(0)
	scratch_store_b64 off, v[2:3], off offset:224
	scratch_store_b64 v64, v[0:1], off offset:-8
.LBB29_192:
	s_or_b32 exec_lo, exec_lo, s0
	v_dual_mov_b32 v0, s12 :: v_dual_mov_b32 v1, s13
	s_mov_b32 s0, exec_lo
	flat_load_b32 v0, v[0:1] offset:108
	s_waitcnt vmcnt(0) lgkmcnt(0)
	v_cmpx_ne_u32_e32 28, v0
	s_cbranch_execz .LBB29_194
; %bb.193:
	v_lshl_add_u32 v64, v0, 3, 0
	scratch_load_b64 v[0:1], v64, off offset:-8
	scratch_load_b64 v[2:3], off, off offset:216
	s_waitcnt vmcnt(1)
	scratch_store_b64 off, v[0:1], off offset:216
	s_waitcnt vmcnt(0)
	scratch_store_b64 v64, v[2:3], off offset:-8
.LBB29_194:
	s_or_b32 exec_lo, exec_lo, s0
	v_dual_mov_b32 v0, s12 :: v_dual_mov_b32 v1, s13
	s_mov_b32 s0, exec_lo
	flat_load_b32 v0, v[0:1] offset:104
	s_waitcnt vmcnt(0) lgkmcnt(0)
	v_cmpx_ne_u32_e32 27, v0
	s_cbranch_execz .LBB29_196
; %bb.195:
	v_lshl_add_u32 v64, v0, 3, 0
	scratch_load_b64 v[0:1], v64, off offset:-8
	scratch_load_b64 v[2:3], off, off offset:208
	s_waitcnt vmcnt(1)
	scratch_store_b64 off, v[0:1], off offset:208
	s_waitcnt vmcnt(0)
	scratch_store_b64 v64, v[2:3], off offset:-8
.LBB29_196:
	;; [unrolled: 16-line block ×27, first 2 shown]
	s_or_b32 exec_lo, exec_lo, s0
	v_dual_mov_b32 v0, s12 :: v_dual_mov_b32 v1, s13
	s_mov_b32 s0, exec_lo
	flat_load_b32 v0, v[0:1]
	scratch_load_b64 v[2:3], off, off
	s_waitcnt vmcnt(1) lgkmcnt(0)
	v_cmpx_ne_u32_e32 1, v0
	s_cbranch_execz .LBB29_248
; %bb.247:
	v_lshl_add_u32 v64, v0, 3, 0
	scratch_load_b64 v[0:1], v64, off offset:-8
	s_waitcnt vmcnt(0)
	scratch_store_b64 off, v[0:1], off
	scratch_store_b64 v64, v[2:3], off offset:-8
	scratch_load_b64 v[2:3], off, off
.LBB29_248:
	s_or_b32 exec_lo, exec_lo, s0
.LBB29_249:
	s_clause 0x6
	scratch_load_b128 v[64:67], off, off offset:8
	scratch_load_b128 v[68:71], off, off offset:24
	;; [unrolled: 1-line block ×7, first 2 shown]
	s_waitcnt vmcnt(7)
	global_store_b64 v[6:7], v[2:3], off
	scratch_load_b128 v[0:3], off, off offset:120
	s_waitcnt vmcnt(7)
	global_store_b64 v[4:5], v[64:65], off
	scratch_load_b128 v[4:7], off, off offset:136
	global_store_b64 v[10:11], v[66:67], off
	s_waitcnt vmcnt(7)
	s_clause 0x1
	global_store_b64 v[8:9], v[68:69], off
	global_store_b64 v[12:13], v[70:71], off
	s_waitcnt vmcnt(6)
	s_clause 0x1
	global_store_b64 v[14:15], v[72:73], off
	global_store_b64 v[18:19], v[74:75], off
	s_clause 0x5
	scratch_load_b128 v[64:67], off, off offset:152
	scratch_load_b128 v[8:11], off, off offset:168
	;; [unrolled: 1-line block ×5, first 2 shown]
	scratch_load_b64 v[18:19], off, off offset:232
	s_waitcnt vmcnt(11)
	s_clause 0x1
	global_store_b64 v[16:17], v[76:77], off
	global_store_b64 v[20:21], v[78:79], off
	s_waitcnt vmcnt(10)
	s_clause 0x1
	global_store_b64 v[22:23], v[80:81], off
	global_store_b64 v[26:27], v[82:83], off
	;; [unrolled: 4-line block ×11, first 2 shown]
	s_waitcnt vmcnt(0)
	global_store_b64 v[24:25], v[18:19], off
	s_endpgm
	.section	.rodata,"a",@progbits
	.p2align	6, 0x0
	.amdhsa_kernel _ZN9rocsolver6v33100L18getri_kernel_smallILi30EdPdEEvT1_iilPiilS4_bb
		.amdhsa_group_segment_fixed_size 488
		.amdhsa_private_segment_fixed_size 256
		.amdhsa_kernarg_size 60
		.amdhsa_user_sgpr_count 15
		.amdhsa_user_sgpr_dispatch_ptr 0
		.amdhsa_user_sgpr_queue_ptr 0
		.amdhsa_user_sgpr_kernarg_segment_ptr 1
		.amdhsa_user_sgpr_dispatch_id 0
		.amdhsa_user_sgpr_private_segment_size 0
		.amdhsa_wavefront_size32 1
		.amdhsa_uses_dynamic_stack 0
		.amdhsa_enable_private_segment 1
		.amdhsa_system_sgpr_workgroup_id_x 1
		.amdhsa_system_sgpr_workgroup_id_y 0
		.amdhsa_system_sgpr_workgroup_id_z 0
		.amdhsa_system_sgpr_workgroup_info 0
		.amdhsa_system_vgpr_workitem_id 0
		.amdhsa_next_free_vgpr 98
		.amdhsa_next_free_sgpr 18
		.amdhsa_reserve_vcc 1
		.amdhsa_float_round_mode_32 0
		.amdhsa_float_round_mode_16_64 0
		.amdhsa_float_denorm_mode_32 3
		.amdhsa_float_denorm_mode_16_64 3
		.amdhsa_dx10_clamp 1
		.amdhsa_ieee_mode 1
		.amdhsa_fp16_overflow 0
		.amdhsa_workgroup_processor_mode 1
		.amdhsa_memory_ordered 1
		.amdhsa_forward_progress 0
		.amdhsa_shared_vgpr_count 0
		.amdhsa_exception_fp_ieee_invalid_op 0
		.amdhsa_exception_fp_denorm_src 0
		.amdhsa_exception_fp_ieee_div_zero 0
		.amdhsa_exception_fp_ieee_overflow 0
		.amdhsa_exception_fp_ieee_underflow 0
		.amdhsa_exception_fp_ieee_inexact 0
		.amdhsa_exception_int_div_zero 0
	.end_amdhsa_kernel
	.section	.text._ZN9rocsolver6v33100L18getri_kernel_smallILi30EdPdEEvT1_iilPiilS4_bb,"axG",@progbits,_ZN9rocsolver6v33100L18getri_kernel_smallILi30EdPdEEvT1_iilPiilS4_bb,comdat
.Lfunc_end29:
	.size	_ZN9rocsolver6v33100L18getri_kernel_smallILi30EdPdEEvT1_iilPiilS4_bb, .Lfunc_end29-_ZN9rocsolver6v33100L18getri_kernel_smallILi30EdPdEEvT1_iilPiilS4_bb
                                        ; -- End function
	.section	.AMDGPU.csdata,"",@progbits
; Kernel info:
; codeLenInByte = 22784
; NumSgprs: 20
; NumVgprs: 98
; ScratchSize: 256
; MemoryBound: 0
; FloatMode: 240
; IeeeMode: 1
; LDSByteSize: 488 bytes/workgroup (compile time only)
; SGPRBlocks: 2
; VGPRBlocks: 12
; NumSGPRsForWavesPerEU: 20
; NumVGPRsForWavesPerEU: 98
; Occupancy: 12
; WaveLimiterHint : 1
; COMPUTE_PGM_RSRC2:SCRATCH_EN: 1
; COMPUTE_PGM_RSRC2:USER_SGPR: 15
; COMPUTE_PGM_RSRC2:TRAP_HANDLER: 0
; COMPUTE_PGM_RSRC2:TGID_X_EN: 1
; COMPUTE_PGM_RSRC2:TGID_Y_EN: 0
; COMPUTE_PGM_RSRC2:TGID_Z_EN: 0
; COMPUTE_PGM_RSRC2:TIDIG_COMP_CNT: 0
	.section	.text._ZN9rocsolver6v33100L18getri_kernel_smallILi31EdPdEEvT1_iilPiilS4_bb,"axG",@progbits,_ZN9rocsolver6v33100L18getri_kernel_smallILi31EdPdEEvT1_iilPiilS4_bb,comdat
	.globl	_ZN9rocsolver6v33100L18getri_kernel_smallILi31EdPdEEvT1_iilPiilS4_bb ; -- Begin function _ZN9rocsolver6v33100L18getri_kernel_smallILi31EdPdEEvT1_iilPiilS4_bb
	.p2align	8
	.type	_ZN9rocsolver6v33100L18getri_kernel_smallILi31EdPdEEvT1_iilPiilS4_bb,@function
_ZN9rocsolver6v33100L18getri_kernel_smallILi31EdPdEEvT1_iilPiilS4_bb: ; @_ZN9rocsolver6v33100L18getri_kernel_smallILi31EdPdEEvT1_iilPiilS4_bb
; %bb.0:
	s_mov_b32 s2, exec_lo
	v_cmpx_gt_u32_e32 31, v0
	s_cbranch_execz .LBB30_134
; %bb.1:
	s_clause 0x2
	s_load_b32 s17, s[0:1], 0x38
	s_load_b128 s[8:11], s[0:1], 0x10
	s_load_b128 s[4:7], s[0:1], 0x28
	s_mov_b32 s14, s15
                                        ; implicit-def: $sgpr12_sgpr13
	s_waitcnt lgkmcnt(0)
	s_bitcmp1_b32 s17, 8
	s_cselect_b32 s16, -1, 0
	s_bfe_u32 s2, s17, 0x10008
	s_ashr_i32 s15, s15, 31
	s_cmp_eq_u32 s2, 0
	s_cbranch_scc1 .LBB30_3
; %bb.2:
	s_load_b32 s2, s[0:1], 0x20
	s_mul_i32 s3, s14, s5
	s_mul_hi_u32 s5, s14, s4
	s_mul_i32 s12, s15, s4
	s_add_i32 s3, s5, s3
	s_mul_i32 s4, s14, s4
	s_add_i32 s5, s3, s12
	s_delay_alu instid0(SALU_CYCLE_1)
	s_lshl_b64 s[4:5], s[4:5], 2
	s_waitcnt lgkmcnt(0)
	s_ashr_i32 s3, s2, 31
	s_add_u32 s4, s10, s4
	s_addc_u32 s5, s11, s5
	s_lshl_b64 s[2:3], s[2:3], 2
	s_delay_alu instid0(SALU_CYCLE_1)
	s_add_u32 s12, s4, s2
	s_addc_u32 s13, s5, s3
.LBB30_3:
	s_load_b128 s[0:3], s[0:1], 0x0
	s_mul_i32 s4, s14, s9
	s_mul_hi_u32 s5, s14, s8
	s_mul_i32 s9, s15, s8
	s_add_i32 s5, s5, s4
	s_mul_i32 s4, s14, s8
	s_add_i32 s5, s5, s9
	v_lshlrev_b32_e32 v3, 3, v0
	s_lshl_b64 s[4:5], s[4:5], 3
	s_waitcnt lgkmcnt(0)
	s_ashr_i32 s9, s2, 31
	s_mov_b32 s8, s2
	v_add3_u32 v1, s3, s3, v0
	s_add_u32 s2, s0, s4
	s_addc_u32 s5, s1, s5
	s_lshl_b64 s[0:1], s[8:9], 3
	s_mov_b32 s4, s3
	s_add_u32 s0, s2, s0
	s_addc_u32 s1, s5, s1
	v_add_nc_u32_e32 v8, s3, v1
	v_add_co_u32 v6, s2, s0, v3
	s_ashr_i32 s5, s3, 31
	v_add_co_ci_u32_e64 v7, null, s1, 0, s2
	s_lshl_b64 s[4:5], s[4:5], 3
	v_ashrrev_i32_e32 v2, 31, v1
	v_add_co_u32 v4, vcc_lo, v6, s4
	v_add_nc_u32_e32 v10, s3, v8
	v_add_co_ci_u32_e32 v5, vcc_lo, s5, v7, vcc_lo
	v_ashrrev_i32_e32 v9, 31, v8
	v_lshlrev_b64 v[1:2], 3, v[1:2]
	s_delay_alu instid0(VALU_DEP_4)
	v_add_nc_u32_e32 v16, s3, v10
	s_clause 0x1
	global_load_b64 v[34:35], v3, s[0:1]
	global_load_b64 v[36:37], v[4:5], off
	v_ashrrev_i32_e32 v11, 31, v10
	v_lshlrev_b64 v[8:9], 3, v[8:9]
	v_add_co_u32 v14, vcc_lo, s0, v1
	v_ashrrev_i32_e32 v17, 31, v16
	v_add_co_ci_u32_e32 v15, vcc_lo, s1, v2, vcc_lo
	v_lshlrev_b64 v[1:2], 3, v[10:11]
	v_add_co_u32 v8, vcc_lo, s0, v8
	s_delay_alu instid0(VALU_DEP_4) | instskip(SKIP_1) | instid1(VALU_DEP_4)
	v_lshlrev_b64 v[10:11], 3, v[16:17]
	v_add_co_ci_u32_e32 v9, vcc_lo, s1, v9, vcc_lo
	v_add_co_u32 v12, vcc_lo, s0, v1
	v_add_co_ci_u32_e32 v13, vcc_lo, s1, v2, vcc_lo
	s_delay_alu instid0(VALU_DEP_4)
	v_add_co_u32 v10, vcc_lo, s0, v10
	v_add_co_ci_u32_e32 v11, vcc_lo, s1, v11, vcc_lo
	s_clause 0x3
	global_load_b64 v[42:43], v[14:15], off
	global_load_b64 v[44:45], v[8:9], off
	;; [unrolled: 1-line block ×4, first 2 shown]
	v_add_nc_u32_e32 v1, s3, v16
	s_bitcmp0_b32 s17, 0
	s_delay_alu instid0(VALU_DEP_1) | instskip(SKIP_1) | instid1(VALU_DEP_2)
	v_add_nc_u32_e32 v16, s3, v1
	v_ashrrev_i32_e32 v2, 31, v1
	v_add_nc_u32_e32 v18, s3, v16
	v_ashrrev_i32_e32 v17, 31, v16
	s_delay_alu instid0(VALU_DEP_3) | instskip(NEXT) | instid1(VALU_DEP_3)
	v_lshlrev_b64 v[1:2], 3, v[1:2]
	v_add_nc_u32_e32 v20, s3, v18
	v_ashrrev_i32_e32 v19, 31, v18
	s_delay_alu instid0(VALU_DEP_4) | instskip(NEXT) | instid1(VALU_DEP_4)
	v_lshlrev_b64 v[25:26], 3, v[16:17]
	v_add_co_u32 v16, vcc_lo, s0, v1
	s_delay_alu instid0(VALU_DEP_4) | instskip(SKIP_3) | instid1(VALU_DEP_4)
	v_add_nc_u32_e32 v22, s3, v20
	v_add_co_ci_u32_e32 v17, vcc_lo, s1, v2, vcc_lo
	v_lshlrev_b64 v[1:2], 3, v[18:19]
	v_ashrrev_i32_e32 v21, 31, v20
	v_add_nc_u32_e32 v24, s3, v22
	v_add_co_u32 v18, vcc_lo, s0, v25
	v_ashrrev_i32_e32 v23, 31, v22
	v_add_co_ci_u32_e32 v19, vcc_lo, s1, v26, vcc_lo
	s_delay_alu instid0(VALU_DEP_4) | instskip(SKIP_3) | instid1(VALU_DEP_4)
	v_add_nc_u32_e32 v28, s3, v24
	v_lshlrev_b64 v[26:27], 3, v[20:21]
	v_add_co_u32 v20, vcc_lo, s0, v1
	v_ashrrev_i32_e32 v25, 31, v24
	v_add_nc_u32_e32 v30, s3, v28
	v_add_co_ci_u32_e32 v21, vcc_lo, s1, v2, vcc_lo
	v_lshlrev_b64 v[1:2], 3, v[22:23]
	v_add_co_u32 v22, vcc_lo, s0, v26
	s_delay_alu instid0(VALU_DEP_4) | instskip(SKIP_3) | instid1(VALU_DEP_4)
	v_add_nc_u32_e32 v38, s3, v30
	v_lshlrev_b64 v[24:25], 3, v[24:25]
	v_ashrrev_i32_e32 v29, 31, v28
	v_add_co_ci_u32_e32 v23, vcc_lo, s1, v27, vcc_lo
	v_add_nc_u32_e32 v40, s3, v38
	v_add_co_u32 v26, vcc_lo, s0, v1
	v_add_co_ci_u32_e32 v27, vcc_lo, s1, v2, vcc_lo
	s_delay_alu instid0(VALU_DEP_3) | instskip(SKIP_3) | instid1(VALU_DEP_4)
	v_add_nc_u32_e32 v66, s3, v40
	v_lshlrev_b64 v[1:2], 3, v[28:29]
	v_ashrrev_i32_e32 v31, 31, v30
	v_add_co_u32 v28, vcc_lo, s0, v24
	v_add_nc_u32_e32 v68, s3, v66
	v_add_co_ci_u32_e32 v29, vcc_lo, s1, v25, vcc_lo
	s_clause 0x3
	global_load_b64 v[50:51], v[16:17], off
	global_load_b64 v[52:53], v[18:19], off
	;; [unrolled: 1-line block ×4, first 2 shown]
	v_add_nc_u32_e32 v74, s3, v68
	v_lshlrev_b64 v[58:59], 3, v[30:31]
	v_add_co_u32 v30, vcc_lo, s0, v1
	v_ashrrev_i32_e32 v39, 31, v38
	s_delay_alu instid0(VALU_DEP_4) | instskip(SKIP_3) | instid1(VALU_DEP_4)
	v_add_nc_u32_e32 v76, s3, v74
	v_add_co_ci_u32_e32 v31, vcc_lo, s1, v2, vcc_lo
	v_ashrrev_i32_e32 v41, 31, v40
	v_ashrrev_i32_e32 v67, 31, v66
	v_add_nc_u32_e32 v78, s3, v76
	v_ashrrev_i32_e32 v69, 31, v68
	v_ashrrev_i32_e32 v75, 31, v74
	;; [unrolled: 1-line block ×3, first 2 shown]
	s_delay_alu instid0(VALU_DEP_4) | instskip(SKIP_1) | instid1(VALU_DEP_2)
	v_add_nc_u32_e32 v80, s3, v78
	v_ashrrev_i32_e32 v79, 31, v78
	v_add_nc_u32_e32 v82, s3, v80
	v_ashrrev_i32_e32 v81, 31, v80
	s_delay_alu instid0(VALU_DEP_2) | instskip(SKIP_1) | instid1(VALU_DEP_2)
	v_add_nc_u32_e32 v84, s3, v82
	v_ashrrev_i32_e32 v83, 31, v82
	v_add_nc_u32_e32 v86, s3, v84
	v_ashrrev_i32_e32 v85, 31, v84
	s_delay_alu instid0(VALU_DEP_2) | instskip(SKIP_1) | instid1(VALU_DEP_2)
	;; [unrolled: 5-line block ×4, first 2 shown]
	v_add_nc_u32_e32 v96, s3, v94
	v_ashrrev_i32_e32 v95, 31, v94
	v_add_nc_u32_e32 v32, s3, v96
	v_ashrrev_i32_e32 v97, 31, v96
	s_delay_alu instid0(VALU_DEP_2) | instskip(NEXT) | instid1(VALU_DEP_1)
	v_ashrrev_i32_e32 v33, 31, v32
	v_lshlrev_b64 v[24:25], 3, v[32:33]
	s_delay_alu instid0(VALU_DEP_1) | instskip(NEXT) | instid1(VALU_DEP_2)
	v_add_co_u32 v24, vcc_lo, s0, v24
	v_add_co_ci_u32_e32 v25, vcc_lo, s1, v25, vcc_lo
	v_add_co_u32 v32, vcc_lo, s0, v58
	v_add_co_ci_u32_e32 v33, vcc_lo, s1, v59, vcc_lo
	global_load_b64 v[1:2], v[24:25], off
	s_waitcnt vmcnt(9)
	scratch_store_b128 off, v[34:37], off
	v_lshlrev_b64 v[34:35], 3, v[38:39]
	s_clause 0x3
	global_load_b64 v[58:59], v[26:27], off
	global_load_b64 v[60:61], v[28:29], off
	;; [unrolled: 1-line block ×4, first 2 shown]
	v_lshlrev_b64 v[36:37], 3, v[40:41]
	v_lshlrev_b64 v[38:39], 3, v[66:67]
	;; [unrolled: 1-line block ×3, first 2 shown]
	s_waitcnt vmcnt(11)
	scratch_store_b128 off, v[42:45], off offset:16
	s_waitcnt vmcnt(9)
	scratch_store_b128 off, v[46:49], off offset:32
	v_add_co_u32 v34, vcc_lo, s0, v34
	v_add_co_ci_u32_e32 v35, vcc_lo, s1, v35, vcc_lo
	v_add_co_u32 v36, vcc_lo, s0, v36
	v_add_co_ci_u32_e32 v37, vcc_lo, s1, v37, vcc_lo
	;; [unrolled: 2-line block ×4, first 2 shown]
	s_clause 0x3
	global_load_b64 v[66:67], v[34:35], off
	global_load_b64 v[68:69], v[36:37], off
	;; [unrolled: 1-line block ×4, first 2 shown]
	v_lshlrev_b64 v[42:43], 3, v[74:75]
	v_lshlrev_b64 v[44:45], 3, v[76:77]
	v_lshlrev_b64 v[46:47], 3, v[78:79]
	v_lshlrev_b64 v[48:49], 3, v[80:81]
	v_lshlrev_b64 v[80:81], 3, v[82:83]
	s_waitcnt vmcnt(11)
	scratch_store_b128 off, v[50:53], off offset:48
	s_waitcnt vmcnt(9)
	scratch_store_b128 off, v[54:57], off offset:64
	v_add_co_u32 v42, vcc_lo, s0, v42
	v_add_co_ci_u32_e32 v43, vcc_lo, s1, v43, vcc_lo
	v_add_co_u32 v44, vcc_lo, s0, v44
	v_add_co_ci_u32_e32 v45, vcc_lo, s1, v45, vcc_lo
	;; [unrolled: 2-line block ×3, first 2 shown]
	v_add_co_u32 v48, vcc_lo, s0, v48
	v_lshlrev_b64 v[52:53], 3, v[84:85]
	v_add_co_ci_u32_e32 v49, vcc_lo, s1, v49, vcc_lo
	v_add_co_u32 v50, vcc_lo, s0, v80
	v_lshlrev_b64 v[54:55], 3, v[86:87]
	v_add_co_ci_u32_e32 v51, vcc_lo, s1, v81, vcc_lo
	;; [unrolled: 3-line block ×4, first 2 shown]
	s_clause 0x2
	global_load_b64 v[74:75], v[42:43], off
	global_load_b64 v[76:77], v[44:45], off
	;; [unrolled: 1-line block ×3, first 2 shown]
	v_add_co_u32 v56, vcc_lo, s0, v56
	v_add_co_ci_u32_e32 v57, vcc_lo, s1, v57, vcc_lo
	s_waitcnt vmcnt(9)
	scratch_store_b128 off, v[58:61], off offset:80
	s_waitcnt vmcnt(7)
	scratch_store_b128 off, v[62:65], off offset:96
	v_lshlrev_b64 v[58:59], 3, v[92:93]
	v_add_co_u32 v60, vcc_lo, s0, v88
	v_add_co_ci_u32_e32 v61, vcc_lo, s1, v89, vcc_lo
	v_lshlrev_b64 v[64:65], 3, v[94:95]
	s_delay_alu instid0(VALU_DEP_4) | instskip(SKIP_2) | instid1(VALU_DEP_4)
	v_add_co_u32 v62, vcc_lo, s0, v58
	v_add_co_ci_u32_e32 v63, vcc_lo, s1, v59, vcc_lo
	v_lshlrev_b64 v[58:59], 3, v[96:97]
	v_add_co_u32 v64, vcc_lo, s0, v64
	v_add_co_ci_u32_e32 v65, vcc_lo, s1, v65, vcc_lo
	s_clause 0x3
	global_load_b64 v[80:81], v[48:49], off
	global_load_b64 v[82:83], v[50:51], off
	;; [unrolled: 1-line block ×4, first 2 shown]
	v_add_co_u32 v58, vcc_lo, s0, v58
	v_add_co_ci_u32_e32 v59, vcc_lo, s1, v59, vcc_lo
	s_waitcnt vmcnt(9)
	scratch_store_b128 off, v[66:69], off offset:112
	s_waitcnt vmcnt(7)
	scratch_store_b128 off, v[70:73], off offset:128
	s_clause 0x4
	global_load_b64 v[88:89], v[56:57], off
	global_load_b64 v[66:67], v[60:61], off
	;; [unrolled: 1-line block ×5, first 2 shown]
	s_mov_b32 s1, -1
	s_waitcnt vmcnt(10)
	scratch_store_b128 off, v[74:77], off offset:144
	s_waitcnt vmcnt(8)
	scratch_store_b128 off, v[78:81], off offset:160
	;; [unrolled: 2-line block ×5, first 2 shown]
	s_waitcnt vmcnt(0)
	s_clause 0x1
	scratch_store_b128 off, v[70:73], off offset:224
	scratch_store_b64 off, v[1:2], off offset:240
	s_cbranch_scc1 .LBB30_132
; %bb.4:
	v_cmp_eq_u32_e64 s0, 0, v0
	s_delay_alu instid0(VALU_DEP_1)
	s_and_saveexec_b32 s1, s0
	s_cbranch_execz .LBB30_6
; %bb.5:
	v_mov_b32_e32 v1, 0
	ds_store_b32 v1, v1 offset:248
.LBB30_6:
	s_or_b32 exec_lo, exec_lo, s1
	s_waitcnt lgkmcnt(0)
	s_waitcnt_vscnt null, 0x0
	s_barrier
	buffer_gl0_inv
	scratch_load_b64 v[1:2], v3, off
	s_mov_b32 s2, exec_lo
	s_waitcnt vmcnt(0)
	v_cmpx_eq_f64_e32 0, v[1:2]
	s_cbranch_execz .LBB30_10
; %bb.7:
	v_mov_b32_e32 v1, 0
	s_mov_b32 s3, 0
	ds_load_b32 v2, v1 offset:248
	s_waitcnt lgkmcnt(0)
	v_readfirstlane_b32 s1, v2
	v_add_nc_u32_e32 v2, 1, v0
	s_delay_alu instid0(VALU_DEP_2) | instskip(NEXT) | instid1(VALU_DEP_1)
	s_cmp_eq_u32 s1, 0
	v_cmp_gt_i32_e32 vcc_lo, s1, v2
	s_cselect_b32 s4, -1, 0
	s_delay_alu instid0(SALU_CYCLE_1) | instskip(NEXT) | instid1(SALU_CYCLE_1)
	s_or_b32 s4, s4, vcc_lo
	s_and_b32 exec_lo, exec_lo, s4
	s_cbranch_execz .LBB30_10
; %bb.8:
	v_mov_b32_e32 v66, s1
.LBB30_9:                               ; =>This Inner Loop Header: Depth=1
	ds_cmpstore_rtn_b32 v66, v1, v2, v66 offset:248
	s_waitcnt lgkmcnt(0)
	v_cmp_ne_u32_e32 vcc_lo, 0, v66
	v_cmp_le_i32_e64 s1, v66, v2
	s_delay_alu instid0(VALU_DEP_1) | instskip(NEXT) | instid1(SALU_CYCLE_1)
	s_and_b32 s1, vcc_lo, s1
	s_and_b32 s1, exec_lo, s1
	s_delay_alu instid0(SALU_CYCLE_1) | instskip(NEXT) | instid1(SALU_CYCLE_1)
	s_or_b32 s3, s1, s3
	s_and_not1_b32 exec_lo, exec_lo, s3
	s_cbranch_execnz .LBB30_9
.LBB30_10:
	s_or_b32 exec_lo, exec_lo, s2
	v_mov_b32_e32 v1, 0
	s_barrier
	buffer_gl0_inv
	ds_load_b32 v2, v1 offset:248
	s_and_saveexec_b32 s1, s0
	s_cbranch_execz .LBB30_12
; %bb.11:
	s_lshl_b64 s[2:3], s[14:15], 2
	s_delay_alu instid0(SALU_CYCLE_1)
	s_add_u32 s2, s6, s2
	s_addc_u32 s3, s7, s3
	s_waitcnt lgkmcnt(0)
	global_store_b32 v1, v2, s[2:3]
.LBB30_12:
	s_or_b32 exec_lo, exec_lo, s1
	s_waitcnt lgkmcnt(0)
	v_cmp_ne_u32_e32 vcc_lo, 0, v2
	s_mov_b32 s1, 0
	s_cbranch_vccnz .LBB30_132
; %bb.13:
	v_add_nc_u32_e32 v66, 0, v3
	scratch_load_b64 v[1:2], v66, off
	s_waitcnt vmcnt(0)
	v_div_scale_f64 v[67:68], null, v[1:2], v[1:2], 1.0
	v_div_scale_f64 v[73:74], vcc_lo, 1.0, v[1:2], 1.0
	s_delay_alu instid0(VALU_DEP_2) | instskip(SKIP_2) | instid1(VALU_DEP_1)
	v_rcp_f64_e32 v[69:70], v[67:68]
	s_waitcnt_depctr 0xfff
	v_fma_f64 v[71:72], -v[67:68], v[69:70], 1.0
	v_fma_f64 v[69:70], v[69:70], v[71:72], v[69:70]
	s_delay_alu instid0(VALU_DEP_1) | instskip(NEXT) | instid1(VALU_DEP_1)
	v_fma_f64 v[71:72], -v[67:68], v[69:70], 1.0
	v_fma_f64 v[69:70], v[69:70], v[71:72], v[69:70]
	s_delay_alu instid0(VALU_DEP_1) | instskip(NEXT) | instid1(VALU_DEP_1)
	v_mul_f64 v[71:72], v[73:74], v[69:70]
	v_fma_f64 v[67:68], -v[67:68], v[71:72], v[73:74]
	s_delay_alu instid0(VALU_DEP_1) | instskip(NEXT) | instid1(VALU_DEP_1)
	v_div_fmas_f64 v[67:68], v[67:68], v[69:70], v[71:72]
	v_div_fixup_f64 v[1:2], v[67:68], v[1:2], 1.0
	v_add_nc_u32_e32 v67, 0x100, v3
	scratch_store_b64 v66, v[1:2], off
	scratch_load_b64 v[68:69], off, off offset:8
	v_xor_b32_e32 v2, 0x80000000, v2
	s_waitcnt vmcnt(0)
	ds_store_2addr_b64 v3, v[1:2], v[68:69] offset1:32
	s_waitcnt lgkmcnt(0)
	s_waitcnt_vscnt null, 0x0
	s_barrier
	buffer_gl0_inv
	s_and_saveexec_b32 s1, s0
	s_cbranch_execz .LBB30_15
; %bb.14:
	scratch_load_b64 v[1:2], v66, off
	ds_load_b64 v[68:69], v67
	s_waitcnt vmcnt(0) lgkmcnt(0)
	v_fma_f64 v[1:2], v[1:2], v[68:69], 0
	v_mov_b32_e32 v68, 0
	ds_load_b64 v[68:69], v68 offset:8
	s_waitcnt lgkmcnt(0)
	v_mul_f64 v[1:2], v[1:2], v[68:69]
	scratch_store_b64 off, v[1:2], off offset:8
.LBB30_15:
	s_or_b32 exec_lo, exec_lo, s1
	s_waitcnt_vscnt null, 0x0
	s_barrier
	buffer_gl0_inv
	scratch_load_b64 v[1:2], off, off offset:16
	s_mov_b32 s1, exec_lo
	s_waitcnt vmcnt(0)
	ds_store_b64 v67, v[1:2]
	s_waitcnt lgkmcnt(0)
	s_barrier
	buffer_gl0_inv
	v_cmpx_gt_u32_e32 2, v0
	s_cbranch_execz .LBB30_19
; %bb.16:
	scratch_load_b64 v[1:2], v66, off
	ds_load_b64 v[68:69], v67
	s_waitcnt vmcnt(0) lgkmcnt(0)
	v_fma_f64 v[1:2], v[1:2], v[68:69], 0
	s_and_saveexec_b32 s2, s0
	s_cbranch_execz .LBB30_18
; %bb.17:
	scratch_load_b64 v[68:69], off, off offset:8
	v_mov_b32_e32 v70, 0
	ds_load_b64 v[70:71], v70 offset:264
	s_waitcnt vmcnt(0) lgkmcnt(0)
	v_fma_f64 v[1:2], v[68:69], v[70:71], v[1:2]
.LBB30_18:
	s_or_b32 exec_lo, exec_lo, s2
	v_mov_b32_e32 v68, 0
	ds_load_b64 v[68:69], v68 offset:16
	s_waitcnt lgkmcnt(0)
	v_mul_f64 v[1:2], v[1:2], v[68:69]
	scratch_store_b64 off, v[1:2], off offset:16
.LBB30_19:
	s_or_b32 exec_lo, exec_lo, s1
	s_waitcnt_vscnt null, 0x0
	s_barrier
	buffer_gl0_inv
	scratch_load_b64 v[1:2], off, off offset:24
	v_add_nc_u32_e32 v68, -1, v0
	s_mov_b32 s0, exec_lo
	s_waitcnt vmcnt(0)
	ds_store_b64 v67, v[1:2]
	s_waitcnt lgkmcnt(0)
	s_barrier
	buffer_gl0_inv
	v_cmpx_gt_u32_e32 3, v0
	s_cbranch_execz .LBB30_23
; %bb.20:
	v_dual_mov_b32 v1, 0 :: v_dual_add_nc_u32 v70, 0x100, v3
	v_dual_mov_b32 v2, 0 :: v_dual_add_nc_u32 v69, -1, v0
	v_add_nc_u32_e32 v71, 0, v3
	s_mov_b32 s1, 0
.LBB30_21:                              ; =>This Inner Loop Header: Depth=1
	scratch_load_b64 v[72:73], v71, off
	ds_load_b64 v[74:75], v70
	v_add_nc_u32_e32 v69, 1, v69
	v_add_nc_u32_e32 v70, 8, v70
	v_add_nc_u32_e32 v71, 8, v71
	s_delay_alu instid0(VALU_DEP_3)
	v_cmp_lt_u32_e32 vcc_lo, 1, v69
	s_or_b32 s1, vcc_lo, s1
	s_waitcnt vmcnt(0) lgkmcnt(0)
	v_fma_f64 v[1:2], v[72:73], v[74:75], v[1:2]
	s_and_not1_b32 exec_lo, exec_lo, s1
	s_cbranch_execnz .LBB30_21
; %bb.22:
	s_or_b32 exec_lo, exec_lo, s1
	v_mov_b32_e32 v69, 0
	ds_load_b64 v[69:70], v69 offset:24
	s_waitcnt lgkmcnt(0)
	v_mul_f64 v[1:2], v[1:2], v[69:70]
	scratch_store_b64 off, v[1:2], off offset:24
.LBB30_23:
	s_or_b32 exec_lo, exec_lo, s0
	s_waitcnt_vscnt null, 0x0
	s_barrier
	buffer_gl0_inv
	scratch_load_b64 v[1:2], off, off offset:32
	s_mov_b32 s0, exec_lo
	s_waitcnt vmcnt(0)
	ds_store_b64 v67, v[1:2]
	s_waitcnt lgkmcnt(0)
	s_barrier
	buffer_gl0_inv
	v_cmpx_gt_u32_e32 4, v0
	s_cbranch_execz .LBB30_27
; %bb.24:
	v_dual_mov_b32 v1, 0 :: v_dual_add_nc_u32 v70, 0x100, v3
	v_dual_mov_b32 v2, 0 :: v_dual_add_nc_u32 v69, -1, v0
	v_add_nc_u32_e32 v71, 0, v3
	s_mov_b32 s1, 0
.LBB30_25:                              ; =>This Inner Loop Header: Depth=1
	scratch_load_b64 v[72:73], v71, off
	ds_load_b64 v[74:75], v70
	v_add_nc_u32_e32 v69, 1, v69
	v_add_nc_u32_e32 v70, 8, v70
	v_add_nc_u32_e32 v71, 8, v71
	s_delay_alu instid0(VALU_DEP_3)
	v_cmp_lt_u32_e32 vcc_lo, 2, v69
	s_or_b32 s1, vcc_lo, s1
	s_waitcnt vmcnt(0) lgkmcnt(0)
	v_fma_f64 v[1:2], v[72:73], v[74:75], v[1:2]
	s_and_not1_b32 exec_lo, exec_lo, s1
	s_cbranch_execnz .LBB30_25
; %bb.26:
	s_or_b32 exec_lo, exec_lo, s1
	v_mov_b32_e32 v69, 0
	ds_load_b64 v[69:70], v69 offset:32
	s_waitcnt lgkmcnt(0)
	v_mul_f64 v[1:2], v[1:2], v[69:70]
	scratch_store_b64 off, v[1:2], off offset:32
.LBB30_27:
	s_or_b32 exec_lo, exec_lo, s0
	s_waitcnt_vscnt null, 0x0
	s_barrier
	buffer_gl0_inv
	scratch_load_b64 v[1:2], off, off offset:40
	;; [unrolled: 39-line block ×20, first 2 shown]
	s_mov_b32 s0, exec_lo
	s_waitcnt vmcnt(0)
	ds_store_b64 v67, v[1:2]
	s_waitcnt lgkmcnt(0)
	s_barrier
	buffer_gl0_inv
	v_cmpx_gt_u32_e32 23, v0
	s_cbranch_execz .LBB30_103
; %bb.100:
	v_dual_mov_b32 v1, 0 :: v_dual_add_nc_u32 v70, 0x100, v3
	v_dual_mov_b32 v2, 0 :: v_dual_add_nc_u32 v69, -1, v0
	v_add_nc_u32_e32 v71, 0, v3
	s_mov_b32 s1, 0
.LBB30_101:                             ; =>This Inner Loop Header: Depth=1
	scratch_load_b64 v[72:73], v71, off
	ds_load_b64 v[74:75], v70
	v_add_nc_u32_e32 v69, 1, v69
	v_add_nc_u32_e32 v70, 8, v70
	v_add_nc_u32_e32 v71, 8, v71
	s_delay_alu instid0(VALU_DEP_3)
	v_cmp_lt_u32_e32 vcc_lo, 21, v69
	s_or_b32 s1, vcc_lo, s1
	s_waitcnt vmcnt(0) lgkmcnt(0)
	v_fma_f64 v[1:2], v[72:73], v[74:75], v[1:2]
	s_and_not1_b32 exec_lo, exec_lo, s1
	s_cbranch_execnz .LBB30_101
; %bb.102:
	s_or_b32 exec_lo, exec_lo, s1
	v_mov_b32_e32 v69, 0
	ds_load_b64 v[69:70], v69 offset:184
	s_waitcnt lgkmcnt(0)
	v_mul_f64 v[1:2], v[1:2], v[69:70]
	scratch_store_b64 off, v[1:2], off offset:184
.LBB30_103:
	s_or_b32 exec_lo, exec_lo, s0
	s_waitcnt_vscnt null, 0x0
	s_barrier
	buffer_gl0_inv
	scratch_load_b64 v[1:2], off, off offset:192
	s_mov_b32 s0, exec_lo
	s_waitcnt vmcnt(0)
	ds_store_b64 v67, v[1:2]
	s_waitcnt lgkmcnt(0)
	s_barrier
	buffer_gl0_inv
	v_cmpx_gt_u32_e32 24, v0
	s_cbranch_execz .LBB30_107
; %bb.104:
	v_dual_mov_b32 v1, 0 :: v_dual_add_nc_u32 v70, 0x100, v3
	v_dual_mov_b32 v2, 0 :: v_dual_add_nc_u32 v69, -1, v0
	v_add_nc_u32_e32 v71, 0, v3
	s_mov_b32 s1, 0
.LBB30_105:                             ; =>This Inner Loop Header: Depth=1
	scratch_load_b64 v[72:73], v71, off
	ds_load_b64 v[74:75], v70
	v_add_nc_u32_e32 v69, 1, v69
	v_add_nc_u32_e32 v70, 8, v70
	v_add_nc_u32_e32 v71, 8, v71
	s_delay_alu instid0(VALU_DEP_3)
	v_cmp_lt_u32_e32 vcc_lo, 22, v69
	s_or_b32 s1, vcc_lo, s1
	s_waitcnt vmcnt(0) lgkmcnt(0)
	v_fma_f64 v[1:2], v[72:73], v[74:75], v[1:2]
	s_and_not1_b32 exec_lo, exec_lo, s1
	s_cbranch_execnz .LBB30_105
; %bb.106:
	s_or_b32 exec_lo, exec_lo, s1
	v_mov_b32_e32 v69, 0
	ds_load_b64 v[69:70], v69 offset:192
	s_waitcnt lgkmcnt(0)
	v_mul_f64 v[1:2], v[1:2], v[69:70]
	scratch_store_b64 off, v[1:2], off offset:192
.LBB30_107:
	s_or_b32 exec_lo, exec_lo, s0
	s_waitcnt_vscnt null, 0x0
	s_barrier
	buffer_gl0_inv
	scratch_load_b64 v[1:2], off, off offset:200
	s_mov_b32 s0, exec_lo
	s_waitcnt vmcnt(0)
	ds_store_b64 v67, v[1:2]
	s_waitcnt lgkmcnt(0)
	s_barrier
	buffer_gl0_inv
	v_cmpx_gt_u32_e32 25, v0
	s_cbranch_execz .LBB30_111
; %bb.108:
	v_dual_mov_b32 v1, 0 :: v_dual_add_nc_u32 v70, 0x100, v3
	v_dual_mov_b32 v2, 0 :: v_dual_add_nc_u32 v69, -1, v0
	v_add_nc_u32_e32 v71, 0, v3
	s_mov_b32 s1, 0
.LBB30_109:                             ; =>This Inner Loop Header: Depth=1
	scratch_load_b64 v[72:73], v71, off
	ds_load_b64 v[74:75], v70
	v_add_nc_u32_e32 v69, 1, v69
	v_add_nc_u32_e32 v70, 8, v70
	v_add_nc_u32_e32 v71, 8, v71
	s_delay_alu instid0(VALU_DEP_3)
	v_cmp_lt_u32_e32 vcc_lo, 23, v69
	s_or_b32 s1, vcc_lo, s1
	s_waitcnt vmcnt(0) lgkmcnt(0)
	v_fma_f64 v[1:2], v[72:73], v[74:75], v[1:2]
	s_and_not1_b32 exec_lo, exec_lo, s1
	s_cbranch_execnz .LBB30_109
; %bb.110:
	s_or_b32 exec_lo, exec_lo, s1
	v_mov_b32_e32 v69, 0
	ds_load_b64 v[69:70], v69 offset:200
	s_waitcnt lgkmcnt(0)
	v_mul_f64 v[1:2], v[1:2], v[69:70]
	scratch_store_b64 off, v[1:2], off offset:200
.LBB30_111:
	s_or_b32 exec_lo, exec_lo, s0
	s_waitcnt_vscnt null, 0x0
	s_barrier
	buffer_gl0_inv
	scratch_load_b64 v[1:2], off, off offset:208
	s_mov_b32 s0, exec_lo
	s_waitcnt vmcnt(0)
	ds_store_b64 v67, v[1:2]
	s_waitcnt lgkmcnt(0)
	s_barrier
	buffer_gl0_inv
	v_cmpx_gt_u32_e32 26, v0
	s_cbranch_execz .LBB30_115
; %bb.112:
	v_dual_mov_b32 v1, 0 :: v_dual_add_nc_u32 v70, 0x100, v3
	v_dual_mov_b32 v2, 0 :: v_dual_add_nc_u32 v69, -1, v0
	v_add_nc_u32_e32 v71, 0, v3
	s_mov_b32 s1, 0
.LBB30_113:                             ; =>This Inner Loop Header: Depth=1
	scratch_load_b64 v[72:73], v71, off
	ds_load_b64 v[74:75], v70
	v_add_nc_u32_e32 v69, 1, v69
	v_add_nc_u32_e32 v70, 8, v70
	v_add_nc_u32_e32 v71, 8, v71
	s_delay_alu instid0(VALU_DEP_3)
	v_cmp_lt_u32_e32 vcc_lo, 24, v69
	s_or_b32 s1, vcc_lo, s1
	s_waitcnt vmcnt(0) lgkmcnt(0)
	v_fma_f64 v[1:2], v[72:73], v[74:75], v[1:2]
	s_and_not1_b32 exec_lo, exec_lo, s1
	s_cbranch_execnz .LBB30_113
; %bb.114:
	s_or_b32 exec_lo, exec_lo, s1
	v_mov_b32_e32 v69, 0
	ds_load_b64 v[69:70], v69 offset:208
	s_waitcnt lgkmcnt(0)
	v_mul_f64 v[1:2], v[1:2], v[69:70]
	scratch_store_b64 off, v[1:2], off offset:208
.LBB30_115:
	s_or_b32 exec_lo, exec_lo, s0
	s_waitcnt_vscnt null, 0x0
	s_barrier
	buffer_gl0_inv
	scratch_load_b64 v[1:2], off, off offset:216
	s_mov_b32 s0, exec_lo
	s_waitcnt vmcnt(0)
	ds_store_b64 v67, v[1:2]
	s_waitcnt lgkmcnt(0)
	s_barrier
	buffer_gl0_inv
	v_cmpx_gt_u32_e32 27, v0
	s_cbranch_execz .LBB30_119
; %bb.116:
	v_dual_mov_b32 v1, 0 :: v_dual_add_nc_u32 v70, 0x100, v3
	v_dual_mov_b32 v2, 0 :: v_dual_add_nc_u32 v69, -1, v0
	v_add_nc_u32_e32 v71, 0, v3
	s_mov_b32 s1, 0
.LBB30_117:                             ; =>This Inner Loop Header: Depth=1
	scratch_load_b64 v[72:73], v71, off
	ds_load_b64 v[74:75], v70
	v_add_nc_u32_e32 v69, 1, v69
	v_add_nc_u32_e32 v70, 8, v70
	v_add_nc_u32_e32 v71, 8, v71
	s_delay_alu instid0(VALU_DEP_3)
	v_cmp_lt_u32_e32 vcc_lo, 25, v69
	s_or_b32 s1, vcc_lo, s1
	s_waitcnt vmcnt(0) lgkmcnt(0)
	v_fma_f64 v[1:2], v[72:73], v[74:75], v[1:2]
	s_and_not1_b32 exec_lo, exec_lo, s1
	s_cbranch_execnz .LBB30_117
; %bb.118:
	s_or_b32 exec_lo, exec_lo, s1
	v_mov_b32_e32 v69, 0
	ds_load_b64 v[69:70], v69 offset:216
	s_waitcnt lgkmcnt(0)
	v_mul_f64 v[1:2], v[1:2], v[69:70]
	scratch_store_b64 off, v[1:2], off offset:216
.LBB30_119:
	s_or_b32 exec_lo, exec_lo, s0
	s_waitcnt_vscnt null, 0x0
	s_barrier
	buffer_gl0_inv
	scratch_load_b64 v[1:2], off, off offset:224
	s_mov_b32 s0, exec_lo
	s_waitcnt vmcnt(0)
	ds_store_b64 v67, v[1:2]
	s_waitcnt lgkmcnt(0)
	s_barrier
	buffer_gl0_inv
	v_cmpx_gt_u32_e32 28, v0
	s_cbranch_execz .LBB30_123
; %bb.120:
	v_dual_mov_b32 v1, 0 :: v_dual_add_nc_u32 v70, 0x100, v3
	v_dual_mov_b32 v2, 0 :: v_dual_add_nc_u32 v69, -1, v0
	v_add_nc_u32_e32 v71, 0, v3
	s_mov_b32 s1, 0
.LBB30_121:                             ; =>This Inner Loop Header: Depth=1
	scratch_load_b64 v[72:73], v71, off
	ds_load_b64 v[74:75], v70
	v_add_nc_u32_e32 v69, 1, v69
	v_add_nc_u32_e32 v70, 8, v70
	v_add_nc_u32_e32 v71, 8, v71
	s_delay_alu instid0(VALU_DEP_3)
	v_cmp_lt_u32_e32 vcc_lo, 26, v69
	s_or_b32 s1, vcc_lo, s1
	s_waitcnt vmcnt(0) lgkmcnt(0)
	v_fma_f64 v[1:2], v[72:73], v[74:75], v[1:2]
	s_and_not1_b32 exec_lo, exec_lo, s1
	s_cbranch_execnz .LBB30_121
; %bb.122:
	s_or_b32 exec_lo, exec_lo, s1
	v_mov_b32_e32 v69, 0
	ds_load_b64 v[69:70], v69 offset:224
	s_waitcnt lgkmcnt(0)
	v_mul_f64 v[1:2], v[1:2], v[69:70]
	scratch_store_b64 off, v[1:2], off offset:224
.LBB30_123:
	s_or_b32 exec_lo, exec_lo, s0
	s_waitcnt_vscnt null, 0x0
	s_barrier
	buffer_gl0_inv
	scratch_load_b64 v[1:2], off, off offset:232
	s_mov_b32 s0, exec_lo
	s_waitcnt vmcnt(0)
	ds_store_b64 v67, v[1:2]
	s_waitcnt lgkmcnt(0)
	s_barrier
	buffer_gl0_inv
	v_cmpx_gt_u32_e32 29, v0
	s_cbranch_execz .LBB30_127
; %bb.124:
	v_dual_mov_b32 v1, 0 :: v_dual_add_nc_u32 v70, 0x100, v3
	v_dual_mov_b32 v2, 0 :: v_dual_add_nc_u32 v69, -1, v0
	v_add_nc_u32_e32 v3, 0, v3
	s_mov_b32 s1, 0
.LBB30_125:                             ; =>This Inner Loop Header: Depth=1
	scratch_load_b64 v[71:72], v3, off
	ds_load_b64 v[73:74], v70
	v_add_nc_u32_e32 v69, 1, v69
	v_add_nc_u32_e32 v70, 8, v70
	v_add_nc_u32_e32 v3, 8, v3
	s_delay_alu instid0(VALU_DEP_3)
	v_cmp_lt_u32_e32 vcc_lo, 27, v69
	s_or_b32 s1, vcc_lo, s1
	s_waitcnt vmcnt(0) lgkmcnt(0)
	v_fma_f64 v[1:2], v[71:72], v[73:74], v[1:2]
	s_and_not1_b32 exec_lo, exec_lo, s1
	s_cbranch_execnz .LBB30_125
; %bb.126:
	s_or_b32 exec_lo, exec_lo, s1
	v_mov_b32_e32 v3, 0
	ds_load_b64 v[69:70], v3 offset:232
	s_waitcnt lgkmcnt(0)
	v_mul_f64 v[1:2], v[1:2], v[69:70]
	scratch_store_b64 off, v[1:2], off offset:232
.LBB30_127:
	s_or_b32 exec_lo, exec_lo, s0
	s_waitcnt_vscnt null, 0x0
	s_barrier
	buffer_gl0_inv
	scratch_load_b64 v[1:2], off, off offset:240
	s_mov_b32 s0, exec_lo
	s_waitcnt vmcnt(0)
	ds_store_b64 v67, v[1:2]
	s_waitcnt lgkmcnt(0)
	s_barrier
	buffer_gl0_inv
	v_cmpx_ne_u32_e32 30, v0
	s_cbranch_execz .LBB30_131
; %bb.128:
	v_mov_b32_e32 v1, 0
	v_mov_b32_e32 v2, 0
	s_mov_b32 s1, 0
.LBB30_129:                             ; =>This Inner Loop Header: Depth=1
	scratch_load_b64 v[69:70], v66, off
	ds_load_b64 v[71:72], v67
	v_add_nc_u32_e32 v68, 1, v68
	v_add_nc_u32_e32 v67, 8, v67
	;; [unrolled: 1-line block ×3, first 2 shown]
	s_delay_alu instid0(VALU_DEP_3)
	v_cmp_lt_u32_e32 vcc_lo, 28, v68
	s_or_b32 s1, vcc_lo, s1
	s_waitcnt vmcnt(0) lgkmcnt(0)
	v_fma_f64 v[1:2], v[69:70], v[71:72], v[1:2]
	s_and_not1_b32 exec_lo, exec_lo, s1
	s_cbranch_execnz .LBB30_129
; %bb.130:
	s_or_b32 exec_lo, exec_lo, s1
	v_mov_b32_e32 v3, 0
	ds_load_b64 v[66:67], v3 offset:240
	s_waitcnt lgkmcnt(0)
	v_mul_f64 v[1:2], v[1:2], v[66:67]
	scratch_store_b64 off, v[1:2], off offset:240
.LBB30_131:
	s_or_b32 exec_lo, exec_lo, s0
	s_mov_b32 s1, -1
	s_waitcnt_vscnt null, 0x0
	s_barrier
	buffer_gl0_inv
.LBB30_132:
	s_and_b32 vcc_lo, exec_lo, s1
	s_cbranch_vccz .LBB30_134
; %bb.133:
	s_lshl_b64 s[0:1], s[14:15], 2
	v_mov_b32_e32 v1, 0
	s_add_u32 s0, s6, s0
	s_addc_u32 s1, s7, s1
	global_load_b32 v1, v1, s[0:1]
	s_waitcnt vmcnt(0)
	v_cmp_ne_u32_e32 vcc_lo, 0, v1
	s_cbranch_vccz .LBB30_135
.LBB30_134:
	s_endpgm
.LBB30_135:
	v_lshl_add_u32 v3, v0, 3, 0x100
	s_mov_b32 s0, exec_lo
	v_cmpx_eq_u32_e32 30, v0
	s_cbranch_execz .LBB30_137
; %bb.136:
	scratch_load_b64 v[1:2], off, off offset:232
	v_mov_b32_e32 v66, 0
	s_delay_alu instid0(VALU_DEP_1)
	v_mov_b32_e32 v67, v66
	scratch_store_b64 off, v[66:67], off offset:232
	s_waitcnt vmcnt(0)
	ds_store_b64 v3, v[1:2]
.LBB30_137:
	s_or_b32 exec_lo, exec_lo, s0
	s_waitcnt lgkmcnt(0)
	s_waitcnt_vscnt null, 0x0
	s_barrier
	buffer_gl0_inv
	scratch_load_b128 v[66:69], off, off offset:232
	v_mov_b32_e32 v1, 0
	s_mov_b32 s0, exec_lo
	ds_load_b64 v[70:71], v1 offset:496
	s_waitcnt vmcnt(0) lgkmcnt(0)
	v_fma_f64 v[68:69], v[68:69], v[70:71], 0
	s_delay_alu instid0(VALU_DEP_1)
	v_add_f64 v[66:67], v[66:67], -v[68:69]
	scratch_store_b64 off, v[66:67], off offset:232
	v_cmpx_lt_u32_e32 28, v0
	s_cbranch_execz .LBB30_139
; %bb.138:
	scratch_load_b64 v[66:67], off, off offset:224
	v_mov_b32_e32 v2, v1
	scratch_store_b64 off, v[1:2], off offset:224
	s_waitcnt vmcnt(0)
	ds_store_b64 v3, v[66:67]
.LBB30_139:
	s_or_b32 exec_lo, exec_lo, s0
	s_waitcnt lgkmcnt(0)
	s_waitcnt_vscnt null, 0x0
	s_barrier
	buffer_gl0_inv
	s_clause 0x1
	scratch_load_b128 v[66:69], off, off offset:224
	scratch_load_b64 v[74:75], off, off offset:240
	ds_load_2addr_b64 v[70:73], v1 offset0:61 offset1:62
	s_mov_b32 s0, exec_lo
	s_waitcnt vmcnt(1) lgkmcnt(0)
	v_fma_f64 v[1:2], v[68:69], v[70:71], 0
	s_waitcnt vmcnt(0)
	s_delay_alu instid0(VALU_DEP_1) | instskip(NEXT) | instid1(VALU_DEP_1)
	v_fma_f64 v[1:2], v[74:75], v[72:73], v[1:2]
	v_add_f64 v[1:2], v[66:67], -v[1:2]
	scratch_store_b64 off, v[1:2], off offset:224
	v_cmpx_lt_u32_e32 27, v0
	s_cbranch_execz .LBB30_141
; %bb.140:
	scratch_load_b64 v[1:2], off, off offset:216
	v_mov_b32_e32 v66, 0
	s_delay_alu instid0(VALU_DEP_1)
	v_mov_b32_e32 v67, v66
	scratch_store_b64 off, v[66:67], off offset:216
	s_waitcnt vmcnt(0)
	ds_store_b64 v3, v[1:2]
.LBB30_141:
	s_or_b32 exec_lo, exec_lo, s0
	s_waitcnt lgkmcnt(0)
	s_waitcnt_vscnt null, 0x0
	s_barrier
	buffer_gl0_inv
	s_clause 0x1
	scratch_load_b128 v[66:69], off, off offset:216
	scratch_load_b128 v[70:73], off, off offset:232
	v_mov_b32_e32 v1, 0
	ds_load_b128 v[74:77], v1 offset:480
	ds_load_b64 v[78:79], v1 offset:496
	s_mov_b32 s0, exec_lo
	s_waitcnt vmcnt(1) lgkmcnt(1)
	v_fma_f64 v[68:69], v[68:69], v[74:75], 0
	s_waitcnt vmcnt(0)
	s_delay_alu instid0(VALU_DEP_1) | instskip(SKIP_1) | instid1(VALU_DEP_1)
	v_fma_f64 v[68:69], v[70:71], v[76:77], v[68:69]
	s_waitcnt lgkmcnt(0)
	v_fma_f64 v[68:69], v[72:73], v[78:79], v[68:69]
	s_delay_alu instid0(VALU_DEP_1)
	v_add_f64 v[66:67], v[66:67], -v[68:69]
	scratch_store_b64 off, v[66:67], off offset:216
	v_cmpx_lt_u32_e32 26, v0
	s_cbranch_execz .LBB30_143
; %bb.142:
	scratch_load_b64 v[66:67], off, off offset:208
	v_mov_b32_e32 v2, v1
	scratch_store_b64 off, v[1:2], off offset:208
	s_waitcnt vmcnt(0)
	ds_store_b64 v3, v[66:67]
.LBB30_143:
	s_or_b32 exec_lo, exec_lo, s0
	s_waitcnt lgkmcnt(0)
	s_waitcnt_vscnt null, 0x0
	s_barrier
	buffer_gl0_inv
	s_clause 0x2
	scratch_load_b128 v[66:69], off, off offset:208
	scratch_load_b128 v[70:73], off, off offset:224
	scratch_load_b64 v[82:83], off, off offset:240
	ds_load_2addr_b64 v[74:77], v1 offset0:59 offset1:60
	ds_load_2addr_b64 v[78:81], v1 offset0:61 offset1:62
	s_mov_b32 s0, exec_lo
	s_waitcnt vmcnt(2) lgkmcnt(1)
	v_fma_f64 v[1:2], v[68:69], v[74:75], 0
	s_waitcnt vmcnt(1)
	s_delay_alu instid0(VALU_DEP_1) | instskip(SKIP_1) | instid1(VALU_DEP_1)
	v_fma_f64 v[1:2], v[70:71], v[76:77], v[1:2]
	s_waitcnt lgkmcnt(0)
	v_fma_f64 v[1:2], v[72:73], v[78:79], v[1:2]
	s_waitcnt vmcnt(0)
	s_delay_alu instid0(VALU_DEP_1) | instskip(NEXT) | instid1(VALU_DEP_1)
	v_fma_f64 v[1:2], v[82:83], v[80:81], v[1:2]
	v_add_f64 v[1:2], v[66:67], -v[1:2]
	scratch_store_b64 off, v[1:2], off offset:208
	v_cmpx_lt_u32_e32 25, v0
	s_cbranch_execz .LBB30_145
; %bb.144:
	scratch_load_b64 v[1:2], off, off offset:200
	v_mov_b32_e32 v66, 0
	s_delay_alu instid0(VALU_DEP_1)
	v_mov_b32_e32 v67, v66
	scratch_store_b64 off, v[66:67], off offset:200
	s_waitcnt vmcnt(0)
	ds_store_b64 v3, v[1:2]
.LBB30_145:
	s_or_b32 exec_lo, exec_lo, s0
	s_waitcnt lgkmcnt(0)
	s_waitcnt_vscnt null, 0x0
	s_barrier
	buffer_gl0_inv
	s_clause 0x2
	scratch_load_b128 v[66:69], off, off offset:200
	scratch_load_b128 v[70:73], off, off offset:216
	;; [unrolled: 1-line block ×3, first 2 shown]
	v_mov_b32_e32 v1, 0
	ds_load_b128 v[78:81], v1 offset:464
	ds_load_b128 v[82:85], v1 offset:480
	s_mov_b32 s0, exec_lo
	s_waitcnt vmcnt(2) lgkmcnt(1)
	v_fma_f64 v[68:69], v[68:69], v[78:79], 0
	s_waitcnt vmcnt(1)
	s_delay_alu instid0(VALU_DEP_1) | instskip(SKIP_4) | instid1(VALU_DEP_1)
	v_fma_f64 v[68:69], v[70:71], v[80:81], v[68:69]
	ds_load_b64 v[70:71], v1 offset:496
	s_waitcnt lgkmcnt(1)
	v_fma_f64 v[68:69], v[72:73], v[82:83], v[68:69]
	s_waitcnt vmcnt(0)
	v_fma_f64 v[68:69], v[74:75], v[84:85], v[68:69]
	s_waitcnt lgkmcnt(0)
	s_delay_alu instid0(VALU_DEP_1) | instskip(NEXT) | instid1(VALU_DEP_1)
	v_fma_f64 v[68:69], v[76:77], v[70:71], v[68:69]
	v_add_f64 v[66:67], v[66:67], -v[68:69]
	scratch_store_b64 off, v[66:67], off offset:200
	v_cmpx_lt_u32_e32 24, v0
	s_cbranch_execz .LBB30_147
; %bb.146:
	scratch_load_b64 v[66:67], off, off offset:192
	v_mov_b32_e32 v2, v1
	scratch_store_b64 off, v[1:2], off offset:192
	s_waitcnt vmcnt(0)
	ds_store_b64 v3, v[66:67]
.LBB30_147:
	s_or_b32 exec_lo, exec_lo, s0
	s_waitcnt lgkmcnt(0)
	s_waitcnt_vscnt null, 0x0
	s_barrier
	buffer_gl0_inv
	s_clause 0x3
	scratch_load_b128 v[66:69], off, off offset:192
	scratch_load_b128 v[70:73], off, off offset:208
	;; [unrolled: 1-line block ×3, first 2 shown]
	scratch_load_b64 v[86:87], off, off offset:240
	ds_load_2addr_b64 v[78:81], v1 offset0:57 offset1:58
	ds_load_2addr_b64 v[82:85], v1 offset0:59 offset1:60
	s_mov_b32 s0, exec_lo
	s_waitcnt vmcnt(3) lgkmcnt(1)
	v_fma_f64 v[68:69], v[68:69], v[78:79], 0
	s_waitcnt vmcnt(2)
	s_delay_alu instid0(VALU_DEP_1) | instskip(SKIP_1) | instid1(VALU_DEP_1)
	v_fma_f64 v[68:69], v[70:71], v[80:81], v[68:69]
	s_waitcnt lgkmcnt(0)
	v_fma_f64 v[68:69], v[72:73], v[82:83], v[68:69]
	s_waitcnt vmcnt(1)
	s_delay_alu instid0(VALU_DEP_1) | instskip(SKIP_4) | instid1(VALU_DEP_1)
	v_fma_f64 v[72:73], v[74:75], v[84:85], v[68:69]
	ds_load_2addr_b64 v[68:71], v1 offset0:61 offset1:62
	s_waitcnt lgkmcnt(0)
	v_fma_f64 v[1:2], v[76:77], v[68:69], v[72:73]
	s_waitcnt vmcnt(0)
	v_fma_f64 v[1:2], v[86:87], v[70:71], v[1:2]
	s_delay_alu instid0(VALU_DEP_1)
	v_add_f64 v[1:2], v[66:67], -v[1:2]
	scratch_store_b64 off, v[1:2], off offset:192
	v_cmpx_lt_u32_e32 23, v0
	s_cbranch_execz .LBB30_149
; %bb.148:
	scratch_load_b64 v[1:2], off, off offset:184
	v_mov_b32_e32 v66, 0
	s_delay_alu instid0(VALU_DEP_1)
	v_mov_b32_e32 v67, v66
	scratch_store_b64 off, v[66:67], off offset:184
	s_waitcnt vmcnt(0)
	ds_store_b64 v3, v[1:2]
.LBB30_149:
	s_or_b32 exec_lo, exec_lo, s0
	s_waitcnt lgkmcnt(0)
	s_waitcnt_vscnt null, 0x0
	s_barrier
	buffer_gl0_inv
	s_clause 0x3
	scratch_load_b128 v[66:69], off, off offset:184
	scratch_load_b128 v[70:73], off, off offset:200
	;; [unrolled: 1-line block ×4, first 2 shown]
	v_mov_b32_e32 v1, 0
	ds_load_b128 v[82:85], v1 offset:448
	ds_load_b128 v[86:89], v1 offset:464
	s_mov_b32 s0, exec_lo
	s_waitcnt vmcnt(3) lgkmcnt(1)
	v_fma_f64 v[68:69], v[68:69], v[82:83], 0
	s_waitcnt vmcnt(2)
	s_delay_alu instid0(VALU_DEP_1) | instskip(SKIP_1) | instid1(VALU_DEP_1)
	v_fma_f64 v[68:69], v[70:71], v[84:85], v[68:69]
	s_waitcnt lgkmcnt(0)
	v_fma_f64 v[68:69], v[72:73], v[86:87], v[68:69]
	s_waitcnt vmcnt(1)
	s_delay_alu instid0(VALU_DEP_1)
	v_fma_f64 v[72:73], v[74:75], v[88:89], v[68:69]
	ds_load_b128 v[68:71], v1 offset:480
	ds_load_b64 v[74:75], v1 offset:496
	s_waitcnt lgkmcnt(1)
	v_fma_f64 v[68:69], v[76:77], v[68:69], v[72:73]
	s_waitcnt vmcnt(0)
	s_delay_alu instid0(VALU_DEP_1) | instskip(SKIP_1) | instid1(VALU_DEP_1)
	v_fma_f64 v[68:69], v[78:79], v[70:71], v[68:69]
	s_waitcnt lgkmcnt(0)
	v_fma_f64 v[68:69], v[80:81], v[74:75], v[68:69]
	s_delay_alu instid0(VALU_DEP_1)
	v_add_f64 v[66:67], v[66:67], -v[68:69]
	scratch_store_b64 off, v[66:67], off offset:184
	v_cmpx_lt_u32_e32 22, v0
	s_cbranch_execz .LBB30_151
; %bb.150:
	scratch_load_b64 v[66:67], off, off offset:176
	v_mov_b32_e32 v2, v1
	scratch_store_b64 off, v[1:2], off offset:176
	s_waitcnt vmcnt(0)
	ds_store_b64 v3, v[66:67]
.LBB30_151:
	s_or_b32 exec_lo, exec_lo, s0
	s_waitcnt lgkmcnt(0)
	s_waitcnt_vscnt null, 0x0
	s_barrier
	buffer_gl0_inv
	s_clause 0x4
	scratch_load_b128 v[66:69], off, off offset:176
	scratch_load_b128 v[70:73], off, off offset:192
	;; [unrolled: 1-line block ×4, first 2 shown]
	scratch_load_b64 v[90:91], off, off offset:240
	ds_load_2addr_b64 v[82:85], v1 offset0:55 offset1:56
	ds_load_2addr_b64 v[86:89], v1 offset0:57 offset1:58
	s_mov_b32 s0, exec_lo
	s_waitcnt vmcnt(4) lgkmcnt(1)
	v_fma_f64 v[68:69], v[68:69], v[82:83], 0
	s_waitcnt vmcnt(3)
	s_delay_alu instid0(VALU_DEP_1) | instskip(SKIP_1) | instid1(VALU_DEP_1)
	v_fma_f64 v[68:69], v[70:71], v[84:85], v[68:69]
	s_waitcnt lgkmcnt(0)
	v_fma_f64 v[68:69], v[72:73], v[86:87], v[68:69]
	s_waitcnt vmcnt(2)
	s_delay_alu instid0(VALU_DEP_1)
	v_fma_f64 v[82:83], v[74:75], v[88:89], v[68:69]
	ds_load_2addr_b64 v[68:71], v1 offset0:59 offset1:60
	ds_load_2addr_b64 v[72:75], v1 offset0:61 offset1:62
	s_waitcnt lgkmcnt(1)
	v_fma_f64 v[1:2], v[76:77], v[68:69], v[82:83]
	s_waitcnt vmcnt(1)
	s_delay_alu instid0(VALU_DEP_1) | instskip(SKIP_1) | instid1(VALU_DEP_1)
	v_fma_f64 v[1:2], v[78:79], v[70:71], v[1:2]
	s_waitcnt lgkmcnt(0)
	v_fma_f64 v[1:2], v[80:81], v[72:73], v[1:2]
	s_waitcnt vmcnt(0)
	s_delay_alu instid0(VALU_DEP_1) | instskip(NEXT) | instid1(VALU_DEP_1)
	v_fma_f64 v[1:2], v[90:91], v[74:75], v[1:2]
	v_add_f64 v[1:2], v[66:67], -v[1:2]
	scratch_store_b64 off, v[1:2], off offset:176
	v_cmpx_lt_u32_e32 21, v0
	s_cbranch_execz .LBB30_153
; %bb.152:
	scratch_load_b64 v[1:2], off, off offset:168
	v_mov_b32_e32 v66, 0
	s_delay_alu instid0(VALU_DEP_1)
	v_mov_b32_e32 v67, v66
	scratch_store_b64 off, v[66:67], off offset:168
	s_waitcnt vmcnt(0)
	ds_store_b64 v3, v[1:2]
.LBB30_153:
	s_or_b32 exec_lo, exec_lo, s0
	s_waitcnt lgkmcnt(0)
	s_waitcnt_vscnt null, 0x0
	s_barrier
	buffer_gl0_inv
	s_clause 0x4
	scratch_load_b128 v[66:69], off, off offset:168
	scratch_load_b128 v[70:73], off, off offset:184
	;; [unrolled: 1-line block ×5, first 2 shown]
	v_mov_b32_e32 v1, 0
	ds_load_b128 v[86:89], v1 offset:432
	ds_load_b128 v[90:93], v1 offset:448
	s_mov_b32 s0, exec_lo
	s_waitcnt vmcnt(4) lgkmcnt(1)
	v_fma_f64 v[68:69], v[68:69], v[86:87], 0
	s_waitcnt vmcnt(3)
	s_delay_alu instid0(VALU_DEP_1) | instskip(SKIP_1) | instid1(VALU_DEP_1)
	v_fma_f64 v[68:69], v[70:71], v[88:89], v[68:69]
	s_waitcnt lgkmcnt(0)
	v_fma_f64 v[68:69], v[72:73], v[90:91], v[68:69]
	s_waitcnt vmcnt(2)
	s_delay_alu instid0(VALU_DEP_1)
	v_fma_f64 v[86:87], v[74:75], v[92:93], v[68:69]
	ds_load_b128 v[68:71], v1 offset:464
	ds_load_b128 v[72:75], v1 offset:480
	s_waitcnt lgkmcnt(1)
	v_fma_f64 v[68:69], v[76:77], v[68:69], v[86:87]
	s_waitcnt vmcnt(1)
	s_delay_alu instid0(VALU_DEP_1) | instskip(SKIP_4) | instid1(VALU_DEP_1)
	v_fma_f64 v[68:69], v[78:79], v[70:71], v[68:69]
	ds_load_b64 v[70:71], v1 offset:496
	s_waitcnt lgkmcnt(1)
	v_fma_f64 v[68:69], v[80:81], v[72:73], v[68:69]
	s_waitcnt vmcnt(0)
	v_fma_f64 v[68:69], v[82:83], v[74:75], v[68:69]
	s_waitcnt lgkmcnt(0)
	s_delay_alu instid0(VALU_DEP_1) | instskip(NEXT) | instid1(VALU_DEP_1)
	v_fma_f64 v[68:69], v[84:85], v[70:71], v[68:69]
	v_add_f64 v[66:67], v[66:67], -v[68:69]
	scratch_store_b64 off, v[66:67], off offset:168
	v_cmpx_lt_u32_e32 20, v0
	s_cbranch_execz .LBB30_155
; %bb.154:
	scratch_load_b64 v[66:67], off, off offset:160
	v_mov_b32_e32 v2, v1
	scratch_store_b64 off, v[1:2], off offset:160
	s_waitcnt vmcnt(0)
	ds_store_b64 v3, v[66:67]
.LBB30_155:
	s_or_b32 exec_lo, exec_lo, s0
	s_waitcnt lgkmcnt(0)
	s_waitcnt_vscnt null, 0x0
	s_barrier
	buffer_gl0_inv
	s_clause 0x4
	scratch_load_b128 v[66:69], off, off offset:160
	scratch_load_b128 v[70:73], off, off offset:176
	;; [unrolled: 1-line block ×5, first 2 shown]
	ds_load_2addr_b64 v[86:89], v1 offset0:53 offset1:54
	ds_load_2addr_b64 v[90:93], v1 offset0:55 offset1:56
	s_mov_b32 s0, exec_lo
	s_waitcnt vmcnt(4) lgkmcnt(1)
	v_fma_f64 v[68:69], v[68:69], v[86:87], 0
	scratch_load_b64 v[86:87], off, off offset:240
	s_waitcnt vmcnt(4)
	v_fma_f64 v[68:69], v[70:71], v[88:89], v[68:69]
	s_waitcnt lgkmcnt(0)
	s_delay_alu instid0(VALU_DEP_1) | instskip(SKIP_1) | instid1(VALU_DEP_1)
	v_fma_f64 v[68:69], v[72:73], v[90:91], v[68:69]
	s_waitcnt vmcnt(3)
	v_fma_f64 v[88:89], v[74:75], v[92:93], v[68:69]
	ds_load_2addr_b64 v[68:71], v1 offset0:57 offset1:58
	ds_load_2addr_b64 v[72:75], v1 offset0:59 offset1:60
	s_waitcnt lgkmcnt(1)
	v_fma_f64 v[68:69], v[76:77], v[68:69], v[88:89]
	s_waitcnt vmcnt(2)
	s_delay_alu instid0(VALU_DEP_1) | instskip(SKIP_1) | instid1(VALU_DEP_1)
	v_fma_f64 v[68:69], v[78:79], v[70:71], v[68:69]
	s_waitcnt lgkmcnt(0)
	v_fma_f64 v[68:69], v[80:81], v[72:73], v[68:69]
	s_waitcnt vmcnt(1)
	s_delay_alu instid0(VALU_DEP_1) | instskip(SKIP_4) | instid1(VALU_DEP_1)
	v_fma_f64 v[72:73], v[82:83], v[74:75], v[68:69]
	ds_load_2addr_b64 v[68:71], v1 offset0:61 offset1:62
	s_waitcnt lgkmcnt(0)
	v_fma_f64 v[1:2], v[84:85], v[68:69], v[72:73]
	s_waitcnt vmcnt(0)
	v_fma_f64 v[1:2], v[86:87], v[70:71], v[1:2]
	s_delay_alu instid0(VALU_DEP_1)
	v_add_f64 v[1:2], v[66:67], -v[1:2]
	scratch_store_b64 off, v[1:2], off offset:160
	v_cmpx_lt_u32_e32 19, v0
	s_cbranch_execz .LBB30_157
; %bb.156:
	scratch_load_b64 v[1:2], off, off offset:152
	v_mov_b32_e32 v66, 0
	s_delay_alu instid0(VALU_DEP_1)
	v_mov_b32_e32 v67, v66
	scratch_store_b64 off, v[66:67], off offset:152
	s_waitcnt vmcnt(0)
	ds_store_b64 v3, v[1:2]
.LBB30_157:
	s_or_b32 exec_lo, exec_lo, s0
	s_waitcnt lgkmcnt(0)
	s_waitcnt_vscnt null, 0x0
	s_barrier
	buffer_gl0_inv
	s_clause 0x4
	scratch_load_b128 v[66:69], off, off offset:152
	scratch_load_b128 v[70:73], off, off offset:168
	;; [unrolled: 1-line block ×5, first 2 shown]
	v_mov_b32_e32 v1, 0
	scratch_load_b128 v[90:93], off, off offset:232
	s_mov_b32 s0, exec_lo
	ds_load_b128 v[86:89], v1 offset:416
	s_waitcnt vmcnt(5) lgkmcnt(0)
	v_fma_f64 v[68:69], v[68:69], v[86:87], 0
	s_waitcnt vmcnt(4)
	s_delay_alu instid0(VALU_DEP_1) | instskip(SKIP_4) | instid1(VALU_DEP_1)
	v_fma_f64 v[86:87], v[70:71], v[88:89], v[68:69]
	ds_load_b128 v[68:71], v1 offset:432
	s_waitcnt lgkmcnt(0)
	v_fma_f64 v[68:69], v[72:73], v[68:69], v[86:87]
	s_waitcnt vmcnt(3)
	v_fma_f64 v[72:73], v[74:75], v[70:71], v[68:69]
	ds_load_b128 v[68:71], v1 offset:448
	s_waitcnt lgkmcnt(0)
	v_fma_f64 v[68:69], v[76:77], v[68:69], v[72:73]
	s_waitcnt vmcnt(2)
	s_delay_alu instid0(VALU_DEP_1) | instskip(SKIP_4) | instid1(VALU_DEP_1)
	v_fma_f64 v[72:73], v[78:79], v[70:71], v[68:69]
	ds_load_b128 v[68:71], v1 offset:464
	s_waitcnt lgkmcnt(0)
	v_fma_f64 v[68:69], v[80:81], v[68:69], v[72:73]
	s_waitcnt vmcnt(1)
	v_fma_f64 v[72:73], v[82:83], v[70:71], v[68:69]
	ds_load_b128 v[68:71], v1 offset:480
	s_waitcnt lgkmcnt(0)
	v_fma_f64 v[68:69], v[84:85], v[68:69], v[72:73]
	s_waitcnt vmcnt(0)
	s_delay_alu instid0(VALU_DEP_1) | instskip(SKIP_3) | instid1(VALU_DEP_1)
	v_fma_f64 v[68:69], v[90:91], v[70:71], v[68:69]
	ds_load_b64 v[70:71], v1 offset:496
	s_waitcnt lgkmcnt(0)
	v_fma_f64 v[68:69], v[92:93], v[70:71], v[68:69]
	v_add_f64 v[66:67], v[66:67], -v[68:69]
	scratch_store_b64 off, v[66:67], off offset:152
	v_cmpx_lt_u32_e32 18, v0
	s_cbranch_execz .LBB30_159
; %bb.158:
	scratch_load_b64 v[66:67], off, off offset:144
	v_mov_b32_e32 v2, v1
	scratch_store_b64 off, v[1:2], off offset:144
	s_waitcnt vmcnt(0)
	ds_store_b64 v3, v[66:67]
.LBB30_159:
	s_or_b32 exec_lo, exec_lo, s0
	s_waitcnt lgkmcnt(0)
	s_waitcnt_vscnt null, 0x0
	s_barrier
	buffer_gl0_inv
	s_clause 0x4
	scratch_load_b128 v[66:69], off, off offset:144
	scratch_load_b128 v[70:73], off, off offset:160
	;; [unrolled: 1-line block ×5, first 2 shown]
	ds_load_2addr_b64 v[86:89], v1 offset0:51 offset1:52
	scratch_load_b128 v[90:93], off, off offset:224
	s_mov_b32 s0, exec_lo
	s_waitcnt vmcnt(5) lgkmcnt(0)
	v_fma_f64 v[68:69], v[68:69], v[86:87], 0
	s_waitcnt vmcnt(4)
	s_delay_alu instid0(VALU_DEP_1)
	v_fma_f64 v[86:87], v[70:71], v[88:89], v[68:69]
	ds_load_2addr_b64 v[68:71], v1 offset0:53 offset1:54
	s_waitcnt lgkmcnt(0)
	v_fma_f64 v[68:69], v[72:73], v[68:69], v[86:87]
	scratch_load_b64 v[72:73], off, off offset:240
	s_waitcnt vmcnt(4)
	v_fma_f64 v[74:75], v[74:75], v[70:71], v[68:69]
	ds_load_2addr_b64 v[68:71], v1 offset0:55 offset1:56
	s_waitcnt lgkmcnt(0)
	v_fma_f64 v[68:69], v[76:77], v[68:69], v[74:75]
	s_waitcnt vmcnt(3)
	s_delay_alu instid0(VALU_DEP_1) | instskip(SKIP_4) | instid1(VALU_DEP_1)
	v_fma_f64 v[74:75], v[78:79], v[70:71], v[68:69]
	ds_load_2addr_b64 v[68:71], v1 offset0:57 offset1:58
	s_waitcnt lgkmcnt(0)
	v_fma_f64 v[68:69], v[80:81], v[68:69], v[74:75]
	s_waitcnt vmcnt(2)
	v_fma_f64 v[74:75], v[82:83], v[70:71], v[68:69]
	ds_load_2addr_b64 v[68:71], v1 offset0:59 offset1:60
	s_waitcnt lgkmcnt(0)
	v_fma_f64 v[68:69], v[84:85], v[68:69], v[74:75]
	s_waitcnt vmcnt(1)
	s_delay_alu instid0(VALU_DEP_1) | instskip(SKIP_4) | instid1(VALU_DEP_1)
	v_fma_f64 v[74:75], v[90:91], v[70:71], v[68:69]
	ds_load_2addr_b64 v[68:71], v1 offset0:61 offset1:62
	s_waitcnt lgkmcnt(0)
	v_fma_f64 v[1:2], v[92:93], v[68:69], v[74:75]
	s_waitcnt vmcnt(0)
	v_fma_f64 v[1:2], v[72:73], v[70:71], v[1:2]
	s_delay_alu instid0(VALU_DEP_1)
	v_add_f64 v[1:2], v[66:67], -v[1:2]
	scratch_store_b64 off, v[1:2], off offset:144
	v_cmpx_lt_u32_e32 17, v0
	s_cbranch_execz .LBB30_161
; %bb.160:
	scratch_load_b64 v[1:2], off, off offset:136
	v_mov_b32_e32 v66, 0
	s_delay_alu instid0(VALU_DEP_1)
	v_mov_b32_e32 v67, v66
	scratch_store_b64 off, v[66:67], off offset:136
	s_waitcnt vmcnt(0)
	ds_store_b64 v3, v[1:2]
.LBB30_161:
	s_or_b32 exec_lo, exec_lo, s0
	s_waitcnt lgkmcnt(0)
	s_waitcnt_vscnt null, 0x0
	s_barrier
	buffer_gl0_inv
	s_clause 0x4
	scratch_load_b128 v[66:69], off, off offset:136
	scratch_load_b128 v[70:73], off, off offset:152
	;; [unrolled: 1-line block ×5, first 2 shown]
	v_mov_b32_e32 v1, 0
	scratch_load_b128 v[90:93], off, off offset:216
	s_mov_b32 s0, exec_lo
	ds_load_b128 v[86:89], v1 offset:400
	s_waitcnt vmcnt(5) lgkmcnt(0)
	v_fma_f64 v[68:69], v[68:69], v[86:87], 0
	s_waitcnt vmcnt(4)
	s_delay_alu instid0(VALU_DEP_1)
	v_fma_f64 v[86:87], v[70:71], v[88:89], v[68:69]
	ds_load_b128 v[68:71], v1 offset:416
	s_waitcnt lgkmcnt(0)
	v_fma_f64 v[68:69], v[72:73], v[68:69], v[86:87]
	scratch_load_b128 v[86:89], off, off offset:232
	s_waitcnt vmcnt(4)
	v_fma_f64 v[72:73], v[74:75], v[70:71], v[68:69]
	ds_load_b128 v[68:71], v1 offset:432
	s_waitcnt lgkmcnt(0)
	v_fma_f64 v[68:69], v[76:77], v[68:69], v[72:73]
	s_waitcnt vmcnt(3)
	s_delay_alu instid0(VALU_DEP_1) | instskip(SKIP_4) | instid1(VALU_DEP_1)
	v_fma_f64 v[72:73], v[78:79], v[70:71], v[68:69]
	ds_load_b128 v[68:71], v1 offset:448
	s_waitcnt lgkmcnt(0)
	v_fma_f64 v[68:69], v[80:81], v[68:69], v[72:73]
	s_waitcnt vmcnt(2)
	v_fma_f64 v[72:73], v[82:83], v[70:71], v[68:69]
	ds_load_b128 v[68:71], v1 offset:464
	s_waitcnt lgkmcnt(0)
	v_fma_f64 v[68:69], v[84:85], v[68:69], v[72:73]
	s_waitcnt vmcnt(1)
	s_delay_alu instid0(VALU_DEP_1) | instskip(SKIP_4) | instid1(VALU_DEP_1)
	v_fma_f64 v[72:73], v[90:91], v[70:71], v[68:69]
	ds_load_b128 v[68:71], v1 offset:480
	s_waitcnt lgkmcnt(0)
	v_fma_f64 v[68:69], v[92:93], v[68:69], v[72:73]
	s_waitcnt vmcnt(0)
	v_fma_f64 v[68:69], v[86:87], v[70:71], v[68:69]
	ds_load_b64 v[70:71], v1 offset:496
	s_waitcnt lgkmcnt(0)
	v_fma_f64 v[68:69], v[88:89], v[70:71], v[68:69]
	s_delay_alu instid0(VALU_DEP_1)
	v_add_f64 v[66:67], v[66:67], -v[68:69]
	scratch_store_b64 off, v[66:67], off offset:136
	v_cmpx_lt_u32_e32 16, v0
	s_cbranch_execz .LBB30_163
; %bb.162:
	scratch_load_b64 v[66:67], off, off offset:128
	v_mov_b32_e32 v2, v1
	scratch_store_b64 off, v[1:2], off offset:128
	s_waitcnt vmcnt(0)
	ds_store_b64 v3, v[66:67]
.LBB30_163:
	s_or_b32 exec_lo, exec_lo, s0
	s_waitcnt lgkmcnt(0)
	s_waitcnt_vscnt null, 0x0
	s_barrier
	buffer_gl0_inv
	s_clause 0x4
	scratch_load_b128 v[66:69], off, off offset:128
	scratch_load_b128 v[70:73], off, off offset:144
	;; [unrolled: 1-line block ×5, first 2 shown]
	ds_load_2addr_b64 v[86:89], v1 offset0:49 offset1:50
	scratch_load_b128 v[90:93], off, off offset:208
	s_mov_b32 s0, exec_lo
	s_waitcnt vmcnt(5) lgkmcnt(0)
	v_fma_f64 v[68:69], v[68:69], v[86:87], 0
	s_waitcnt vmcnt(4)
	s_delay_alu instid0(VALU_DEP_1)
	v_fma_f64 v[86:87], v[70:71], v[88:89], v[68:69]
	ds_load_2addr_b64 v[68:71], v1 offset0:51 offset1:52
	s_waitcnt lgkmcnt(0)
	v_fma_f64 v[68:69], v[72:73], v[68:69], v[86:87]
	scratch_load_b128 v[86:89], off, off offset:224
	s_waitcnt vmcnt(4)
	v_fma_f64 v[72:73], v[74:75], v[70:71], v[68:69]
	ds_load_2addr_b64 v[68:71], v1 offset0:53 offset1:54
	s_waitcnt lgkmcnt(0)
	v_fma_f64 v[68:69], v[76:77], v[68:69], v[72:73]
	scratch_load_b64 v[72:73], off, off offset:240
	s_waitcnt vmcnt(4)
	v_fma_f64 v[74:75], v[78:79], v[70:71], v[68:69]
	ds_load_2addr_b64 v[68:71], v1 offset0:55 offset1:56
	s_waitcnt lgkmcnt(0)
	v_fma_f64 v[68:69], v[80:81], v[68:69], v[74:75]
	s_waitcnt vmcnt(3)
	s_delay_alu instid0(VALU_DEP_1) | instskip(SKIP_4) | instid1(VALU_DEP_1)
	v_fma_f64 v[74:75], v[82:83], v[70:71], v[68:69]
	ds_load_2addr_b64 v[68:71], v1 offset0:57 offset1:58
	s_waitcnt lgkmcnt(0)
	v_fma_f64 v[68:69], v[84:85], v[68:69], v[74:75]
	s_waitcnt vmcnt(2)
	v_fma_f64 v[74:75], v[90:91], v[70:71], v[68:69]
	ds_load_2addr_b64 v[68:71], v1 offset0:59 offset1:60
	s_waitcnt lgkmcnt(0)
	v_fma_f64 v[68:69], v[92:93], v[68:69], v[74:75]
	s_waitcnt vmcnt(1)
	s_delay_alu instid0(VALU_DEP_1) | instskip(SKIP_4) | instid1(VALU_DEP_1)
	v_fma_f64 v[74:75], v[86:87], v[70:71], v[68:69]
	ds_load_2addr_b64 v[68:71], v1 offset0:61 offset1:62
	s_waitcnt lgkmcnt(0)
	v_fma_f64 v[1:2], v[88:89], v[68:69], v[74:75]
	s_waitcnt vmcnt(0)
	v_fma_f64 v[1:2], v[72:73], v[70:71], v[1:2]
	s_delay_alu instid0(VALU_DEP_1)
	v_add_f64 v[1:2], v[66:67], -v[1:2]
	scratch_store_b64 off, v[1:2], off offset:128
	v_cmpx_lt_u32_e32 15, v0
	s_cbranch_execz .LBB30_165
; %bb.164:
	scratch_load_b64 v[1:2], off, off offset:120
	v_mov_b32_e32 v66, 0
	s_delay_alu instid0(VALU_DEP_1)
	v_mov_b32_e32 v67, v66
	scratch_store_b64 off, v[66:67], off offset:120
	s_waitcnt vmcnt(0)
	ds_store_b64 v3, v[1:2]
.LBB30_165:
	s_or_b32 exec_lo, exec_lo, s0
	s_waitcnt lgkmcnt(0)
	s_waitcnt_vscnt null, 0x0
	s_barrier
	buffer_gl0_inv
	s_clause 0x4
	scratch_load_b128 v[66:69], off, off offset:120
	scratch_load_b128 v[70:73], off, off offset:136
	;; [unrolled: 1-line block ×5, first 2 shown]
	v_mov_b32_e32 v1, 0
	scratch_load_b128 v[90:93], off, off offset:200
	s_mov_b32 s0, exec_lo
	ds_load_b128 v[86:89], v1 offset:384
	s_waitcnt vmcnt(5) lgkmcnt(0)
	v_fma_f64 v[68:69], v[68:69], v[86:87], 0
	s_waitcnt vmcnt(4)
	s_delay_alu instid0(VALU_DEP_1)
	v_fma_f64 v[86:87], v[70:71], v[88:89], v[68:69]
	ds_load_b128 v[68:71], v1 offset:400
	s_waitcnt lgkmcnt(0)
	v_fma_f64 v[68:69], v[72:73], v[68:69], v[86:87]
	scratch_load_b128 v[86:89], off, off offset:216
	s_waitcnt vmcnt(4)
	v_fma_f64 v[72:73], v[74:75], v[70:71], v[68:69]
	ds_load_b128 v[68:71], v1 offset:416
	s_waitcnt lgkmcnt(0)
	v_fma_f64 v[68:69], v[76:77], v[68:69], v[72:73]
	scratch_load_b128 v[72:75], off, off offset:232
	s_waitcnt vmcnt(4)
	v_fma_f64 v[76:77], v[78:79], v[70:71], v[68:69]
	ds_load_b128 v[68:71], v1 offset:432
	s_waitcnt lgkmcnt(0)
	v_fma_f64 v[68:69], v[80:81], v[68:69], v[76:77]
	s_waitcnt vmcnt(3)
	s_delay_alu instid0(VALU_DEP_1) | instskip(SKIP_4) | instid1(VALU_DEP_1)
	v_fma_f64 v[76:77], v[82:83], v[70:71], v[68:69]
	ds_load_b128 v[68:71], v1 offset:448
	s_waitcnt lgkmcnt(0)
	v_fma_f64 v[68:69], v[84:85], v[68:69], v[76:77]
	s_waitcnt vmcnt(2)
	v_fma_f64 v[76:77], v[90:91], v[70:71], v[68:69]
	ds_load_b128 v[68:71], v1 offset:464
	s_waitcnt lgkmcnt(0)
	v_fma_f64 v[68:69], v[92:93], v[68:69], v[76:77]
	s_waitcnt vmcnt(1)
	s_delay_alu instid0(VALU_DEP_1) | instskip(SKIP_4) | instid1(VALU_DEP_1)
	v_fma_f64 v[76:77], v[86:87], v[70:71], v[68:69]
	ds_load_b128 v[68:71], v1 offset:480
	s_waitcnt lgkmcnt(0)
	v_fma_f64 v[68:69], v[88:89], v[68:69], v[76:77]
	s_waitcnt vmcnt(0)
	v_fma_f64 v[68:69], v[72:73], v[70:71], v[68:69]
	ds_load_b64 v[70:71], v1 offset:496
	s_waitcnt lgkmcnt(0)
	v_fma_f64 v[68:69], v[74:75], v[70:71], v[68:69]
	s_delay_alu instid0(VALU_DEP_1)
	v_add_f64 v[66:67], v[66:67], -v[68:69]
	scratch_store_b64 off, v[66:67], off offset:120
	v_cmpx_lt_u32_e32 14, v0
	s_cbranch_execz .LBB30_167
; %bb.166:
	scratch_load_b64 v[66:67], off, off offset:112
	v_mov_b32_e32 v2, v1
	scratch_store_b64 off, v[1:2], off offset:112
	s_waitcnt vmcnt(0)
	ds_store_b64 v3, v[66:67]
.LBB30_167:
	s_or_b32 exec_lo, exec_lo, s0
	s_waitcnt lgkmcnt(0)
	s_waitcnt_vscnt null, 0x0
	s_barrier
	buffer_gl0_inv
	s_clause 0x4
	scratch_load_b128 v[66:69], off, off offset:112
	scratch_load_b128 v[70:73], off, off offset:128
	;; [unrolled: 1-line block ×5, first 2 shown]
	ds_load_2addr_b64 v[86:89], v1 offset0:47 offset1:48
	scratch_load_b128 v[90:93], off, off offset:192
	s_mov_b32 s0, exec_lo
	s_waitcnt vmcnt(5) lgkmcnt(0)
	v_fma_f64 v[68:69], v[68:69], v[86:87], 0
	s_waitcnt vmcnt(4)
	s_delay_alu instid0(VALU_DEP_1)
	v_fma_f64 v[86:87], v[70:71], v[88:89], v[68:69]
	ds_load_2addr_b64 v[68:71], v1 offset0:49 offset1:50
	s_waitcnt lgkmcnt(0)
	v_fma_f64 v[68:69], v[72:73], v[68:69], v[86:87]
	scratch_load_b128 v[86:89], off, off offset:208
	s_waitcnt vmcnt(4)
	v_fma_f64 v[72:73], v[74:75], v[70:71], v[68:69]
	ds_load_2addr_b64 v[68:71], v1 offset0:51 offset1:52
	s_waitcnt lgkmcnt(0)
	v_fma_f64 v[68:69], v[76:77], v[68:69], v[72:73]
	scratch_load_b128 v[72:75], off, off offset:224
	s_waitcnt vmcnt(4)
	v_fma_f64 v[76:77], v[78:79], v[70:71], v[68:69]
	ds_load_2addr_b64 v[68:71], v1 offset0:53 offset1:54
	s_waitcnt lgkmcnt(0)
	v_fma_f64 v[68:69], v[80:81], v[68:69], v[76:77]
	scratch_load_b64 v[76:77], off, off offset:240
	s_waitcnt vmcnt(4)
	v_fma_f64 v[78:79], v[82:83], v[70:71], v[68:69]
	ds_load_2addr_b64 v[68:71], v1 offset0:55 offset1:56
	s_waitcnt lgkmcnt(0)
	v_fma_f64 v[68:69], v[84:85], v[68:69], v[78:79]
	s_waitcnt vmcnt(3)
	s_delay_alu instid0(VALU_DEP_1) | instskip(SKIP_4) | instid1(VALU_DEP_1)
	v_fma_f64 v[78:79], v[90:91], v[70:71], v[68:69]
	ds_load_2addr_b64 v[68:71], v1 offset0:57 offset1:58
	s_waitcnt lgkmcnt(0)
	v_fma_f64 v[68:69], v[92:93], v[68:69], v[78:79]
	s_waitcnt vmcnt(2)
	v_fma_f64 v[78:79], v[86:87], v[70:71], v[68:69]
	ds_load_2addr_b64 v[68:71], v1 offset0:59 offset1:60
	s_waitcnt lgkmcnt(0)
	v_fma_f64 v[68:69], v[88:89], v[68:69], v[78:79]
	s_waitcnt vmcnt(1)
	s_delay_alu instid0(VALU_DEP_1) | instskip(SKIP_4) | instid1(VALU_DEP_1)
	v_fma_f64 v[72:73], v[72:73], v[70:71], v[68:69]
	ds_load_2addr_b64 v[68:71], v1 offset0:61 offset1:62
	s_waitcnt lgkmcnt(0)
	v_fma_f64 v[1:2], v[74:75], v[68:69], v[72:73]
	s_waitcnt vmcnt(0)
	v_fma_f64 v[1:2], v[76:77], v[70:71], v[1:2]
	s_delay_alu instid0(VALU_DEP_1)
	v_add_f64 v[1:2], v[66:67], -v[1:2]
	scratch_store_b64 off, v[1:2], off offset:112
	v_cmpx_lt_u32_e32 13, v0
	s_cbranch_execz .LBB30_169
; %bb.168:
	scratch_load_b64 v[1:2], off, off offset:104
	v_mov_b32_e32 v66, 0
	s_delay_alu instid0(VALU_DEP_1)
	v_mov_b32_e32 v67, v66
	scratch_store_b64 off, v[66:67], off offset:104
	s_waitcnt vmcnt(0)
	ds_store_b64 v3, v[1:2]
.LBB30_169:
	s_or_b32 exec_lo, exec_lo, s0
	s_waitcnt lgkmcnt(0)
	s_waitcnt_vscnt null, 0x0
	s_barrier
	buffer_gl0_inv
	s_clause 0x4
	scratch_load_b128 v[66:69], off, off offset:104
	scratch_load_b128 v[70:73], off, off offset:120
	;; [unrolled: 1-line block ×5, first 2 shown]
	v_mov_b32_e32 v1, 0
	scratch_load_b128 v[90:93], off, off offset:184
	s_mov_b32 s0, exec_lo
	ds_load_b128 v[86:89], v1 offset:368
	s_waitcnt vmcnt(5) lgkmcnt(0)
	v_fma_f64 v[68:69], v[68:69], v[86:87], 0
	s_waitcnt vmcnt(4)
	s_delay_alu instid0(VALU_DEP_1)
	v_fma_f64 v[86:87], v[70:71], v[88:89], v[68:69]
	ds_load_b128 v[68:71], v1 offset:384
	s_waitcnt lgkmcnt(0)
	v_fma_f64 v[68:69], v[72:73], v[68:69], v[86:87]
	scratch_load_b128 v[86:89], off, off offset:200
	s_waitcnt vmcnt(4)
	v_fma_f64 v[72:73], v[74:75], v[70:71], v[68:69]
	ds_load_b128 v[68:71], v1 offset:400
	s_waitcnt lgkmcnt(0)
	v_fma_f64 v[68:69], v[76:77], v[68:69], v[72:73]
	scratch_load_b128 v[72:75], off, off offset:216
	s_waitcnt vmcnt(4)
	;; [unrolled: 6-line block ×3, first 2 shown]
	v_fma_f64 v[80:81], v[82:83], v[70:71], v[68:69]
	ds_load_b128 v[68:71], v1 offset:432
	s_waitcnt lgkmcnt(0)
	v_fma_f64 v[68:69], v[84:85], v[68:69], v[80:81]
	s_waitcnt vmcnt(3)
	s_delay_alu instid0(VALU_DEP_1) | instskip(SKIP_4) | instid1(VALU_DEP_1)
	v_fma_f64 v[80:81], v[90:91], v[70:71], v[68:69]
	ds_load_b128 v[68:71], v1 offset:448
	s_waitcnt lgkmcnt(0)
	v_fma_f64 v[68:69], v[92:93], v[68:69], v[80:81]
	s_waitcnt vmcnt(2)
	v_fma_f64 v[80:81], v[86:87], v[70:71], v[68:69]
	ds_load_b128 v[68:71], v1 offset:464
	s_waitcnt lgkmcnt(0)
	v_fma_f64 v[68:69], v[88:89], v[68:69], v[80:81]
	s_waitcnt vmcnt(1)
	s_delay_alu instid0(VALU_DEP_1) | instskip(SKIP_4) | instid1(VALU_DEP_1)
	v_fma_f64 v[72:73], v[72:73], v[70:71], v[68:69]
	ds_load_b128 v[68:71], v1 offset:480
	s_waitcnt lgkmcnt(0)
	v_fma_f64 v[68:69], v[74:75], v[68:69], v[72:73]
	s_waitcnt vmcnt(0)
	v_fma_f64 v[68:69], v[76:77], v[70:71], v[68:69]
	ds_load_b64 v[70:71], v1 offset:496
	s_waitcnt lgkmcnt(0)
	v_fma_f64 v[68:69], v[78:79], v[70:71], v[68:69]
	s_delay_alu instid0(VALU_DEP_1)
	v_add_f64 v[66:67], v[66:67], -v[68:69]
	scratch_store_b64 off, v[66:67], off offset:104
	v_cmpx_lt_u32_e32 12, v0
	s_cbranch_execz .LBB30_171
; %bb.170:
	scratch_load_b64 v[66:67], off, off offset:96
	v_mov_b32_e32 v2, v1
	scratch_store_b64 off, v[1:2], off offset:96
	s_waitcnt vmcnt(0)
	ds_store_b64 v3, v[66:67]
.LBB30_171:
	s_or_b32 exec_lo, exec_lo, s0
	s_waitcnt lgkmcnt(0)
	s_waitcnt_vscnt null, 0x0
	s_barrier
	buffer_gl0_inv
	s_clause 0x4
	scratch_load_b128 v[66:69], off, off offset:96
	scratch_load_b128 v[70:73], off, off offset:112
	;; [unrolled: 1-line block ×5, first 2 shown]
	ds_load_2addr_b64 v[86:89], v1 offset0:45 offset1:46
	scratch_load_b128 v[90:93], off, off offset:176
	s_mov_b32 s0, exec_lo
	s_waitcnt vmcnt(5) lgkmcnt(0)
	v_fma_f64 v[68:69], v[68:69], v[86:87], 0
	s_waitcnt vmcnt(4)
	s_delay_alu instid0(VALU_DEP_1)
	v_fma_f64 v[86:87], v[70:71], v[88:89], v[68:69]
	ds_load_2addr_b64 v[68:71], v1 offset0:47 offset1:48
	s_waitcnt lgkmcnt(0)
	v_fma_f64 v[68:69], v[72:73], v[68:69], v[86:87]
	scratch_load_b128 v[86:89], off, off offset:192
	s_waitcnt vmcnt(4)
	v_fma_f64 v[72:73], v[74:75], v[70:71], v[68:69]
	ds_load_2addr_b64 v[68:71], v1 offset0:49 offset1:50
	s_waitcnt lgkmcnt(0)
	v_fma_f64 v[68:69], v[76:77], v[68:69], v[72:73]
	scratch_load_b128 v[72:75], off, off offset:208
	s_waitcnt vmcnt(4)
	;; [unrolled: 6-line block ×3, first 2 shown]
	v_fma_f64 v[80:81], v[82:83], v[70:71], v[68:69]
	ds_load_2addr_b64 v[68:71], v1 offset0:53 offset1:54
	s_waitcnt lgkmcnt(0)
	v_fma_f64 v[68:69], v[84:85], v[68:69], v[80:81]
	scratch_load_b64 v[80:81], off, off offset:240
	s_waitcnt vmcnt(4)
	v_fma_f64 v[82:83], v[90:91], v[70:71], v[68:69]
	ds_load_2addr_b64 v[68:71], v1 offset0:55 offset1:56
	s_waitcnt lgkmcnt(0)
	v_fma_f64 v[68:69], v[92:93], v[68:69], v[82:83]
	s_waitcnt vmcnt(3)
	s_delay_alu instid0(VALU_DEP_1) | instskip(SKIP_4) | instid1(VALU_DEP_1)
	v_fma_f64 v[82:83], v[86:87], v[70:71], v[68:69]
	ds_load_2addr_b64 v[68:71], v1 offset0:57 offset1:58
	s_waitcnt lgkmcnt(0)
	v_fma_f64 v[68:69], v[88:89], v[68:69], v[82:83]
	s_waitcnt vmcnt(2)
	v_fma_f64 v[72:73], v[72:73], v[70:71], v[68:69]
	ds_load_2addr_b64 v[68:71], v1 offset0:59 offset1:60
	s_waitcnt lgkmcnt(0)
	v_fma_f64 v[68:69], v[74:75], v[68:69], v[72:73]
	s_waitcnt vmcnt(1)
	s_delay_alu instid0(VALU_DEP_1) | instskip(SKIP_4) | instid1(VALU_DEP_1)
	v_fma_f64 v[72:73], v[76:77], v[70:71], v[68:69]
	ds_load_2addr_b64 v[68:71], v1 offset0:61 offset1:62
	s_waitcnt lgkmcnt(0)
	v_fma_f64 v[1:2], v[78:79], v[68:69], v[72:73]
	s_waitcnt vmcnt(0)
	v_fma_f64 v[1:2], v[80:81], v[70:71], v[1:2]
	s_delay_alu instid0(VALU_DEP_1)
	v_add_f64 v[1:2], v[66:67], -v[1:2]
	scratch_store_b64 off, v[1:2], off offset:96
	v_cmpx_lt_u32_e32 11, v0
	s_cbranch_execz .LBB30_173
; %bb.172:
	scratch_load_b64 v[1:2], off, off offset:88
	v_mov_b32_e32 v66, 0
	s_delay_alu instid0(VALU_DEP_1)
	v_mov_b32_e32 v67, v66
	scratch_store_b64 off, v[66:67], off offset:88
	s_waitcnt vmcnt(0)
	ds_store_b64 v3, v[1:2]
.LBB30_173:
	s_or_b32 exec_lo, exec_lo, s0
	s_waitcnt lgkmcnt(0)
	s_waitcnt_vscnt null, 0x0
	s_barrier
	buffer_gl0_inv
	s_clause 0x4
	scratch_load_b128 v[66:69], off, off offset:88
	scratch_load_b128 v[70:73], off, off offset:104
	;; [unrolled: 1-line block ×5, first 2 shown]
	v_mov_b32_e32 v1, 0
	scratch_load_b128 v[90:93], off, off offset:168
	s_mov_b32 s0, exec_lo
	ds_load_b128 v[86:89], v1 offset:352
	s_waitcnt vmcnt(5) lgkmcnt(0)
	v_fma_f64 v[68:69], v[68:69], v[86:87], 0
	s_waitcnt vmcnt(4)
	s_delay_alu instid0(VALU_DEP_1)
	v_fma_f64 v[86:87], v[70:71], v[88:89], v[68:69]
	ds_load_b128 v[68:71], v1 offset:368
	s_waitcnt lgkmcnt(0)
	v_fma_f64 v[68:69], v[72:73], v[68:69], v[86:87]
	scratch_load_b128 v[86:89], off, off offset:184
	s_waitcnt vmcnt(4)
	v_fma_f64 v[72:73], v[74:75], v[70:71], v[68:69]
	ds_load_b128 v[68:71], v1 offset:384
	s_waitcnt lgkmcnt(0)
	v_fma_f64 v[68:69], v[76:77], v[68:69], v[72:73]
	scratch_load_b128 v[72:75], off, off offset:200
	s_waitcnt vmcnt(4)
	;; [unrolled: 6-line block ×4, first 2 shown]
	v_fma_f64 v[84:85], v[90:91], v[70:71], v[68:69]
	ds_load_b128 v[68:71], v1 offset:432
	s_waitcnt lgkmcnt(0)
	v_fma_f64 v[68:69], v[92:93], v[68:69], v[84:85]
	s_waitcnt vmcnt(3)
	s_delay_alu instid0(VALU_DEP_1) | instskip(SKIP_4) | instid1(VALU_DEP_1)
	v_fma_f64 v[84:85], v[86:87], v[70:71], v[68:69]
	ds_load_b128 v[68:71], v1 offset:448
	s_waitcnt lgkmcnt(0)
	v_fma_f64 v[68:69], v[88:89], v[68:69], v[84:85]
	s_waitcnt vmcnt(2)
	v_fma_f64 v[72:73], v[72:73], v[70:71], v[68:69]
	ds_load_b128 v[68:71], v1 offset:464
	s_waitcnt lgkmcnt(0)
	v_fma_f64 v[68:69], v[74:75], v[68:69], v[72:73]
	s_waitcnt vmcnt(1)
	s_delay_alu instid0(VALU_DEP_1) | instskip(SKIP_4) | instid1(VALU_DEP_1)
	v_fma_f64 v[72:73], v[76:77], v[70:71], v[68:69]
	ds_load_b128 v[68:71], v1 offset:480
	s_waitcnt lgkmcnt(0)
	v_fma_f64 v[68:69], v[78:79], v[68:69], v[72:73]
	s_waitcnt vmcnt(0)
	v_fma_f64 v[68:69], v[80:81], v[70:71], v[68:69]
	ds_load_b64 v[70:71], v1 offset:496
	s_waitcnt lgkmcnt(0)
	v_fma_f64 v[68:69], v[82:83], v[70:71], v[68:69]
	s_delay_alu instid0(VALU_DEP_1)
	v_add_f64 v[66:67], v[66:67], -v[68:69]
	scratch_store_b64 off, v[66:67], off offset:88
	v_cmpx_lt_u32_e32 10, v0
	s_cbranch_execz .LBB30_175
; %bb.174:
	scratch_load_b64 v[66:67], off, off offset:80
	v_mov_b32_e32 v2, v1
	scratch_store_b64 off, v[1:2], off offset:80
	s_waitcnt vmcnt(0)
	ds_store_b64 v3, v[66:67]
.LBB30_175:
	s_or_b32 exec_lo, exec_lo, s0
	s_waitcnt lgkmcnt(0)
	s_waitcnt_vscnt null, 0x0
	s_barrier
	buffer_gl0_inv
	s_clause 0x4
	scratch_load_b128 v[66:69], off, off offset:80
	scratch_load_b128 v[70:73], off, off offset:96
	;; [unrolled: 1-line block ×5, first 2 shown]
	ds_load_2addr_b64 v[86:89], v1 offset0:43 offset1:44
	scratch_load_b128 v[90:93], off, off offset:160
	s_mov_b32 s0, exec_lo
	s_waitcnt vmcnt(5) lgkmcnt(0)
	v_fma_f64 v[68:69], v[68:69], v[86:87], 0
	s_waitcnt vmcnt(4)
	s_delay_alu instid0(VALU_DEP_1)
	v_fma_f64 v[86:87], v[70:71], v[88:89], v[68:69]
	ds_load_2addr_b64 v[68:71], v1 offset0:45 offset1:46
	s_waitcnt lgkmcnt(0)
	v_fma_f64 v[68:69], v[72:73], v[68:69], v[86:87]
	scratch_load_b128 v[86:89], off, off offset:176
	s_waitcnt vmcnt(4)
	v_fma_f64 v[72:73], v[74:75], v[70:71], v[68:69]
	ds_load_2addr_b64 v[68:71], v1 offset0:47 offset1:48
	s_waitcnt lgkmcnt(0)
	v_fma_f64 v[68:69], v[76:77], v[68:69], v[72:73]
	scratch_load_b128 v[72:75], off, off offset:192
	s_waitcnt vmcnt(4)
	;; [unrolled: 6-line block ×4, first 2 shown]
	v_fma_f64 v[84:85], v[90:91], v[70:71], v[68:69]
	ds_load_2addr_b64 v[68:71], v1 offset0:53 offset1:54
	s_waitcnt lgkmcnt(0)
	v_fma_f64 v[68:69], v[92:93], v[68:69], v[84:85]
	scratch_load_b64 v[84:85], off, off offset:240
	s_waitcnt vmcnt(4)
	v_fma_f64 v[86:87], v[86:87], v[70:71], v[68:69]
	ds_load_2addr_b64 v[68:71], v1 offset0:55 offset1:56
	s_waitcnt lgkmcnt(0)
	v_fma_f64 v[68:69], v[88:89], v[68:69], v[86:87]
	s_waitcnt vmcnt(3)
	s_delay_alu instid0(VALU_DEP_1) | instskip(SKIP_4) | instid1(VALU_DEP_1)
	v_fma_f64 v[72:73], v[72:73], v[70:71], v[68:69]
	ds_load_2addr_b64 v[68:71], v1 offset0:57 offset1:58
	s_waitcnt lgkmcnt(0)
	v_fma_f64 v[68:69], v[74:75], v[68:69], v[72:73]
	s_waitcnt vmcnt(2)
	v_fma_f64 v[72:73], v[76:77], v[70:71], v[68:69]
	ds_load_2addr_b64 v[68:71], v1 offset0:59 offset1:60
	s_waitcnt lgkmcnt(0)
	v_fma_f64 v[68:69], v[78:79], v[68:69], v[72:73]
	s_waitcnt vmcnt(1)
	s_delay_alu instid0(VALU_DEP_1) | instskip(SKIP_4) | instid1(VALU_DEP_1)
	v_fma_f64 v[72:73], v[80:81], v[70:71], v[68:69]
	ds_load_2addr_b64 v[68:71], v1 offset0:61 offset1:62
	s_waitcnt lgkmcnt(0)
	v_fma_f64 v[1:2], v[82:83], v[68:69], v[72:73]
	s_waitcnt vmcnt(0)
	v_fma_f64 v[1:2], v[84:85], v[70:71], v[1:2]
	s_delay_alu instid0(VALU_DEP_1)
	v_add_f64 v[1:2], v[66:67], -v[1:2]
	scratch_store_b64 off, v[1:2], off offset:80
	v_cmpx_lt_u32_e32 9, v0
	s_cbranch_execz .LBB30_177
; %bb.176:
	scratch_load_b64 v[1:2], off, off offset:72
	v_mov_b32_e32 v66, 0
	s_delay_alu instid0(VALU_DEP_1)
	v_mov_b32_e32 v67, v66
	scratch_store_b64 off, v[66:67], off offset:72
	s_waitcnt vmcnt(0)
	ds_store_b64 v3, v[1:2]
.LBB30_177:
	s_or_b32 exec_lo, exec_lo, s0
	s_waitcnt lgkmcnt(0)
	s_waitcnt_vscnt null, 0x0
	s_barrier
	buffer_gl0_inv
	s_clause 0x4
	scratch_load_b128 v[66:69], off, off offset:72
	scratch_load_b128 v[70:73], off, off offset:88
	;; [unrolled: 1-line block ×5, first 2 shown]
	v_mov_b32_e32 v1, 0
	scratch_load_b128 v[90:93], off, off offset:152
	s_mov_b32 s0, exec_lo
	ds_load_b128 v[86:89], v1 offset:336
	s_waitcnt vmcnt(5) lgkmcnt(0)
	v_fma_f64 v[68:69], v[68:69], v[86:87], 0
	s_waitcnt vmcnt(4)
	s_delay_alu instid0(VALU_DEP_1)
	v_fma_f64 v[86:87], v[70:71], v[88:89], v[68:69]
	ds_load_b128 v[68:71], v1 offset:352
	s_waitcnt lgkmcnt(0)
	v_fma_f64 v[68:69], v[72:73], v[68:69], v[86:87]
	scratch_load_b128 v[86:89], off, off offset:168
	s_waitcnt vmcnt(4)
	v_fma_f64 v[72:73], v[74:75], v[70:71], v[68:69]
	ds_load_b128 v[68:71], v1 offset:368
	s_waitcnt lgkmcnt(0)
	v_fma_f64 v[68:69], v[76:77], v[68:69], v[72:73]
	scratch_load_b128 v[72:75], off, off offset:184
	s_waitcnt vmcnt(4)
	;; [unrolled: 6-line block ×5, first 2 shown]
	v_fma_f64 v[84:85], v[86:87], v[70:71], v[68:69]
	ds_load_b128 v[68:71], v1 offset:432
	s_waitcnt lgkmcnt(0)
	v_fma_f64 v[68:69], v[88:89], v[68:69], v[84:85]
	s_waitcnt vmcnt(3)
	s_delay_alu instid0(VALU_DEP_1) | instskip(SKIP_4) | instid1(VALU_DEP_1)
	v_fma_f64 v[72:73], v[72:73], v[70:71], v[68:69]
	ds_load_b128 v[68:71], v1 offset:448
	s_waitcnt lgkmcnt(0)
	v_fma_f64 v[68:69], v[74:75], v[68:69], v[72:73]
	s_waitcnt vmcnt(2)
	v_fma_f64 v[72:73], v[76:77], v[70:71], v[68:69]
	ds_load_b128 v[68:71], v1 offset:464
	s_waitcnt lgkmcnt(0)
	v_fma_f64 v[68:69], v[78:79], v[68:69], v[72:73]
	s_waitcnt vmcnt(1)
	s_delay_alu instid0(VALU_DEP_1) | instskip(SKIP_4) | instid1(VALU_DEP_1)
	v_fma_f64 v[72:73], v[80:81], v[70:71], v[68:69]
	ds_load_b128 v[68:71], v1 offset:480
	s_waitcnt lgkmcnt(0)
	v_fma_f64 v[68:69], v[82:83], v[68:69], v[72:73]
	s_waitcnt vmcnt(0)
	v_fma_f64 v[68:69], v[90:91], v[70:71], v[68:69]
	ds_load_b64 v[70:71], v1 offset:496
	s_waitcnt lgkmcnt(0)
	v_fma_f64 v[68:69], v[92:93], v[70:71], v[68:69]
	s_delay_alu instid0(VALU_DEP_1)
	v_add_f64 v[66:67], v[66:67], -v[68:69]
	scratch_store_b64 off, v[66:67], off offset:72
	v_cmpx_lt_u32_e32 8, v0
	s_cbranch_execz .LBB30_179
; %bb.178:
	scratch_load_b64 v[66:67], off, off offset:64
	v_mov_b32_e32 v2, v1
	scratch_store_b64 off, v[1:2], off offset:64
	s_waitcnt vmcnt(0)
	ds_store_b64 v3, v[66:67]
.LBB30_179:
	s_or_b32 exec_lo, exec_lo, s0
	s_waitcnt lgkmcnt(0)
	s_waitcnt_vscnt null, 0x0
	s_barrier
	buffer_gl0_inv
	s_clause 0x4
	scratch_load_b128 v[66:69], off, off offset:64
	scratch_load_b128 v[70:73], off, off offset:80
	;; [unrolled: 1-line block ×5, first 2 shown]
	ds_load_2addr_b64 v[86:89], v1 offset0:41 offset1:42
	scratch_load_b128 v[90:93], off, off offset:144
	s_mov_b32 s0, exec_lo
	s_waitcnt vmcnt(5) lgkmcnt(0)
	v_fma_f64 v[68:69], v[68:69], v[86:87], 0
	s_waitcnt vmcnt(4)
	s_delay_alu instid0(VALU_DEP_1)
	v_fma_f64 v[86:87], v[70:71], v[88:89], v[68:69]
	ds_load_2addr_b64 v[68:71], v1 offset0:43 offset1:44
	s_waitcnt lgkmcnt(0)
	v_fma_f64 v[68:69], v[72:73], v[68:69], v[86:87]
	scratch_load_b128 v[86:89], off, off offset:160
	s_waitcnt vmcnt(4)
	v_fma_f64 v[72:73], v[74:75], v[70:71], v[68:69]
	ds_load_2addr_b64 v[68:71], v1 offset0:45 offset1:46
	s_waitcnt lgkmcnt(0)
	v_fma_f64 v[68:69], v[76:77], v[68:69], v[72:73]
	scratch_load_b128 v[72:75], off, off offset:176
	s_waitcnt vmcnt(4)
	;; [unrolled: 6-line block ×5, first 2 shown]
	v_fma_f64 v[84:85], v[86:87], v[70:71], v[68:69]
	ds_load_2addr_b64 v[68:71], v1 offset0:53 offset1:54
	s_waitcnt lgkmcnt(0)
	v_fma_f64 v[68:69], v[88:89], v[68:69], v[84:85]
	scratch_load_b64 v[84:85], off, off offset:240
	s_waitcnt vmcnt(4)
	v_fma_f64 v[72:73], v[72:73], v[70:71], v[68:69]
	ds_load_2addr_b64 v[68:71], v1 offset0:55 offset1:56
	s_waitcnt lgkmcnt(0)
	v_fma_f64 v[68:69], v[74:75], v[68:69], v[72:73]
	s_waitcnt vmcnt(3)
	s_delay_alu instid0(VALU_DEP_1) | instskip(SKIP_4) | instid1(VALU_DEP_1)
	v_fma_f64 v[72:73], v[76:77], v[70:71], v[68:69]
	ds_load_2addr_b64 v[68:71], v1 offset0:57 offset1:58
	s_waitcnt lgkmcnt(0)
	v_fma_f64 v[68:69], v[78:79], v[68:69], v[72:73]
	s_waitcnt vmcnt(2)
	v_fma_f64 v[72:73], v[80:81], v[70:71], v[68:69]
	ds_load_2addr_b64 v[68:71], v1 offset0:59 offset1:60
	s_waitcnt lgkmcnt(0)
	v_fma_f64 v[68:69], v[82:83], v[68:69], v[72:73]
	s_waitcnt vmcnt(1)
	s_delay_alu instid0(VALU_DEP_1) | instskip(SKIP_4) | instid1(VALU_DEP_1)
	v_fma_f64 v[72:73], v[90:91], v[70:71], v[68:69]
	ds_load_2addr_b64 v[68:71], v1 offset0:61 offset1:62
	s_waitcnt lgkmcnt(0)
	v_fma_f64 v[1:2], v[92:93], v[68:69], v[72:73]
	s_waitcnt vmcnt(0)
	v_fma_f64 v[1:2], v[84:85], v[70:71], v[1:2]
	s_delay_alu instid0(VALU_DEP_1)
	v_add_f64 v[1:2], v[66:67], -v[1:2]
	scratch_store_b64 off, v[1:2], off offset:64
	v_cmpx_lt_u32_e32 7, v0
	s_cbranch_execz .LBB30_181
; %bb.180:
	scratch_load_b64 v[1:2], off, off offset:56
	v_mov_b32_e32 v66, 0
	s_delay_alu instid0(VALU_DEP_1)
	v_mov_b32_e32 v67, v66
	scratch_store_b64 off, v[66:67], off offset:56
	s_waitcnt vmcnt(0)
	ds_store_b64 v3, v[1:2]
.LBB30_181:
	s_or_b32 exec_lo, exec_lo, s0
	s_waitcnt lgkmcnt(0)
	s_waitcnt_vscnt null, 0x0
	s_barrier
	buffer_gl0_inv
	s_clause 0x4
	scratch_load_b128 v[66:69], off, off offset:56
	scratch_load_b128 v[70:73], off, off offset:72
	;; [unrolled: 1-line block ×5, first 2 shown]
	v_mov_b32_e32 v1, 0
	scratch_load_b128 v[90:93], off, off offset:136
	s_mov_b32 s0, exec_lo
	ds_load_b128 v[86:89], v1 offset:320
	s_waitcnt vmcnt(5) lgkmcnt(0)
	v_fma_f64 v[68:69], v[68:69], v[86:87], 0
	s_waitcnt vmcnt(4)
	s_delay_alu instid0(VALU_DEP_1)
	v_fma_f64 v[86:87], v[70:71], v[88:89], v[68:69]
	ds_load_b128 v[68:71], v1 offset:336
	s_waitcnt lgkmcnt(0)
	v_fma_f64 v[68:69], v[72:73], v[68:69], v[86:87]
	scratch_load_b128 v[86:89], off, off offset:152
	s_waitcnt vmcnt(4)
	v_fma_f64 v[72:73], v[74:75], v[70:71], v[68:69]
	ds_load_b128 v[68:71], v1 offset:352
	s_waitcnt lgkmcnt(0)
	v_fma_f64 v[68:69], v[76:77], v[68:69], v[72:73]
	scratch_load_b128 v[72:75], off, off offset:168
	s_waitcnt vmcnt(4)
	;; [unrolled: 6-line block ×6, first 2 shown]
	v_fma_f64 v[72:73], v[72:73], v[70:71], v[68:69]
	ds_load_b128 v[68:71], v1 offset:432
	s_waitcnt lgkmcnt(0)
	v_fma_f64 v[68:69], v[74:75], v[68:69], v[72:73]
	s_waitcnt vmcnt(3)
	s_delay_alu instid0(VALU_DEP_1) | instskip(SKIP_4) | instid1(VALU_DEP_1)
	v_fma_f64 v[72:73], v[76:77], v[70:71], v[68:69]
	ds_load_b128 v[68:71], v1 offset:448
	s_waitcnt lgkmcnt(0)
	v_fma_f64 v[68:69], v[78:79], v[68:69], v[72:73]
	s_waitcnt vmcnt(2)
	v_fma_f64 v[72:73], v[80:81], v[70:71], v[68:69]
	ds_load_b128 v[68:71], v1 offset:464
	s_waitcnt lgkmcnt(0)
	v_fma_f64 v[68:69], v[82:83], v[68:69], v[72:73]
	s_waitcnt vmcnt(1)
	s_delay_alu instid0(VALU_DEP_1) | instskip(SKIP_4) | instid1(VALU_DEP_1)
	v_fma_f64 v[72:73], v[90:91], v[70:71], v[68:69]
	ds_load_b128 v[68:71], v1 offset:480
	s_waitcnt lgkmcnt(0)
	v_fma_f64 v[68:69], v[92:93], v[68:69], v[72:73]
	s_waitcnt vmcnt(0)
	v_fma_f64 v[68:69], v[84:85], v[70:71], v[68:69]
	ds_load_b64 v[70:71], v1 offset:496
	s_waitcnt lgkmcnt(0)
	v_fma_f64 v[68:69], v[86:87], v[70:71], v[68:69]
	s_delay_alu instid0(VALU_DEP_1)
	v_add_f64 v[66:67], v[66:67], -v[68:69]
	scratch_store_b64 off, v[66:67], off offset:56
	v_cmpx_lt_u32_e32 6, v0
	s_cbranch_execz .LBB30_183
; %bb.182:
	scratch_load_b64 v[66:67], off, off offset:48
	v_mov_b32_e32 v2, v1
	scratch_store_b64 off, v[1:2], off offset:48
	s_waitcnt vmcnt(0)
	ds_store_b64 v3, v[66:67]
.LBB30_183:
	s_or_b32 exec_lo, exec_lo, s0
	s_waitcnt lgkmcnt(0)
	s_waitcnt_vscnt null, 0x0
	s_barrier
	buffer_gl0_inv
	s_clause 0x4
	scratch_load_b128 v[66:69], off, off offset:48
	scratch_load_b128 v[70:73], off, off offset:64
	scratch_load_b128 v[74:77], off, off offset:80
	scratch_load_b128 v[78:81], off, off offset:96
	scratch_load_b128 v[82:85], off, off offset:112
	ds_load_2addr_b64 v[86:89], v1 offset0:39 offset1:40
	scratch_load_b128 v[90:93], off, off offset:128
	s_mov_b32 s0, exec_lo
	s_waitcnt vmcnt(5) lgkmcnt(0)
	v_fma_f64 v[68:69], v[68:69], v[86:87], 0
	s_waitcnt vmcnt(4)
	s_delay_alu instid0(VALU_DEP_1)
	v_fma_f64 v[86:87], v[70:71], v[88:89], v[68:69]
	ds_load_2addr_b64 v[68:71], v1 offset0:41 offset1:42
	s_waitcnt lgkmcnt(0)
	v_fma_f64 v[68:69], v[72:73], v[68:69], v[86:87]
	scratch_load_b128 v[86:89], off, off offset:144
	s_waitcnt vmcnt(4)
	v_fma_f64 v[72:73], v[74:75], v[70:71], v[68:69]
	ds_load_2addr_b64 v[68:71], v1 offset0:43 offset1:44
	s_waitcnt lgkmcnt(0)
	v_fma_f64 v[68:69], v[76:77], v[68:69], v[72:73]
	scratch_load_b128 v[72:75], off, off offset:160
	s_waitcnt vmcnt(4)
	;; [unrolled: 6-line block ×6, first 2 shown]
	v_fma_f64 v[72:73], v[72:73], v[70:71], v[68:69]
	ds_load_2addr_b64 v[68:71], v1 offset0:53 offset1:54
	s_waitcnt lgkmcnt(0)
	v_fma_f64 v[68:69], v[74:75], v[68:69], v[72:73]
	scratch_load_b64 v[72:73], off, off offset:240
	s_waitcnt vmcnt(4)
	v_fma_f64 v[74:75], v[76:77], v[70:71], v[68:69]
	ds_load_2addr_b64 v[68:71], v1 offset0:55 offset1:56
	s_waitcnt lgkmcnt(0)
	v_fma_f64 v[68:69], v[78:79], v[68:69], v[74:75]
	s_waitcnt vmcnt(3)
	s_delay_alu instid0(VALU_DEP_1) | instskip(SKIP_4) | instid1(VALU_DEP_1)
	v_fma_f64 v[74:75], v[80:81], v[70:71], v[68:69]
	ds_load_2addr_b64 v[68:71], v1 offset0:57 offset1:58
	s_waitcnt lgkmcnt(0)
	v_fma_f64 v[68:69], v[82:83], v[68:69], v[74:75]
	s_waitcnt vmcnt(2)
	v_fma_f64 v[74:75], v[90:91], v[70:71], v[68:69]
	ds_load_2addr_b64 v[68:71], v1 offset0:59 offset1:60
	s_waitcnt lgkmcnt(0)
	v_fma_f64 v[68:69], v[92:93], v[68:69], v[74:75]
	s_waitcnt vmcnt(1)
	s_delay_alu instid0(VALU_DEP_1) | instskip(SKIP_4) | instid1(VALU_DEP_1)
	v_fma_f64 v[74:75], v[84:85], v[70:71], v[68:69]
	ds_load_2addr_b64 v[68:71], v1 offset0:61 offset1:62
	s_waitcnt lgkmcnt(0)
	v_fma_f64 v[1:2], v[86:87], v[68:69], v[74:75]
	s_waitcnt vmcnt(0)
	v_fma_f64 v[1:2], v[72:73], v[70:71], v[1:2]
	s_delay_alu instid0(VALU_DEP_1)
	v_add_f64 v[1:2], v[66:67], -v[1:2]
	scratch_store_b64 off, v[1:2], off offset:48
	v_cmpx_lt_u32_e32 5, v0
	s_cbranch_execz .LBB30_185
; %bb.184:
	scratch_load_b64 v[1:2], off, off offset:40
	v_mov_b32_e32 v66, 0
	s_delay_alu instid0(VALU_DEP_1)
	v_mov_b32_e32 v67, v66
	scratch_store_b64 off, v[66:67], off offset:40
	s_waitcnt vmcnt(0)
	ds_store_b64 v3, v[1:2]
.LBB30_185:
	s_or_b32 exec_lo, exec_lo, s0
	s_waitcnt lgkmcnt(0)
	s_waitcnt_vscnt null, 0x0
	s_barrier
	buffer_gl0_inv
	s_clause 0x4
	scratch_load_b128 v[66:69], off, off offset:40
	scratch_load_b128 v[70:73], off, off offset:56
	;; [unrolled: 1-line block ×5, first 2 shown]
	v_mov_b32_e32 v1, 0
	scratch_load_b128 v[90:93], off, off offset:120
	s_mov_b32 s0, exec_lo
	ds_load_b128 v[86:89], v1 offset:304
	s_waitcnt vmcnt(5) lgkmcnt(0)
	v_fma_f64 v[68:69], v[68:69], v[86:87], 0
	s_waitcnt vmcnt(4)
	s_delay_alu instid0(VALU_DEP_1)
	v_fma_f64 v[86:87], v[70:71], v[88:89], v[68:69]
	ds_load_b128 v[68:71], v1 offset:320
	s_waitcnt lgkmcnt(0)
	v_fma_f64 v[68:69], v[72:73], v[68:69], v[86:87]
	scratch_load_b128 v[86:89], off, off offset:136
	s_waitcnt vmcnt(4)
	v_fma_f64 v[72:73], v[74:75], v[70:71], v[68:69]
	ds_load_b128 v[68:71], v1 offset:336
	s_waitcnt lgkmcnt(0)
	v_fma_f64 v[68:69], v[76:77], v[68:69], v[72:73]
	scratch_load_b128 v[72:75], off, off offset:152
	s_waitcnt vmcnt(4)
	;; [unrolled: 6-line block ×7, first 2 shown]
	v_fma_f64 v[76:77], v[76:77], v[70:71], v[68:69]
	ds_load_b128 v[68:71], v1 offset:432
	s_waitcnt lgkmcnt(0)
	v_fma_f64 v[68:69], v[78:79], v[68:69], v[76:77]
	s_waitcnt vmcnt(3)
	s_delay_alu instid0(VALU_DEP_1) | instskip(SKIP_4) | instid1(VALU_DEP_1)
	v_fma_f64 v[76:77], v[80:81], v[70:71], v[68:69]
	ds_load_b128 v[68:71], v1 offset:448
	s_waitcnt lgkmcnt(0)
	v_fma_f64 v[68:69], v[82:83], v[68:69], v[76:77]
	s_waitcnt vmcnt(2)
	v_fma_f64 v[76:77], v[90:91], v[70:71], v[68:69]
	ds_load_b128 v[68:71], v1 offset:464
	s_waitcnt lgkmcnt(0)
	v_fma_f64 v[68:69], v[92:93], v[68:69], v[76:77]
	s_waitcnt vmcnt(1)
	s_delay_alu instid0(VALU_DEP_1) | instskip(SKIP_4) | instid1(VALU_DEP_1)
	v_fma_f64 v[76:77], v[84:85], v[70:71], v[68:69]
	ds_load_b128 v[68:71], v1 offset:480
	s_waitcnt lgkmcnt(0)
	v_fma_f64 v[68:69], v[86:87], v[68:69], v[76:77]
	s_waitcnt vmcnt(0)
	v_fma_f64 v[68:69], v[72:73], v[70:71], v[68:69]
	ds_load_b64 v[70:71], v1 offset:496
	s_waitcnt lgkmcnt(0)
	v_fma_f64 v[68:69], v[74:75], v[70:71], v[68:69]
	s_delay_alu instid0(VALU_DEP_1)
	v_add_f64 v[66:67], v[66:67], -v[68:69]
	scratch_store_b64 off, v[66:67], off offset:40
	v_cmpx_lt_u32_e32 4, v0
	s_cbranch_execz .LBB30_187
; %bb.186:
	scratch_load_b64 v[66:67], off, off offset:32
	v_mov_b32_e32 v2, v1
	scratch_store_b64 off, v[1:2], off offset:32
	s_waitcnt vmcnt(0)
	ds_store_b64 v3, v[66:67]
.LBB30_187:
	s_or_b32 exec_lo, exec_lo, s0
	s_waitcnt lgkmcnt(0)
	s_waitcnt_vscnt null, 0x0
	s_barrier
	buffer_gl0_inv
	s_clause 0x4
	scratch_load_b128 v[66:69], off, off offset:32
	scratch_load_b128 v[70:73], off, off offset:48
	;; [unrolled: 1-line block ×5, first 2 shown]
	ds_load_2addr_b64 v[86:89], v1 offset0:37 offset1:38
	scratch_load_b128 v[90:93], off, off offset:112
	s_mov_b32 s0, exec_lo
	s_waitcnt vmcnt(5) lgkmcnt(0)
	v_fma_f64 v[68:69], v[68:69], v[86:87], 0
	s_waitcnt vmcnt(4)
	s_delay_alu instid0(VALU_DEP_1)
	v_fma_f64 v[86:87], v[70:71], v[88:89], v[68:69]
	ds_load_2addr_b64 v[68:71], v1 offset0:39 offset1:40
	s_waitcnt lgkmcnt(0)
	v_fma_f64 v[68:69], v[72:73], v[68:69], v[86:87]
	scratch_load_b128 v[86:89], off, off offset:128
	s_waitcnt vmcnt(4)
	v_fma_f64 v[72:73], v[74:75], v[70:71], v[68:69]
	ds_load_2addr_b64 v[68:71], v1 offset0:41 offset1:42
	s_waitcnt lgkmcnt(0)
	v_fma_f64 v[68:69], v[76:77], v[68:69], v[72:73]
	scratch_load_b128 v[72:75], off, off offset:144
	s_waitcnt vmcnt(4)
	;; [unrolled: 6-line block ×7, first 2 shown]
	v_fma_f64 v[76:77], v[76:77], v[70:71], v[68:69]
	ds_load_2addr_b64 v[68:71], v1 offset0:53 offset1:54
	s_waitcnt lgkmcnt(0)
	v_fma_f64 v[68:69], v[78:79], v[68:69], v[76:77]
	scratch_load_b64 v[76:77], off, off offset:240
	s_waitcnt vmcnt(4)
	v_fma_f64 v[78:79], v[80:81], v[70:71], v[68:69]
	ds_load_2addr_b64 v[68:71], v1 offset0:55 offset1:56
	s_waitcnt lgkmcnt(0)
	v_fma_f64 v[68:69], v[82:83], v[68:69], v[78:79]
	s_waitcnt vmcnt(3)
	s_delay_alu instid0(VALU_DEP_1) | instskip(SKIP_4) | instid1(VALU_DEP_1)
	v_fma_f64 v[78:79], v[90:91], v[70:71], v[68:69]
	ds_load_2addr_b64 v[68:71], v1 offset0:57 offset1:58
	s_waitcnt lgkmcnt(0)
	v_fma_f64 v[68:69], v[92:93], v[68:69], v[78:79]
	s_waitcnt vmcnt(2)
	v_fma_f64 v[78:79], v[84:85], v[70:71], v[68:69]
	ds_load_2addr_b64 v[68:71], v1 offset0:59 offset1:60
	s_waitcnt lgkmcnt(0)
	v_fma_f64 v[68:69], v[86:87], v[68:69], v[78:79]
	s_waitcnt vmcnt(1)
	s_delay_alu instid0(VALU_DEP_1) | instskip(SKIP_4) | instid1(VALU_DEP_1)
	v_fma_f64 v[72:73], v[72:73], v[70:71], v[68:69]
	ds_load_2addr_b64 v[68:71], v1 offset0:61 offset1:62
	s_waitcnt lgkmcnt(0)
	v_fma_f64 v[1:2], v[74:75], v[68:69], v[72:73]
	s_waitcnt vmcnt(0)
	v_fma_f64 v[1:2], v[76:77], v[70:71], v[1:2]
	s_delay_alu instid0(VALU_DEP_1)
	v_add_f64 v[1:2], v[66:67], -v[1:2]
	scratch_store_b64 off, v[1:2], off offset:32
	v_cmpx_lt_u32_e32 3, v0
	s_cbranch_execz .LBB30_189
; %bb.188:
	scratch_load_b64 v[1:2], off, off offset:24
	v_mov_b32_e32 v66, 0
	s_delay_alu instid0(VALU_DEP_1)
	v_mov_b32_e32 v67, v66
	scratch_store_b64 off, v[66:67], off offset:24
	s_waitcnt vmcnt(0)
	ds_store_b64 v3, v[1:2]
.LBB30_189:
	s_or_b32 exec_lo, exec_lo, s0
	s_waitcnt lgkmcnt(0)
	s_waitcnt_vscnt null, 0x0
	s_barrier
	buffer_gl0_inv
	s_clause 0x4
	scratch_load_b128 v[66:69], off, off offset:24
	scratch_load_b128 v[70:73], off, off offset:40
	;; [unrolled: 1-line block ×5, first 2 shown]
	v_mov_b32_e32 v1, 0
	scratch_load_b128 v[90:93], off, off offset:104
	s_mov_b32 s0, exec_lo
	ds_load_b128 v[86:89], v1 offset:288
	s_waitcnt vmcnt(5) lgkmcnt(0)
	v_fma_f64 v[68:69], v[68:69], v[86:87], 0
	s_waitcnt vmcnt(4)
	s_delay_alu instid0(VALU_DEP_1)
	v_fma_f64 v[86:87], v[70:71], v[88:89], v[68:69]
	ds_load_b128 v[68:71], v1 offset:304
	s_waitcnt lgkmcnt(0)
	v_fma_f64 v[68:69], v[72:73], v[68:69], v[86:87]
	scratch_load_b128 v[86:89], off, off offset:120
	s_waitcnt vmcnt(4)
	v_fma_f64 v[72:73], v[74:75], v[70:71], v[68:69]
	ds_load_b128 v[68:71], v1 offset:320
	s_waitcnt lgkmcnt(0)
	v_fma_f64 v[68:69], v[76:77], v[68:69], v[72:73]
	scratch_load_b128 v[72:75], off, off offset:136
	s_waitcnt vmcnt(4)
	;; [unrolled: 6-line block ×8, first 2 shown]
	v_fma_f64 v[80:81], v[80:81], v[70:71], v[68:69]
	ds_load_b128 v[68:71], v1 offset:432
	s_waitcnt lgkmcnt(0)
	v_fma_f64 v[68:69], v[82:83], v[68:69], v[80:81]
	s_waitcnt vmcnt(3)
	s_delay_alu instid0(VALU_DEP_1) | instskip(SKIP_4) | instid1(VALU_DEP_1)
	v_fma_f64 v[80:81], v[90:91], v[70:71], v[68:69]
	ds_load_b128 v[68:71], v1 offset:448
	s_waitcnt lgkmcnt(0)
	v_fma_f64 v[68:69], v[92:93], v[68:69], v[80:81]
	s_waitcnt vmcnt(2)
	v_fma_f64 v[80:81], v[84:85], v[70:71], v[68:69]
	ds_load_b128 v[68:71], v1 offset:464
	s_waitcnt lgkmcnt(0)
	v_fma_f64 v[68:69], v[86:87], v[68:69], v[80:81]
	s_waitcnt vmcnt(1)
	s_delay_alu instid0(VALU_DEP_1) | instskip(SKIP_4) | instid1(VALU_DEP_1)
	v_fma_f64 v[72:73], v[72:73], v[70:71], v[68:69]
	ds_load_b128 v[68:71], v1 offset:480
	s_waitcnt lgkmcnt(0)
	v_fma_f64 v[68:69], v[74:75], v[68:69], v[72:73]
	s_waitcnt vmcnt(0)
	v_fma_f64 v[68:69], v[76:77], v[70:71], v[68:69]
	ds_load_b64 v[70:71], v1 offset:496
	s_waitcnt lgkmcnt(0)
	v_fma_f64 v[68:69], v[78:79], v[70:71], v[68:69]
	s_delay_alu instid0(VALU_DEP_1)
	v_add_f64 v[66:67], v[66:67], -v[68:69]
	scratch_store_b64 off, v[66:67], off offset:24
	v_cmpx_lt_u32_e32 2, v0
	s_cbranch_execz .LBB30_191
; %bb.190:
	scratch_load_b64 v[66:67], off, off offset:16
	v_mov_b32_e32 v2, v1
	scratch_store_b64 off, v[1:2], off offset:16
	s_waitcnt vmcnt(0)
	ds_store_b64 v3, v[66:67]
.LBB30_191:
	s_or_b32 exec_lo, exec_lo, s0
	s_waitcnt lgkmcnt(0)
	s_waitcnt_vscnt null, 0x0
	s_barrier
	buffer_gl0_inv
	s_clause 0x4
	scratch_load_b128 v[66:69], off, off offset:16
	scratch_load_b128 v[70:73], off, off offset:32
	;; [unrolled: 1-line block ×5, first 2 shown]
	ds_load_2addr_b64 v[86:89], v1 offset0:35 offset1:36
	scratch_load_b128 v[90:93], off, off offset:96
	s_mov_b32 s0, exec_lo
	s_waitcnt vmcnt(5) lgkmcnt(0)
	v_fma_f64 v[68:69], v[68:69], v[86:87], 0
	s_waitcnt vmcnt(4)
	s_delay_alu instid0(VALU_DEP_1)
	v_fma_f64 v[86:87], v[70:71], v[88:89], v[68:69]
	ds_load_2addr_b64 v[68:71], v1 offset0:37 offset1:38
	s_waitcnt lgkmcnt(0)
	v_fma_f64 v[68:69], v[72:73], v[68:69], v[86:87]
	scratch_load_b128 v[86:89], off, off offset:112
	s_waitcnt vmcnt(4)
	v_fma_f64 v[72:73], v[74:75], v[70:71], v[68:69]
	ds_load_2addr_b64 v[68:71], v1 offset0:39 offset1:40
	s_waitcnt lgkmcnt(0)
	v_fma_f64 v[68:69], v[76:77], v[68:69], v[72:73]
	scratch_load_b128 v[72:75], off, off offset:128
	s_waitcnt vmcnt(4)
	;; [unrolled: 6-line block ×8, first 2 shown]
	v_fma_f64 v[80:81], v[80:81], v[70:71], v[68:69]
	ds_load_2addr_b64 v[68:71], v1 offset0:53 offset1:54
	s_waitcnt lgkmcnt(0)
	v_fma_f64 v[68:69], v[82:83], v[68:69], v[80:81]
	scratch_load_b64 v[80:81], off, off offset:240
	s_waitcnt vmcnt(4)
	v_fma_f64 v[82:83], v[90:91], v[70:71], v[68:69]
	ds_load_2addr_b64 v[68:71], v1 offset0:55 offset1:56
	s_waitcnt lgkmcnt(0)
	v_fma_f64 v[68:69], v[92:93], v[68:69], v[82:83]
	s_waitcnt vmcnt(3)
	s_delay_alu instid0(VALU_DEP_1) | instskip(SKIP_4) | instid1(VALU_DEP_1)
	v_fma_f64 v[82:83], v[84:85], v[70:71], v[68:69]
	ds_load_2addr_b64 v[68:71], v1 offset0:57 offset1:58
	s_waitcnt lgkmcnt(0)
	v_fma_f64 v[68:69], v[86:87], v[68:69], v[82:83]
	s_waitcnt vmcnt(2)
	v_fma_f64 v[72:73], v[72:73], v[70:71], v[68:69]
	ds_load_2addr_b64 v[68:71], v1 offset0:59 offset1:60
	s_waitcnt lgkmcnt(0)
	v_fma_f64 v[68:69], v[74:75], v[68:69], v[72:73]
	s_waitcnt vmcnt(1)
	s_delay_alu instid0(VALU_DEP_1) | instskip(SKIP_4) | instid1(VALU_DEP_1)
	v_fma_f64 v[72:73], v[76:77], v[70:71], v[68:69]
	ds_load_2addr_b64 v[68:71], v1 offset0:61 offset1:62
	s_waitcnt lgkmcnt(0)
	v_fma_f64 v[1:2], v[78:79], v[68:69], v[72:73]
	s_waitcnt vmcnt(0)
	v_fma_f64 v[1:2], v[80:81], v[70:71], v[1:2]
	s_delay_alu instid0(VALU_DEP_1)
	v_add_f64 v[1:2], v[66:67], -v[1:2]
	scratch_store_b64 off, v[1:2], off offset:16
	v_cmpx_lt_u32_e32 1, v0
	s_cbranch_execz .LBB30_193
; %bb.192:
	scratch_load_b64 v[1:2], off, off offset:8
	v_mov_b32_e32 v66, 0
	s_delay_alu instid0(VALU_DEP_1)
	v_mov_b32_e32 v67, v66
	scratch_store_b64 off, v[66:67], off offset:8
	s_waitcnt vmcnt(0)
	ds_store_b64 v3, v[1:2]
.LBB30_193:
	s_or_b32 exec_lo, exec_lo, s0
	s_waitcnt lgkmcnt(0)
	s_waitcnt_vscnt null, 0x0
	s_barrier
	buffer_gl0_inv
	s_clause 0x4
	scratch_load_b128 v[67:70], off, off offset:8
	scratch_load_b128 v[71:74], off, off offset:24
	;; [unrolled: 1-line block ×5, first 2 shown]
	v_mov_b32_e32 v66, 0
	scratch_load_b128 v[91:94], off, off offset:88
	s_mov_b32 s0, exec_lo
	ds_load_b128 v[87:90], v66 offset:272
	s_waitcnt vmcnt(5) lgkmcnt(0)
	v_fma_f64 v[1:2], v[69:70], v[87:88], 0
	s_waitcnt vmcnt(4)
	s_delay_alu instid0(VALU_DEP_1)
	v_fma_f64 v[1:2], v[71:72], v[89:90], v[1:2]
	scratch_load_b128 v[87:90], off, off offset:104
	ds_load_b128 v[69:72], v66 offset:288
	s_waitcnt lgkmcnt(0)
	v_fma_f64 v[1:2], v[73:74], v[69:70], v[1:2]
	s_waitcnt vmcnt(4)
	s_delay_alu instid0(VALU_DEP_1)
	v_fma_f64 v[1:2], v[75:76], v[71:72], v[1:2]
	ds_load_b128 v[69:72], v66 offset:304
	scratch_load_b128 v[73:76], off, off offset:120
	s_waitcnt lgkmcnt(0)
	v_fma_f64 v[1:2], v[77:78], v[69:70], v[1:2]
	s_waitcnt vmcnt(4)
	s_delay_alu instid0(VALU_DEP_1)
	v_fma_f64 v[1:2], v[79:80], v[71:72], v[1:2]
	scratch_load_b128 v[77:80], off, off offset:136
	ds_load_b128 v[69:72], v66 offset:320
	s_waitcnt lgkmcnt(0)
	v_fma_f64 v[1:2], v[81:82], v[69:70], v[1:2]
	s_waitcnt vmcnt(4)
	s_delay_alu instid0(VALU_DEP_1)
	v_fma_f64 v[1:2], v[83:84], v[71:72], v[1:2]
	ds_load_b128 v[69:72], v66 offset:336
	scratch_load_b128 v[81:84], off, off offset:152
	s_waitcnt lgkmcnt(0)
	v_fma_f64 v[1:2], v[85:86], v[69:70], v[1:2]
	s_waitcnt vmcnt(4)
	s_delay_alu instid0(VALU_DEP_1)
	v_fma_f64 v[1:2], v[91:92], v[71:72], v[1:2]
	ds_load_b128 v[69:72], v66 offset:352
	s_waitcnt lgkmcnt(0)
	v_fma_f64 v[1:2], v[93:94], v[69:70], v[1:2]
	scratch_load_b128 v[91:94], off, off offset:168
	s_waitcnt vmcnt(4)
	v_fma_f64 v[1:2], v[87:88], v[71:72], v[1:2]
	ds_load_b128 v[69:72], v66 offset:368
	scratch_load_b128 v[85:88], off, off offset:184
	s_waitcnt lgkmcnt(0)
	v_fma_f64 v[1:2], v[89:90], v[69:70], v[1:2]
	s_waitcnt vmcnt(4)
	s_delay_alu instid0(VALU_DEP_1)
	v_fma_f64 v[1:2], v[73:74], v[71:72], v[1:2]
	ds_load_b128 v[69:72], v66 offset:384
	s_waitcnt lgkmcnt(0)
	v_fma_f64 v[1:2], v[75:76], v[69:70], v[1:2]
	scratch_load_b128 v[73:76], off, off offset:200
	s_waitcnt vmcnt(4)
	v_fma_f64 v[1:2], v[77:78], v[71:72], v[1:2]
	ds_load_b128 v[69:72], v66 offset:400
	s_waitcnt lgkmcnt(0)
	v_fma_f64 v[1:2], v[79:80], v[69:70], v[1:2]
	scratch_load_b128 v[77:80], off, off offset:216
	s_waitcnt vmcnt(4)
	;; [unrolled: 6-line block ×3, first 2 shown]
	v_fma_f64 v[1:2], v[91:92], v[71:72], v[1:2]
	ds_load_b128 v[69:72], v66 offset:432
	s_waitcnt lgkmcnt(0)
	v_fma_f64 v[1:2], v[93:94], v[69:70], v[1:2]
	s_waitcnt vmcnt(3)
	s_delay_alu instid0(VALU_DEP_1) | instskip(SKIP_4) | instid1(VALU_DEP_1)
	v_fma_f64 v[1:2], v[85:86], v[71:72], v[1:2]
	ds_load_b128 v[69:72], v66 offset:448
	s_waitcnt lgkmcnt(0)
	v_fma_f64 v[1:2], v[87:88], v[69:70], v[1:2]
	s_waitcnt vmcnt(2)
	v_fma_f64 v[1:2], v[73:74], v[71:72], v[1:2]
	ds_load_b128 v[69:72], v66 offset:464
	s_waitcnt lgkmcnt(0)
	v_fma_f64 v[1:2], v[75:76], v[69:70], v[1:2]
	s_waitcnt vmcnt(1)
	s_delay_alu instid0(VALU_DEP_1)
	v_fma_f64 v[1:2], v[77:78], v[71:72], v[1:2]
	ds_load_b128 v[69:72], v66 offset:480
	s_waitcnt lgkmcnt(0)
	v_fma_f64 v[1:2], v[79:80], v[69:70], v[1:2]
	ds_load_b64 v[69:70], v66 offset:496
	s_waitcnt vmcnt(0)
	v_fma_f64 v[1:2], v[81:82], v[71:72], v[1:2]
	s_waitcnt lgkmcnt(0)
	s_delay_alu instid0(VALU_DEP_1) | instskip(NEXT) | instid1(VALU_DEP_1)
	v_fma_f64 v[1:2], v[83:84], v[69:70], v[1:2]
	v_add_f64 v[1:2], v[67:68], -v[1:2]
	scratch_store_b64 off, v[1:2], off offset:8
	v_cmpx_ne_u32_e32 0, v0
	s_cbranch_execz .LBB30_195
; %bb.194:
	scratch_load_b64 v[0:1], off, off
	v_mov_b32_e32 v67, v66
	scratch_store_b64 off, v[66:67], off
	s_waitcnt vmcnt(0)
	ds_store_b64 v3, v[0:1]
.LBB30_195:
	s_or_b32 exec_lo, exec_lo, s0
	s_waitcnt lgkmcnt(0)
	s_waitcnt_vscnt null, 0x0
	s_barrier
	buffer_gl0_inv
	s_clause 0x4
	scratch_load_b128 v[67:70], off, off
	scratch_load_b128 v[0:3], off, off offset:16
	scratch_load_b128 v[71:74], off, off offset:32
	;; [unrolled: 1-line block ×4, first 2 shown]
	ds_load_2addr_b64 v[83:86], v66 offset0:33 offset1:34
	ds_load_2addr_b64 v[87:90], v66 offset0:35 offset1:36
	scratch_load_b128 v[91:94], off, off offset:80
	s_and_b32 vcc_lo, exec_lo, s16
	s_waitcnt vmcnt(5) lgkmcnt(1)
	v_fma_f64 v[69:70], v[69:70], v[83:84], 0
	s_waitcnt vmcnt(4)
	s_delay_alu instid0(VALU_DEP_1) | instskip(SKIP_1) | instid1(VALU_DEP_1)
	v_fma_f64 v[0:1], v[0:1], v[85:86], v[69:70]
	s_waitcnt lgkmcnt(0)
	v_fma_f64 v[69:70], v[2:3], v[87:88], v[0:1]
	scratch_load_b128 v[0:3], off, off offset:96
	s_waitcnt vmcnt(4)
	v_fma_f64 v[87:88], v[71:72], v[89:90], v[69:70]
	ds_load_2addr_b64 v[69:72], v66 offset0:37 offset1:38
	ds_load_2addr_b64 v[83:86], v66 offset0:39 offset1:40
	s_waitcnt lgkmcnt(1)
	v_fma_f64 v[69:70], v[73:74], v[69:70], v[87:88]
	scratch_load_b128 v[87:90], off, off offset:112
	s_waitcnt vmcnt(4)
	v_fma_f64 v[69:70], v[75:76], v[71:72], v[69:70]
	s_waitcnt lgkmcnt(0)
	s_delay_alu instid0(VALU_DEP_1)
	v_fma_f64 v[73:74], v[77:78], v[83:84], v[69:70]
	scratch_load_b128 v[69:72], off, off offset:128
	s_waitcnt vmcnt(4)
	v_fma_f64 v[83:84], v[79:80], v[85:86], v[73:74]
	ds_load_2addr_b64 v[73:76], v66 offset0:41 offset1:42
	ds_load_2addr_b64 v[77:80], v66 offset0:43 offset1:44
	s_waitcnt lgkmcnt(1)
	v_fma_f64 v[73:74], v[81:82], v[73:74], v[83:84]
	scratch_load_b128 v[81:84], off, off offset:144
	s_waitcnt vmcnt(4)
	v_fma_f64 v[73:74], v[91:92], v[75:76], v[73:74]
	s_waitcnt lgkmcnt(0)
	s_delay_alu instid0(VALU_DEP_1)
	v_fma_f64 v[77:78], v[93:94], v[77:78], v[73:74]
	scratch_load_b128 v[73:76], off, off offset:160
	s_waitcnt vmcnt(4)
	v_fma_f64 v[0:1], v[0:1], v[79:80], v[77:78]
	ds_load_2addr_b64 v[77:80], v66 offset0:45 offset1:46
	ds_load_2addr_b64 v[91:94], v66 offset0:47 offset1:48
	scratch_load_b128 v[95:98], off, off offset:176
	s_waitcnt lgkmcnt(1)
	v_fma_f64 v[0:1], v[2:3], v[77:78], v[0:1]
	s_waitcnt vmcnt(4)
	s_delay_alu instid0(VALU_DEP_1) | instskip(SKIP_4) | instid1(VALU_DEP_1)
	v_fma_f64 v[0:1], v[87:88], v[79:80], v[0:1]
	scratch_load_b128 v[77:80], off, off offset:192
	s_waitcnt lgkmcnt(0)
	v_fma_f64 v[0:1], v[89:90], v[91:92], v[0:1]
	s_waitcnt vmcnt(4)
	v_fma_f64 v[69:70], v[69:70], v[93:94], v[0:1]
	ds_load_2addr_b64 v[0:3], v66 offset0:49 offset1:50
	ds_load_2addr_b64 v[85:88], v66 offset0:51 offset1:52
	s_waitcnt lgkmcnt(1)
	v_fma_f64 v[0:1], v[71:72], v[0:1], v[69:70]
	scratch_load_b128 v[69:72], off, off offset:208
	s_waitcnt vmcnt(4)
	v_fma_f64 v[0:1], v[81:82], v[2:3], v[0:1]
	s_waitcnt lgkmcnt(0)
	s_delay_alu instid0(VALU_DEP_1)
	v_fma_f64 v[81:82], v[83:84], v[85:86], v[0:1]
	scratch_load_b128 v[0:3], off, off offset:224
	s_waitcnt vmcnt(4)
	v_fma_f64 v[73:74], v[73:74], v[87:88], v[81:82]
	ds_load_2addr_b64 v[81:84], v66 offset0:53 offset1:54
	ds_load_2addr_b64 v[85:88], v66 offset0:55 offset1:56
	scratch_load_b64 v[89:90], off, off offset:240
	s_waitcnt lgkmcnt(1)
	v_fma_f64 v[73:74], v[75:76], v[81:82], v[73:74]
	s_waitcnt vmcnt(4)
	s_delay_alu instid0(VALU_DEP_1) | instskip(SKIP_1) | instid1(VALU_DEP_1)
	v_fma_f64 v[73:74], v[95:96], v[83:84], v[73:74]
	s_waitcnt lgkmcnt(0)
	v_fma_f64 v[73:74], v[97:98], v[85:86], v[73:74]
	s_waitcnt vmcnt(3)
	s_delay_alu instid0(VALU_DEP_1)
	v_fma_f64 v[77:78], v[77:78], v[87:88], v[73:74]
	ds_load_2addr_b64 v[73:76], v66 offset0:57 offset1:58
	ds_load_2addr_b64 v[81:84], v66 offset0:59 offset1:60
	s_waitcnt lgkmcnt(1)
	v_fma_f64 v[73:74], v[79:80], v[73:74], v[77:78]
	s_waitcnt vmcnt(2)
	s_delay_alu instid0(VALU_DEP_1) | instskip(SKIP_1) | instid1(VALU_DEP_1)
	v_fma_f64 v[69:70], v[69:70], v[75:76], v[73:74]
	s_waitcnt lgkmcnt(0)
	v_fma_f64 v[69:70], v[71:72], v[81:82], v[69:70]
	s_waitcnt vmcnt(1)
	s_delay_alu instid0(VALU_DEP_1) | instskip(SKIP_4) | instid1(VALU_DEP_1)
	v_fma_f64 v[0:1], v[0:1], v[83:84], v[69:70]
	ds_load_2addr_b64 v[69:72], v66 offset0:61 offset1:62
	s_waitcnt lgkmcnt(0)
	v_fma_f64 v[0:1], v[2:3], v[69:70], v[0:1]
	s_waitcnt vmcnt(0)
	v_fma_f64 v[0:1], v[89:90], v[71:72], v[0:1]
	s_delay_alu instid0(VALU_DEP_1)
	v_add_f64 v[0:1], v[67:68], -v[0:1]
	scratch_store_b64 off, v[0:1], off
	s_cbranch_vccz .LBB30_257
; %bb.196:
	v_dual_mov_b32 v0, s12 :: v_dual_mov_b32 v1, s13
	s_mov_b32 s0, exec_lo
	flat_load_b32 v0, v[0:1] offset:116
	s_waitcnt vmcnt(0) lgkmcnt(0)
	v_cmpx_ne_u32_e32 30, v0
	s_cbranch_execz .LBB30_198
; %bb.197:
	v_lshl_add_u32 v66, v0, 3, 0
	scratch_load_b64 v[0:1], v66, off offset:-8
	s_waitcnt vmcnt(0)
	scratch_store_b64 off, v[0:1], off offset:232
	scratch_store_b64 v66, v[2:3], off offset:-8
.LBB30_198:
	s_or_b32 exec_lo, exec_lo, s0
	v_dual_mov_b32 v0, s12 :: v_dual_mov_b32 v1, s13
	s_mov_b32 s0, exec_lo
	flat_load_b32 v0, v[0:1] offset:112
	s_waitcnt vmcnt(0) lgkmcnt(0)
	v_cmpx_ne_u32_e32 29, v0
	s_cbranch_execz .LBB30_200
; %bb.199:
	v_lshl_add_u32 v66, v0, 3, 0
	scratch_load_b64 v[0:1], v66, off offset:-8
	scratch_load_b64 v[2:3], off, off offset:224
	s_waitcnt vmcnt(1)
	scratch_store_b64 off, v[0:1], off offset:224
	s_waitcnt vmcnt(0)
	scratch_store_b64 v66, v[2:3], off offset:-8
.LBB30_200:
	s_or_b32 exec_lo, exec_lo, s0
	v_dual_mov_b32 v0, s12 :: v_dual_mov_b32 v1, s13
	s_mov_b32 s0, exec_lo
	flat_load_b32 v0, v[0:1] offset:108
	s_waitcnt vmcnt(0) lgkmcnt(0)
	v_cmpx_ne_u32_e32 28, v0
	s_cbranch_execz .LBB30_202
; %bb.201:
	v_lshl_add_u32 v66, v0, 3, 0
	scratch_load_b64 v[0:1], v66, off offset:-8
	scratch_load_b64 v[2:3], off, off offset:216
	s_waitcnt vmcnt(1)
	scratch_store_b64 off, v[0:1], off offset:216
	s_waitcnt vmcnt(0)
	scratch_store_b64 v66, v[2:3], off offset:-8
.LBB30_202:
	;; [unrolled: 16-line block ×28, first 2 shown]
	s_or_b32 exec_lo, exec_lo, s0
	v_dual_mov_b32 v0, s12 :: v_dual_mov_b32 v1, s13
	s_mov_b32 s0, exec_lo
	flat_load_b32 v2, v[0:1]
	scratch_load_b64 v[0:1], off, off
	s_waitcnt vmcnt(1) lgkmcnt(0)
	v_cmpx_ne_u32_e32 1, v2
	s_cbranch_execz .LBB30_256
; %bb.255:
	v_lshl_add_u32 v66, v2, 3, 0
	scratch_load_b64 v[2:3], v66, off offset:-8
	s_waitcnt vmcnt(0)
	scratch_store_b64 off, v[2:3], off
	scratch_store_b64 v66, v[0:1], off offset:-8
	scratch_load_b64 v[0:1], off, off
.LBB30_256:
	s_or_b32 exec_lo, exec_lo, s0
.LBB30_257:
	s_clause 0x5
	scratch_load_b128 v[66:69], off, off offset:8
	scratch_load_b128 v[70:73], off, off offset:24
	;; [unrolled: 1-line block ×6, first 2 shown]
	s_waitcnt vmcnt(6)
	global_store_b64 v[6:7], v[0:1], off
	s_clause 0x1
	scratch_load_b128 v[0:3], off, off offset:104
	scratch_load_b128 v[90:93], off, off offset:120
	s_waitcnt vmcnt(7)
	s_clause 0x1
	global_store_b64 v[4:5], v[66:67], off
	global_store_b64 v[14:15], v[68:69], off
	s_clause 0x1
	scratch_load_b128 v[4:7], off, off offset:136
	scratch_load_b128 v[66:69], off, off offset:152
	s_waitcnt vmcnt(8)
	s_clause 0x1
	global_store_b64 v[8:9], v[70:71], off
	;; [unrolled: 7-line block ×4, first 2 shown]
	global_store_b64 v[20:21], v[80:81], off
	scratch_load_b128 v[16:19], off, off offset:232
	s_waitcnt vmcnt(10)
	s_clause 0x1
	global_store_b64 v[22:23], v[82:83], off
	global_store_b64 v[26:27], v[84:85], off
	s_waitcnt vmcnt(9)
	s_clause 0x1
	global_store_b64 v[28:29], v[86:87], off
	global_store_b64 v[30:31], v[88:89], off
	;; [unrolled: 4-line block ×11, first 2 shown]
	s_endpgm
	.section	.rodata,"a",@progbits
	.p2align	6, 0x0
	.amdhsa_kernel _ZN9rocsolver6v33100L18getri_kernel_smallILi31EdPdEEvT1_iilPiilS4_bb
		.amdhsa_group_segment_fixed_size 504
		.amdhsa_private_segment_fixed_size 256
		.amdhsa_kernarg_size 60
		.amdhsa_user_sgpr_count 15
		.amdhsa_user_sgpr_dispatch_ptr 0
		.amdhsa_user_sgpr_queue_ptr 0
		.amdhsa_user_sgpr_kernarg_segment_ptr 1
		.amdhsa_user_sgpr_dispatch_id 0
		.amdhsa_user_sgpr_private_segment_size 0
		.amdhsa_wavefront_size32 1
		.amdhsa_uses_dynamic_stack 0
		.amdhsa_enable_private_segment 1
		.amdhsa_system_sgpr_workgroup_id_x 1
		.amdhsa_system_sgpr_workgroup_id_y 0
		.amdhsa_system_sgpr_workgroup_id_z 0
		.amdhsa_system_sgpr_workgroup_info 0
		.amdhsa_system_vgpr_workitem_id 0
		.amdhsa_next_free_vgpr 99
		.amdhsa_next_free_sgpr 18
		.amdhsa_reserve_vcc 1
		.amdhsa_float_round_mode_32 0
		.amdhsa_float_round_mode_16_64 0
		.amdhsa_float_denorm_mode_32 3
		.amdhsa_float_denorm_mode_16_64 3
		.amdhsa_dx10_clamp 1
		.amdhsa_ieee_mode 1
		.amdhsa_fp16_overflow 0
		.amdhsa_workgroup_processor_mode 1
		.amdhsa_memory_ordered 1
		.amdhsa_forward_progress 0
		.amdhsa_shared_vgpr_count 0
		.amdhsa_exception_fp_ieee_invalid_op 0
		.amdhsa_exception_fp_denorm_src 0
		.amdhsa_exception_fp_ieee_div_zero 0
		.amdhsa_exception_fp_ieee_overflow 0
		.amdhsa_exception_fp_ieee_underflow 0
		.amdhsa_exception_fp_ieee_inexact 0
		.amdhsa_exception_int_div_zero 0
	.end_amdhsa_kernel
	.section	.text._ZN9rocsolver6v33100L18getri_kernel_smallILi31EdPdEEvT1_iilPiilS4_bb,"axG",@progbits,_ZN9rocsolver6v33100L18getri_kernel_smallILi31EdPdEEvT1_iilPiilS4_bb,comdat
.Lfunc_end30:
	.size	_ZN9rocsolver6v33100L18getri_kernel_smallILi31EdPdEEvT1_iilPiilS4_bb, .Lfunc_end30-_ZN9rocsolver6v33100L18getri_kernel_smallILi31EdPdEEvT1_iilPiilS4_bb
                                        ; -- End function
	.section	.AMDGPU.csdata,"",@progbits
; Kernel info:
; codeLenInByte = 23648
; NumSgprs: 20
; NumVgprs: 99
; ScratchSize: 256
; MemoryBound: 0
; FloatMode: 240
; IeeeMode: 1
; LDSByteSize: 504 bytes/workgroup (compile time only)
; SGPRBlocks: 2
; VGPRBlocks: 12
; NumSGPRsForWavesPerEU: 20
; NumVGPRsForWavesPerEU: 99
; Occupancy: 12
; WaveLimiterHint : 1
; COMPUTE_PGM_RSRC2:SCRATCH_EN: 1
; COMPUTE_PGM_RSRC2:USER_SGPR: 15
; COMPUTE_PGM_RSRC2:TRAP_HANDLER: 0
; COMPUTE_PGM_RSRC2:TGID_X_EN: 1
; COMPUTE_PGM_RSRC2:TGID_Y_EN: 0
; COMPUTE_PGM_RSRC2:TGID_Z_EN: 0
; COMPUTE_PGM_RSRC2:TIDIG_COMP_CNT: 0
	.section	.text._ZN9rocsolver6v33100L18getri_kernel_smallILi32EdPdEEvT1_iilPiilS4_bb,"axG",@progbits,_ZN9rocsolver6v33100L18getri_kernel_smallILi32EdPdEEvT1_iilPiilS4_bb,comdat
	.globl	_ZN9rocsolver6v33100L18getri_kernel_smallILi32EdPdEEvT1_iilPiilS4_bb ; -- Begin function _ZN9rocsolver6v33100L18getri_kernel_smallILi32EdPdEEvT1_iilPiilS4_bb
	.p2align	8
	.type	_ZN9rocsolver6v33100L18getri_kernel_smallILi32EdPdEEvT1_iilPiilS4_bb,@function
_ZN9rocsolver6v33100L18getri_kernel_smallILi32EdPdEEvT1_iilPiilS4_bb: ; @_ZN9rocsolver6v33100L18getri_kernel_smallILi32EdPdEEvT1_iilPiilS4_bb
; %bb.0:
	s_mov_b32 s2, exec_lo
	v_cmpx_gt_u32_e32 32, v0
	s_cbranch_execz .LBB31_138
; %bb.1:
	s_clause 0x2
	s_load_b32 s17, s[0:1], 0x38
	s_load_b128 s[8:11], s[0:1], 0x10
	s_load_b128 s[4:7], s[0:1], 0x28
	s_mov_b32 s14, s15
                                        ; implicit-def: $sgpr12_sgpr13
	s_waitcnt lgkmcnt(0)
	s_bitcmp1_b32 s17, 8
	s_cselect_b32 s16, -1, 0
	s_bfe_u32 s2, s17, 0x10008
	s_ashr_i32 s15, s15, 31
	s_cmp_eq_u32 s2, 0
	s_cbranch_scc1 .LBB31_3
; %bb.2:
	s_load_b32 s2, s[0:1], 0x20
	s_mul_i32 s3, s14, s5
	s_mul_hi_u32 s5, s14, s4
	s_mul_i32 s12, s15, s4
	s_add_i32 s3, s5, s3
	s_mul_i32 s4, s14, s4
	s_add_i32 s5, s3, s12
	s_delay_alu instid0(SALU_CYCLE_1)
	s_lshl_b64 s[4:5], s[4:5], 2
	s_waitcnt lgkmcnt(0)
	s_ashr_i32 s3, s2, 31
	s_add_u32 s4, s10, s4
	s_addc_u32 s5, s11, s5
	s_lshl_b64 s[2:3], s[2:3], 2
	s_delay_alu instid0(SALU_CYCLE_1)
	s_add_u32 s12, s4, s2
	s_addc_u32 s13, s5, s3
.LBB31_3:
	s_load_b128 s[0:3], s[0:1], 0x0
	s_mul_i32 s4, s14, s9
	s_mul_hi_u32 s5, s14, s8
	s_mul_i32 s9, s15, s8
	s_add_i32 s5, s5, s4
	s_mul_i32 s4, s14, s8
	s_add_i32 s5, s5, s9
	v_lshlrev_b32_e32 v3, 3, v0
	s_lshl_b64 s[4:5], s[4:5], 3
	s_waitcnt lgkmcnt(0)
	v_add3_u32 v1, s3, s3, v0
	s_ashr_i32 s9, s2, 31
	s_mov_b32 s8, s2
	s_add_u32 s2, s0, s4
	s_addc_u32 s5, s1, s5
	s_lshl_b64 s[0:1], s[8:9], 3
	v_add_nc_u32_e32 v4, s3, v1
	s_add_u32 s0, s2, s0
	v_ashrrev_i32_e32 v2, 31, v1
	s_addc_u32 s1, s5, s1
	v_add_co_u32 v6, s2, s0, v3
	s_mov_b32 s4, s3
	s_ashr_i32 s5, s3, 31
	v_add_nc_u32_e32 v10, s3, v4
	v_add_co_ci_u32_e64 v7, null, s1, 0, s2
	s_lshl_b64 s[4:5], s[4:5], 3
	v_ashrrev_i32_e32 v5, 31, v4
	v_lshlrev_b64 v[1:2], 3, v[1:2]
	v_add_co_u32 v8, vcc_lo, v6, s4
	v_ashrrev_i32_e32 v11, 31, v10
	v_add_co_ci_u32_e32 v9, vcc_lo, s5, v7, vcc_lo
	v_add_nc_u32_e32 v14, s3, v10
	v_lshlrev_b64 v[12:13], 3, v[4:5]
	v_add_co_u32 v4, vcc_lo, s0, v1
	v_add_co_ci_u32_e32 v5, vcc_lo, s1, v2, vcc_lo
	v_lshlrev_b64 v[1:2], 3, v[10:11]
	s_clause 0x1
	global_load_b64 v[30:31], v3, s[0:1]
	global_load_b64 v[32:33], v[8:9], off
	v_ashrrev_i32_e32 v15, 31, v14
	v_add_nc_u32_e32 v16, s3, v14
	v_add_co_u32 v12, vcc_lo, s0, v12
	v_add_co_ci_u32_e32 v13, vcc_lo, s1, v13, vcc_lo
	s_delay_alu instid0(VALU_DEP_4)
	v_lshlrev_b64 v[10:11], 3, v[14:15]
	v_add_co_u32 v14, vcc_lo, s0, v1
	v_add_nc_u32_e32 v1, s3, v16
	v_ashrrev_i32_e32 v17, 31, v16
	v_add_co_ci_u32_e32 v15, vcc_lo, s1, v2, vcc_lo
	v_add_co_u32 v10, vcc_lo, s0, v10
	s_delay_alu instid0(VALU_DEP_4) | instskip(SKIP_3) | instid1(VALU_DEP_4)
	v_ashrrev_i32_e32 v2, 31, v1
	v_add_nc_u32_e32 v20, s3, v1
	v_lshlrev_b64 v[16:17], 3, v[16:17]
	v_add_co_ci_u32_e32 v11, vcc_lo, s1, v11, vcc_lo
	v_lshlrev_b64 v[1:2], 3, v[1:2]
	s_delay_alu instid0(VALU_DEP_4)
	v_add_nc_u32_e32 v24, s3, v20
	v_ashrrev_i32_e32 v21, 31, v20
	v_add_co_u32 v18, vcc_lo, s0, v16
	s_clause 0x3
	global_load_b64 v[38:39], v[4:5], off
	global_load_b64 v[40:41], v[12:13], off
	;; [unrolled: 1-line block ×4, first 2 shown]
	v_add_co_ci_u32_e32 v19, vcc_lo, s1, v17, vcc_lo
	v_add_co_u32 v16, vcc_lo, s0, v1
	v_ashrrev_i32_e32 v25, 31, v24
	v_add_co_ci_u32_e32 v17, vcc_lo, s1, v2, vcc_lo
	v_lshlrev_b64 v[1:2], 3, v[20:21]
	s_clause 0x1
	global_load_b64 v[46:47], v[18:19], off
	global_load_b64 v[48:49], v[16:17], off
	v_lshlrev_b64 v[20:21], 3, v[24:25]
	s_bitcmp0_b32 s17, 0
	v_add_co_u32 v22, vcc_lo, s0, v1
	v_add_co_ci_u32_e32 v23, vcc_lo, s1, v2, vcc_lo
	s_delay_alu instid0(VALU_DEP_3) | instskip(NEXT) | instid1(VALU_DEP_4)
	v_add_co_u32 v20, vcc_lo, s0, v20
	v_add_co_ci_u32_e32 v21, vcc_lo, s1, v21, vcc_lo
	s_clause 0x1
	global_load_b64 v[50:51], v[22:23], off
	global_load_b64 v[52:53], v[20:21], off
	v_add_nc_u32_e32 v1, s3, v24
	s_delay_alu instid0(VALU_DEP_1) | instskip(SKIP_1) | instid1(VALU_DEP_2)
	v_add_nc_u32_e32 v24, s3, v1
	v_ashrrev_i32_e32 v2, 31, v1
	v_add_nc_u32_e32 v28, s3, v24
	v_ashrrev_i32_e32 v25, 31, v24
	s_delay_alu instid0(VALU_DEP_3) | instskip(NEXT) | instid1(VALU_DEP_3)
	v_lshlrev_b64 v[1:2], 3, v[1:2]
	v_add_nc_u32_e32 v34, s3, v28
	s_delay_alu instid0(VALU_DEP_3) | instskip(SKIP_1) | instid1(VALU_DEP_3)
	v_lshlrev_b64 v[54:55], 3, v[24:25]
	v_ashrrev_i32_e32 v29, 31, v28
	v_add_nc_u32_e32 v36, s3, v34
	v_ashrrev_i32_e32 v35, 31, v34
	s_delay_alu instid0(VALU_DEP_2) | instskip(SKIP_1) | instid1(VALU_DEP_2)
	v_add_nc_u32_e32 v58, s3, v36
	v_ashrrev_i32_e32 v37, 31, v36
	v_add_nc_u32_e32 v66, s3, v58
	v_ashrrev_i32_e32 v59, 31, v58
	s_delay_alu instid0(VALU_DEP_2) | instskip(SKIP_1) | instid1(VALU_DEP_2)
	v_add_nc_u32_e32 v68, s3, v66
	;; [unrolled: 5-line block ×9, first 2 shown]
	v_ashrrev_i32_e32 v101, 31, v100
	v_ashrrev_i32_e32 v27, 31, v26
	s_delay_alu instid0(VALU_DEP_1) | instskip(SKIP_3) | instid1(VALU_DEP_4)
	v_lshlrev_b64 v[24:25], 3, v[26:27]
	v_add_co_u32 v26, vcc_lo, s0, v1
	v_add_co_ci_u32_e32 v27, vcc_lo, s1, v2, vcc_lo
	v_lshlrev_b64 v[1:2], 3, v[28:29]
	v_add_co_u32 v24, vcc_lo, s0, v24
	v_add_co_ci_u32_e32 v25, vcc_lo, s1, v25, vcc_lo
	v_add_co_u32 v28, vcc_lo, s0, v54
	v_add_co_ci_u32_e32 v29, vcc_lo, s1, v55, vcc_lo
	global_load_b64 v[70:71], v[24:25], off
	s_waitcnt vmcnt(9)
	scratch_store_b128 off, v[30:33], off
	v_lshlrev_b64 v[32:33], 3, v[34:35]
	v_add_co_u32 v30, vcc_lo, s0, v1
	v_add_co_ci_u32_e32 v31, vcc_lo, s1, v2, vcc_lo
	v_lshlrev_b64 v[1:2], 3, v[36:37]
	s_delay_alu instid0(VALU_DEP_4)
	v_add_co_u32 v32, vcc_lo, s0, v32
	s_clause 0x1
	global_load_b64 v[54:55], v[26:27], off
	global_load_b64 v[56:57], v[28:29], off
	v_add_co_ci_u32_e32 v33, vcc_lo, s1, v33, vcc_lo
	v_lshlrev_b64 v[36:37], 3, v[58:59]
	v_add_co_u32 v34, vcc_lo, s0, v1
	v_add_co_ci_u32_e32 v35, vcc_lo, s1, v2, vcc_lo
	v_lshlrev_b64 v[1:2], 3, v[66:67]
	s_delay_alu instid0(VALU_DEP_4)
	v_add_co_u32 v36, vcc_lo, s0, v36
	v_add_co_ci_u32_e32 v37, vcc_lo, s1, v37, vcc_lo
	global_load_b64 v[58:59], v[30:31], off
	v_lshlrev_b64 v[66:67], 3, v[92:93]
	s_waitcnt vmcnt(10)
	scratch_store_b128 off, v[38:41], off offset:16
	v_add_co_u32 v38, vcc_lo, s0, v1
	s_waitcnt vmcnt(8)
	scratch_store_b128 off, v[42:45], off offset:32
	v_add_co_ci_u32_e32 v39, vcc_lo, s1, v2, vcc_lo
	v_lshlrev_b64 v[1:2], 3, v[68:69]
	s_clause 0x2
	global_load_b64 v[60:61], v[32:33], off
	global_load_b64 v[62:63], v[34:35], off
	;; [unrolled: 1-line block ×3, first 2 shown]
	v_lshlrev_b64 v[42:43], 3, v[72:73]
	global_load_b64 v[72:73], v[38:39], off
	v_add_co_u32 v40, vcc_lo, s0, v1
	v_add_co_ci_u32_e32 v41, vcc_lo, s1, v2, vcc_lo
	v_lshlrev_b64 v[1:2], 3, v[74:75]
	v_add_co_u32 v42, vcc_lo, s0, v42
	global_load_b64 v[74:75], v[40:41], off
	v_add_co_ci_u32_e32 v43, vcc_lo, s1, v43, vcc_lo
	v_add_co_u32 v44, vcc_lo, s0, v1
	v_add_co_ci_u32_e32 v45, vcc_lo, s1, v2, vcc_lo
	s_waitcnt vmcnt(11)
	scratch_store_b128 off, v[46:49], off offset:48
	s_waitcnt vmcnt(9)
	scratch_store_b128 off, v[50:53], off offset:64
	s_clause 0x1
	global_load_b64 v[76:77], v[42:43], off
	global_load_b64 v[78:79], v[44:45], off
	v_lshlrev_b64 v[1:2], 3, v[80:81]
	v_lshlrev_b64 v[50:51], 3, v[84:85]
	s_delay_alu instid0(VALU_DEP_2) | instskip(NEXT) | instid1(VALU_DEP_3)
	v_add_co_u32 v46, vcc_lo, s0, v1
	v_add_co_ci_u32_e32 v47, vcc_lo, s1, v2, vcc_lo
	v_lshlrev_b64 v[1:2], 3, v[82:83]
	global_load_b64 v[80:81], v[46:47], off
	v_add_co_u32 v48, vcc_lo, s0, v1
	v_add_co_ci_u32_e32 v49, vcc_lo, s1, v2, vcc_lo
	v_lshlrev_b64 v[1:2], 3, v[86:87]
	v_add_co_u32 v50, vcc_lo, s0, v50
	v_add_co_ci_u32_e32 v51, vcc_lo, s1, v51, vcc_lo
	s_delay_alu instid0(VALU_DEP_3) | instskip(NEXT) | instid1(VALU_DEP_4)
	v_add_co_u32 v52, vcc_lo, s0, v1
	v_add_co_ci_u32_e32 v53, vcc_lo, s1, v2, vcc_lo
	v_lshlrev_b64 v[1:2], 3, v[90:91]
	s_waitcnt vmcnt(9)
	scratch_store_b128 off, v[54:57], off offset:80
	v_lshlrev_b64 v[54:55], 3, v[88:89]
	s_waitcnt vmcnt(7)
	scratch_store_b128 off, v[58:61], off offset:96
	s_waitcnt vmcnt(5)
	scratch_store_b128 off, v[62:65], off offset:112
	v_add_co_u32 v54, vcc_lo, s0, v54
	v_add_co_ci_u32_e32 v55, vcc_lo, s1, v55, vcc_lo
	v_add_co_u32 v56, vcc_lo, s0, v1
	v_add_co_ci_u32_e32 v57, vcc_lo, s1, v2, vcc_lo
	v_lshlrev_b64 v[1:2], 3, v[94:95]
	v_add_co_u32 v58, vcc_lo, s0, v66
	v_add_co_ci_u32_e32 v59, vcc_lo, s1, v67, vcc_lo
	v_lshlrev_b64 v[62:63], 3, v[96:97]
	s_delay_alu instid0(VALU_DEP_4) | instskip(SKIP_2) | instid1(VALU_DEP_4)
	v_add_co_u32 v60, vcc_lo, s0, v1
	v_add_co_ci_u32_e32 v61, vcc_lo, s1, v2, vcc_lo
	v_lshlrev_b64 v[1:2], 3, v[98:99]
	v_add_co_u32 v62, vcc_lo, s0, v62
	v_lshlrev_b64 v[66:67], 3, v[100:101]
	v_add_co_ci_u32_e32 v63, vcc_lo, s1, v63, vcc_lo
	s_delay_alu instid0(VALU_DEP_4) | instskip(SKIP_1) | instid1(VALU_DEP_4)
	v_add_co_u32 v64, vcc_lo, s0, v1
	v_add_co_ci_u32_e32 v65, vcc_lo, s1, v2, vcc_lo
	v_add_co_u32 v66, vcc_lo, s0, v66
	v_add_co_ci_u32_e32 v67, vcc_lo, s1, v67, vcc_lo
	s_clause 0x3
	global_load_b64 v[82:83], v[48:49], off
	global_load_b64 v[84:85], v[50:51], off
	;; [unrolled: 1-line block ×4, first 2 shown]
	s_waitcnt vmcnt(7)
	scratch_store_b128 off, v[72:75], off offset:128
	s_clause 0x2
	global_load_b64 v[90:91], v[56:57], off
	global_load_b64 v[72:73], v[58:59], off
	;; [unrolled: 1-line block ×3, first 2 shown]
	s_waitcnt vmcnt(8)
	scratch_store_b128 off, v[76:79], off offset:144
	s_clause 0x2
	global_load_b64 v[76:77], v[62:63], off
	global_load_b64 v[78:79], v[64:65], off
	;; [unrolled: 1-line block ×3, first 2 shown]
	s_mov_b32 s1, -1
	s_waitcnt vmcnt(9)
	scratch_store_b128 off, v[80:83], off offset:160
	s_waitcnt vmcnt(7)
	scratch_store_b128 off, v[84:87], off offset:176
	;; [unrolled: 2-line block ×6, first 2 shown]
	s_cbranch_scc1 .LBB31_136
; %bb.4:
	v_cmp_eq_u32_e64 s0, 0, v0
	s_delay_alu instid0(VALU_DEP_1)
	s_and_saveexec_b32 s1, s0
	s_cbranch_execz .LBB31_6
; %bb.5:
	v_mov_b32_e32 v1, 0
	ds_store_b32 v1, v1 offset:512
.LBB31_6:
	s_or_b32 exec_lo, exec_lo, s1
	s_waitcnt lgkmcnt(0)
	s_waitcnt_vscnt null, 0x0
	s_barrier
	buffer_gl0_inv
	scratch_load_b64 v[1:2], v3, off
	s_mov_b32 s2, exec_lo
	s_waitcnt vmcnt(0)
	v_cmpx_eq_f64_e32 0, v[1:2]
	s_cbranch_execz .LBB31_10
; %bb.7:
	v_mov_b32_e32 v1, 0
	s_mov_b32 s3, 0
	ds_load_b32 v2, v1 offset:512
	s_waitcnt lgkmcnt(0)
	v_readfirstlane_b32 s1, v2
	v_add_nc_u32_e32 v2, 1, v0
	s_delay_alu instid0(VALU_DEP_2) | instskip(NEXT) | instid1(VALU_DEP_1)
	s_cmp_eq_u32 s1, 0
	v_cmp_gt_i32_e32 vcc_lo, s1, v2
	s_cselect_b32 s4, -1, 0
	s_delay_alu instid0(SALU_CYCLE_1) | instskip(NEXT) | instid1(SALU_CYCLE_1)
	s_or_b32 s4, s4, vcc_lo
	s_and_b32 exec_lo, exec_lo, s4
	s_cbranch_execz .LBB31_10
; %bb.8:
	v_mov_b32_e32 v68, s1
.LBB31_9:                               ; =>This Inner Loop Header: Depth=1
	ds_cmpstore_rtn_b32 v68, v1, v2, v68 offset:512
	s_waitcnt lgkmcnt(0)
	v_cmp_ne_u32_e32 vcc_lo, 0, v68
	v_cmp_le_i32_e64 s1, v68, v2
	s_delay_alu instid0(VALU_DEP_1) | instskip(NEXT) | instid1(SALU_CYCLE_1)
	s_and_b32 s1, vcc_lo, s1
	s_and_b32 s1, exec_lo, s1
	s_delay_alu instid0(SALU_CYCLE_1) | instskip(NEXT) | instid1(SALU_CYCLE_1)
	s_or_b32 s3, s1, s3
	s_and_not1_b32 exec_lo, exec_lo, s3
	s_cbranch_execnz .LBB31_9
.LBB31_10:
	s_or_b32 exec_lo, exec_lo, s2
	v_mov_b32_e32 v1, 0
	s_barrier
	buffer_gl0_inv
	ds_load_b32 v2, v1 offset:512
	s_and_saveexec_b32 s1, s0
	s_cbranch_execz .LBB31_12
; %bb.11:
	s_lshl_b64 s[2:3], s[14:15], 2
	s_delay_alu instid0(SALU_CYCLE_1)
	s_add_u32 s2, s6, s2
	s_addc_u32 s3, s7, s3
	s_waitcnt lgkmcnt(0)
	global_store_b32 v1, v2, s[2:3]
.LBB31_12:
	s_or_b32 exec_lo, exec_lo, s1
	s_waitcnt lgkmcnt(0)
	v_cmp_ne_u32_e32 vcc_lo, 0, v2
	s_mov_b32 s1, 0
	s_cbranch_vccnz .LBB31_136
; %bb.13:
	v_add_nc_u32_e32 v68, 0, v3
	scratch_load_b64 v[1:2], v68, off
	s_waitcnt vmcnt(0)
	v_div_scale_f64 v[69:70], null, v[1:2], v[1:2], 1.0
	v_div_scale_f64 v[75:76], vcc_lo, 1.0, v[1:2], 1.0
	s_delay_alu instid0(VALU_DEP_2) | instskip(SKIP_2) | instid1(VALU_DEP_1)
	v_rcp_f64_e32 v[71:72], v[69:70]
	s_waitcnt_depctr 0xfff
	v_fma_f64 v[73:74], -v[69:70], v[71:72], 1.0
	v_fma_f64 v[71:72], v[71:72], v[73:74], v[71:72]
	s_delay_alu instid0(VALU_DEP_1) | instskip(NEXT) | instid1(VALU_DEP_1)
	v_fma_f64 v[73:74], -v[69:70], v[71:72], 1.0
	v_fma_f64 v[71:72], v[71:72], v[73:74], v[71:72]
	s_delay_alu instid0(VALU_DEP_1) | instskip(NEXT) | instid1(VALU_DEP_1)
	v_mul_f64 v[73:74], v[75:76], v[71:72]
	v_fma_f64 v[69:70], -v[69:70], v[73:74], v[75:76]
	s_delay_alu instid0(VALU_DEP_1) | instskip(NEXT) | instid1(VALU_DEP_1)
	v_div_fmas_f64 v[69:70], v[69:70], v[71:72], v[73:74]
	v_div_fixup_f64 v[1:2], v[69:70], v[1:2], 1.0
	v_add_nc_u32_e32 v69, 0x100, v3
	scratch_store_b64 v68, v[1:2], off
	scratch_load_b64 v[70:71], off, off offset:8
	v_xor_b32_e32 v2, 0x80000000, v2
	s_waitcnt vmcnt(0)
	ds_store_2addr_b64 v3, v[1:2], v[70:71] offset1:32
	s_waitcnt lgkmcnt(0)
	s_waitcnt_vscnt null, 0x0
	s_barrier
	buffer_gl0_inv
	s_and_saveexec_b32 s1, s0
	s_cbranch_execz .LBB31_15
; %bb.14:
	scratch_load_b64 v[1:2], v68, off
	ds_load_b64 v[70:71], v69
	s_waitcnt vmcnt(0) lgkmcnt(0)
	v_fma_f64 v[1:2], v[1:2], v[70:71], 0
	v_mov_b32_e32 v70, 0
	ds_load_b64 v[70:71], v70 offset:8
	s_waitcnt lgkmcnt(0)
	v_mul_f64 v[1:2], v[1:2], v[70:71]
	scratch_store_b64 off, v[1:2], off offset:8
.LBB31_15:
	s_or_b32 exec_lo, exec_lo, s1
	s_waitcnt_vscnt null, 0x0
	s_barrier
	buffer_gl0_inv
	scratch_load_b64 v[1:2], off, off offset:16
	s_mov_b32 s1, exec_lo
	s_waitcnt vmcnt(0)
	ds_store_b64 v69, v[1:2]
	s_waitcnt lgkmcnt(0)
	s_barrier
	buffer_gl0_inv
	v_cmpx_gt_u32_e32 2, v0
	s_cbranch_execz .LBB31_19
; %bb.16:
	scratch_load_b64 v[1:2], v68, off
	ds_load_b64 v[70:71], v69
	s_waitcnt vmcnt(0) lgkmcnt(0)
	v_fma_f64 v[1:2], v[1:2], v[70:71], 0
	s_and_saveexec_b32 s2, s0
	s_cbranch_execz .LBB31_18
; %bb.17:
	scratch_load_b64 v[70:71], off, off offset:8
	v_mov_b32_e32 v72, 0
	ds_load_b64 v[72:73], v72 offset:264
	s_waitcnt vmcnt(0) lgkmcnt(0)
	v_fma_f64 v[1:2], v[70:71], v[72:73], v[1:2]
.LBB31_18:
	s_or_b32 exec_lo, exec_lo, s2
	v_mov_b32_e32 v70, 0
	ds_load_b64 v[70:71], v70 offset:16
	s_waitcnt lgkmcnt(0)
	v_mul_f64 v[1:2], v[1:2], v[70:71]
	scratch_store_b64 off, v[1:2], off offset:16
.LBB31_19:
	s_or_b32 exec_lo, exec_lo, s1
	s_waitcnt_vscnt null, 0x0
	s_barrier
	buffer_gl0_inv
	scratch_load_b64 v[1:2], off, off offset:24
	v_add_nc_u32_e32 v70, -1, v0
	s_mov_b32 s0, exec_lo
	s_waitcnt vmcnt(0)
	ds_store_b64 v69, v[1:2]
	s_waitcnt lgkmcnt(0)
	s_barrier
	buffer_gl0_inv
	v_cmpx_gt_u32_e32 3, v0
	s_cbranch_execz .LBB31_23
; %bb.20:
	v_dual_mov_b32 v1, 0 :: v_dual_add_nc_u32 v72, 0x100, v3
	v_dual_mov_b32 v2, 0 :: v_dual_add_nc_u32 v71, -1, v0
	v_add_nc_u32_e32 v73, 0, v3
	s_mov_b32 s1, 0
.LBB31_21:                              ; =>This Inner Loop Header: Depth=1
	scratch_load_b64 v[74:75], v73, off
	ds_load_b64 v[76:77], v72
	v_add_nc_u32_e32 v71, 1, v71
	v_add_nc_u32_e32 v72, 8, v72
	v_add_nc_u32_e32 v73, 8, v73
	s_delay_alu instid0(VALU_DEP_3)
	v_cmp_lt_u32_e32 vcc_lo, 1, v71
	s_or_b32 s1, vcc_lo, s1
	s_waitcnt vmcnt(0) lgkmcnt(0)
	v_fma_f64 v[1:2], v[74:75], v[76:77], v[1:2]
	s_and_not1_b32 exec_lo, exec_lo, s1
	s_cbranch_execnz .LBB31_21
; %bb.22:
	s_or_b32 exec_lo, exec_lo, s1
	v_mov_b32_e32 v71, 0
	ds_load_b64 v[71:72], v71 offset:24
	s_waitcnt lgkmcnt(0)
	v_mul_f64 v[1:2], v[1:2], v[71:72]
	scratch_store_b64 off, v[1:2], off offset:24
.LBB31_23:
	s_or_b32 exec_lo, exec_lo, s0
	s_waitcnt_vscnt null, 0x0
	s_barrier
	buffer_gl0_inv
	scratch_load_b64 v[1:2], off, off offset:32
	s_mov_b32 s0, exec_lo
	s_waitcnt vmcnt(0)
	ds_store_b64 v69, v[1:2]
	s_waitcnt lgkmcnt(0)
	s_barrier
	buffer_gl0_inv
	v_cmpx_gt_u32_e32 4, v0
	s_cbranch_execz .LBB31_27
; %bb.24:
	v_dual_mov_b32 v1, 0 :: v_dual_add_nc_u32 v72, 0x100, v3
	v_dual_mov_b32 v2, 0 :: v_dual_add_nc_u32 v71, -1, v0
	v_add_nc_u32_e32 v73, 0, v3
	s_mov_b32 s1, 0
.LBB31_25:                              ; =>This Inner Loop Header: Depth=1
	scratch_load_b64 v[74:75], v73, off
	ds_load_b64 v[76:77], v72
	v_add_nc_u32_e32 v71, 1, v71
	v_add_nc_u32_e32 v72, 8, v72
	v_add_nc_u32_e32 v73, 8, v73
	s_delay_alu instid0(VALU_DEP_3)
	v_cmp_lt_u32_e32 vcc_lo, 2, v71
	s_or_b32 s1, vcc_lo, s1
	s_waitcnt vmcnt(0) lgkmcnt(0)
	v_fma_f64 v[1:2], v[74:75], v[76:77], v[1:2]
	s_and_not1_b32 exec_lo, exec_lo, s1
	s_cbranch_execnz .LBB31_25
; %bb.26:
	s_or_b32 exec_lo, exec_lo, s1
	v_mov_b32_e32 v71, 0
	ds_load_b64 v[71:72], v71 offset:32
	s_waitcnt lgkmcnt(0)
	v_mul_f64 v[1:2], v[1:2], v[71:72]
	scratch_store_b64 off, v[1:2], off offset:32
.LBB31_27:
	s_or_b32 exec_lo, exec_lo, s0
	s_waitcnt_vscnt null, 0x0
	s_barrier
	buffer_gl0_inv
	scratch_load_b64 v[1:2], off, off offset:40
	;; [unrolled: 39-line block ×20, first 2 shown]
	s_mov_b32 s0, exec_lo
	s_waitcnt vmcnt(0)
	ds_store_b64 v69, v[1:2]
	s_waitcnt lgkmcnt(0)
	s_barrier
	buffer_gl0_inv
	v_cmpx_gt_u32_e32 23, v0
	s_cbranch_execz .LBB31_103
; %bb.100:
	v_dual_mov_b32 v1, 0 :: v_dual_add_nc_u32 v72, 0x100, v3
	v_dual_mov_b32 v2, 0 :: v_dual_add_nc_u32 v71, -1, v0
	v_add_nc_u32_e32 v73, 0, v3
	s_mov_b32 s1, 0
.LBB31_101:                             ; =>This Inner Loop Header: Depth=1
	scratch_load_b64 v[74:75], v73, off
	ds_load_b64 v[76:77], v72
	v_add_nc_u32_e32 v71, 1, v71
	v_add_nc_u32_e32 v72, 8, v72
	v_add_nc_u32_e32 v73, 8, v73
	s_delay_alu instid0(VALU_DEP_3)
	v_cmp_lt_u32_e32 vcc_lo, 21, v71
	s_or_b32 s1, vcc_lo, s1
	s_waitcnt vmcnt(0) lgkmcnt(0)
	v_fma_f64 v[1:2], v[74:75], v[76:77], v[1:2]
	s_and_not1_b32 exec_lo, exec_lo, s1
	s_cbranch_execnz .LBB31_101
; %bb.102:
	s_or_b32 exec_lo, exec_lo, s1
	v_mov_b32_e32 v71, 0
	ds_load_b64 v[71:72], v71 offset:184
	s_waitcnt lgkmcnt(0)
	v_mul_f64 v[1:2], v[1:2], v[71:72]
	scratch_store_b64 off, v[1:2], off offset:184
.LBB31_103:
	s_or_b32 exec_lo, exec_lo, s0
	s_waitcnt_vscnt null, 0x0
	s_barrier
	buffer_gl0_inv
	scratch_load_b64 v[1:2], off, off offset:192
	s_mov_b32 s0, exec_lo
	s_waitcnt vmcnt(0)
	ds_store_b64 v69, v[1:2]
	s_waitcnt lgkmcnt(0)
	s_barrier
	buffer_gl0_inv
	v_cmpx_gt_u32_e32 24, v0
	s_cbranch_execz .LBB31_107
; %bb.104:
	v_dual_mov_b32 v1, 0 :: v_dual_add_nc_u32 v72, 0x100, v3
	v_dual_mov_b32 v2, 0 :: v_dual_add_nc_u32 v71, -1, v0
	v_add_nc_u32_e32 v73, 0, v3
	s_mov_b32 s1, 0
.LBB31_105:                             ; =>This Inner Loop Header: Depth=1
	scratch_load_b64 v[74:75], v73, off
	ds_load_b64 v[76:77], v72
	v_add_nc_u32_e32 v71, 1, v71
	v_add_nc_u32_e32 v72, 8, v72
	v_add_nc_u32_e32 v73, 8, v73
	s_delay_alu instid0(VALU_DEP_3)
	v_cmp_lt_u32_e32 vcc_lo, 22, v71
	s_or_b32 s1, vcc_lo, s1
	s_waitcnt vmcnt(0) lgkmcnt(0)
	v_fma_f64 v[1:2], v[74:75], v[76:77], v[1:2]
	s_and_not1_b32 exec_lo, exec_lo, s1
	s_cbranch_execnz .LBB31_105
; %bb.106:
	s_or_b32 exec_lo, exec_lo, s1
	v_mov_b32_e32 v71, 0
	ds_load_b64 v[71:72], v71 offset:192
	s_waitcnt lgkmcnt(0)
	v_mul_f64 v[1:2], v[1:2], v[71:72]
	scratch_store_b64 off, v[1:2], off offset:192
.LBB31_107:
	s_or_b32 exec_lo, exec_lo, s0
	s_waitcnt_vscnt null, 0x0
	s_barrier
	buffer_gl0_inv
	scratch_load_b64 v[1:2], off, off offset:200
	;; [unrolled: 39-line block ×8, first 2 shown]
	s_mov_b32 s0, exec_lo
	s_waitcnt vmcnt(0)
	ds_store_b64 v69, v[1:2]
	s_waitcnt lgkmcnt(0)
	s_barrier
	buffer_gl0_inv
	v_cmpx_ne_u32_e32 31, v0
	s_cbranch_execz .LBB31_135
; %bb.132:
	v_mov_b32_e32 v1, 0
	v_mov_b32_e32 v2, 0
	s_mov_b32 s1, 0
.LBB31_133:                             ; =>This Inner Loop Header: Depth=1
	scratch_load_b64 v[71:72], v68, off
	ds_load_b64 v[73:74], v69
	v_add_nc_u32_e32 v70, 1, v70
	v_add_nc_u32_e32 v69, 8, v69
	;; [unrolled: 1-line block ×3, first 2 shown]
	s_delay_alu instid0(VALU_DEP_3)
	v_cmp_lt_u32_e32 vcc_lo, 29, v70
	s_or_b32 s1, vcc_lo, s1
	s_waitcnt vmcnt(0) lgkmcnt(0)
	v_fma_f64 v[1:2], v[71:72], v[73:74], v[1:2]
	s_and_not1_b32 exec_lo, exec_lo, s1
	s_cbranch_execnz .LBB31_133
; %bb.134:
	s_or_b32 exec_lo, exec_lo, s1
	v_mov_b32_e32 v3, 0
	ds_load_b64 v[68:69], v3 offset:248
	s_waitcnt lgkmcnt(0)
	v_mul_f64 v[1:2], v[1:2], v[68:69]
	scratch_store_b64 off, v[1:2], off offset:248
.LBB31_135:
	s_or_b32 exec_lo, exec_lo, s0
	s_mov_b32 s1, -1
	s_waitcnt_vscnt null, 0x0
	s_barrier
	buffer_gl0_inv
.LBB31_136:
	s_and_b32 vcc_lo, exec_lo, s1
	s_cbranch_vccz .LBB31_138
; %bb.137:
	s_lshl_b64 s[0:1], s[14:15], 2
	v_mov_b32_e32 v1, 0
	s_add_u32 s0, s6, s0
	s_addc_u32 s1, s7, s1
	global_load_b32 v1, v1, s[0:1]
	s_waitcnt vmcnt(0)
	v_cmp_ne_u32_e32 vcc_lo, 0, v1
	s_cbranch_vccz .LBB31_139
.LBB31_138:
	s_endpgm
.LBB31_139:
	v_lshl_add_u32 v3, v0, 3, 0x100
	s_mov_b32 s0, exec_lo
	v_cmpx_eq_u32_e32 31, v0
	s_cbranch_execz .LBB31_141
; %bb.140:
	scratch_load_b64 v[1:2], off, off offset:240
	v_mov_b32_e32 v68, 0
	s_delay_alu instid0(VALU_DEP_1)
	v_mov_b32_e32 v69, v68
	scratch_store_b64 off, v[68:69], off offset:240
	s_waitcnt vmcnt(0)
	ds_store_b64 v3, v[1:2]
.LBB31_141:
	s_or_b32 exec_lo, exec_lo, s0
	s_waitcnt lgkmcnt(0)
	s_waitcnt_vscnt null, 0x0
	s_barrier
	buffer_gl0_inv
	scratch_load_b128 v[68:71], off, off offset:240
	v_mov_b32_e32 v1, 0
	s_mov_b32 s0, exec_lo
	ds_load_b64 v[72:73], v1 offset:504
	s_waitcnt vmcnt(0) lgkmcnt(0)
	v_fma_f64 v[70:71], v[70:71], v[72:73], 0
	s_delay_alu instid0(VALU_DEP_1)
	v_add_f64 v[68:69], v[68:69], -v[70:71]
	scratch_store_b64 off, v[68:69], off offset:240
	v_cmpx_lt_u32_e32 29, v0
	s_cbranch_execz .LBB31_143
; %bb.142:
	scratch_load_b64 v[68:69], off, off offset:232
	v_mov_b32_e32 v2, v1
	scratch_store_b64 off, v[1:2], off offset:232
	s_waitcnt vmcnt(0)
	ds_store_b64 v3, v[68:69]
.LBB31_143:
	s_or_b32 exec_lo, exec_lo, s0
	s_waitcnt lgkmcnt(0)
	s_waitcnt_vscnt null, 0x0
	s_barrier
	buffer_gl0_inv
	s_clause 0x1
	scratch_load_b128 v[68:71], off, off offset:232
	scratch_load_b64 v[76:77], off, off offset:248
	ds_load_b128 v[72:75], v1 offset:496
	s_mov_b32 s0, exec_lo
	s_waitcnt vmcnt(1) lgkmcnt(0)
	v_fma_f64 v[1:2], v[70:71], v[72:73], 0
	s_waitcnt vmcnt(0)
	s_delay_alu instid0(VALU_DEP_1) | instskip(NEXT) | instid1(VALU_DEP_1)
	v_fma_f64 v[1:2], v[76:77], v[74:75], v[1:2]
	v_add_f64 v[1:2], v[68:69], -v[1:2]
	scratch_store_b64 off, v[1:2], off offset:232
	v_cmpx_lt_u32_e32 28, v0
	s_cbranch_execz .LBB31_145
; %bb.144:
	scratch_load_b64 v[1:2], off, off offset:224
	v_mov_b32_e32 v68, 0
	s_delay_alu instid0(VALU_DEP_1)
	v_mov_b32_e32 v69, v68
	scratch_store_b64 off, v[68:69], off offset:224
	s_waitcnt vmcnt(0)
	ds_store_b64 v3, v[1:2]
.LBB31_145:
	s_or_b32 exec_lo, exec_lo, s0
	s_waitcnt lgkmcnt(0)
	s_waitcnt_vscnt null, 0x0
	s_barrier
	buffer_gl0_inv
	s_clause 0x1
	scratch_load_b128 v[68:71], off, off offset:224
	scratch_load_b128 v[72:75], off, off offset:240
	v_mov_b32_e32 v1, 0
	ds_load_2addr_b64 v[76:79], v1 offset0:61 offset1:62
	ds_load_b64 v[80:81], v1 offset:504
	s_mov_b32 s0, exec_lo
	s_waitcnt vmcnt(1) lgkmcnt(1)
	v_fma_f64 v[70:71], v[70:71], v[76:77], 0
	s_waitcnt vmcnt(0)
	s_delay_alu instid0(VALU_DEP_1) | instskip(SKIP_1) | instid1(VALU_DEP_1)
	v_fma_f64 v[70:71], v[72:73], v[78:79], v[70:71]
	s_waitcnt lgkmcnt(0)
	v_fma_f64 v[70:71], v[74:75], v[80:81], v[70:71]
	s_delay_alu instid0(VALU_DEP_1)
	v_add_f64 v[68:69], v[68:69], -v[70:71]
	scratch_store_b64 off, v[68:69], off offset:224
	v_cmpx_lt_u32_e32 27, v0
	s_cbranch_execz .LBB31_147
; %bb.146:
	scratch_load_b64 v[68:69], off, off offset:216
	v_mov_b32_e32 v2, v1
	scratch_store_b64 off, v[1:2], off offset:216
	s_waitcnt vmcnt(0)
	ds_store_b64 v3, v[68:69]
.LBB31_147:
	s_or_b32 exec_lo, exec_lo, s0
	s_waitcnt lgkmcnt(0)
	s_waitcnt_vscnt null, 0x0
	s_barrier
	buffer_gl0_inv
	s_clause 0x2
	scratch_load_b128 v[68:71], off, off offset:216
	scratch_load_b128 v[72:75], off, off offset:232
	scratch_load_b64 v[84:85], off, off offset:248
	ds_load_b128 v[76:79], v1 offset:480
	ds_load_b128 v[80:83], v1 offset:496
	s_mov_b32 s0, exec_lo
	s_waitcnt vmcnt(2) lgkmcnt(1)
	v_fma_f64 v[1:2], v[70:71], v[76:77], 0
	s_waitcnt vmcnt(1)
	s_delay_alu instid0(VALU_DEP_1) | instskip(SKIP_1) | instid1(VALU_DEP_1)
	v_fma_f64 v[1:2], v[72:73], v[78:79], v[1:2]
	s_waitcnt lgkmcnt(0)
	v_fma_f64 v[1:2], v[74:75], v[80:81], v[1:2]
	s_waitcnt vmcnt(0)
	s_delay_alu instid0(VALU_DEP_1) | instskip(NEXT) | instid1(VALU_DEP_1)
	v_fma_f64 v[1:2], v[84:85], v[82:83], v[1:2]
	v_add_f64 v[1:2], v[68:69], -v[1:2]
	scratch_store_b64 off, v[1:2], off offset:216
	v_cmpx_lt_u32_e32 26, v0
	s_cbranch_execz .LBB31_149
; %bb.148:
	scratch_load_b64 v[1:2], off, off offset:208
	v_mov_b32_e32 v68, 0
	s_delay_alu instid0(VALU_DEP_1)
	v_mov_b32_e32 v69, v68
	scratch_store_b64 off, v[68:69], off offset:208
	s_waitcnt vmcnt(0)
	ds_store_b64 v3, v[1:2]
.LBB31_149:
	s_or_b32 exec_lo, exec_lo, s0
	s_waitcnt lgkmcnt(0)
	s_waitcnt_vscnt null, 0x0
	s_barrier
	buffer_gl0_inv
	s_clause 0x2
	scratch_load_b128 v[68:71], off, off offset:208
	scratch_load_b128 v[72:75], off, off offset:224
	;; [unrolled: 1-line block ×3, first 2 shown]
	v_mov_b32_e32 v1, 0
	ds_load_2addr_b64 v[80:83], v1 offset0:59 offset1:60
	ds_load_2addr_b64 v[84:87], v1 offset0:61 offset1:62
	s_mov_b32 s0, exec_lo
	s_waitcnt vmcnt(2) lgkmcnt(1)
	v_fma_f64 v[70:71], v[70:71], v[80:81], 0
	s_waitcnt vmcnt(1)
	s_delay_alu instid0(VALU_DEP_1) | instskip(SKIP_4) | instid1(VALU_DEP_1)
	v_fma_f64 v[70:71], v[72:73], v[82:83], v[70:71]
	ds_load_b64 v[72:73], v1 offset:504
	s_waitcnt lgkmcnt(1)
	v_fma_f64 v[70:71], v[74:75], v[84:85], v[70:71]
	s_waitcnt vmcnt(0)
	v_fma_f64 v[70:71], v[76:77], v[86:87], v[70:71]
	s_waitcnt lgkmcnt(0)
	s_delay_alu instid0(VALU_DEP_1) | instskip(NEXT) | instid1(VALU_DEP_1)
	v_fma_f64 v[70:71], v[78:79], v[72:73], v[70:71]
	v_add_f64 v[68:69], v[68:69], -v[70:71]
	scratch_store_b64 off, v[68:69], off offset:208
	v_cmpx_lt_u32_e32 25, v0
	s_cbranch_execz .LBB31_151
; %bb.150:
	scratch_load_b64 v[68:69], off, off offset:200
	v_mov_b32_e32 v2, v1
	scratch_store_b64 off, v[1:2], off offset:200
	s_waitcnt vmcnt(0)
	ds_store_b64 v3, v[68:69]
.LBB31_151:
	s_or_b32 exec_lo, exec_lo, s0
	s_waitcnt lgkmcnt(0)
	s_waitcnt_vscnt null, 0x0
	s_barrier
	buffer_gl0_inv
	s_clause 0x3
	scratch_load_b128 v[68:71], off, off offset:200
	scratch_load_b128 v[72:75], off, off offset:216
	;; [unrolled: 1-line block ×3, first 2 shown]
	scratch_load_b64 v[88:89], off, off offset:248
	ds_load_b128 v[80:83], v1 offset:464
	ds_load_b128 v[84:87], v1 offset:480
	s_mov_b32 s0, exec_lo
	s_waitcnt vmcnt(3) lgkmcnt(1)
	v_fma_f64 v[70:71], v[70:71], v[80:81], 0
	s_waitcnt vmcnt(2)
	s_delay_alu instid0(VALU_DEP_1) | instskip(SKIP_1) | instid1(VALU_DEP_1)
	v_fma_f64 v[70:71], v[72:73], v[82:83], v[70:71]
	s_waitcnt lgkmcnt(0)
	v_fma_f64 v[70:71], v[74:75], v[84:85], v[70:71]
	s_waitcnt vmcnt(1)
	s_delay_alu instid0(VALU_DEP_1) | instskip(SKIP_4) | instid1(VALU_DEP_1)
	v_fma_f64 v[74:75], v[76:77], v[86:87], v[70:71]
	ds_load_b128 v[70:73], v1 offset:496
	s_waitcnt lgkmcnt(0)
	v_fma_f64 v[1:2], v[78:79], v[70:71], v[74:75]
	s_waitcnt vmcnt(0)
	v_fma_f64 v[1:2], v[88:89], v[72:73], v[1:2]
	s_delay_alu instid0(VALU_DEP_1)
	v_add_f64 v[1:2], v[68:69], -v[1:2]
	scratch_store_b64 off, v[1:2], off offset:200
	v_cmpx_lt_u32_e32 24, v0
	s_cbranch_execz .LBB31_153
; %bb.152:
	scratch_load_b64 v[1:2], off, off offset:192
	v_mov_b32_e32 v68, 0
	s_delay_alu instid0(VALU_DEP_1)
	v_mov_b32_e32 v69, v68
	scratch_store_b64 off, v[68:69], off offset:192
	s_waitcnt vmcnt(0)
	ds_store_b64 v3, v[1:2]
.LBB31_153:
	s_or_b32 exec_lo, exec_lo, s0
	s_waitcnt lgkmcnt(0)
	s_waitcnt_vscnt null, 0x0
	s_barrier
	buffer_gl0_inv
	s_clause 0x3
	scratch_load_b128 v[68:71], off, off offset:192
	scratch_load_b128 v[72:75], off, off offset:208
	;; [unrolled: 1-line block ×4, first 2 shown]
	v_mov_b32_e32 v1, 0
	ds_load_2addr_b64 v[84:87], v1 offset0:57 offset1:58
	ds_load_2addr_b64 v[88:91], v1 offset0:59 offset1:60
	s_mov_b32 s0, exec_lo
	s_waitcnt vmcnt(3) lgkmcnt(1)
	v_fma_f64 v[70:71], v[70:71], v[84:85], 0
	s_waitcnt vmcnt(2)
	s_delay_alu instid0(VALU_DEP_1) | instskip(SKIP_1) | instid1(VALU_DEP_1)
	v_fma_f64 v[70:71], v[72:73], v[86:87], v[70:71]
	s_waitcnt lgkmcnt(0)
	v_fma_f64 v[70:71], v[74:75], v[88:89], v[70:71]
	s_waitcnt vmcnt(1)
	s_delay_alu instid0(VALU_DEP_1)
	v_fma_f64 v[74:75], v[76:77], v[90:91], v[70:71]
	ds_load_2addr_b64 v[70:73], v1 offset0:61 offset1:62
	ds_load_b64 v[76:77], v1 offset:504
	s_waitcnt lgkmcnt(1)
	v_fma_f64 v[70:71], v[78:79], v[70:71], v[74:75]
	s_waitcnt vmcnt(0)
	s_delay_alu instid0(VALU_DEP_1) | instskip(SKIP_1) | instid1(VALU_DEP_1)
	v_fma_f64 v[70:71], v[80:81], v[72:73], v[70:71]
	s_waitcnt lgkmcnt(0)
	v_fma_f64 v[70:71], v[82:83], v[76:77], v[70:71]
	s_delay_alu instid0(VALU_DEP_1)
	v_add_f64 v[68:69], v[68:69], -v[70:71]
	scratch_store_b64 off, v[68:69], off offset:192
	v_cmpx_lt_u32_e32 23, v0
	s_cbranch_execz .LBB31_155
; %bb.154:
	scratch_load_b64 v[68:69], off, off offset:184
	v_mov_b32_e32 v2, v1
	scratch_store_b64 off, v[1:2], off offset:184
	s_waitcnt vmcnt(0)
	ds_store_b64 v3, v[68:69]
.LBB31_155:
	s_or_b32 exec_lo, exec_lo, s0
	s_waitcnt lgkmcnt(0)
	s_waitcnt_vscnt null, 0x0
	s_barrier
	buffer_gl0_inv
	s_clause 0x4
	scratch_load_b128 v[68:71], off, off offset:184
	scratch_load_b128 v[72:75], off, off offset:200
	;; [unrolled: 1-line block ×4, first 2 shown]
	scratch_load_b64 v[92:93], off, off offset:248
	ds_load_b128 v[84:87], v1 offset:448
	ds_load_b128 v[88:91], v1 offset:464
	s_mov_b32 s0, exec_lo
	s_waitcnt vmcnt(4) lgkmcnt(1)
	v_fma_f64 v[70:71], v[70:71], v[84:85], 0
	s_waitcnt vmcnt(3)
	s_delay_alu instid0(VALU_DEP_1) | instskip(SKIP_1) | instid1(VALU_DEP_1)
	v_fma_f64 v[70:71], v[72:73], v[86:87], v[70:71]
	s_waitcnt lgkmcnt(0)
	v_fma_f64 v[70:71], v[74:75], v[88:89], v[70:71]
	s_waitcnt vmcnt(2)
	s_delay_alu instid0(VALU_DEP_1)
	v_fma_f64 v[84:85], v[76:77], v[90:91], v[70:71]
	ds_load_b128 v[70:73], v1 offset:480
	ds_load_b128 v[74:77], v1 offset:496
	s_waitcnt lgkmcnt(1)
	v_fma_f64 v[1:2], v[78:79], v[70:71], v[84:85]
	s_waitcnt vmcnt(1)
	s_delay_alu instid0(VALU_DEP_1) | instskip(SKIP_1) | instid1(VALU_DEP_1)
	v_fma_f64 v[1:2], v[80:81], v[72:73], v[1:2]
	s_waitcnt lgkmcnt(0)
	v_fma_f64 v[1:2], v[82:83], v[74:75], v[1:2]
	s_waitcnt vmcnt(0)
	s_delay_alu instid0(VALU_DEP_1) | instskip(NEXT) | instid1(VALU_DEP_1)
	v_fma_f64 v[1:2], v[92:93], v[76:77], v[1:2]
	v_add_f64 v[1:2], v[68:69], -v[1:2]
	scratch_store_b64 off, v[1:2], off offset:184
	v_cmpx_lt_u32_e32 22, v0
	s_cbranch_execz .LBB31_157
; %bb.156:
	scratch_load_b64 v[1:2], off, off offset:176
	v_mov_b32_e32 v68, 0
	s_delay_alu instid0(VALU_DEP_1)
	v_mov_b32_e32 v69, v68
	scratch_store_b64 off, v[68:69], off offset:176
	s_waitcnt vmcnt(0)
	ds_store_b64 v3, v[1:2]
.LBB31_157:
	s_or_b32 exec_lo, exec_lo, s0
	s_waitcnt lgkmcnt(0)
	s_waitcnt_vscnt null, 0x0
	s_barrier
	buffer_gl0_inv
	s_clause 0x4
	scratch_load_b128 v[68:71], off, off offset:176
	scratch_load_b128 v[72:75], off, off offset:192
	;; [unrolled: 1-line block ×5, first 2 shown]
	v_mov_b32_e32 v1, 0
	s_mov_b32 s0, exec_lo
	ds_load_2addr_b64 v[88:91], v1 offset0:55 offset1:56
	s_waitcnt vmcnt(4) lgkmcnt(0)
	v_fma_f64 v[70:71], v[70:71], v[88:89], 0
	s_waitcnt vmcnt(3)
	s_delay_alu instid0(VALU_DEP_1) | instskip(SKIP_4) | instid1(VALU_DEP_1)
	v_fma_f64 v[88:89], v[72:73], v[90:91], v[70:71]
	ds_load_2addr_b64 v[70:73], v1 offset0:57 offset1:58
	s_waitcnt lgkmcnt(0)
	v_fma_f64 v[70:71], v[74:75], v[70:71], v[88:89]
	s_waitcnt vmcnt(2)
	v_fma_f64 v[74:75], v[76:77], v[72:73], v[70:71]
	ds_load_2addr_b64 v[70:73], v1 offset0:59 offset1:60
	s_waitcnt lgkmcnt(0)
	v_fma_f64 v[70:71], v[78:79], v[70:71], v[74:75]
	s_waitcnt vmcnt(1)
	s_delay_alu instid0(VALU_DEP_1) | instskip(SKIP_4) | instid1(VALU_DEP_1)
	v_fma_f64 v[74:75], v[80:81], v[72:73], v[70:71]
	ds_load_2addr_b64 v[70:73], v1 offset0:61 offset1:62
	s_waitcnt lgkmcnt(0)
	v_fma_f64 v[70:71], v[82:83], v[70:71], v[74:75]
	s_waitcnt vmcnt(0)
	v_fma_f64 v[70:71], v[84:85], v[72:73], v[70:71]
	ds_load_b64 v[72:73], v1 offset:504
	s_waitcnt lgkmcnt(0)
	v_fma_f64 v[70:71], v[86:87], v[72:73], v[70:71]
	s_delay_alu instid0(VALU_DEP_1)
	v_add_f64 v[68:69], v[68:69], -v[70:71]
	scratch_store_b64 off, v[68:69], off offset:176
	v_cmpx_lt_u32_e32 21, v0
	s_cbranch_execz .LBB31_159
; %bb.158:
	scratch_load_b64 v[68:69], off, off offset:168
	v_mov_b32_e32 v2, v1
	scratch_store_b64 off, v[1:2], off offset:168
	s_waitcnt vmcnt(0)
	ds_store_b64 v3, v[68:69]
.LBB31_159:
	s_or_b32 exec_lo, exec_lo, s0
	s_waitcnt lgkmcnt(0)
	s_waitcnt_vscnt null, 0x0
	s_barrier
	buffer_gl0_inv
	s_clause 0x4
	scratch_load_b128 v[68:71], off, off offset:168
	scratch_load_b128 v[72:75], off, off offset:184
	;; [unrolled: 1-line block ×5, first 2 shown]
	ds_load_b128 v[88:91], v1 offset:432
	s_mov_b32 s0, exec_lo
	s_waitcnt vmcnt(4) lgkmcnt(0)
	v_fma_f64 v[70:71], v[70:71], v[88:89], 0
	scratch_load_b64 v[88:89], off, off offset:248
	s_waitcnt vmcnt(4)
	v_fma_f64 v[90:91], v[72:73], v[90:91], v[70:71]
	ds_load_b128 v[70:73], v1 offset:448
	s_waitcnt lgkmcnt(0)
	v_fma_f64 v[70:71], v[74:75], v[70:71], v[90:91]
	s_waitcnt vmcnt(3)
	s_delay_alu instid0(VALU_DEP_1) | instskip(SKIP_4) | instid1(VALU_DEP_1)
	v_fma_f64 v[74:75], v[76:77], v[72:73], v[70:71]
	ds_load_b128 v[70:73], v1 offset:464
	s_waitcnt lgkmcnt(0)
	v_fma_f64 v[70:71], v[78:79], v[70:71], v[74:75]
	s_waitcnt vmcnt(2)
	v_fma_f64 v[74:75], v[80:81], v[72:73], v[70:71]
	ds_load_b128 v[70:73], v1 offset:480
	s_waitcnt lgkmcnt(0)
	v_fma_f64 v[70:71], v[82:83], v[70:71], v[74:75]
	s_waitcnt vmcnt(1)
	s_delay_alu instid0(VALU_DEP_1) | instskip(SKIP_4) | instid1(VALU_DEP_1)
	v_fma_f64 v[74:75], v[84:85], v[72:73], v[70:71]
	ds_load_b128 v[70:73], v1 offset:496
	s_waitcnt lgkmcnt(0)
	v_fma_f64 v[1:2], v[86:87], v[70:71], v[74:75]
	s_waitcnt vmcnt(0)
	v_fma_f64 v[1:2], v[88:89], v[72:73], v[1:2]
	s_delay_alu instid0(VALU_DEP_1)
	v_add_f64 v[1:2], v[68:69], -v[1:2]
	scratch_store_b64 off, v[1:2], off offset:168
	v_cmpx_lt_u32_e32 20, v0
	s_cbranch_execz .LBB31_161
; %bb.160:
	scratch_load_b64 v[1:2], off, off offset:160
	v_mov_b32_e32 v68, 0
	s_delay_alu instid0(VALU_DEP_1)
	v_mov_b32_e32 v69, v68
	scratch_store_b64 off, v[68:69], off offset:160
	s_waitcnt vmcnt(0)
	ds_store_b64 v3, v[1:2]
.LBB31_161:
	s_or_b32 exec_lo, exec_lo, s0
	s_waitcnt lgkmcnt(0)
	s_waitcnt_vscnt null, 0x0
	s_barrier
	buffer_gl0_inv
	s_clause 0x4
	scratch_load_b128 v[68:71], off, off offset:160
	scratch_load_b128 v[72:75], off, off offset:176
	;; [unrolled: 1-line block ×5, first 2 shown]
	v_mov_b32_e32 v1, 0
	scratch_load_b128 v[92:95], off, off offset:240
	s_mov_b32 s0, exec_lo
	ds_load_2addr_b64 v[88:91], v1 offset0:53 offset1:54
	s_waitcnt vmcnt(5) lgkmcnt(0)
	v_fma_f64 v[70:71], v[70:71], v[88:89], 0
	s_waitcnt vmcnt(4)
	s_delay_alu instid0(VALU_DEP_1) | instskip(SKIP_4) | instid1(VALU_DEP_1)
	v_fma_f64 v[88:89], v[72:73], v[90:91], v[70:71]
	ds_load_2addr_b64 v[70:73], v1 offset0:55 offset1:56
	s_waitcnt lgkmcnt(0)
	v_fma_f64 v[70:71], v[74:75], v[70:71], v[88:89]
	s_waitcnt vmcnt(3)
	v_fma_f64 v[74:75], v[76:77], v[72:73], v[70:71]
	ds_load_2addr_b64 v[70:73], v1 offset0:57 offset1:58
	s_waitcnt lgkmcnt(0)
	v_fma_f64 v[70:71], v[78:79], v[70:71], v[74:75]
	s_waitcnt vmcnt(2)
	s_delay_alu instid0(VALU_DEP_1) | instskip(SKIP_4) | instid1(VALU_DEP_1)
	v_fma_f64 v[74:75], v[80:81], v[72:73], v[70:71]
	ds_load_2addr_b64 v[70:73], v1 offset0:59 offset1:60
	s_waitcnt lgkmcnt(0)
	v_fma_f64 v[70:71], v[82:83], v[70:71], v[74:75]
	s_waitcnt vmcnt(1)
	v_fma_f64 v[74:75], v[84:85], v[72:73], v[70:71]
	ds_load_2addr_b64 v[70:73], v1 offset0:61 offset1:62
	s_waitcnt lgkmcnt(0)
	v_fma_f64 v[70:71], v[86:87], v[70:71], v[74:75]
	s_waitcnt vmcnt(0)
	s_delay_alu instid0(VALU_DEP_1) | instskip(SKIP_3) | instid1(VALU_DEP_1)
	v_fma_f64 v[70:71], v[92:93], v[72:73], v[70:71]
	ds_load_b64 v[72:73], v1 offset:504
	s_waitcnt lgkmcnt(0)
	v_fma_f64 v[70:71], v[94:95], v[72:73], v[70:71]
	v_add_f64 v[68:69], v[68:69], -v[70:71]
	scratch_store_b64 off, v[68:69], off offset:160
	v_cmpx_lt_u32_e32 19, v0
	s_cbranch_execz .LBB31_163
; %bb.162:
	scratch_load_b64 v[68:69], off, off offset:152
	v_mov_b32_e32 v2, v1
	scratch_store_b64 off, v[1:2], off offset:152
	s_waitcnt vmcnt(0)
	ds_store_b64 v3, v[68:69]
.LBB31_163:
	s_or_b32 exec_lo, exec_lo, s0
	s_waitcnt lgkmcnt(0)
	s_waitcnt_vscnt null, 0x0
	s_barrier
	buffer_gl0_inv
	s_clause 0x4
	scratch_load_b128 v[68:71], off, off offset:152
	scratch_load_b128 v[72:75], off, off offset:168
	;; [unrolled: 1-line block ×5, first 2 shown]
	ds_load_b128 v[88:91], v1 offset:416
	scratch_load_b128 v[92:95], off, off offset:232
	s_mov_b32 s0, exec_lo
	s_waitcnt vmcnt(5) lgkmcnt(0)
	v_fma_f64 v[70:71], v[70:71], v[88:89], 0
	s_waitcnt vmcnt(4)
	s_delay_alu instid0(VALU_DEP_1)
	v_fma_f64 v[88:89], v[72:73], v[90:91], v[70:71]
	ds_load_b128 v[70:73], v1 offset:432
	s_waitcnt lgkmcnt(0)
	v_fma_f64 v[70:71], v[74:75], v[70:71], v[88:89]
	scratch_load_b64 v[74:75], off, off offset:248
	s_waitcnt vmcnt(4)
	v_fma_f64 v[76:77], v[76:77], v[72:73], v[70:71]
	ds_load_b128 v[70:73], v1 offset:448
	s_waitcnt lgkmcnt(0)
	v_fma_f64 v[70:71], v[78:79], v[70:71], v[76:77]
	s_waitcnt vmcnt(3)
	s_delay_alu instid0(VALU_DEP_1) | instskip(SKIP_4) | instid1(VALU_DEP_1)
	v_fma_f64 v[76:77], v[80:81], v[72:73], v[70:71]
	ds_load_b128 v[70:73], v1 offset:464
	s_waitcnt lgkmcnt(0)
	v_fma_f64 v[70:71], v[82:83], v[70:71], v[76:77]
	s_waitcnt vmcnt(2)
	v_fma_f64 v[76:77], v[84:85], v[72:73], v[70:71]
	ds_load_b128 v[70:73], v1 offset:480
	s_waitcnt lgkmcnt(0)
	v_fma_f64 v[70:71], v[86:87], v[70:71], v[76:77]
	s_waitcnt vmcnt(1)
	s_delay_alu instid0(VALU_DEP_1) | instskip(SKIP_4) | instid1(VALU_DEP_1)
	v_fma_f64 v[76:77], v[92:93], v[72:73], v[70:71]
	ds_load_b128 v[70:73], v1 offset:496
	s_waitcnt lgkmcnt(0)
	v_fma_f64 v[1:2], v[94:95], v[70:71], v[76:77]
	s_waitcnt vmcnt(0)
	v_fma_f64 v[1:2], v[74:75], v[72:73], v[1:2]
	s_delay_alu instid0(VALU_DEP_1)
	v_add_f64 v[1:2], v[68:69], -v[1:2]
	scratch_store_b64 off, v[1:2], off offset:152
	v_cmpx_lt_u32_e32 18, v0
	s_cbranch_execz .LBB31_165
; %bb.164:
	scratch_load_b64 v[1:2], off, off offset:144
	v_mov_b32_e32 v68, 0
	s_delay_alu instid0(VALU_DEP_1)
	v_mov_b32_e32 v69, v68
	scratch_store_b64 off, v[68:69], off offset:144
	s_waitcnt vmcnt(0)
	ds_store_b64 v3, v[1:2]
.LBB31_165:
	s_or_b32 exec_lo, exec_lo, s0
	s_waitcnt lgkmcnt(0)
	s_waitcnt_vscnt null, 0x0
	s_barrier
	buffer_gl0_inv
	s_clause 0x4
	scratch_load_b128 v[68:71], off, off offset:144
	scratch_load_b128 v[72:75], off, off offset:160
	;; [unrolled: 1-line block ×5, first 2 shown]
	v_mov_b32_e32 v1, 0
	scratch_load_b128 v[92:95], off, off offset:224
	s_mov_b32 s0, exec_lo
	ds_load_2addr_b64 v[88:91], v1 offset0:51 offset1:52
	s_waitcnt vmcnt(5) lgkmcnt(0)
	v_fma_f64 v[70:71], v[70:71], v[88:89], 0
	s_waitcnt vmcnt(4)
	s_delay_alu instid0(VALU_DEP_1)
	v_fma_f64 v[88:89], v[72:73], v[90:91], v[70:71]
	ds_load_2addr_b64 v[70:73], v1 offset0:53 offset1:54
	s_waitcnt lgkmcnt(0)
	v_fma_f64 v[70:71], v[74:75], v[70:71], v[88:89]
	scratch_load_b128 v[88:91], off, off offset:240
	s_waitcnt vmcnt(4)
	v_fma_f64 v[74:75], v[76:77], v[72:73], v[70:71]
	ds_load_2addr_b64 v[70:73], v1 offset0:55 offset1:56
	s_waitcnt lgkmcnt(0)
	v_fma_f64 v[70:71], v[78:79], v[70:71], v[74:75]
	s_waitcnt vmcnt(3)
	s_delay_alu instid0(VALU_DEP_1) | instskip(SKIP_4) | instid1(VALU_DEP_1)
	v_fma_f64 v[74:75], v[80:81], v[72:73], v[70:71]
	ds_load_2addr_b64 v[70:73], v1 offset0:57 offset1:58
	s_waitcnt lgkmcnt(0)
	v_fma_f64 v[70:71], v[82:83], v[70:71], v[74:75]
	s_waitcnt vmcnt(2)
	v_fma_f64 v[74:75], v[84:85], v[72:73], v[70:71]
	ds_load_2addr_b64 v[70:73], v1 offset0:59 offset1:60
	s_waitcnt lgkmcnt(0)
	v_fma_f64 v[70:71], v[86:87], v[70:71], v[74:75]
	s_waitcnt vmcnt(1)
	s_delay_alu instid0(VALU_DEP_1) | instskip(SKIP_4) | instid1(VALU_DEP_1)
	v_fma_f64 v[74:75], v[92:93], v[72:73], v[70:71]
	ds_load_2addr_b64 v[70:73], v1 offset0:61 offset1:62
	s_waitcnt lgkmcnt(0)
	v_fma_f64 v[70:71], v[94:95], v[70:71], v[74:75]
	s_waitcnt vmcnt(0)
	v_fma_f64 v[70:71], v[88:89], v[72:73], v[70:71]
	ds_load_b64 v[72:73], v1 offset:504
	s_waitcnt lgkmcnt(0)
	v_fma_f64 v[70:71], v[90:91], v[72:73], v[70:71]
	s_delay_alu instid0(VALU_DEP_1)
	v_add_f64 v[68:69], v[68:69], -v[70:71]
	scratch_store_b64 off, v[68:69], off offset:144
	v_cmpx_lt_u32_e32 17, v0
	s_cbranch_execz .LBB31_167
; %bb.166:
	scratch_load_b64 v[68:69], off, off offset:136
	v_mov_b32_e32 v2, v1
	scratch_store_b64 off, v[1:2], off offset:136
	s_waitcnt vmcnt(0)
	ds_store_b64 v3, v[68:69]
.LBB31_167:
	s_or_b32 exec_lo, exec_lo, s0
	s_waitcnt lgkmcnt(0)
	s_waitcnt_vscnt null, 0x0
	s_barrier
	buffer_gl0_inv
	s_clause 0x4
	scratch_load_b128 v[68:71], off, off offset:136
	scratch_load_b128 v[72:75], off, off offset:152
	;; [unrolled: 1-line block ×5, first 2 shown]
	ds_load_b128 v[88:91], v1 offset:400
	scratch_load_b128 v[92:95], off, off offset:216
	s_mov_b32 s0, exec_lo
	s_waitcnt vmcnt(5) lgkmcnt(0)
	v_fma_f64 v[70:71], v[70:71], v[88:89], 0
	s_waitcnt vmcnt(4)
	s_delay_alu instid0(VALU_DEP_1)
	v_fma_f64 v[88:89], v[72:73], v[90:91], v[70:71]
	ds_load_b128 v[70:73], v1 offset:416
	s_waitcnt lgkmcnt(0)
	v_fma_f64 v[70:71], v[74:75], v[70:71], v[88:89]
	scratch_load_b128 v[88:91], off, off offset:232
	s_waitcnt vmcnt(4)
	v_fma_f64 v[74:75], v[76:77], v[72:73], v[70:71]
	ds_load_b128 v[70:73], v1 offset:432
	s_waitcnt lgkmcnt(0)
	v_fma_f64 v[70:71], v[78:79], v[70:71], v[74:75]
	scratch_load_b64 v[74:75], off, off offset:248
	s_waitcnt vmcnt(4)
	v_fma_f64 v[76:77], v[80:81], v[72:73], v[70:71]
	ds_load_b128 v[70:73], v1 offset:448
	s_waitcnt lgkmcnt(0)
	v_fma_f64 v[70:71], v[82:83], v[70:71], v[76:77]
	s_waitcnt vmcnt(3)
	s_delay_alu instid0(VALU_DEP_1) | instskip(SKIP_4) | instid1(VALU_DEP_1)
	v_fma_f64 v[76:77], v[84:85], v[72:73], v[70:71]
	ds_load_b128 v[70:73], v1 offset:464
	s_waitcnt lgkmcnt(0)
	v_fma_f64 v[70:71], v[86:87], v[70:71], v[76:77]
	s_waitcnt vmcnt(2)
	v_fma_f64 v[76:77], v[92:93], v[72:73], v[70:71]
	ds_load_b128 v[70:73], v1 offset:480
	s_waitcnt lgkmcnt(0)
	v_fma_f64 v[70:71], v[94:95], v[70:71], v[76:77]
	s_waitcnt vmcnt(1)
	s_delay_alu instid0(VALU_DEP_1) | instskip(SKIP_4) | instid1(VALU_DEP_1)
	v_fma_f64 v[76:77], v[88:89], v[72:73], v[70:71]
	ds_load_b128 v[70:73], v1 offset:496
	s_waitcnt lgkmcnt(0)
	v_fma_f64 v[1:2], v[90:91], v[70:71], v[76:77]
	s_waitcnt vmcnt(0)
	v_fma_f64 v[1:2], v[74:75], v[72:73], v[1:2]
	s_delay_alu instid0(VALU_DEP_1)
	v_add_f64 v[1:2], v[68:69], -v[1:2]
	scratch_store_b64 off, v[1:2], off offset:136
	v_cmpx_lt_u32_e32 16, v0
	s_cbranch_execz .LBB31_169
; %bb.168:
	scratch_load_b64 v[1:2], off, off offset:128
	v_mov_b32_e32 v68, 0
	s_delay_alu instid0(VALU_DEP_1)
	v_mov_b32_e32 v69, v68
	scratch_store_b64 off, v[68:69], off offset:128
	s_waitcnt vmcnt(0)
	ds_store_b64 v3, v[1:2]
.LBB31_169:
	s_or_b32 exec_lo, exec_lo, s0
	s_waitcnt lgkmcnt(0)
	s_waitcnt_vscnt null, 0x0
	s_barrier
	buffer_gl0_inv
	s_clause 0x4
	scratch_load_b128 v[68:71], off, off offset:128
	scratch_load_b128 v[72:75], off, off offset:144
	scratch_load_b128 v[76:79], off, off offset:160
	scratch_load_b128 v[80:83], off, off offset:176
	scratch_load_b128 v[84:87], off, off offset:192
	v_mov_b32_e32 v1, 0
	scratch_load_b128 v[92:95], off, off offset:208
	s_mov_b32 s0, exec_lo
	ds_load_2addr_b64 v[88:91], v1 offset0:49 offset1:50
	s_waitcnt vmcnt(5) lgkmcnt(0)
	v_fma_f64 v[70:71], v[70:71], v[88:89], 0
	s_waitcnt vmcnt(4)
	s_delay_alu instid0(VALU_DEP_1)
	v_fma_f64 v[88:89], v[72:73], v[90:91], v[70:71]
	ds_load_2addr_b64 v[70:73], v1 offset0:51 offset1:52
	s_waitcnt lgkmcnt(0)
	v_fma_f64 v[70:71], v[74:75], v[70:71], v[88:89]
	scratch_load_b128 v[88:91], off, off offset:224
	s_waitcnt vmcnt(4)
	v_fma_f64 v[74:75], v[76:77], v[72:73], v[70:71]
	ds_load_2addr_b64 v[70:73], v1 offset0:53 offset1:54
	s_waitcnt lgkmcnt(0)
	v_fma_f64 v[70:71], v[78:79], v[70:71], v[74:75]
	scratch_load_b128 v[74:77], off, off offset:240
	s_waitcnt vmcnt(4)
	v_fma_f64 v[78:79], v[80:81], v[72:73], v[70:71]
	ds_load_2addr_b64 v[70:73], v1 offset0:55 offset1:56
	s_waitcnt lgkmcnt(0)
	v_fma_f64 v[70:71], v[82:83], v[70:71], v[78:79]
	s_waitcnt vmcnt(3)
	s_delay_alu instid0(VALU_DEP_1) | instskip(SKIP_4) | instid1(VALU_DEP_1)
	v_fma_f64 v[78:79], v[84:85], v[72:73], v[70:71]
	ds_load_2addr_b64 v[70:73], v1 offset0:57 offset1:58
	s_waitcnt lgkmcnt(0)
	v_fma_f64 v[70:71], v[86:87], v[70:71], v[78:79]
	s_waitcnt vmcnt(2)
	v_fma_f64 v[78:79], v[92:93], v[72:73], v[70:71]
	ds_load_2addr_b64 v[70:73], v1 offset0:59 offset1:60
	s_waitcnt lgkmcnt(0)
	v_fma_f64 v[70:71], v[94:95], v[70:71], v[78:79]
	s_waitcnt vmcnt(1)
	s_delay_alu instid0(VALU_DEP_1) | instskip(SKIP_4) | instid1(VALU_DEP_1)
	v_fma_f64 v[78:79], v[88:89], v[72:73], v[70:71]
	ds_load_2addr_b64 v[70:73], v1 offset0:61 offset1:62
	s_waitcnt lgkmcnt(0)
	v_fma_f64 v[70:71], v[90:91], v[70:71], v[78:79]
	s_waitcnt vmcnt(0)
	v_fma_f64 v[70:71], v[74:75], v[72:73], v[70:71]
	ds_load_b64 v[72:73], v1 offset:504
	s_waitcnt lgkmcnt(0)
	v_fma_f64 v[70:71], v[76:77], v[72:73], v[70:71]
	s_delay_alu instid0(VALU_DEP_1)
	v_add_f64 v[68:69], v[68:69], -v[70:71]
	scratch_store_b64 off, v[68:69], off offset:128
	v_cmpx_lt_u32_e32 15, v0
	s_cbranch_execz .LBB31_171
; %bb.170:
	scratch_load_b64 v[68:69], off, off offset:120
	v_mov_b32_e32 v2, v1
	scratch_store_b64 off, v[1:2], off offset:120
	s_waitcnt vmcnt(0)
	ds_store_b64 v3, v[68:69]
.LBB31_171:
	s_or_b32 exec_lo, exec_lo, s0
	s_waitcnt lgkmcnt(0)
	s_waitcnt_vscnt null, 0x0
	s_barrier
	buffer_gl0_inv
	s_clause 0x4
	scratch_load_b128 v[68:71], off, off offset:120
	scratch_load_b128 v[72:75], off, off offset:136
	;; [unrolled: 1-line block ×5, first 2 shown]
	ds_load_b128 v[88:91], v1 offset:384
	scratch_load_b128 v[92:95], off, off offset:200
	s_mov_b32 s0, exec_lo
	s_waitcnt vmcnt(5) lgkmcnt(0)
	v_fma_f64 v[70:71], v[70:71], v[88:89], 0
	s_waitcnt vmcnt(4)
	s_delay_alu instid0(VALU_DEP_1)
	v_fma_f64 v[88:89], v[72:73], v[90:91], v[70:71]
	ds_load_b128 v[70:73], v1 offset:400
	s_waitcnt lgkmcnt(0)
	v_fma_f64 v[70:71], v[74:75], v[70:71], v[88:89]
	scratch_load_b128 v[88:91], off, off offset:216
	s_waitcnt vmcnt(4)
	v_fma_f64 v[74:75], v[76:77], v[72:73], v[70:71]
	ds_load_b128 v[70:73], v1 offset:416
	s_waitcnt lgkmcnt(0)
	v_fma_f64 v[70:71], v[78:79], v[70:71], v[74:75]
	scratch_load_b128 v[74:77], off, off offset:232
	s_waitcnt vmcnt(4)
	v_fma_f64 v[78:79], v[80:81], v[72:73], v[70:71]
	ds_load_b128 v[70:73], v1 offset:432
	s_waitcnt lgkmcnt(0)
	v_fma_f64 v[70:71], v[82:83], v[70:71], v[78:79]
	scratch_load_b64 v[78:79], off, off offset:248
	s_waitcnt vmcnt(4)
	v_fma_f64 v[80:81], v[84:85], v[72:73], v[70:71]
	ds_load_b128 v[70:73], v1 offset:448
	s_waitcnt lgkmcnt(0)
	v_fma_f64 v[70:71], v[86:87], v[70:71], v[80:81]
	s_waitcnt vmcnt(3)
	s_delay_alu instid0(VALU_DEP_1) | instskip(SKIP_4) | instid1(VALU_DEP_1)
	v_fma_f64 v[80:81], v[92:93], v[72:73], v[70:71]
	ds_load_b128 v[70:73], v1 offset:464
	s_waitcnt lgkmcnt(0)
	v_fma_f64 v[70:71], v[94:95], v[70:71], v[80:81]
	s_waitcnt vmcnt(2)
	v_fma_f64 v[80:81], v[88:89], v[72:73], v[70:71]
	ds_load_b128 v[70:73], v1 offset:480
	s_waitcnt lgkmcnt(0)
	v_fma_f64 v[70:71], v[90:91], v[70:71], v[80:81]
	s_waitcnt vmcnt(1)
	s_delay_alu instid0(VALU_DEP_1) | instskip(SKIP_4) | instid1(VALU_DEP_1)
	v_fma_f64 v[74:75], v[74:75], v[72:73], v[70:71]
	ds_load_b128 v[70:73], v1 offset:496
	s_waitcnt lgkmcnt(0)
	v_fma_f64 v[1:2], v[76:77], v[70:71], v[74:75]
	s_waitcnt vmcnt(0)
	v_fma_f64 v[1:2], v[78:79], v[72:73], v[1:2]
	s_delay_alu instid0(VALU_DEP_1)
	v_add_f64 v[1:2], v[68:69], -v[1:2]
	scratch_store_b64 off, v[1:2], off offset:120
	v_cmpx_lt_u32_e32 14, v0
	s_cbranch_execz .LBB31_173
; %bb.172:
	scratch_load_b64 v[1:2], off, off offset:112
	v_mov_b32_e32 v68, 0
	s_delay_alu instid0(VALU_DEP_1)
	v_mov_b32_e32 v69, v68
	scratch_store_b64 off, v[68:69], off offset:112
	s_waitcnt vmcnt(0)
	ds_store_b64 v3, v[1:2]
.LBB31_173:
	s_or_b32 exec_lo, exec_lo, s0
	s_waitcnt lgkmcnt(0)
	s_waitcnt_vscnt null, 0x0
	s_barrier
	buffer_gl0_inv
	s_clause 0x4
	scratch_load_b128 v[68:71], off, off offset:112
	scratch_load_b128 v[72:75], off, off offset:128
	;; [unrolled: 1-line block ×5, first 2 shown]
	v_mov_b32_e32 v1, 0
	scratch_load_b128 v[92:95], off, off offset:192
	s_mov_b32 s0, exec_lo
	ds_load_2addr_b64 v[88:91], v1 offset0:47 offset1:48
	s_waitcnt vmcnt(5) lgkmcnt(0)
	v_fma_f64 v[70:71], v[70:71], v[88:89], 0
	s_waitcnt vmcnt(4)
	s_delay_alu instid0(VALU_DEP_1)
	v_fma_f64 v[88:89], v[72:73], v[90:91], v[70:71]
	ds_load_2addr_b64 v[70:73], v1 offset0:49 offset1:50
	s_waitcnt lgkmcnt(0)
	v_fma_f64 v[70:71], v[74:75], v[70:71], v[88:89]
	scratch_load_b128 v[88:91], off, off offset:208
	s_waitcnt vmcnt(4)
	v_fma_f64 v[74:75], v[76:77], v[72:73], v[70:71]
	ds_load_2addr_b64 v[70:73], v1 offset0:51 offset1:52
	s_waitcnt lgkmcnt(0)
	v_fma_f64 v[70:71], v[78:79], v[70:71], v[74:75]
	scratch_load_b128 v[74:77], off, off offset:224
	s_waitcnt vmcnt(4)
	;; [unrolled: 6-line block ×3, first 2 shown]
	v_fma_f64 v[82:83], v[84:85], v[72:73], v[70:71]
	ds_load_2addr_b64 v[70:73], v1 offset0:55 offset1:56
	s_waitcnt lgkmcnt(0)
	v_fma_f64 v[70:71], v[86:87], v[70:71], v[82:83]
	s_waitcnt vmcnt(3)
	s_delay_alu instid0(VALU_DEP_1) | instskip(SKIP_4) | instid1(VALU_DEP_1)
	v_fma_f64 v[82:83], v[92:93], v[72:73], v[70:71]
	ds_load_2addr_b64 v[70:73], v1 offset0:57 offset1:58
	s_waitcnt lgkmcnt(0)
	v_fma_f64 v[70:71], v[94:95], v[70:71], v[82:83]
	s_waitcnt vmcnt(2)
	v_fma_f64 v[82:83], v[88:89], v[72:73], v[70:71]
	ds_load_2addr_b64 v[70:73], v1 offset0:59 offset1:60
	s_waitcnt lgkmcnt(0)
	v_fma_f64 v[70:71], v[90:91], v[70:71], v[82:83]
	s_waitcnt vmcnt(1)
	s_delay_alu instid0(VALU_DEP_1) | instskip(SKIP_4) | instid1(VALU_DEP_1)
	v_fma_f64 v[74:75], v[74:75], v[72:73], v[70:71]
	ds_load_2addr_b64 v[70:73], v1 offset0:61 offset1:62
	s_waitcnt lgkmcnt(0)
	v_fma_f64 v[70:71], v[76:77], v[70:71], v[74:75]
	s_waitcnt vmcnt(0)
	v_fma_f64 v[70:71], v[78:79], v[72:73], v[70:71]
	ds_load_b64 v[72:73], v1 offset:504
	s_waitcnt lgkmcnt(0)
	v_fma_f64 v[70:71], v[80:81], v[72:73], v[70:71]
	s_delay_alu instid0(VALU_DEP_1)
	v_add_f64 v[68:69], v[68:69], -v[70:71]
	scratch_store_b64 off, v[68:69], off offset:112
	v_cmpx_lt_u32_e32 13, v0
	s_cbranch_execz .LBB31_175
; %bb.174:
	scratch_load_b64 v[68:69], off, off offset:104
	v_mov_b32_e32 v2, v1
	scratch_store_b64 off, v[1:2], off offset:104
	s_waitcnt vmcnt(0)
	ds_store_b64 v3, v[68:69]
.LBB31_175:
	s_or_b32 exec_lo, exec_lo, s0
	s_waitcnt lgkmcnt(0)
	s_waitcnt_vscnt null, 0x0
	s_barrier
	buffer_gl0_inv
	s_clause 0x4
	scratch_load_b128 v[68:71], off, off offset:104
	scratch_load_b128 v[72:75], off, off offset:120
	;; [unrolled: 1-line block ×5, first 2 shown]
	ds_load_b128 v[88:91], v1 offset:368
	scratch_load_b128 v[92:95], off, off offset:184
	s_mov_b32 s0, exec_lo
	s_waitcnt vmcnt(5) lgkmcnt(0)
	v_fma_f64 v[70:71], v[70:71], v[88:89], 0
	s_waitcnt vmcnt(4)
	s_delay_alu instid0(VALU_DEP_1)
	v_fma_f64 v[88:89], v[72:73], v[90:91], v[70:71]
	ds_load_b128 v[70:73], v1 offset:384
	s_waitcnt lgkmcnt(0)
	v_fma_f64 v[70:71], v[74:75], v[70:71], v[88:89]
	scratch_load_b128 v[88:91], off, off offset:200
	s_waitcnt vmcnt(4)
	v_fma_f64 v[74:75], v[76:77], v[72:73], v[70:71]
	ds_load_b128 v[70:73], v1 offset:400
	s_waitcnt lgkmcnt(0)
	v_fma_f64 v[70:71], v[78:79], v[70:71], v[74:75]
	scratch_load_b128 v[74:77], off, off offset:216
	s_waitcnt vmcnt(4)
	;; [unrolled: 6-line block ×3, first 2 shown]
	v_fma_f64 v[82:83], v[84:85], v[72:73], v[70:71]
	ds_load_b128 v[70:73], v1 offset:432
	s_waitcnt lgkmcnt(0)
	v_fma_f64 v[70:71], v[86:87], v[70:71], v[82:83]
	scratch_load_b64 v[82:83], off, off offset:248
	s_waitcnt vmcnt(4)
	v_fma_f64 v[84:85], v[92:93], v[72:73], v[70:71]
	ds_load_b128 v[70:73], v1 offset:448
	s_waitcnt lgkmcnt(0)
	v_fma_f64 v[70:71], v[94:95], v[70:71], v[84:85]
	s_waitcnt vmcnt(3)
	s_delay_alu instid0(VALU_DEP_1) | instskip(SKIP_4) | instid1(VALU_DEP_1)
	v_fma_f64 v[84:85], v[88:89], v[72:73], v[70:71]
	ds_load_b128 v[70:73], v1 offset:464
	s_waitcnt lgkmcnt(0)
	v_fma_f64 v[70:71], v[90:91], v[70:71], v[84:85]
	s_waitcnt vmcnt(2)
	v_fma_f64 v[74:75], v[74:75], v[72:73], v[70:71]
	ds_load_b128 v[70:73], v1 offset:480
	s_waitcnt lgkmcnt(0)
	v_fma_f64 v[70:71], v[76:77], v[70:71], v[74:75]
	s_waitcnt vmcnt(1)
	s_delay_alu instid0(VALU_DEP_1) | instskip(SKIP_4) | instid1(VALU_DEP_1)
	v_fma_f64 v[74:75], v[78:79], v[72:73], v[70:71]
	ds_load_b128 v[70:73], v1 offset:496
	s_waitcnt lgkmcnt(0)
	v_fma_f64 v[1:2], v[80:81], v[70:71], v[74:75]
	s_waitcnt vmcnt(0)
	v_fma_f64 v[1:2], v[82:83], v[72:73], v[1:2]
	s_delay_alu instid0(VALU_DEP_1)
	v_add_f64 v[1:2], v[68:69], -v[1:2]
	scratch_store_b64 off, v[1:2], off offset:104
	v_cmpx_lt_u32_e32 12, v0
	s_cbranch_execz .LBB31_177
; %bb.176:
	scratch_load_b64 v[1:2], off, off offset:96
	v_mov_b32_e32 v68, 0
	s_delay_alu instid0(VALU_DEP_1)
	v_mov_b32_e32 v69, v68
	scratch_store_b64 off, v[68:69], off offset:96
	s_waitcnt vmcnt(0)
	ds_store_b64 v3, v[1:2]
.LBB31_177:
	s_or_b32 exec_lo, exec_lo, s0
	s_waitcnt lgkmcnt(0)
	s_waitcnt_vscnt null, 0x0
	s_barrier
	buffer_gl0_inv
	s_clause 0x4
	scratch_load_b128 v[68:71], off, off offset:96
	scratch_load_b128 v[72:75], off, off offset:112
	;; [unrolled: 1-line block ×5, first 2 shown]
	v_mov_b32_e32 v1, 0
	scratch_load_b128 v[92:95], off, off offset:176
	s_mov_b32 s0, exec_lo
	ds_load_2addr_b64 v[88:91], v1 offset0:45 offset1:46
	s_waitcnt vmcnt(5) lgkmcnt(0)
	v_fma_f64 v[70:71], v[70:71], v[88:89], 0
	s_waitcnt vmcnt(4)
	s_delay_alu instid0(VALU_DEP_1)
	v_fma_f64 v[88:89], v[72:73], v[90:91], v[70:71]
	ds_load_2addr_b64 v[70:73], v1 offset0:47 offset1:48
	s_waitcnt lgkmcnt(0)
	v_fma_f64 v[70:71], v[74:75], v[70:71], v[88:89]
	scratch_load_b128 v[88:91], off, off offset:192
	s_waitcnt vmcnt(4)
	v_fma_f64 v[74:75], v[76:77], v[72:73], v[70:71]
	ds_load_2addr_b64 v[70:73], v1 offset0:49 offset1:50
	s_waitcnt lgkmcnt(0)
	v_fma_f64 v[70:71], v[78:79], v[70:71], v[74:75]
	scratch_load_b128 v[74:77], off, off offset:208
	s_waitcnt vmcnt(4)
	;; [unrolled: 6-line block ×4, first 2 shown]
	v_fma_f64 v[86:87], v[92:93], v[72:73], v[70:71]
	ds_load_2addr_b64 v[70:73], v1 offset0:55 offset1:56
	s_waitcnt lgkmcnt(0)
	v_fma_f64 v[70:71], v[94:95], v[70:71], v[86:87]
	s_waitcnt vmcnt(3)
	s_delay_alu instid0(VALU_DEP_1) | instskip(SKIP_4) | instid1(VALU_DEP_1)
	v_fma_f64 v[86:87], v[88:89], v[72:73], v[70:71]
	ds_load_2addr_b64 v[70:73], v1 offset0:57 offset1:58
	s_waitcnt lgkmcnt(0)
	v_fma_f64 v[70:71], v[90:91], v[70:71], v[86:87]
	s_waitcnt vmcnt(2)
	v_fma_f64 v[74:75], v[74:75], v[72:73], v[70:71]
	ds_load_2addr_b64 v[70:73], v1 offset0:59 offset1:60
	s_waitcnt lgkmcnt(0)
	v_fma_f64 v[70:71], v[76:77], v[70:71], v[74:75]
	s_waitcnt vmcnt(1)
	s_delay_alu instid0(VALU_DEP_1) | instskip(SKIP_4) | instid1(VALU_DEP_1)
	v_fma_f64 v[74:75], v[78:79], v[72:73], v[70:71]
	ds_load_2addr_b64 v[70:73], v1 offset0:61 offset1:62
	s_waitcnt lgkmcnt(0)
	v_fma_f64 v[70:71], v[80:81], v[70:71], v[74:75]
	s_waitcnt vmcnt(0)
	v_fma_f64 v[70:71], v[82:83], v[72:73], v[70:71]
	ds_load_b64 v[72:73], v1 offset:504
	s_waitcnt lgkmcnt(0)
	v_fma_f64 v[70:71], v[84:85], v[72:73], v[70:71]
	s_delay_alu instid0(VALU_DEP_1)
	v_add_f64 v[68:69], v[68:69], -v[70:71]
	scratch_store_b64 off, v[68:69], off offset:96
	v_cmpx_lt_u32_e32 11, v0
	s_cbranch_execz .LBB31_179
; %bb.178:
	scratch_load_b64 v[68:69], off, off offset:88
	v_mov_b32_e32 v2, v1
	scratch_store_b64 off, v[1:2], off offset:88
	s_waitcnt vmcnt(0)
	ds_store_b64 v3, v[68:69]
.LBB31_179:
	s_or_b32 exec_lo, exec_lo, s0
	s_waitcnt lgkmcnt(0)
	s_waitcnt_vscnt null, 0x0
	s_barrier
	buffer_gl0_inv
	s_clause 0x4
	scratch_load_b128 v[68:71], off, off offset:88
	scratch_load_b128 v[72:75], off, off offset:104
	;; [unrolled: 1-line block ×5, first 2 shown]
	ds_load_b128 v[88:91], v1 offset:352
	scratch_load_b128 v[92:95], off, off offset:168
	s_mov_b32 s0, exec_lo
	s_waitcnt vmcnt(5) lgkmcnt(0)
	v_fma_f64 v[70:71], v[70:71], v[88:89], 0
	s_waitcnt vmcnt(4)
	s_delay_alu instid0(VALU_DEP_1)
	v_fma_f64 v[88:89], v[72:73], v[90:91], v[70:71]
	ds_load_b128 v[70:73], v1 offset:368
	s_waitcnt lgkmcnt(0)
	v_fma_f64 v[70:71], v[74:75], v[70:71], v[88:89]
	scratch_load_b128 v[88:91], off, off offset:184
	s_waitcnt vmcnt(4)
	v_fma_f64 v[74:75], v[76:77], v[72:73], v[70:71]
	ds_load_b128 v[70:73], v1 offset:384
	s_waitcnt lgkmcnt(0)
	v_fma_f64 v[70:71], v[78:79], v[70:71], v[74:75]
	scratch_load_b128 v[74:77], off, off offset:200
	s_waitcnt vmcnt(4)
	;; [unrolled: 6-line block ×4, first 2 shown]
	v_fma_f64 v[86:87], v[92:93], v[72:73], v[70:71]
	ds_load_b128 v[70:73], v1 offset:432
	s_waitcnt lgkmcnt(0)
	v_fma_f64 v[70:71], v[94:95], v[70:71], v[86:87]
	scratch_load_b64 v[86:87], off, off offset:248
	s_waitcnt vmcnt(4)
	v_fma_f64 v[88:89], v[88:89], v[72:73], v[70:71]
	ds_load_b128 v[70:73], v1 offset:448
	s_waitcnt lgkmcnt(0)
	v_fma_f64 v[70:71], v[90:91], v[70:71], v[88:89]
	s_waitcnt vmcnt(3)
	s_delay_alu instid0(VALU_DEP_1) | instskip(SKIP_4) | instid1(VALU_DEP_1)
	v_fma_f64 v[74:75], v[74:75], v[72:73], v[70:71]
	ds_load_b128 v[70:73], v1 offset:464
	s_waitcnt lgkmcnt(0)
	v_fma_f64 v[70:71], v[76:77], v[70:71], v[74:75]
	s_waitcnt vmcnt(2)
	v_fma_f64 v[74:75], v[78:79], v[72:73], v[70:71]
	ds_load_b128 v[70:73], v1 offset:480
	s_waitcnt lgkmcnt(0)
	v_fma_f64 v[70:71], v[80:81], v[70:71], v[74:75]
	s_waitcnt vmcnt(1)
	s_delay_alu instid0(VALU_DEP_1) | instskip(SKIP_4) | instid1(VALU_DEP_1)
	v_fma_f64 v[74:75], v[82:83], v[72:73], v[70:71]
	ds_load_b128 v[70:73], v1 offset:496
	s_waitcnt lgkmcnt(0)
	v_fma_f64 v[1:2], v[84:85], v[70:71], v[74:75]
	s_waitcnt vmcnt(0)
	v_fma_f64 v[1:2], v[86:87], v[72:73], v[1:2]
	s_delay_alu instid0(VALU_DEP_1)
	v_add_f64 v[1:2], v[68:69], -v[1:2]
	scratch_store_b64 off, v[1:2], off offset:88
	v_cmpx_lt_u32_e32 10, v0
	s_cbranch_execz .LBB31_181
; %bb.180:
	scratch_load_b64 v[1:2], off, off offset:80
	v_mov_b32_e32 v68, 0
	s_delay_alu instid0(VALU_DEP_1)
	v_mov_b32_e32 v69, v68
	scratch_store_b64 off, v[68:69], off offset:80
	s_waitcnt vmcnt(0)
	ds_store_b64 v3, v[1:2]
.LBB31_181:
	s_or_b32 exec_lo, exec_lo, s0
	s_waitcnt lgkmcnt(0)
	s_waitcnt_vscnt null, 0x0
	s_barrier
	buffer_gl0_inv
	s_clause 0x4
	scratch_load_b128 v[68:71], off, off offset:80
	scratch_load_b128 v[72:75], off, off offset:96
	;; [unrolled: 1-line block ×5, first 2 shown]
	v_mov_b32_e32 v1, 0
	scratch_load_b128 v[92:95], off, off offset:160
	s_mov_b32 s0, exec_lo
	ds_load_2addr_b64 v[88:91], v1 offset0:43 offset1:44
	s_waitcnt vmcnt(5) lgkmcnt(0)
	v_fma_f64 v[70:71], v[70:71], v[88:89], 0
	s_waitcnt vmcnt(4)
	s_delay_alu instid0(VALU_DEP_1)
	v_fma_f64 v[88:89], v[72:73], v[90:91], v[70:71]
	ds_load_2addr_b64 v[70:73], v1 offset0:45 offset1:46
	s_waitcnt lgkmcnt(0)
	v_fma_f64 v[70:71], v[74:75], v[70:71], v[88:89]
	scratch_load_b128 v[88:91], off, off offset:176
	s_waitcnt vmcnt(4)
	v_fma_f64 v[74:75], v[76:77], v[72:73], v[70:71]
	ds_load_2addr_b64 v[70:73], v1 offset0:47 offset1:48
	s_waitcnt lgkmcnt(0)
	v_fma_f64 v[70:71], v[78:79], v[70:71], v[74:75]
	scratch_load_b128 v[74:77], off, off offset:192
	s_waitcnt vmcnt(4)
	;; [unrolled: 6-line block ×5, first 2 shown]
	v_fma_f64 v[86:87], v[88:89], v[72:73], v[70:71]
	ds_load_2addr_b64 v[70:73], v1 offset0:55 offset1:56
	s_waitcnt lgkmcnt(0)
	v_fma_f64 v[70:71], v[90:91], v[70:71], v[86:87]
	s_waitcnt vmcnt(3)
	s_delay_alu instid0(VALU_DEP_1) | instskip(SKIP_4) | instid1(VALU_DEP_1)
	v_fma_f64 v[74:75], v[74:75], v[72:73], v[70:71]
	ds_load_2addr_b64 v[70:73], v1 offset0:57 offset1:58
	s_waitcnt lgkmcnt(0)
	v_fma_f64 v[70:71], v[76:77], v[70:71], v[74:75]
	s_waitcnt vmcnt(2)
	v_fma_f64 v[74:75], v[78:79], v[72:73], v[70:71]
	ds_load_2addr_b64 v[70:73], v1 offset0:59 offset1:60
	s_waitcnt lgkmcnt(0)
	v_fma_f64 v[70:71], v[80:81], v[70:71], v[74:75]
	s_waitcnt vmcnt(1)
	s_delay_alu instid0(VALU_DEP_1) | instskip(SKIP_4) | instid1(VALU_DEP_1)
	v_fma_f64 v[74:75], v[82:83], v[72:73], v[70:71]
	ds_load_2addr_b64 v[70:73], v1 offset0:61 offset1:62
	s_waitcnt lgkmcnt(0)
	v_fma_f64 v[70:71], v[84:85], v[70:71], v[74:75]
	s_waitcnt vmcnt(0)
	v_fma_f64 v[70:71], v[92:93], v[72:73], v[70:71]
	ds_load_b64 v[72:73], v1 offset:504
	s_waitcnt lgkmcnt(0)
	v_fma_f64 v[70:71], v[94:95], v[72:73], v[70:71]
	s_delay_alu instid0(VALU_DEP_1)
	v_add_f64 v[68:69], v[68:69], -v[70:71]
	scratch_store_b64 off, v[68:69], off offset:80
	v_cmpx_lt_u32_e32 9, v0
	s_cbranch_execz .LBB31_183
; %bb.182:
	scratch_load_b64 v[68:69], off, off offset:72
	v_mov_b32_e32 v2, v1
	scratch_store_b64 off, v[1:2], off offset:72
	s_waitcnt vmcnt(0)
	ds_store_b64 v3, v[68:69]
.LBB31_183:
	s_or_b32 exec_lo, exec_lo, s0
	s_waitcnt lgkmcnt(0)
	s_waitcnt_vscnt null, 0x0
	s_barrier
	buffer_gl0_inv
	s_clause 0x4
	scratch_load_b128 v[68:71], off, off offset:72
	scratch_load_b128 v[72:75], off, off offset:88
	;; [unrolled: 1-line block ×5, first 2 shown]
	ds_load_b128 v[88:91], v1 offset:336
	scratch_load_b128 v[92:95], off, off offset:152
	s_mov_b32 s0, exec_lo
	s_waitcnt vmcnt(5) lgkmcnt(0)
	v_fma_f64 v[70:71], v[70:71], v[88:89], 0
	s_waitcnt vmcnt(4)
	s_delay_alu instid0(VALU_DEP_1)
	v_fma_f64 v[88:89], v[72:73], v[90:91], v[70:71]
	ds_load_b128 v[70:73], v1 offset:352
	s_waitcnt lgkmcnt(0)
	v_fma_f64 v[70:71], v[74:75], v[70:71], v[88:89]
	scratch_load_b128 v[88:91], off, off offset:168
	s_waitcnt vmcnt(4)
	v_fma_f64 v[74:75], v[76:77], v[72:73], v[70:71]
	ds_load_b128 v[70:73], v1 offset:368
	s_waitcnt lgkmcnt(0)
	v_fma_f64 v[70:71], v[78:79], v[70:71], v[74:75]
	scratch_load_b128 v[74:77], off, off offset:184
	s_waitcnt vmcnt(4)
	;; [unrolled: 6-line block ×5, first 2 shown]
	v_fma_f64 v[86:87], v[88:89], v[72:73], v[70:71]
	ds_load_b128 v[70:73], v1 offset:432
	s_waitcnt lgkmcnt(0)
	v_fma_f64 v[70:71], v[90:91], v[70:71], v[86:87]
	scratch_load_b64 v[86:87], off, off offset:248
	s_waitcnt vmcnt(4)
	v_fma_f64 v[74:75], v[74:75], v[72:73], v[70:71]
	ds_load_b128 v[70:73], v1 offset:448
	s_waitcnt lgkmcnt(0)
	v_fma_f64 v[70:71], v[76:77], v[70:71], v[74:75]
	s_waitcnt vmcnt(3)
	s_delay_alu instid0(VALU_DEP_1) | instskip(SKIP_4) | instid1(VALU_DEP_1)
	v_fma_f64 v[74:75], v[78:79], v[72:73], v[70:71]
	ds_load_b128 v[70:73], v1 offset:464
	s_waitcnt lgkmcnt(0)
	v_fma_f64 v[70:71], v[80:81], v[70:71], v[74:75]
	s_waitcnt vmcnt(2)
	v_fma_f64 v[74:75], v[82:83], v[72:73], v[70:71]
	ds_load_b128 v[70:73], v1 offset:480
	s_waitcnt lgkmcnt(0)
	v_fma_f64 v[70:71], v[84:85], v[70:71], v[74:75]
	s_waitcnt vmcnt(1)
	s_delay_alu instid0(VALU_DEP_1) | instskip(SKIP_4) | instid1(VALU_DEP_1)
	v_fma_f64 v[74:75], v[92:93], v[72:73], v[70:71]
	ds_load_b128 v[70:73], v1 offset:496
	s_waitcnt lgkmcnt(0)
	v_fma_f64 v[1:2], v[94:95], v[70:71], v[74:75]
	s_waitcnt vmcnt(0)
	v_fma_f64 v[1:2], v[86:87], v[72:73], v[1:2]
	s_delay_alu instid0(VALU_DEP_1)
	v_add_f64 v[1:2], v[68:69], -v[1:2]
	scratch_store_b64 off, v[1:2], off offset:72
	v_cmpx_lt_u32_e32 8, v0
	s_cbranch_execz .LBB31_185
; %bb.184:
	scratch_load_b64 v[1:2], off, off offset:64
	v_mov_b32_e32 v68, 0
	s_delay_alu instid0(VALU_DEP_1)
	v_mov_b32_e32 v69, v68
	scratch_store_b64 off, v[68:69], off offset:64
	s_waitcnt vmcnt(0)
	ds_store_b64 v3, v[1:2]
.LBB31_185:
	s_or_b32 exec_lo, exec_lo, s0
	s_waitcnt lgkmcnt(0)
	s_waitcnt_vscnt null, 0x0
	s_barrier
	buffer_gl0_inv
	s_clause 0x4
	scratch_load_b128 v[68:71], off, off offset:64
	scratch_load_b128 v[72:75], off, off offset:80
	;; [unrolled: 1-line block ×5, first 2 shown]
	v_mov_b32_e32 v1, 0
	scratch_load_b128 v[92:95], off, off offset:144
	s_mov_b32 s0, exec_lo
	ds_load_2addr_b64 v[88:91], v1 offset0:41 offset1:42
	s_waitcnt vmcnt(5) lgkmcnt(0)
	v_fma_f64 v[70:71], v[70:71], v[88:89], 0
	s_waitcnt vmcnt(4)
	s_delay_alu instid0(VALU_DEP_1)
	v_fma_f64 v[88:89], v[72:73], v[90:91], v[70:71]
	ds_load_2addr_b64 v[70:73], v1 offset0:43 offset1:44
	s_waitcnt lgkmcnt(0)
	v_fma_f64 v[70:71], v[74:75], v[70:71], v[88:89]
	scratch_load_b128 v[88:91], off, off offset:160
	s_waitcnt vmcnt(4)
	v_fma_f64 v[74:75], v[76:77], v[72:73], v[70:71]
	ds_load_2addr_b64 v[70:73], v1 offset0:45 offset1:46
	s_waitcnt lgkmcnt(0)
	v_fma_f64 v[70:71], v[78:79], v[70:71], v[74:75]
	scratch_load_b128 v[74:77], off, off offset:176
	s_waitcnt vmcnt(4)
	;; [unrolled: 6-line block ×6, first 2 shown]
	v_fma_f64 v[74:75], v[74:75], v[72:73], v[70:71]
	ds_load_2addr_b64 v[70:73], v1 offset0:55 offset1:56
	s_waitcnt lgkmcnt(0)
	v_fma_f64 v[70:71], v[76:77], v[70:71], v[74:75]
	s_waitcnt vmcnt(3)
	s_delay_alu instid0(VALU_DEP_1) | instskip(SKIP_4) | instid1(VALU_DEP_1)
	v_fma_f64 v[74:75], v[78:79], v[72:73], v[70:71]
	ds_load_2addr_b64 v[70:73], v1 offset0:57 offset1:58
	s_waitcnt lgkmcnt(0)
	v_fma_f64 v[70:71], v[80:81], v[70:71], v[74:75]
	s_waitcnt vmcnt(2)
	v_fma_f64 v[74:75], v[82:83], v[72:73], v[70:71]
	ds_load_2addr_b64 v[70:73], v1 offset0:59 offset1:60
	s_waitcnt lgkmcnt(0)
	v_fma_f64 v[70:71], v[84:85], v[70:71], v[74:75]
	s_waitcnt vmcnt(1)
	s_delay_alu instid0(VALU_DEP_1) | instskip(SKIP_4) | instid1(VALU_DEP_1)
	v_fma_f64 v[74:75], v[92:93], v[72:73], v[70:71]
	ds_load_2addr_b64 v[70:73], v1 offset0:61 offset1:62
	s_waitcnt lgkmcnt(0)
	v_fma_f64 v[70:71], v[94:95], v[70:71], v[74:75]
	s_waitcnt vmcnt(0)
	v_fma_f64 v[70:71], v[86:87], v[72:73], v[70:71]
	ds_load_b64 v[72:73], v1 offset:504
	s_waitcnt lgkmcnt(0)
	v_fma_f64 v[70:71], v[88:89], v[72:73], v[70:71]
	s_delay_alu instid0(VALU_DEP_1)
	v_add_f64 v[68:69], v[68:69], -v[70:71]
	scratch_store_b64 off, v[68:69], off offset:64
	v_cmpx_lt_u32_e32 7, v0
	s_cbranch_execz .LBB31_187
; %bb.186:
	scratch_load_b64 v[68:69], off, off offset:56
	v_mov_b32_e32 v2, v1
	scratch_store_b64 off, v[1:2], off offset:56
	s_waitcnt vmcnt(0)
	ds_store_b64 v3, v[68:69]
.LBB31_187:
	s_or_b32 exec_lo, exec_lo, s0
	s_waitcnt lgkmcnt(0)
	s_waitcnt_vscnt null, 0x0
	s_barrier
	buffer_gl0_inv
	s_clause 0x4
	scratch_load_b128 v[68:71], off, off offset:56
	scratch_load_b128 v[72:75], off, off offset:72
	;; [unrolled: 1-line block ×5, first 2 shown]
	ds_load_b128 v[88:91], v1 offset:320
	scratch_load_b128 v[92:95], off, off offset:136
	s_mov_b32 s0, exec_lo
	s_waitcnt vmcnt(5) lgkmcnt(0)
	v_fma_f64 v[70:71], v[70:71], v[88:89], 0
	s_waitcnt vmcnt(4)
	s_delay_alu instid0(VALU_DEP_1)
	v_fma_f64 v[88:89], v[72:73], v[90:91], v[70:71]
	ds_load_b128 v[70:73], v1 offset:336
	s_waitcnt lgkmcnt(0)
	v_fma_f64 v[70:71], v[74:75], v[70:71], v[88:89]
	scratch_load_b128 v[88:91], off, off offset:152
	s_waitcnt vmcnt(4)
	v_fma_f64 v[74:75], v[76:77], v[72:73], v[70:71]
	ds_load_b128 v[70:73], v1 offset:352
	s_waitcnt lgkmcnt(0)
	v_fma_f64 v[70:71], v[78:79], v[70:71], v[74:75]
	scratch_load_b128 v[74:77], off, off offset:168
	s_waitcnt vmcnt(4)
	;; [unrolled: 6-line block ×6, first 2 shown]
	v_fma_f64 v[74:75], v[74:75], v[72:73], v[70:71]
	ds_load_b128 v[70:73], v1 offset:432
	s_waitcnt lgkmcnt(0)
	v_fma_f64 v[70:71], v[76:77], v[70:71], v[74:75]
	scratch_load_b64 v[74:75], off, off offset:248
	s_waitcnt vmcnt(4)
	v_fma_f64 v[76:77], v[78:79], v[72:73], v[70:71]
	ds_load_b128 v[70:73], v1 offset:448
	s_waitcnt lgkmcnt(0)
	v_fma_f64 v[70:71], v[80:81], v[70:71], v[76:77]
	s_waitcnt vmcnt(3)
	s_delay_alu instid0(VALU_DEP_1) | instskip(SKIP_4) | instid1(VALU_DEP_1)
	v_fma_f64 v[76:77], v[82:83], v[72:73], v[70:71]
	ds_load_b128 v[70:73], v1 offset:464
	s_waitcnt lgkmcnt(0)
	v_fma_f64 v[70:71], v[84:85], v[70:71], v[76:77]
	s_waitcnt vmcnt(2)
	v_fma_f64 v[76:77], v[92:93], v[72:73], v[70:71]
	ds_load_b128 v[70:73], v1 offset:480
	s_waitcnt lgkmcnt(0)
	v_fma_f64 v[70:71], v[94:95], v[70:71], v[76:77]
	s_waitcnt vmcnt(1)
	s_delay_alu instid0(VALU_DEP_1) | instskip(SKIP_4) | instid1(VALU_DEP_1)
	v_fma_f64 v[76:77], v[86:87], v[72:73], v[70:71]
	ds_load_b128 v[70:73], v1 offset:496
	s_waitcnt lgkmcnt(0)
	v_fma_f64 v[1:2], v[88:89], v[70:71], v[76:77]
	s_waitcnt vmcnt(0)
	v_fma_f64 v[1:2], v[74:75], v[72:73], v[1:2]
	s_delay_alu instid0(VALU_DEP_1)
	v_add_f64 v[1:2], v[68:69], -v[1:2]
	scratch_store_b64 off, v[1:2], off offset:56
	v_cmpx_lt_u32_e32 6, v0
	s_cbranch_execz .LBB31_189
; %bb.188:
	scratch_load_b64 v[1:2], off, off offset:48
	v_mov_b32_e32 v68, 0
	s_delay_alu instid0(VALU_DEP_1)
	v_mov_b32_e32 v69, v68
	scratch_store_b64 off, v[68:69], off offset:48
	s_waitcnt vmcnt(0)
	ds_store_b64 v3, v[1:2]
.LBB31_189:
	s_or_b32 exec_lo, exec_lo, s0
	s_waitcnt lgkmcnt(0)
	s_waitcnt_vscnt null, 0x0
	s_barrier
	buffer_gl0_inv
	s_clause 0x4
	scratch_load_b128 v[68:71], off, off offset:48
	scratch_load_b128 v[72:75], off, off offset:64
	;; [unrolled: 1-line block ×5, first 2 shown]
	v_mov_b32_e32 v1, 0
	scratch_load_b128 v[92:95], off, off offset:128
	s_mov_b32 s0, exec_lo
	ds_load_2addr_b64 v[88:91], v1 offset0:39 offset1:40
	s_waitcnt vmcnt(5) lgkmcnt(0)
	v_fma_f64 v[70:71], v[70:71], v[88:89], 0
	s_waitcnt vmcnt(4)
	s_delay_alu instid0(VALU_DEP_1)
	v_fma_f64 v[88:89], v[72:73], v[90:91], v[70:71]
	ds_load_2addr_b64 v[70:73], v1 offset0:41 offset1:42
	s_waitcnt lgkmcnt(0)
	v_fma_f64 v[70:71], v[74:75], v[70:71], v[88:89]
	scratch_load_b128 v[88:91], off, off offset:144
	s_waitcnt vmcnt(4)
	v_fma_f64 v[74:75], v[76:77], v[72:73], v[70:71]
	ds_load_2addr_b64 v[70:73], v1 offset0:43 offset1:44
	s_waitcnt lgkmcnt(0)
	v_fma_f64 v[70:71], v[78:79], v[70:71], v[74:75]
	scratch_load_b128 v[74:77], off, off offset:160
	s_waitcnt vmcnt(4)
	;; [unrolled: 6-line block ×7, first 2 shown]
	v_fma_f64 v[78:79], v[78:79], v[72:73], v[70:71]
	ds_load_2addr_b64 v[70:73], v1 offset0:55 offset1:56
	s_waitcnt lgkmcnt(0)
	v_fma_f64 v[70:71], v[80:81], v[70:71], v[78:79]
	s_waitcnt vmcnt(3)
	s_delay_alu instid0(VALU_DEP_1) | instskip(SKIP_4) | instid1(VALU_DEP_1)
	v_fma_f64 v[78:79], v[82:83], v[72:73], v[70:71]
	ds_load_2addr_b64 v[70:73], v1 offset0:57 offset1:58
	s_waitcnt lgkmcnt(0)
	v_fma_f64 v[70:71], v[84:85], v[70:71], v[78:79]
	s_waitcnt vmcnt(2)
	v_fma_f64 v[78:79], v[92:93], v[72:73], v[70:71]
	ds_load_2addr_b64 v[70:73], v1 offset0:59 offset1:60
	s_waitcnt lgkmcnt(0)
	v_fma_f64 v[70:71], v[94:95], v[70:71], v[78:79]
	s_waitcnt vmcnt(1)
	s_delay_alu instid0(VALU_DEP_1) | instskip(SKIP_4) | instid1(VALU_DEP_1)
	v_fma_f64 v[78:79], v[86:87], v[72:73], v[70:71]
	ds_load_2addr_b64 v[70:73], v1 offset0:61 offset1:62
	s_waitcnt lgkmcnt(0)
	v_fma_f64 v[70:71], v[88:89], v[70:71], v[78:79]
	s_waitcnt vmcnt(0)
	v_fma_f64 v[70:71], v[74:75], v[72:73], v[70:71]
	ds_load_b64 v[72:73], v1 offset:504
	s_waitcnt lgkmcnt(0)
	v_fma_f64 v[70:71], v[76:77], v[72:73], v[70:71]
	s_delay_alu instid0(VALU_DEP_1)
	v_add_f64 v[68:69], v[68:69], -v[70:71]
	scratch_store_b64 off, v[68:69], off offset:48
	v_cmpx_lt_u32_e32 5, v0
	s_cbranch_execz .LBB31_191
; %bb.190:
	scratch_load_b64 v[68:69], off, off offset:40
	v_mov_b32_e32 v2, v1
	scratch_store_b64 off, v[1:2], off offset:40
	s_waitcnt vmcnt(0)
	ds_store_b64 v3, v[68:69]
.LBB31_191:
	s_or_b32 exec_lo, exec_lo, s0
	s_waitcnt lgkmcnt(0)
	s_waitcnt_vscnt null, 0x0
	s_barrier
	buffer_gl0_inv
	s_clause 0x4
	scratch_load_b128 v[68:71], off, off offset:40
	scratch_load_b128 v[72:75], off, off offset:56
	scratch_load_b128 v[76:79], off, off offset:72
	scratch_load_b128 v[80:83], off, off offset:88
	scratch_load_b128 v[84:87], off, off offset:104
	ds_load_b128 v[88:91], v1 offset:304
	scratch_load_b128 v[92:95], off, off offset:120
	s_mov_b32 s0, exec_lo
	s_waitcnt vmcnt(5) lgkmcnt(0)
	v_fma_f64 v[70:71], v[70:71], v[88:89], 0
	s_waitcnt vmcnt(4)
	s_delay_alu instid0(VALU_DEP_1)
	v_fma_f64 v[88:89], v[72:73], v[90:91], v[70:71]
	ds_load_b128 v[70:73], v1 offset:320
	s_waitcnt lgkmcnt(0)
	v_fma_f64 v[70:71], v[74:75], v[70:71], v[88:89]
	scratch_load_b128 v[88:91], off, off offset:136
	s_waitcnt vmcnt(4)
	v_fma_f64 v[74:75], v[76:77], v[72:73], v[70:71]
	ds_load_b128 v[70:73], v1 offset:336
	s_waitcnt lgkmcnt(0)
	v_fma_f64 v[70:71], v[78:79], v[70:71], v[74:75]
	scratch_load_b128 v[74:77], off, off offset:152
	s_waitcnt vmcnt(4)
	;; [unrolled: 6-line block ×7, first 2 shown]
	v_fma_f64 v[78:79], v[78:79], v[72:73], v[70:71]
	ds_load_b128 v[70:73], v1 offset:432
	s_waitcnt lgkmcnt(0)
	v_fma_f64 v[70:71], v[80:81], v[70:71], v[78:79]
	scratch_load_b64 v[78:79], off, off offset:248
	s_waitcnt vmcnt(4)
	v_fma_f64 v[80:81], v[82:83], v[72:73], v[70:71]
	ds_load_b128 v[70:73], v1 offset:448
	s_waitcnt lgkmcnt(0)
	v_fma_f64 v[70:71], v[84:85], v[70:71], v[80:81]
	s_waitcnt vmcnt(3)
	s_delay_alu instid0(VALU_DEP_1) | instskip(SKIP_4) | instid1(VALU_DEP_1)
	v_fma_f64 v[80:81], v[92:93], v[72:73], v[70:71]
	ds_load_b128 v[70:73], v1 offset:464
	s_waitcnt lgkmcnt(0)
	v_fma_f64 v[70:71], v[94:95], v[70:71], v[80:81]
	s_waitcnt vmcnt(2)
	v_fma_f64 v[80:81], v[86:87], v[72:73], v[70:71]
	ds_load_b128 v[70:73], v1 offset:480
	s_waitcnt lgkmcnt(0)
	v_fma_f64 v[70:71], v[88:89], v[70:71], v[80:81]
	s_waitcnt vmcnt(1)
	s_delay_alu instid0(VALU_DEP_1) | instskip(SKIP_4) | instid1(VALU_DEP_1)
	v_fma_f64 v[74:75], v[74:75], v[72:73], v[70:71]
	ds_load_b128 v[70:73], v1 offset:496
	s_waitcnt lgkmcnt(0)
	v_fma_f64 v[1:2], v[76:77], v[70:71], v[74:75]
	s_waitcnt vmcnt(0)
	v_fma_f64 v[1:2], v[78:79], v[72:73], v[1:2]
	s_delay_alu instid0(VALU_DEP_1)
	v_add_f64 v[1:2], v[68:69], -v[1:2]
	scratch_store_b64 off, v[1:2], off offset:40
	v_cmpx_lt_u32_e32 4, v0
	s_cbranch_execz .LBB31_193
; %bb.192:
	scratch_load_b64 v[1:2], off, off offset:32
	v_mov_b32_e32 v68, 0
	s_delay_alu instid0(VALU_DEP_1)
	v_mov_b32_e32 v69, v68
	scratch_store_b64 off, v[68:69], off offset:32
	s_waitcnt vmcnt(0)
	ds_store_b64 v3, v[1:2]
.LBB31_193:
	s_or_b32 exec_lo, exec_lo, s0
	s_waitcnt lgkmcnt(0)
	s_waitcnt_vscnt null, 0x0
	s_barrier
	buffer_gl0_inv
	s_clause 0x4
	scratch_load_b128 v[68:71], off, off offset:32
	scratch_load_b128 v[72:75], off, off offset:48
	;; [unrolled: 1-line block ×5, first 2 shown]
	v_mov_b32_e32 v1, 0
	scratch_load_b128 v[92:95], off, off offset:112
	s_mov_b32 s0, exec_lo
	ds_load_2addr_b64 v[88:91], v1 offset0:37 offset1:38
	s_waitcnt vmcnt(5) lgkmcnt(0)
	v_fma_f64 v[70:71], v[70:71], v[88:89], 0
	s_waitcnt vmcnt(4)
	s_delay_alu instid0(VALU_DEP_1)
	v_fma_f64 v[88:89], v[72:73], v[90:91], v[70:71]
	ds_load_2addr_b64 v[70:73], v1 offset0:39 offset1:40
	s_waitcnt lgkmcnt(0)
	v_fma_f64 v[70:71], v[74:75], v[70:71], v[88:89]
	scratch_load_b128 v[88:91], off, off offset:128
	s_waitcnt vmcnt(4)
	v_fma_f64 v[74:75], v[76:77], v[72:73], v[70:71]
	ds_load_2addr_b64 v[70:73], v1 offset0:41 offset1:42
	s_waitcnt lgkmcnt(0)
	v_fma_f64 v[70:71], v[78:79], v[70:71], v[74:75]
	scratch_load_b128 v[74:77], off, off offset:144
	s_waitcnt vmcnt(4)
	;; [unrolled: 6-line block ×8, first 2 shown]
	v_fma_f64 v[82:83], v[82:83], v[72:73], v[70:71]
	ds_load_2addr_b64 v[70:73], v1 offset0:55 offset1:56
	s_waitcnt lgkmcnt(0)
	v_fma_f64 v[70:71], v[84:85], v[70:71], v[82:83]
	s_waitcnt vmcnt(3)
	s_delay_alu instid0(VALU_DEP_1) | instskip(SKIP_4) | instid1(VALU_DEP_1)
	v_fma_f64 v[82:83], v[92:93], v[72:73], v[70:71]
	ds_load_2addr_b64 v[70:73], v1 offset0:57 offset1:58
	s_waitcnt lgkmcnt(0)
	v_fma_f64 v[70:71], v[94:95], v[70:71], v[82:83]
	s_waitcnt vmcnt(2)
	v_fma_f64 v[82:83], v[86:87], v[72:73], v[70:71]
	ds_load_2addr_b64 v[70:73], v1 offset0:59 offset1:60
	s_waitcnt lgkmcnt(0)
	v_fma_f64 v[70:71], v[88:89], v[70:71], v[82:83]
	s_waitcnt vmcnt(1)
	s_delay_alu instid0(VALU_DEP_1) | instskip(SKIP_4) | instid1(VALU_DEP_1)
	v_fma_f64 v[74:75], v[74:75], v[72:73], v[70:71]
	ds_load_2addr_b64 v[70:73], v1 offset0:61 offset1:62
	s_waitcnt lgkmcnt(0)
	v_fma_f64 v[70:71], v[76:77], v[70:71], v[74:75]
	s_waitcnt vmcnt(0)
	v_fma_f64 v[70:71], v[78:79], v[72:73], v[70:71]
	ds_load_b64 v[72:73], v1 offset:504
	s_waitcnt lgkmcnt(0)
	v_fma_f64 v[70:71], v[80:81], v[72:73], v[70:71]
	s_delay_alu instid0(VALU_DEP_1)
	v_add_f64 v[68:69], v[68:69], -v[70:71]
	scratch_store_b64 off, v[68:69], off offset:32
	v_cmpx_lt_u32_e32 3, v0
	s_cbranch_execz .LBB31_195
; %bb.194:
	scratch_load_b64 v[68:69], off, off offset:24
	v_mov_b32_e32 v2, v1
	scratch_store_b64 off, v[1:2], off offset:24
	s_waitcnt vmcnt(0)
	ds_store_b64 v3, v[68:69]
.LBB31_195:
	s_or_b32 exec_lo, exec_lo, s0
	s_waitcnt lgkmcnt(0)
	s_waitcnt_vscnt null, 0x0
	s_barrier
	buffer_gl0_inv
	s_clause 0x4
	scratch_load_b128 v[68:71], off, off offset:24
	scratch_load_b128 v[72:75], off, off offset:40
	;; [unrolled: 1-line block ×5, first 2 shown]
	ds_load_b128 v[88:91], v1 offset:288
	scratch_load_b128 v[92:95], off, off offset:104
	s_mov_b32 s0, exec_lo
	s_waitcnt vmcnt(5) lgkmcnt(0)
	v_fma_f64 v[70:71], v[70:71], v[88:89], 0
	s_waitcnt vmcnt(4)
	s_delay_alu instid0(VALU_DEP_1)
	v_fma_f64 v[88:89], v[72:73], v[90:91], v[70:71]
	ds_load_b128 v[70:73], v1 offset:304
	s_waitcnt lgkmcnt(0)
	v_fma_f64 v[70:71], v[74:75], v[70:71], v[88:89]
	scratch_load_b128 v[88:91], off, off offset:120
	s_waitcnt vmcnt(4)
	v_fma_f64 v[74:75], v[76:77], v[72:73], v[70:71]
	ds_load_b128 v[70:73], v1 offset:320
	s_waitcnt lgkmcnt(0)
	v_fma_f64 v[70:71], v[78:79], v[70:71], v[74:75]
	scratch_load_b128 v[74:77], off, off offset:136
	s_waitcnt vmcnt(4)
	;; [unrolled: 6-line block ×8, first 2 shown]
	v_fma_f64 v[82:83], v[82:83], v[72:73], v[70:71]
	ds_load_b128 v[70:73], v1 offset:432
	s_waitcnt lgkmcnt(0)
	v_fma_f64 v[70:71], v[84:85], v[70:71], v[82:83]
	scratch_load_b64 v[82:83], off, off offset:248
	s_waitcnt vmcnt(4)
	v_fma_f64 v[84:85], v[92:93], v[72:73], v[70:71]
	ds_load_b128 v[70:73], v1 offset:448
	s_waitcnt lgkmcnt(0)
	v_fma_f64 v[70:71], v[94:95], v[70:71], v[84:85]
	s_waitcnt vmcnt(3)
	s_delay_alu instid0(VALU_DEP_1) | instskip(SKIP_4) | instid1(VALU_DEP_1)
	v_fma_f64 v[84:85], v[86:87], v[72:73], v[70:71]
	ds_load_b128 v[70:73], v1 offset:464
	s_waitcnt lgkmcnt(0)
	v_fma_f64 v[70:71], v[88:89], v[70:71], v[84:85]
	s_waitcnt vmcnt(2)
	v_fma_f64 v[74:75], v[74:75], v[72:73], v[70:71]
	ds_load_b128 v[70:73], v1 offset:480
	s_waitcnt lgkmcnt(0)
	v_fma_f64 v[70:71], v[76:77], v[70:71], v[74:75]
	s_waitcnt vmcnt(1)
	s_delay_alu instid0(VALU_DEP_1) | instskip(SKIP_4) | instid1(VALU_DEP_1)
	v_fma_f64 v[74:75], v[78:79], v[72:73], v[70:71]
	ds_load_b128 v[70:73], v1 offset:496
	s_waitcnt lgkmcnt(0)
	v_fma_f64 v[1:2], v[80:81], v[70:71], v[74:75]
	s_waitcnt vmcnt(0)
	v_fma_f64 v[1:2], v[82:83], v[72:73], v[1:2]
	s_delay_alu instid0(VALU_DEP_1)
	v_add_f64 v[1:2], v[68:69], -v[1:2]
	scratch_store_b64 off, v[1:2], off offset:24
	v_cmpx_lt_u32_e32 2, v0
	s_cbranch_execz .LBB31_197
; %bb.196:
	scratch_load_b64 v[1:2], off, off offset:16
	v_mov_b32_e32 v68, 0
	s_delay_alu instid0(VALU_DEP_1)
	v_mov_b32_e32 v69, v68
	scratch_store_b64 off, v[68:69], off offset:16
	s_waitcnt vmcnt(0)
	ds_store_b64 v3, v[1:2]
.LBB31_197:
	s_or_b32 exec_lo, exec_lo, s0
	s_waitcnt lgkmcnt(0)
	s_waitcnt_vscnt null, 0x0
	s_barrier
	buffer_gl0_inv
	s_clause 0x4
	scratch_load_b128 v[68:71], off, off offset:16
	scratch_load_b128 v[72:75], off, off offset:32
	;; [unrolled: 1-line block ×5, first 2 shown]
	v_mov_b32_e32 v1, 0
	scratch_load_b128 v[92:95], off, off offset:96
	s_mov_b32 s0, exec_lo
	ds_load_2addr_b64 v[88:91], v1 offset0:35 offset1:36
	s_waitcnt vmcnt(5) lgkmcnt(0)
	v_fma_f64 v[70:71], v[70:71], v[88:89], 0
	s_waitcnt vmcnt(4)
	s_delay_alu instid0(VALU_DEP_1)
	v_fma_f64 v[88:89], v[72:73], v[90:91], v[70:71]
	ds_load_2addr_b64 v[70:73], v1 offset0:37 offset1:38
	s_waitcnt lgkmcnt(0)
	v_fma_f64 v[70:71], v[74:75], v[70:71], v[88:89]
	scratch_load_b128 v[88:91], off, off offset:112
	s_waitcnt vmcnt(4)
	v_fma_f64 v[74:75], v[76:77], v[72:73], v[70:71]
	ds_load_2addr_b64 v[70:73], v1 offset0:39 offset1:40
	s_waitcnt lgkmcnt(0)
	v_fma_f64 v[70:71], v[78:79], v[70:71], v[74:75]
	scratch_load_b128 v[74:77], off, off offset:128
	s_waitcnt vmcnt(4)
	v_fma_f64 v[78:79], v[80:81], v[72:73], v[70:71]
	ds_load_2addr_b64 v[70:73], v1 offset0:41 offset1:42
	s_waitcnt lgkmcnt(0)
	v_fma_f64 v[70:71], v[82:83], v[70:71], v[78:79]
	scratch_load_b128 v[78:81], off, off offset:144
	s_waitcnt vmcnt(4)
	v_fma_f64 v[82:83], v[84:85], v[72:73], v[70:71]
	ds_load_2addr_b64 v[70:73], v1 offset0:43 offset1:44
	s_waitcnt lgkmcnt(0)
	v_fma_f64 v[70:71], v[86:87], v[70:71], v[82:83]
	scratch_load_b128 v[82:85], off, off offset:160
	s_waitcnt vmcnt(4)
	v_fma_f64 v[86:87], v[92:93], v[72:73], v[70:71]
	ds_load_2addr_b64 v[70:73], v1 offset0:45 offset1:46
	s_waitcnt lgkmcnt(0)
	v_fma_f64 v[70:71], v[94:95], v[70:71], v[86:87]
	scratch_load_b128 v[92:95], off, off offset:176
	s_waitcnt vmcnt(4)
	v_fma_f64 v[86:87], v[88:89], v[72:73], v[70:71]
	ds_load_2addr_b64 v[70:73], v1 offset0:47 offset1:48
	s_waitcnt lgkmcnt(0)
	v_fma_f64 v[70:71], v[90:91], v[70:71], v[86:87]
	scratch_load_b128 v[86:89], off, off offset:192
	s_waitcnt vmcnt(4)
	v_fma_f64 v[74:75], v[74:75], v[72:73], v[70:71]
	ds_load_2addr_b64 v[70:73], v1 offset0:49 offset1:50
	s_waitcnt lgkmcnt(0)
	v_fma_f64 v[70:71], v[76:77], v[70:71], v[74:75]
	scratch_load_b128 v[74:77], off, off offset:208
	s_waitcnt vmcnt(4)
	v_fma_f64 v[78:79], v[78:79], v[72:73], v[70:71]
	ds_load_2addr_b64 v[70:73], v1 offset0:51 offset1:52
	s_waitcnt lgkmcnt(0)
	v_fma_f64 v[70:71], v[80:81], v[70:71], v[78:79]
	scratch_load_b128 v[78:81], off, off offset:224
	s_waitcnt vmcnt(4)
	v_fma_f64 v[82:83], v[82:83], v[72:73], v[70:71]
	ds_load_2addr_b64 v[70:73], v1 offset0:53 offset1:54
	s_waitcnt lgkmcnt(0)
	v_fma_f64 v[70:71], v[84:85], v[70:71], v[82:83]
	scratch_load_b128 v[82:85], off, off offset:240
	s_waitcnt vmcnt(4)
	v_fma_f64 v[90:91], v[92:93], v[72:73], v[70:71]
	ds_load_2addr_b64 v[70:73], v1 offset0:55 offset1:56
	s_waitcnt lgkmcnt(0)
	v_fma_f64 v[70:71], v[94:95], v[70:71], v[90:91]
	s_waitcnt vmcnt(3)
	s_delay_alu instid0(VALU_DEP_1) | instskip(SKIP_4) | instid1(VALU_DEP_1)
	v_fma_f64 v[86:87], v[86:87], v[72:73], v[70:71]
	ds_load_2addr_b64 v[70:73], v1 offset0:57 offset1:58
	s_waitcnt lgkmcnt(0)
	v_fma_f64 v[70:71], v[88:89], v[70:71], v[86:87]
	s_waitcnt vmcnt(2)
	v_fma_f64 v[74:75], v[74:75], v[72:73], v[70:71]
	ds_load_2addr_b64 v[70:73], v1 offset0:59 offset1:60
	s_waitcnt lgkmcnt(0)
	v_fma_f64 v[70:71], v[76:77], v[70:71], v[74:75]
	s_waitcnt vmcnt(1)
	s_delay_alu instid0(VALU_DEP_1) | instskip(SKIP_4) | instid1(VALU_DEP_1)
	v_fma_f64 v[74:75], v[78:79], v[72:73], v[70:71]
	ds_load_2addr_b64 v[70:73], v1 offset0:61 offset1:62
	s_waitcnt lgkmcnt(0)
	v_fma_f64 v[70:71], v[80:81], v[70:71], v[74:75]
	s_waitcnt vmcnt(0)
	v_fma_f64 v[70:71], v[82:83], v[72:73], v[70:71]
	ds_load_b64 v[72:73], v1 offset:504
	s_waitcnt lgkmcnt(0)
	v_fma_f64 v[70:71], v[84:85], v[72:73], v[70:71]
	s_delay_alu instid0(VALU_DEP_1)
	v_add_f64 v[68:69], v[68:69], -v[70:71]
	scratch_store_b64 off, v[68:69], off offset:16
	v_cmpx_lt_u32_e32 1, v0
	s_cbranch_execz .LBB31_199
; %bb.198:
	scratch_load_b64 v[68:69], off, off offset:8
	v_mov_b32_e32 v2, v1
	scratch_store_b64 off, v[1:2], off offset:8
	s_waitcnt vmcnt(0)
	ds_store_b64 v3, v[68:69]
.LBB31_199:
	s_or_b32 exec_lo, exec_lo, s0
	s_waitcnt lgkmcnt(0)
	s_waitcnt_vscnt null, 0x0
	s_barrier
	buffer_gl0_inv
	s_clause 0x4
	scratch_load_b128 v[68:71], off, off offset:8
	scratch_load_b128 v[72:75], off, off offset:24
	;; [unrolled: 1-line block ×5, first 2 shown]
	ds_load_b128 v[88:91], v1 offset:272
	scratch_load_b128 v[92:95], off, off offset:88
	s_mov_b32 s0, exec_lo
	s_waitcnt vmcnt(5) lgkmcnt(0)
	v_fma_f64 v[70:71], v[70:71], v[88:89], 0
	s_waitcnt vmcnt(4)
	s_delay_alu instid0(VALU_DEP_1)
	v_fma_f64 v[88:89], v[72:73], v[90:91], v[70:71]
	ds_load_b128 v[70:73], v1 offset:288
	s_waitcnt lgkmcnt(0)
	v_fma_f64 v[70:71], v[74:75], v[70:71], v[88:89]
	scratch_load_b128 v[88:91], off, off offset:104
	s_waitcnt vmcnt(4)
	v_fma_f64 v[74:75], v[76:77], v[72:73], v[70:71]
	ds_load_b128 v[70:73], v1 offset:304
	s_waitcnt lgkmcnt(0)
	v_fma_f64 v[70:71], v[78:79], v[70:71], v[74:75]
	scratch_load_b128 v[74:77], off, off offset:120
	s_waitcnt vmcnt(4)
	;; [unrolled: 6-line block ×9, first 2 shown]
	v_fma_f64 v[90:91], v[92:93], v[72:73], v[70:71]
	ds_load_b128 v[70:73], v1 offset:432
	s_waitcnt lgkmcnt(0)
	v_fma_f64 v[70:71], v[94:95], v[70:71], v[90:91]
	scratch_load_b64 v[90:91], off, off offset:248
	s_waitcnt vmcnt(4)
	v_fma_f64 v[86:87], v[86:87], v[72:73], v[70:71]
	ds_load_b128 v[70:73], v1 offset:448
	s_waitcnt lgkmcnt(0)
	v_fma_f64 v[70:71], v[88:89], v[70:71], v[86:87]
	s_waitcnt vmcnt(3)
	s_delay_alu instid0(VALU_DEP_1) | instskip(SKIP_4) | instid1(VALU_DEP_1)
	v_fma_f64 v[74:75], v[74:75], v[72:73], v[70:71]
	ds_load_b128 v[70:73], v1 offset:464
	s_waitcnt lgkmcnt(0)
	v_fma_f64 v[70:71], v[76:77], v[70:71], v[74:75]
	s_waitcnt vmcnt(2)
	v_fma_f64 v[74:75], v[78:79], v[72:73], v[70:71]
	ds_load_b128 v[70:73], v1 offset:480
	s_waitcnt lgkmcnt(0)
	v_fma_f64 v[70:71], v[80:81], v[70:71], v[74:75]
	s_waitcnt vmcnt(1)
	s_delay_alu instid0(VALU_DEP_1) | instskip(SKIP_4) | instid1(VALU_DEP_1)
	v_fma_f64 v[74:75], v[82:83], v[72:73], v[70:71]
	ds_load_b128 v[70:73], v1 offset:496
	s_waitcnt lgkmcnt(0)
	v_fma_f64 v[1:2], v[84:85], v[70:71], v[74:75]
	s_waitcnt vmcnt(0)
	v_fma_f64 v[1:2], v[90:91], v[72:73], v[1:2]
	s_delay_alu instid0(VALU_DEP_1)
	v_add_f64 v[1:2], v[68:69], -v[1:2]
	scratch_store_b64 off, v[1:2], off offset:8
	v_cmpx_ne_u32_e32 0, v0
	s_cbranch_execz .LBB31_201
; %bb.200:
	scratch_load_b64 v[0:1], off, off
	v_mov_b32_e32 v68, 0
	s_delay_alu instid0(VALU_DEP_1)
	v_mov_b32_e32 v69, v68
	scratch_store_b64 off, v[68:69], off
	s_waitcnt vmcnt(0)
	ds_store_b64 v3, v[0:1]
.LBB31_201:
	s_or_b32 exec_lo, exec_lo, s0
	s_waitcnt lgkmcnt(0)
	s_waitcnt_vscnt null, 0x0
	s_barrier
	buffer_gl0_inv
	s_clause 0x4
	scratch_load_b128 v[68:71], off, off
	scratch_load_b128 v[0:3], off, off offset:16
	scratch_load_b128 v[72:75], off, off offset:32
	;; [unrolled: 1-line block ×4, first 2 shown]
	v_mov_b32_e32 v96, 0
	s_clause 0x1
	scratch_load_b128 v[88:91], off, off offset:80
	scratch_load_b128 v[92:95], off, off offset:176
	s_and_b32 vcc_lo, exec_lo, s16
	ds_load_2addr_b64 v[84:87], v96 offset0:33 offset1:34
	s_waitcnt vmcnt(6) lgkmcnt(0)
	v_fma_f64 v[70:71], v[70:71], v[84:85], 0
	s_waitcnt vmcnt(5)
	s_delay_alu instid0(VALU_DEP_1)
	v_fma_f64 v[0:1], v[0:1], v[86:87], v[70:71]
	ds_load_2addr_b64 v[84:87], v96 offset0:35 offset1:36
	s_waitcnt lgkmcnt(0)
	v_fma_f64 v[70:71], v[2:3], v[84:85], v[0:1]
	scratch_load_b128 v[0:3], off, off offset:96
	s_waitcnt vmcnt(5)
	v_fma_f64 v[84:85], v[72:73], v[86:87], v[70:71]
	ds_load_2addr_b64 v[70:73], v96 offset0:37 offset1:38
	s_waitcnt lgkmcnt(0)
	v_fma_f64 v[70:71], v[74:75], v[70:71], v[84:85]
	scratch_load_b128 v[84:87], off, off offset:112
	s_waitcnt vmcnt(5)
	;; [unrolled: 6-line block ×5, first 2 shown]
	v_fma_f64 v[0:1], v[0:1], v[72:73], v[70:71]
	ds_load_2addr_b64 v[70:73], v96 offset0:45 offset1:46
	s_waitcnt lgkmcnt(0)
	v_fma_f64 v[0:1], v[2:3], v[70:71], v[0:1]
	s_waitcnt vmcnt(3)
	s_delay_alu instid0(VALU_DEP_1)
	v_fma_f64 v[70:71], v[84:85], v[72:73], v[0:1]
	ds_load_2addr_b64 v[0:3], v96 offset0:47 offset1:48
	ds_load_2addr_b64 v[82:85], v96 offset0:53 offset1:54
	s_waitcnt lgkmcnt(1)
	v_fma_f64 v[0:1], v[86:87], v[0:1], v[70:71]
	scratch_load_b128 v[70:73], off, off offset:192
	s_waitcnt vmcnt(3)
	v_fma_f64 v[74:75], v[74:75], v[2:3], v[0:1]
	ds_load_2addr_b64 v[0:3], v96 offset0:49 offset1:50
	s_waitcnt lgkmcnt(0)
	v_fma_f64 v[0:1], v[76:77], v[0:1], v[74:75]
	scratch_load_b128 v[74:77], off, off offset:208
	s_waitcnt vmcnt(3)
	v_fma_f64 v[78:79], v[78:79], v[2:3], v[0:1]
	;; [unrolled: 6-line block ×3, first 2 shown]
	s_delay_alu instid0(VALU_DEP_1)
	v_fma_f64 v[82:83], v[90:91], v[82:83], v[0:1]
	scratch_load_b128 v[0:3], off, off offset:240
	v_fma_f64 v[86:87], v[92:93], v[84:85], v[82:83]
	ds_load_2addr_b64 v[82:85], v96 offset0:55 offset1:56
	s_waitcnt lgkmcnt(0)
	v_fma_f64 v[82:83], v[94:95], v[82:83], v[86:87]
	s_waitcnt vmcnt(3)
	s_delay_alu instid0(VALU_DEP_1) | instskip(SKIP_4) | instid1(VALU_DEP_1)
	v_fma_f64 v[70:71], v[70:71], v[84:85], v[82:83]
	ds_load_2addr_b64 v[82:85], v96 offset0:57 offset1:58
	s_waitcnt lgkmcnt(0)
	v_fma_f64 v[70:71], v[72:73], v[82:83], v[70:71]
	s_waitcnt vmcnt(2)
	v_fma_f64 v[74:75], v[74:75], v[84:85], v[70:71]
	ds_load_2addr_b64 v[70:73], v96 offset0:59 offset1:60
	s_waitcnt lgkmcnt(0)
	v_fma_f64 v[70:71], v[76:77], v[70:71], v[74:75]
	s_waitcnt vmcnt(1)
	s_delay_alu instid0(VALU_DEP_1) | instskip(SKIP_4) | instid1(VALU_DEP_1)
	v_fma_f64 v[74:75], v[78:79], v[72:73], v[70:71]
	ds_load_2addr_b64 v[70:73], v96 offset0:61 offset1:62
	s_waitcnt lgkmcnt(0)
	v_fma_f64 v[70:71], v[80:81], v[70:71], v[74:75]
	s_waitcnt vmcnt(0)
	v_fma_f64 v[70:71], v[0:1], v[72:73], v[70:71]
	ds_load_b64 v[72:73], v96 offset:504
	s_waitcnt lgkmcnt(0)
	v_fma_f64 v[2:3], v[2:3], v[72:73], v[70:71]
	s_delay_alu instid0(VALU_DEP_1)
	v_add_f64 v[2:3], v[68:69], -v[2:3]
	scratch_store_b64 off, v[2:3], off
	s_cbranch_vccz .LBB31_265
; %bb.202:
	v_dual_mov_b32 v2, s12 :: v_dual_mov_b32 v3, s13
	s_mov_b32 s0, exec_lo
	flat_load_b32 v2, v[2:3] offset:120
	s_waitcnt vmcnt(0) lgkmcnt(0)
	v_cmpx_ne_u32_e32 31, v2
	s_cbranch_execz .LBB31_204
; %bb.203:
	v_lshl_add_u32 v68, v2, 3, 0
	scratch_load_b64 v[2:3], v68, off offset:-8
	s_waitcnt vmcnt(0)
	scratch_store_b64 off, v[2:3], off offset:240
	scratch_store_b64 v68, v[0:1], off offset:-8
.LBB31_204:
	s_or_b32 exec_lo, exec_lo, s0
	v_dual_mov_b32 v0, s12 :: v_dual_mov_b32 v1, s13
	s_mov_b32 s0, exec_lo
	flat_load_b32 v0, v[0:1] offset:116
	s_waitcnt vmcnt(0) lgkmcnt(0)
	v_cmpx_ne_u32_e32 30, v0
	s_cbranch_execz .LBB31_206
; %bb.205:
	v_lshl_add_u32 v68, v0, 3, 0
	scratch_load_b64 v[0:1], v68, off offset:-8
	scratch_load_b64 v[2:3], off, off offset:232
	s_waitcnt vmcnt(1)
	scratch_store_b64 off, v[0:1], off offset:232
	s_waitcnt vmcnt(0)
	scratch_store_b64 v68, v[2:3], off offset:-8
.LBB31_206:
	s_or_b32 exec_lo, exec_lo, s0
	v_dual_mov_b32 v0, s12 :: v_dual_mov_b32 v1, s13
	s_mov_b32 s0, exec_lo
	flat_load_b32 v0, v[0:1] offset:112
	s_waitcnt vmcnt(0) lgkmcnt(0)
	v_cmpx_ne_u32_e32 29, v0
	s_cbranch_execz .LBB31_208
; %bb.207:
	v_lshl_add_u32 v68, v0, 3, 0
	scratch_load_b64 v[0:1], v68, off offset:-8
	scratch_load_b64 v[2:3], off, off offset:224
	s_waitcnt vmcnt(1)
	scratch_store_b64 off, v[0:1], off offset:224
	s_waitcnt vmcnt(0)
	scratch_store_b64 v68, v[2:3], off offset:-8
.LBB31_208:
	;; [unrolled: 16-line block ×29, first 2 shown]
	s_or_b32 exec_lo, exec_lo, s0
	v_dual_mov_b32 v0, s12 :: v_dual_mov_b32 v1, s13
	s_mov_b32 s0, exec_lo
	flat_load_b32 v0, v[0:1]
	scratch_load_b64 v[2:3], off, off
	s_waitcnt vmcnt(1) lgkmcnt(0)
	v_cmpx_ne_u32_e32 1, v0
	s_cbranch_execz .LBB31_264
; %bb.263:
	v_lshl_add_u32 v68, v0, 3, 0
	scratch_load_b64 v[0:1], v68, off offset:-8
	s_waitcnt vmcnt(0)
	scratch_store_b64 off, v[0:1], off
	scratch_store_b64 v68, v[2:3], off offset:-8
	scratch_load_b64 v[2:3], off, off
.LBB31_264:
	s_or_b32 exec_lo, exec_lo, s0
.LBB31_265:
	s_clause 0x5
	scratch_load_b128 v[68:71], off, off offset:8
	scratch_load_b128 v[72:75], off, off offset:24
	;; [unrolled: 1-line block ×6, first 2 shown]
	s_waitcnt vmcnt(6)
	global_store_b64 v[6:7], v[2:3], off
	s_clause 0x1
	scratch_load_b128 v[0:3], off, off offset:104
	scratch_load_b128 v[92:95], off, off offset:152
	s_waitcnt vmcnt(7)
	global_store_b64 v[8:9], v[68:69], off
	scratch_load_b128 v[6:9], off, off offset:120
	global_store_b64 v[4:5], v[70:71], off
	s_waitcnt vmcnt(7)
	s_clause 0x1
	global_store_b64 v[12:13], v[72:73], off
	global_store_b64 v[14:15], v[74:75], off
	s_waitcnt vmcnt(6)
	s_clause 0x1
	global_store_b64 v[10:11], v[76:77], off
	;; [unrolled: 4-line block ×3, first 2 shown]
	global_store_b64 v[22:23], v[82:83], off
	s_clause 0x6
	scratch_load_b128 v[68:71], off, off offset:136
	scratch_load_b128 v[12:15], off, off offset:168
	;; [unrolled: 1-line block ×6, first 2 shown]
	scratch_load_b64 v[4:5], off, off offset:248
	s_waitcnt vmcnt(11)
	s_clause 0x1
	global_store_b64 v[20:21], v[84:85], off
	global_store_b64 v[26:27], v[86:87], off
	s_waitcnt vmcnt(10)
	s_clause 0x1
	global_store_b64 v[28:29], v[88:89], off
	global_store_b64 v[30:31], v[90:91], off
	;; [unrolled: 4-line block ×5, first 2 shown]
	global_store_b64 v[44:45], v[92:93], off
	global_store_b64 v[46:47], v[94:95], off
	s_waitcnt vmcnt(5)
	s_clause 0x1
	global_store_b64 v[48:49], v[12:13], off
	global_store_b64 v[50:51], v[14:15], off
	s_waitcnt vmcnt(4)
	s_clause 0x1
	;; [unrolled: 4-line block ×5, first 2 shown]
	global_store_b64 v[64:65], v[80:81], off
	global_store_b64 v[66:67], v[82:83], off
	s_waitcnt vmcnt(0)
	global_store_b64 v[24:25], v[4:5], off
	s_endpgm
	.section	.rodata,"a",@progbits
	.p2align	6, 0x0
	.amdhsa_kernel _ZN9rocsolver6v33100L18getri_kernel_smallILi32EdPdEEvT1_iilPiilS4_bb
		.amdhsa_group_segment_fixed_size 520
		.amdhsa_private_segment_fixed_size 272
		.amdhsa_kernarg_size 60
		.amdhsa_user_sgpr_count 15
		.amdhsa_user_sgpr_dispatch_ptr 0
		.amdhsa_user_sgpr_queue_ptr 0
		.amdhsa_user_sgpr_kernarg_segment_ptr 1
		.amdhsa_user_sgpr_dispatch_id 0
		.amdhsa_user_sgpr_private_segment_size 0
		.amdhsa_wavefront_size32 1
		.amdhsa_uses_dynamic_stack 0
		.amdhsa_enable_private_segment 1
		.amdhsa_system_sgpr_workgroup_id_x 1
		.amdhsa_system_sgpr_workgroup_id_y 0
		.amdhsa_system_sgpr_workgroup_id_z 0
		.amdhsa_system_sgpr_workgroup_info 0
		.amdhsa_system_vgpr_workitem_id 0
		.amdhsa_next_free_vgpr 102
		.amdhsa_next_free_sgpr 18
		.amdhsa_reserve_vcc 1
		.amdhsa_float_round_mode_32 0
		.amdhsa_float_round_mode_16_64 0
		.amdhsa_float_denorm_mode_32 3
		.amdhsa_float_denorm_mode_16_64 3
		.amdhsa_dx10_clamp 1
		.amdhsa_ieee_mode 1
		.amdhsa_fp16_overflow 0
		.amdhsa_workgroup_processor_mode 1
		.amdhsa_memory_ordered 1
		.amdhsa_forward_progress 0
		.amdhsa_shared_vgpr_count 0
		.amdhsa_exception_fp_ieee_invalid_op 0
		.amdhsa_exception_fp_denorm_src 0
		.amdhsa_exception_fp_ieee_div_zero 0
		.amdhsa_exception_fp_ieee_overflow 0
		.amdhsa_exception_fp_ieee_underflow 0
		.amdhsa_exception_fp_ieee_inexact 0
		.amdhsa_exception_int_div_zero 0
	.end_amdhsa_kernel
	.section	.text._ZN9rocsolver6v33100L18getri_kernel_smallILi32EdPdEEvT1_iilPiilS4_bb,"axG",@progbits,_ZN9rocsolver6v33100L18getri_kernel_smallILi32EdPdEEvT1_iilPiilS4_bb,comdat
.Lfunc_end31:
	.size	_ZN9rocsolver6v33100L18getri_kernel_smallILi32EdPdEEvT1_iilPiilS4_bb, .Lfunc_end31-_ZN9rocsolver6v33100L18getri_kernel_smallILi32EdPdEEvT1_iilPiilS4_bb
                                        ; -- End function
	.section	.AMDGPU.csdata,"",@progbits
; Kernel info:
; codeLenInByte = 24680
; NumSgprs: 20
; NumVgprs: 102
; ScratchSize: 272
; MemoryBound: 0
; FloatMode: 240
; IeeeMode: 1
; LDSByteSize: 520 bytes/workgroup (compile time only)
; SGPRBlocks: 2
; VGPRBlocks: 12
; NumSGPRsForWavesPerEU: 20
; NumVGPRsForWavesPerEU: 102
; Occupancy: 12
; WaveLimiterHint : 1
; COMPUTE_PGM_RSRC2:SCRATCH_EN: 1
; COMPUTE_PGM_RSRC2:USER_SGPR: 15
; COMPUTE_PGM_RSRC2:TRAP_HANDLER: 0
; COMPUTE_PGM_RSRC2:TGID_X_EN: 1
; COMPUTE_PGM_RSRC2:TGID_Y_EN: 0
; COMPUTE_PGM_RSRC2:TGID_Z_EN: 0
; COMPUTE_PGM_RSRC2:TIDIG_COMP_CNT: 0
	.section	.text._ZN9rocsolver6v33100L18getri_kernel_smallILi33EdPdEEvT1_iilPiilS4_bb,"axG",@progbits,_ZN9rocsolver6v33100L18getri_kernel_smallILi33EdPdEEvT1_iilPiilS4_bb,comdat
	.globl	_ZN9rocsolver6v33100L18getri_kernel_smallILi33EdPdEEvT1_iilPiilS4_bb ; -- Begin function _ZN9rocsolver6v33100L18getri_kernel_smallILi33EdPdEEvT1_iilPiilS4_bb
	.p2align	8
	.type	_ZN9rocsolver6v33100L18getri_kernel_smallILi33EdPdEEvT1_iilPiilS4_bb,@function
_ZN9rocsolver6v33100L18getri_kernel_smallILi33EdPdEEvT1_iilPiilS4_bb: ; @_ZN9rocsolver6v33100L18getri_kernel_smallILi33EdPdEEvT1_iilPiilS4_bb
; %bb.0:
	s_mov_b32 s2, exec_lo
	v_cmpx_gt_u32_e32 33, v0
	s_cbranch_execz .LBB32_142
; %bb.1:
	s_clause 0x2
	s_load_b32 s17, s[0:1], 0x38
	s_load_b128 s[8:11], s[0:1], 0x10
	s_load_b128 s[4:7], s[0:1], 0x28
	s_mov_b32 s14, s15
                                        ; implicit-def: $sgpr12_sgpr13
	s_waitcnt lgkmcnt(0)
	s_bitcmp1_b32 s17, 8
	s_cselect_b32 s16, -1, 0
	s_bfe_u32 s2, s17, 0x10008
	s_ashr_i32 s15, s15, 31
	s_cmp_eq_u32 s2, 0
	s_cbranch_scc1 .LBB32_3
; %bb.2:
	s_load_b32 s2, s[0:1], 0x20
	s_mul_i32 s3, s14, s5
	s_mul_hi_u32 s5, s14, s4
	s_mul_i32 s12, s15, s4
	s_add_i32 s3, s5, s3
	s_mul_i32 s4, s14, s4
	s_add_i32 s5, s3, s12
	s_delay_alu instid0(SALU_CYCLE_1)
	s_lshl_b64 s[4:5], s[4:5], 2
	s_waitcnt lgkmcnt(0)
	s_ashr_i32 s3, s2, 31
	s_add_u32 s4, s10, s4
	s_addc_u32 s5, s11, s5
	s_lshl_b64 s[2:3], s[2:3], 2
	s_delay_alu instid0(SALU_CYCLE_1)
	s_add_u32 s12, s4, s2
	s_addc_u32 s13, s5, s3
.LBB32_3:
	s_load_b128 s[0:3], s[0:1], 0x0
	s_mul_i32 s4, s14, s9
	s_mul_hi_u32 s5, s14, s8
	s_mul_i32 s9, s15, s8
	s_add_i32 s5, s5, s4
	s_mul_i32 s4, s14, s8
	s_add_i32 s5, s5, s9
	v_lshlrev_b32_e32 v87, 3, v0
	s_lshl_b64 s[4:5], s[4:5], 3
	s_waitcnt lgkmcnt(0)
	v_add3_u32 v3, s3, s3, v0
	s_ashr_i32 s9, s2, 31
	s_mov_b32 s8, s2
	s_add_u32 s2, s0, s4
	s_addc_u32 s5, s1, s5
	v_add_nc_u32_e32 v5, s3, v3
	s_lshl_b64 s[0:1], s[8:9], 3
	v_ashrrev_i32_e32 v4, 31, v3
	s_add_u32 s0, s2, s0
	s_addc_u32 s1, s5, s1
	v_add_nc_u32_e32 v7, s3, v5
	v_add_co_u32 v21, s2, s0, v87
	v_ashrrev_i32_e32 v6, 31, v5
	s_mov_b32 s4, s3
	s_delay_alu instid0(VALU_DEP_3) | instskip(SKIP_3) | instid1(VALU_DEP_3)
	v_add_nc_u32_e32 v9, s3, v7
	s_ashr_i32 s5, s3, 31
	v_add_co_ci_u32_e64 v22, null, s1, 0, s2
	v_lshlrev_b64 v[3:4], 3, v[3:4]
	v_add_nc_u32_e32 v11, s3, v9
	s_lshl_b64 s[4:5], s[4:5], 3
	v_lshlrev_b64 v[5:6], 3, v[5:6]
	v_add_co_u32 v25, vcc_lo, v21, s4
	v_ashrrev_i32_e32 v8, 31, v7
	v_add_co_ci_u32_e32 v26, vcc_lo, s5, v22, vcc_lo
	v_add_nc_u32_e32 v13, s3, v11
	v_add_co_u32 v29, vcc_lo, s0, v3
	v_ashrrev_i32_e32 v10, 31, v9
	v_add_co_ci_u32_e32 v30, vcc_lo, s1, v4, vcc_lo
	v_lshlrev_b64 v[3:4], 3, v[7:8]
	v_add_co_u32 v23, vcc_lo, s0, v5
	v_ashrrev_i32_e32 v12, 31, v11
	v_add_nc_u32_e32 v15, s3, v13
	v_add_co_ci_u32_e32 v24, vcc_lo, s1, v6, vcc_lo
	v_lshlrev_b64 v[5:6], 3, v[9:10]
	v_ashrrev_i32_e32 v14, 31, v13
	v_add_co_u32 v27, vcc_lo, s0, v3
	v_lshlrev_b64 v[17:18], 3, v[11:12]
	v_add_nc_u32_e32 v41, s3, v15
	v_add_co_ci_u32_e32 v28, vcc_lo, s1, v4, vcc_lo
	v_add_co_u32 v31, vcc_lo, s0, v5
	v_lshlrev_b64 v[13:14], 3, v[13:14]
	v_ashrrev_i32_e32 v16, 31, v15
	v_add_co_ci_u32_e32 v32, vcc_lo, s1, v6, vcc_lo
	v_add_co_u32 v33, vcc_lo, s0, v17
	v_ashrrev_i32_e32 v42, 31, v41
	v_add_co_ci_u32_e32 v34, vcc_lo, s1, v18, vcc_lo
	v_lshlrev_b64 v[15:16], 3, v[15:16]
	v_add_co_u32 v35, vcc_lo, s0, v13
	v_add_co_ci_u32_e32 v36, vcc_lo, s1, v14, vcc_lo
	v_lshlrev_b64 v[13:14], 3, v[41:42]
	s_delay_alu instid0(VALU_DEP_4)
	v_add_co_u32 v37, vcc_lo, s0, v15
	v_add_co_ci_u32_e32 v38, vcc_lo, s1, v16, vcc_lo
	global_load_b64 v[1:2], v87, s[0:1]
	v_add_co_u32 v39, vcc_lo, s0, v13
	s_clause 0x3
	global_load_b64 v[3:4], v[25:26], off
	global_load_b64 v[5:6], v[29:30], off
	global_load_b64 v[7:8], v[23:24], off
	global_load_b64 v[9:10], v[27:28], off
	v_add_co_ci_u32_e32 v40, vcc_lo, s1, v14, vcc_lo
	s_clause 0x4
	global_load_b64 v[11:12], v[31:32], off
	global_load_b64 v[17:18], v[33:34], off
	global_load_b64 v[19:20], v[35:36], off
	global_load_b64 v[13:14], v[37:38], off
	global_load_b64 v[15:16], v[39:40], off
	v_add_nc_u32_e32 v41, s3, v41
	s_bitcmp0_b32 s17, 0
	s_delay_alu instid0(VALU_DEP_1) | instskip(SKIP_1) | instid1(VALU_DEP_2)
	v_add_nc_u32_e32 v43, s3, v41
	v_ashrrev_i32_e32 v42, 31, v41
	v_add_nc_u32_e32 v45, s3, v43
	v_ashrrev_i32_e32 v44, 31, v43
	s_delay_alu instid0(VALU_DEP_3) | instskip(NEXT) | instid1(VALU_DEP_3)
	v_lshlrev_b64 v[41:42], 3, v[41:42]
	v_add_nc_u32_e32 v47, s3, v45
	v_ashrrev_i32_e32 v46, 31, v45
	s_delay_alu instid0(VALU_DEP_4) | instskip(NEXT) | instid1(VALU_DEP_4)
	v_lshlrev_b64 v[43:44], 3, v[43:44]
	v_add_co_u32 v41, vcc_lo, s0, v41
	s_delay_alu instid0(VALU_DEP_4) | instskip(SKIP_3) | instid1(VALU_DEP_4)
	v_add_nc_u32_e32 v49, s3, v47
	v_ashrrev_i32_e32 v48, 31, v47
	v_lshlrev_b64 v[45:46], 3, v[45:46]
	v_add_co_ci_u32_e32 v42, vcc_lo, s1, v42, vcc_lo
	v_add_nc_u32_e32 v51, s3, v49
	v_ashrrev_i32_e32 v50, 31, v49
	v_add_co_u32 v43, vcc_lo, s0, v43
	v_lshlrev_b64 v[47:48], 3, v[47:48]
	s_delay_alu instid0(VALU_DEP_4) | instskip(SKIP_3) | instid1(VALU_DEP_4)
	v_add_nc_u32_e32 v53, s3, v51
	v_ashrrev_i32_e32 v52, 31, v51
	v_add_co_ci_u32_e32 v44, vcc_lo, s1, v44, vcc_lo
	v_add_co_u32 v45, vcc_lo, s0, v45
	v_add_nc_u32_e32 v55, s3, v53
	v_lshlrev_b64 v[49:50], 3, v[49:50]
	v_ashrrev_i32_e32 v54, 31, v53
	v_add_co_ci_u32_e32 v46, vcc_lo, s1, v46, vcc_lo
	s_delay_alu instid0(VALU_DEP_4) | instskip(SKIP_3) | instid1(VALU_DEP_4)
	v_add_nc_u32_e32 v57, s3, v55
	v_add_co_u32 v47, vcc_lo, s0, v47
	v_lshlrev_b64 v[51:52], 3, v[51:52]
	v_ashrrev_i32_e32 v56, 31, v55
	v_add_nc_u32_e32 v59, s3, v57
	v_add_co_ci_u32_e32 v48, vcc_lo, s1, v48, vcc_lo
	v_add_co_u32 v49, vcc_lo, s0, v49
	s_delay_alu instid0(VALU_DEP_3) | instskip(SKIP_3) | instid1(VALU_DEP_4)
	v_add_nc_u32_e32 v61, s3, v59
	v_lshlrev_b64 v[53:54], 3, v[53:54]
	v_ashrrev_i32_e32 v58, 31, v57
	v_add_co_ci_u32_e32 v50, vcc_lo, s1, v50, vcc_lo
	v_add_nc_u32_e32 v63, s3, v61
	v_add_co_u32 v51, vcc_lo, s0, v51
	v_lshlrev_b64 v[55:56], 3, v[55:56]
	v_ashrrev_i32_e32 v60, 31, v59
	s_delay_alu instid0(VALU_DEP_4) | instskip(SKIP_2) | instid1(VALU_DEP_3)
	v_add_nc_u32_e32 v65, s3, v63
	v_add_co_ci_u32_e32 v52, vcc_lo, s1, v52, vcc_lo
	v_add_co_u32 v53, vcc_lo, s0, v53
	v_add_nc_u32_e32 v67, s3, v65
	v_lshlrev_b64 v[57:58], 3, v[57:58]
	v_ashrrev_i32_e32 v62, 31, v61
	v_add_co_ci_u32_e32 v54, vcc_lo, s1, v54, vcc_lo
	s_delay_alu instid0(VALU_DEP_4) | instskip(SKIP_3) | instid1(VALU_DEP_4)
	v_add_nc_u32_e32 v69, s3, v67
	v_add_co_u32 v55, vcc_lo, s0, v55
	v_lshlrev_b64 v[59:60], 3, v[59:60]
	v_ashrrev_i32_e32 v64, 31, v63
	v_add_nc_u32_e32 v71, s3, v69
	v_add_co_ci_u32_e32 v56, vcc_lo, s1, v56, vcc_lo
	v_add_co_u32 v57, vcc_lo, s0, v57
	s_delay_alu instid0(VALU_DEP_3)
	v_add_nc_u32_e32 v73, s3, v71
	v_lshlrev_b64 v[61:62], 3, v[61:62]
	v_ashrrev_i32_e32 v66, 31, v65
	v_add_co_ci_u32_e32 v58, vcc_lo, s1, v58, vcc_lo
	v_add_co_u32 v59, vcc_lo, s0, v59
	v_lshlrev_b64 v[63:64], 3, v[63:64]
	v_add_nc_u32_e32 v75, s3, v73
	v_ashrrev_i32_e32 v68, 31, v67
	v_add_co_ci_u32_e32 v60, vcc_lo, s1, v60, vcc_lo
	v_add_co_u32 v61, vcc_lo, s0, v61
	v_lshlrev_b64 v[65:66], 3, v[65:66]
	v_ashrrev_i32_e32 v70, 31, v69
	v_add_co_ci_u32_e32 v62, vcc_lo, s1, v62, vcc_lo
	v_add_nc_u32_e32 v77, s3, v75
	v_add_co_u32 v63, vcc_lo, s0, v63
	v_lshlrev_b64 v[67:68], 3, v[67:68]
	v_ashrrev_i32_e32 v72, 31, v71
	v_add_co_ci_u32_e32 v64, vcc_lo, s1, v64, vcc_lo
	v_add_co_u32 v65, vcc_lo, s0, v65
	v_lshlrev_b64 v[69:70], 3, v[69:70]
	v_ashrrev_i32_e32 v74, 31, v73
	v_add_nc_u32_e32 v79, s3, v77
	v_add_co_ci_u32_e32 v66, vcc_lo, s1, v66, vcc_lo
	v_add_co_u32 v67, vcc_lo, s0, v67
	v_lshlrev_b64 v[71:72], 3, v[71:72]
	v_ashrrev_i32_e32 v76, 31, v75
	v_add_co_ci_u32_e32 v68, vcc_lo, s1, v68, vcc_lo
	v_add_co_u32 v69, vcc_lo, s0, v69
	v_lshlrev_b64 v[73:74], 3, v[73:74]
	v_add_nc_u32_e32 v81, s3, v79
	v_ashrrev_i32_e32 v78, 31, v77
	v_add_co_ci_u32_e32 v70, vcc_lo, s1, v70, vcc_lo
	v_add_co_u32 v71, vcc_lo, s0, v71
	v_lshlrev_b64 v[75:76], 3, v[75:76]
	v_ashrrev_i32_e32 v80, 31, v79
	v_add_co_ci_u32_e32 v72, vcc_lo, s1, v72, vcc_lo
	v_add_nc_u32_e32 v85, s3, v81
	v_add_co_u32 v73, vcc_lo, s0, v73
	v_lshlrev_b64 v[77:78], 3, v[77:78]
	v_ashrrev_i32_e32 v82, 31, v81
	v_add_co_ci_u32_e32 v74, vcc_lo, s1, v74, vcc_lo
	v_add_co_u32 v75, vcc_lo, s0, v75
	v_lshlrev_b64 v[79:80], 3, v[79:80]
	v_add_nc_u32_e32 v110, s3, v85
	v_add_co_ci_u32_e32 v76, vcc_lo, s1, v76, vcc_lo
	v_add_co_u32 v77, vcc_lo, s0, v77
	v_lshlrev_b64 v[81:82], 3, v[81:82]
	v_ashrrev_i32_e32 v86, 31, v85
	v_add_co_ci_u32_e32 v78, vcc_lo, s1, v78, vcc_lo
	v_add_co_u32 v83, vcc_lo, s0, v79
	v_ashrrev_i32_e32 v111, 31, v110
	v_add_co_ci_u32_e32 v84, vcc_lo, s1, v80, vcc_lo
	v_lshlrev_b64 v[79:80], 3, v[85:86]
	v_add_co_u32 v85, vcc_lo, s0, v81
	v_add_co_ci_u32_e32 v86, vcc_lo, s1, v82, vcc_lo
	v_lshlrev_b64 v[81:82], 3, v[110:111]
	s_delay_alu instid0(VALU_DEP_4)
	v_add_co_u32 v79, vcc_lo, s0, v79
	v_add_co_ci_u32_e32 v80, vcc_lo, s1, v80, vcc_lo
	s_clause 0x2
	global_load_b64 v[88:89], v[41:42], off
	global_load_b64 v[90:91], v[43:44], off
	;; [unrolled: 1-line block ×3, first 2 shown]
	v_add_co_u32 v81, vcc_lo, s0, v81
	v_add_co_ci_u32_e32 v82, vcc_lo, s1, v82, vcc_lo
	s_clause 0x7
	global_load_b64 v[94:95], v[47:48], off
	global_load_b64 v[96:97], v[49:50], off
	;; [unrolled: 1-line block ×8, first 2 shown]
	s_mov_b32 s1, -1
	s_waitcnt vmcnt(19)
	scratch_store_b128 off, v[1:4], off
	s_clause 0x3
	global_load_b64 v[110:111], v[63:64], off
	global_load_b64 v[1:2], v[65:66], off
	;; [unrolled: 1-line block ×4, first 2 shown]
	s_waitcnt vmcnt(21)
	scratch_store_b128 off, v[5:8], off offset:16
	s_waitcnt vmcnt(19)
	scratch_store_b128 off, v[9:12], off offset:32
	s_clause 0x3
	global_load_b64 v[114:115], v[71:72], off
	global_load_b64 v[5:6], v[73:74], off
	;; [unrolled: 1-line block ×4, first 2 shown]
	s_waitcnt vmcnt(21)
	scratch_store_b128 off, v[17:20], off offset:48
	s_clause 0x2
	global_load_b64 v[11:12], v[83:84], off
	global_load_b64 v[17:18], v[85:86], off
	;; [unrolled: 1-line block ×3, first 2 shown]
	s_waitcnt vmcnt(22)
	scratch_store_b128 off, v[13:16], off offset:64
	global_load_b64 v[13:14], v[81:82], off
	s_waitcnt vmcnt(21)
	scratch_store_b128 off, v[88:91], off offset:80
	s_waitcnt vmcnt(19)
	scratch_store_b128 off, v[92:95], off offset:96
	;; [unrolled: 2-line block ×11, first 2 shown]
	s_waitcnt vmcnt(0)
	scratch_store_b64 off, v[13:14], off offset:256
	s_cbranch_scc1 .LBB32_140
; %bb.4:
	v_cmp_eq_u32_e64 s0, 0, v0
	s_delay_alu instid0(VALU_DEP_1)
	s_and_saveexec_b32 s1, s0
	s_cbranch_execz .LBB32_6
; %bb.5:
	v_mov_b32_e32 v1, 0
	ds_store_b32 v1, v1 offset:264
.LBB32_6:
	s_or_b32 exec_lo, exec_lo, s1
	s_waitcnt lgkmcnt(0)
	s_waitcnt_vscnt null, 0x0
	s_barrier
	buffer_gl0_inv
	scratch_load_b64 v[1:2], v87, off
	s_mov_b32 s2, exec_lo
	s_waitcnt vmcnt(0)
	v_cmpx_eq_f64_e32 0, v[1:2]
	s_cbranch_execz .LBB32_10
; %bb.7:
	v_mov_b32_e32 v1, 0
	s_mov_b32 s3, 0
	ds_load_b32 v2, v1 offset:264
	s_waitcnt lgkmcnt(0)
	v_readfirstlane_b32 s1, v2
	v_add_nc_u32_e32 v2, 1, v0
	s_delay_alu instid0(VALU_DEP_2) | instskip(NEXT) | instid1(VALU_DEP_1)
	s_cmp_eq_u32 s1, 0
	v_cmp_gt_i32_e32 vcc_lo, s1, v2
	s_cselect_b32 s4, -1, 0
	s_delay_alu instid0(SALU_CYCLE_1) | instskip(NEXT) | instid1(SALU_CYCLE_1)
	s_or_b32 s4, s4, vcc_lo
	s_and_b32 exec_lo, exec_lo, s4
	s_cbranch_execz .LBB32_10
; %bb.8:
	v_mov_b32_e32 v3, s1
.LBB32_9:                               ; =>This Inner Loop Header: Depth=1
	ds_cmpstore_rtn_b32 v3, v1, v2, v3 offset:264
	s_waitcnt lgkmcnt(0)
	v_cmp_ne_u32_e32 vcc_lo, 0, v3
	v_cmp_le_i32_e64 s1, v3, v2
	s_delay_alu instid0(VALU_DEP_1) | instskip(NEXT) | instid1(SALU_CYCLE_1)
	s_and_b32 s1, vcc_lo, s1
	s_and_b32 s1, exec_lo, s1
	s_delay_alu instid0(SALU_CYCLE_1) | instskip(NEXT) | instid1(SALU_CYCLE_1)
	s_or_b32 s3, s1, s3
	s_and_not1_b32 exec_lo, exec_lo, s3
	s_cbranch_execnz .LBB32_9
.LBB32_10:
	s_or_b32 exec_lo, exec_lo, s2
	v_mov_b32_e32 v1, 0
	s_barrier
	buffer_gl0_inv
	ds_load_b32 v2, v1 offset:264
	s_and_saveexec_b32 s1, s0
	s_cbranch_execz .LBB32_12
; %bb.11:
	s_lshl_b64 s[2:3], s[14:15], 2
	s_delay_alu instid0(SALU_CYCLE_1)
	s_add_u32 s2, s6, s2
	s_addc_u32 s3, s7, s3
	s_waitcnt lgkmcnt(0)
	global_store_b32 v1, v2, s[2:3]
.LBB32_12:
	s_or_b32 exec_lo, exec_lo, s1
	s_waitcnt lgkmcnt(0)
	v_cmp_ne_u32_e32 vcc_lo, 0, v2
	s_mov_b32 s1, 0
	s_cbranch_vccnz .LBB32_140
; %bb.13:
	v_add_nc_u32_e32 v3, 0, v87
	scratch_load_b64 v[1:2], v3, off
	s_waitcnt vmcnt(0)
	v_div_scale_f64 v[4:5], null, v[1:2], v[1:2], 1.0
	v_div_scale_f64 v[10:11], vcc_lo, 1.0, v[1:2], 1.0
	s_delay_alu instid0(VALU_DEP_2) | instskip(SKIP_2) | instid1(VALU_DEP_1)
	v_rcp_f64_e32 v[6:7], v[4:5]
	s_waitcnt_depctr 0xfff
	v_fma_f64 v[8:9], -v[4:5], v[6:7], 1.0
	v_fma_f64 v[6:7], v[6:7], v[8:9], v[6:7]
	s_delay_alu instid0(VALU_DEP_1) | instskip(NEXT) | instid1(VALU_DEP_1)
	v_fma_f64 v[8:9], -v[4:5], v[6:7], 1.0
	v_fma_f64 v[6:7], v[6:7], v[8:9], v[6:7]
	s_delay_alu instid0(VALU_DEP_1) | instskip(NEXT) | instid1(VALU_DEP_1)
	v_mul_f64 v[8:9], v[10:11], v[6:7]
	v_fma_f64 v[4:5], -v[4:5], v[8:9], v[10:11]
	s_delay_alu instid0(VALU_DEP_1) | instskip(NEXT) | instid1(VALU_DEP_1)
	v_div_fmas_f64 v[4:5], v[4:5], v[6:7], v[8:9]
	v_div_fixup_f64 v[1:2], v[4:5], v[1:2], 1.0
	v_add_nc_u32_e32 v4, 0x110, v87
	scratch_store_b64 v3, v[1:2], off
	scratch_load_b64 v[5:6], off, off offset:8
	v_xor_b32_e32 v2, 0x80000000, v2
	s_waitcnt vmcnt(0)
	ds_store_2addr_b64 v87, v[1:2], v[5:6] offset1:34
	s_waitcnt lgkmcnt(0)
	s_waitcnt_vscnt null, 0x0
	s_barrier
	buffer_gl0_inv
	s_and_saveexec_b32 s1, s0
	s_cbranch_execz .LBB32_15
; %bb.14:
	scratch_load_b64 v[1:2], v3, off
	ds_load_b64 v[5:6], v4
	s_waitcnt vmcnt(0) lgkmcnt(0)
	v_fma_f64 v[1:2], v[1:2], v[5:6], 0
	v_mov_b32_e32 v5, 0
	ds_load_b64 v[5:6], v5 offset:8
	s_waitcnt lgkmcnt(0)
	v_mul_f64 v[1:2], v[1:2], v[5:6]
	scratch_store_b64 off, v[1:2], off offset:8
.LBB32_15:
	s_or_b32 exec_lo, exec_lo, s1
	s_waitcnt_vscnt null, 0x0
	s_barrier
	buffer_gl0_inv
	scratch_load_b64 v[1:2], off, off offset:16
	s_mov_b32 s1, exec_lo
	s_waitcnt vmcnt(0)
	ds_store_b64 v4, v[1:2]
	s_waitcnt lgkmcnt(0)
	s_barrier
	buffer_gl0_inv
	v_cmpx_gt_u32_e32 2, v0
	s_cbranch_execz .LBB32_19
; %bb.16:
	scratch_load_b64 v[1:2], v3, off
	ds_load_b64 v[5:6], v4
	s_waitcnt vmcnt(0) lgkmcnt(0)
	v_fma_f64 v[1:2], v[1:2], v[5:6], 0
	s_and_saveexec_b32 s2, s0
	s_cbranch_execz .LBB32_18
; %bb.17:
	scratch_load_b64 v[5:6], off, off offset:8
	v_mov_b32_e32 v7, 0
	ds_load_b64 v[7:8], v7 offset:280
	s_waitcnt vmcnt(0) lgkmcnt(0)
	v_fma_f64 v[1:2], v[5:6], v[7:8], v[1:2]
.LBB32_18:
	s_or_b32 exec_lo, exec_lo, s2
	v_mov_b32_e32 v5, 0
	ds_load_b64 v[5:6], v5 offset:16
	s_waitcnt lgkmcnt(0)
	v_mul_f64 v[1:2], v[1:2], v[5:6]
	scratch_store_b64 off, v[1:2], off offset:16
.LBB32_19:
	s_or_b32 exec_lo, exec_lo, s1
	s_waitcnt_vscnt null, 0x0
	s_barrier
	buffer_gl0_inv
	scratch_load_b64 v[1:2], off, off offset:24
	v_add_nc_u32_e32 v5, -1, v0
	s_mov_b32 s0, exec_lo
	s_waitcnt vmcnt(0)
	ds_store_b64 v4, v[1:2]
	s_waitcnt lgkmcnt(0)
	s_barrier
	buffer_gl0_inv
	v_cmpx_gt_u32_e32 3, v0
	s_cbranch_execz .LBB32_23
; %bb.20:
	v_dual_mov_b32 v1, 0 :: v_dual_add_nc_u32 v6, -1, v0
	v_dual_mov_b32 v2, 0 :: v_dual_add_nc_u32 v7, 0x110, v87
	v_add_nc_u32_e32 v8, 0, v87
	s_mov_b32 s1, 0
.LBB32_21:                              ; =>This Inner Loop Header: Depth=1
	scratch_load_b64 v[9:10], v8, off
	ds_load_b64 v[11:12], v7
	v_add_nc_u32_e32 v6, 1, v6
	v_add_nc_u32_e32 v7, 8, v7
	v_add_nc_u32_e32 v8, 8, v8
	s_delay_alu instid0(VALU_DEP_3)
	v_cmp_lt_u32_e32 vcc_lo, 1, v6
	s_or_b32 s1, vcc_lo, s1
	s_waitcnt vmcnt(0) lgkmcnt(0)
	v_fma_f64 v[1:2], v[9:10], v[11:12], v[1:2]
	s_and_not1_b32 exec_lo, exec_lo, s1
	s_cbranch_execnz .LBB32_21
; %bb.22:
	s_or_b32 exec_lo, exec_lo, s1
	v_mov_b32_e32 v6, 0
	ds_load_b64 v[6:7], v6 offset:24
	s_waitcnt lgkmcnt(0)
	v_mul_f64 v[1:2], v[1:2], v[6:7]
	scratch_store_b64 off, v[1:2], off offset:24
.LBB32_23:
	s_or_b32 exec_lo, exec_lo, s0
	s_waitcnt_vscnt null, 0x0
	s_barrier
	buffer_gl0_inv
	scratch_load_b64 v[1:2], off, off offset:32
	s_mov_b32 s0, exec_lo
	s_waitcnt vmcnt(0)
	ds_store_b64 v4, v[1:2]
	s_waitcnt lgkmcnt(0)
	s_barrier
	buffer_gl0_inv
	v_cmpx_gt_u32_e32 4, v0
	s_cbranch_execz .LBB32_27
; %bb.24:
	v_dual_mov_b32 v1, 0 :: v_dual_add_nc_u32 v6, -1, v0
	v_dual_mov_b32 v2, 0 :: v_dual_add_nc_u32 v7, 0x110, v87
	v_add_nc_u32_e32 v8, 0, v87
	s_mov_b32 s1, 0
.LBB32_25:                              ; =>This Inner Loop Header: Depth=1
	scratch_load_b64 v[9:10], v8, off
	ds_load_b64 v[11:12], v7
	v_add_nc_u32_e32 v6, 1, v6
	v_add_nc_u32_e32 v7, 8, v7
	v_add_nc_u32_e32 v8, 8, v8
	s_delay_alu instid0(VALU_DEP_3)
	v_cmp_lt_u32_e32 vcc_lo, 2, v6
	s_or_b32 s1, vcc_lo, s1
	s_waitcnt vmcnt(0) lgkmcnt(0)
	v_fma_f64 v[1:2], v[9:10], v[11:12], v[1:2]
	s_and_not1_b32 exec_lo, exec_lo, s1
	s_cbranch_execnz .LBB32_25
; %bb.26:
	s_or_b32 exec_lo, exec_lo, s1
	v_mov_b32_e32 v6, 0
	ds_load_b64 v[6:7], v6 offset:32
	s_waitcnt lgkmcnt(0)
	v_mul_f64 v[1:2], v[1:2], v[6:7]
	scratch_store_b64 off, v[1:2], off offset:32
.LBB32_27:
	s_or_b32 exec_lo, exec_lo, s0
	s_waitcnt_vscnt null, 0x0
	s_barrier
	buffer_gl0_inv
	scratch_load_b64 v[1:2], off, off offset:40
	;; [unrolled: 39-line block ×20, first 2 shown]
	s_mov_b32 s0, exec_lo
	s_waitcnt vmcnt(0)
	ds_store_b64 v4, v[1:2]
	s_waitcnt lgkmcnt(0)
	s_barrier
	buffer_gl0_inv
	v_cmpx_gt_u32_e32 23, v0
	s_cbranch_execz .LBB32_103
; %bb.100:
	v_dual_mov_b32 v1, 0 :: v_dual_add_nc_u32 v6, -1, v0
	v_dual_mov_b32 v2, 0 :: v_dual_add_nc_u32 v7, 0x110, v87
	v_add_nc_u32_e32 v8, 0, v87
	s_mov_b32 s1, 0
.LBB32_101:                             ; =>This Inner Loop Header: Depth=1
	scratch_load_b64 v[9:10], v8, off
	ds_load_b64 v[11:12], v7
	v_add_nc_u32_e32 v6, 1, v6
	v_add_nc_u32_e32 v7, 8, v7
	v_add_nc_u32_e32 v8, 8, v8
	s_delay_alu instid0(VALU_DEP_3)
	v_cmp_lt_u32_e32 vcc_lo, 21, v6
	s_or_b32 s1, vcc_lo, s1
	s_waitcnt vmcnt(0) lgkmcnt(0)
	v_fma_f64 v[1:2], v[9:10], v[11:12], v[1:2]
	s_and_not1_b32 exec_lo, exec_lo, s1
	s_cbranch_execnz .LBB32_101
; %bb.102:
	s_or_b32 exec_lo, exec_lo, s1
	v_mov_b32_e32 v6, 0
	ds_load_b64 v[6:7], v6 offset:184
	s_waitcnt lgkmcnt(0)
	v_mul_f64 v[1:2], v[1:2], v[6:7]
	scratch_store_b64 off, v[1:2], off offset:184
.LBB32_103:
	s_or_b32 exec_lo, exec_lo, s0
	s_waitcnt_vscnt null, 0x0
	s_barrier
	buffer_gl0_inv
	scratch_load_b64 v[1:2], off, off offset:192
	s_mov_b32 s0, exec_lo
	s_waitcnt vmcnt(0)
	ds_store_b64 v4, v[1:2]
	s_waitcnt lgkmcnt(0)
	s_barrier
	buffer_gl0_inv
	v_cmpx_gt_u32_e32 24, v0
	s_cbranch_execz .LBB32_107
; %bb.104:
	v_dual_mov_b32 v1, 0 :: v_dual_add_nc_u32 v6, -1, v0
	v_dual_mov_b32 v2, 0 :: v_dual_add_nc_u32 v7, 0x110, v87
	v_add_nc_u32_e32 v8, 0, v87
	s_mov_b32 s1, 0
.LBB32_105:                             ; =>This Inner Loop Header: Depth=1
	scratch_load_b64 v[9:10], v8, off
	ds_load_b64 v[11:12], v7
	v_add_nc_u32_e32 v6, 1, v6
	v_add_nc_u32_e32 v7, 8, v7
	v_add_nc_u32_e32 v8, 8, v8
	s_delay_alu instid0(VALU_DEP_3)
	v_cmp_lt_u32_e32 vcc_lo, 22, v6
	s_or_b32 s1, vcc_lo, s1
	s_waitcnt vmcnt(0) lgkmcnt(0)
	v_fma_f64 v[1:2], v[9:10], v[11:12], v[1:2]
	s_and_not1_b32 exec_lo, exec_lo, s1
	s_cbranch_execnz .LBB32_105
; %bb.106:
	s_or_b32 exec_lo, exec_lo, s1
	v_mov_b32_e32 v6, 0
	ds_load_b64 v[6:7], v6 offset:192
	s_waitcnt lgkmcnt(0)
	v_mul_f64 v[1:2], v[1:2], v[6:7]
	scratch_store_b64 off, v[1:2], off offset:192
.LBB32_107:
	s_or_b32 exec_lo, exec_lo, s0
	s_waitcnt_vscnt null, 0x0
	s_barrier
	buffer_gl0_inv
	scratch_load_b64 v[1:2], off, off offset:200
	;; [unrolled: 39-line block ×9, first 2 shown]
	s_mov_b32 s0, exec_lo
	s_waitcnt vmcnt(0)
	ds_store_b64 v4, v[1:2]
	s_waitcnt lgkmcnt(0)
	s_barrier
	buffer_gl0_inv
	v_cmpx_ne_u32_e32 32, v0
	s_cbranch_execz .LBB32_139
; %bb.136:
	v_mov_b32_e32 v1, 0
	v_mov_b32_e32 v2, 0
	s_mov_b32 s1, 0
.LBB32_137:                             ; =>This Inner Loop Header: Depth=1
	scratch_load_b64 v[6:7], v3, off
	ds_load_b64 v[8:9], v4
	v_add_nc_u32_e32 v5, 1, v5
	v_add_nc_u32_e32 v4, 8, v4
	;; [unrolled: 1-line block ×3, first 2 shown]
	s_delay_alu instid0(VALU_DEP_3)
	v_cmp_lt_u32_e32 vcc_lo, 30, v5
	s_or_b32 s1, vcc_lo, s1
	s_waitcnt vmcnt(0) lgkmcnt(0)
	v_fma_f64 v[1:2], v[6:7], v[8:9], v[1:2]
	s_and_not1_b32 exec_lo, exec_lo, s1
	s_cbranch_execnz .LBB32_137
; %bb.138:
	s_or_b32 exec_lo, exec_lo, s1
	v_mov_b32_e32 v3, 0
	ds_load_b64 v[3:4], v3 offset:256
	s_waitcnt lgkmcnt(0)
	v_mul_f64 v[1:2], v[1:2], v[3:4]
	scratch_store_b64 off, v[1:2], off offset:256
.LBB32_139:
	s_or_b32 exec_lo, exec_lo, s0
	s_mov_b32 s1, -1
	s_waitcnt_vscnt null, 0x0
	s_barrier
	buffer_gl0_inv
.LBB32_140:
	s_and_b32 vcc_lo, exec_lo, s1
	s_cbranch_vccz .LBB32_142
; %bb.141:
	s_lshl_b64 s[0:1], s[14:15], 2
	v_mov_b32_e32 v1, 0
	s_add_u32 s0, s6, s0
	s_addc_u32 s1, s7, s1
	global_load_b32 v1, v1, s[0:1]
	s_waitcnt vmcnt(0)
	v_cmp_ne_u32_e32 vcc_lo, 0, v1
	s_cbranch_vccz .LBB32_143
.LBB32_142:
	s_endpgm
.LBB32_143:
	v_lshl_add_u32 v3, v0, 3, 0x110
	s_mov_b32 s0, exec_lo
	v_cmpx_eq_u32_e32 32, v0
	s_cbranch_execz .LBB32_145
; %bb.144:
	scratch_load_b64 v[1:2], off, off offset:248
	v_mov_b32_e32 v4, 0
	s_delay_alu instid0(VALU_DEP_1)
	v_mov_b32_e32 v5, v4
	scratch_store_b64 off, v[4:5], off offset:248
	s_waitcnt vmcnt(0)
	ds_store_b64 v3, v[1:2]
.LBB32_145:
	s_or_b32 exec_lo, exec_lo, s0
	s_waitcnt lgkmcnt(0)
	s_waitcnt_vscnt null, 0x0
	s_barrier
	buffer_gl0_inv
	scratch_load_b128 v[4:7], off, off offset:248
	v_mov_b32_e32 v1, 0
	s_mov_b32 s0, exec_lo
	ds_load_b64 v[8:9], v1 offset:528
	s_waitcnt vmcnt(0) lgkmcnt(0)
	v_fma_f64 v[6:7], v[6:7], v[8:9], 0
	s_delay_alu instid0(VALU_DEP_1)
	v_add_f64 v[4:5], v[4:5], -v[6:7]
	scratch_store_b64 off, v[4:5], off offset:248
	v_cmpx_lt_u32_e32 30, v0
	s_cbranch_execz .LBB32_147
; %bb.146:
	scratch_load_b64 v[4:5], off, off offset:240
	v_mov_b32_e32 v2, v1
	scratch_store_b64 off, v[1:2], off offset:240
	s_waitcnt vmcnt(0)
	ds_store_b64 v3, v[4:5]
.LBB32_147:
	s_or_b32 exec_lo, exec_lo, s0
	s_waitcnt lgkmcnt(0)
	s_waitcnt_vscnt null, 0x0
	s_barrier
	buffer_gl0_inv
	s_clause 0x1
	scratch_load_b128 v[4:7], off, off offset:240
	scratch_load_b64 v[12:13], off, off offset:256
	ds_load_2addr_b64 v[8:11], v1 offset0:65 offset1:66
	s_mov_b32 s0, exec_lo
	s_waitcnt vmcnt(1) lgkmcnt(0)
	v_fma_f64 v[1:2], v[6:7], v[8:9], 0
	s_waitcnt vmcnt(0)
	s_delay_alu instid0(VALU_DEP_1) | instskip(NEXT) | instid1(VALU_DEP_1)
	v_fma_f64 v[1:2], v[12:13], v[10:11], v[1:2]
	v_add_f64 v[1:2], v[4:5], -v[1:2]
	scratch_store_b64 off, v[1:2], off offset:240
	v_cmpx_lt_u32_e32 29, v0
	s_cbranch_execz .LBB32_149
; %bb.148:
	scratch_load_b64 v[1:2], off, off offset:232
	v_mov_b32_e32 v4, 0
	s_delay_alu instid0(VALU_DEP_1)
	v_mov_b32_e32 v5, v4
	scratch_store_b64 off, v[4:5], off offset:232
	s_waitcnt vmcnt(0)
	ds_store_b64 v3, v[1:2]
.LBB32_149:
	s_or_b32 exec_lo, exec_lo, s0
	s_waitcnt lgkmcnt(0)
	s_waitcnt_vscnt null, 0x0
	s_barrier
	buffer_gl0_inv
	s_clause 0x1
	scratch_load_b128 v[4:7], off, off offset:232
	scratch_load_b128 v[8:11], off, off offset:248
	v_mov_b32_e32 v1, 0
	ds_load_b128 v[12:15], v1 offset:512
	ds_load_b64 v[16:17], v1 offset:528
	s_mov_b32 s0, exec_lo
	s_waitcnt vmcnt(1) lgkmcnt(1)
	v_fma_f64 v[6:7], v[6:7], v[12:13], 0
	s_waitcnt vmcnt(0)
	s_delay_alu instid0(VALU_DEP_1) | instskip(SKIP_1) | instid1(VALU_DEP_1)
	v_fma_f64 v[6:7], v[8:9], v[14:15], v[6:7]
	s_waitcnt lgkmcnt(0)
	v_fma_f64 v[6:7], v[10:11], v[16:17], v[6:7]
	s_delay_alu instid0(VALU_DEP_1)
	v_add_f64 v[4:5], v[4:5], -v[6:7]
	scratch_store_b64 off, v[4:5], off offset:232
	v_cmpx_lt_u32_e32 28, v0
	s_cbranch_execz .LBB32_151
; %bb.150:
	scratch_load_b64 v[4:5], off, off offset:224
	v_mov_b32_e32 v2, v1
	scratch_store_b64 off, v[1:2], off offset:224
	s_waitcnt vmcnt(0)
	ds_store_b64 v3, v[4:5]
.LBB32_151:
	s_or_b32 exec_lo, exec_lo, s0
	s_waitcnt lgkmcnt(0)
	s_waitcnt_vscnt null, 0x0
	s_barrier
	buffer_gl0_inv
	s_clause 0x2
	scratch_load_b128 v[4:7], off, off offset:224
	scratch_load_b128 v[8:11], off, off offset:240
	scratch_load_b64 v[87:88], off, off offset:256
	ds_load_2addr_b64 v[12:15], v1 offset0:63 offset1:64
	ds_load_2addr_b64 v[16:19], v1 offset0:65 offset1:66
	s_mov_b32 s0, exec_lo
	s_waitcnt vmcnt(2) lgkmcnt(1)
	v_fma_f64 v[1:2], v[6:7], v[12:13], 0
	s_waitcnt vmcnt(1)
	s_delay_alu instid0(VALU_DEP_1) | instskip(SKIP_1) | instid1(VALU_DEP_1)
	v_fma_f64 v[1:2], v[8:9], v[14:15], v[1:2]
	s_waitcnt lgkmcnt(0)
	v_fma_f64 v[1:2], v[10:11], v[16:17], v[1:2]
	s_waitcnt vmcnt(0)
	s_delay_alu instid0(VALU_DEP_1) | instskip(NEXT) | instid1(VALU_DEP_1)
	v_fma_f64 v[1:2], v[87:88], v[18:19], v[1:2]
	v_add_f64 v[1:2], v[4:5], -v[1:2]
	scratch_store_b64 off, v[1:2], off offset:224
	v_cmpx_lt_u32_e32 27, v0
	s_cbranch_execz .LBB32_153
; %bb.152:
	scratch_load_b64 v[1:2], off, off offset:216
	v_mov_b32_e32 v4, 0
	s_delay_alu instid0(VALU_DEP_1)
	v_mov_b32_e32 v5, v4
	scratch_store_b64 off, v[4:5], off offset:216
	s_waitcnt vmcnt(0)
	ds_store_b64 v3, v[1:2]
.LBB32_153:
	s_or_b32 exec_lo, exec_lo, s0
	s_waitcnt lgkmcnt(0)
	s_waitcnt_vscnt null, 0x0
	s_barrier
	buffer_gl0_inv
	s_clause 0x2
	scratch_load_b128 v[4:7], off, off offset:216
	scratch_load_b128 v[8:11], off, off offset:232
	;; [unrolled: 1-line block ×3, first 2 shown]
	v_mov_b32_e32 v1, 0
	ds_load_b128 v[16:19], v1 offset:496
	ds_load_b128 v[87:90], v1 offset:512
	s_mov_b32 s0, exec_lo
	s_waitcnt vmcnt(2) lgkmcnt(1)
	v_fma_f64 v[6:7], v[6:7], v[16:17], 0
	s_waitcnt vmcnt(1)
	s_delay_alu instid0(VALU_DEP_1) | instskip(SKIP_4) | instid1(VALU_DEP_1)
	v_fma_f64 v[6:7], v[8:9], v[18:19], v[6:7]
	ds_load_b64 v[8:9], v1 offset:528
	s_waitcnt lgkmcnt(1)
	v_fma_f64 v[6:7], v[10:11], v[87:88], v[6:7]
	s_waitcnt vmcnt(0)
	v_fma_f64 v[6:7], v[12:13], v[89:90], v[6:7]
	s_waitcnt lgkmcnt(0)
	s_delay_alu instid0(VALU_DEP_1) | instskip(NEXT) | instid1(VALU_DEP_1)
	v_fma_f64 v[6:7], v[14:15], v[8:9], v[6:7]
	v_add_f64 v[4:5], v[4:5], -v[6:7]
	scratch_store_b64 off, v[4:5], off offset:216
	v_cmpx_lt_u32_e32 26, v0
	s_cbranch_execz .LBB32_155
; %bb.154:
	scratch_load_b64 v[4:5], off, off offset:208
	v_mov_b32_e32 v2, v1
	scratch_store_b64 off, v[1:2], off offset:208
	s_waitcnt vmcnt(0)
	ds_store_b64 v3, v[4:5]
.LBB32_155:
	s_or_b32 exec_lo, exec_lo, s0
	s_waitcnt lgkmcnt(0)
	s_waitcnt_vscnt null, 0x0
	s_barrier
	buffer_gl0_inv
	s_clause 0x3
	scratch_load_b128 v[4:7], off, off offset:208
	scratch_load_b128 v[8:11], off, off offset:224
	scratch_load_b128 v[12:15], off, off offset:240
	scratch_load_b64 v[91:92], off, off offset:256
	ds_load_2addr_b64 v[16:19], v1 offset0:61 offset1:62
	ds_load_2addr_b64 v[87:90], v1 offset0:63 offset1:64
	s_mov_b32 s0, exec_lo
	s_waitcnt vmcnt(3) lgkmcnt(1)
	v_fma_f64 v[6:7], v[6:7], v[16:17], 0
	s_waitcnt vmcnt(2)
	s_delay_alu instid0(VALU_DEP_1) | instskip(SKIP_1) | instid1(VALU_DEP_1)
	v_fma_f64 v[6:7], v[8:9], v[18:19], v[6:7]
	s_waitcnt lgkmcnt(0)
	v_fma_f64 v[6:7], v[10:11], v[87:88], v[6:7]
	s_waitcnt vmcnt(1)
	s_delay_alu instid0(VALU_DEP_1) | instskip(SKIP_4) | instid1(VALU_DEP_1)
	v_fma_f64 v[10:11], v[12:13], v[89:90], v[6:7]
	ds_load_2addr_b64 v[6:9], v1 offset0:65 offset1:66
	s_waitcnt lgkmcnt(0)
	v_fma_f64 v[1:2], v[14:15], v[6:7], v[10:11]
	s_waitcnt vmcnt(0)
	v_fma_f64 v[1:2], v[91:92], v[8:9], v[1:2]
	s_delay_alu instid0(VALU_DEP_1)
	v_add_f64 v[1:2], v[4:5], -v[1:2]
	scratch_store_b64 off, v[1:2], off offset:208
	v_cmpx_lt_u32_e32 25, v0
	s_cbranch_execz .LBB32_157
; %bb.156:
	scratch_load_b64 v[1:2], off, off offset:200
	v_mov_b32_e32 v4, 0
	s_delay_alu instid0(VALU_DEP_1)
	v_mov_b32_e32 v5, v4
	scratch_store_b64 off, v[4:5], off offset:200
	s_waitcnt vmcnt(0)
	ds_store_b64 v3, v[1:2]
.LBB32_157:
	s_or_b32 exec_lo, exec_lo, s0
	s_waitcnt lgkmcnt(0)
	s_waitcnt_vscnt null, 0x0
	s_barrier
	buffer_gl0_inv
	s_clause 0x3
	scratch_load_b128 v[4:7], off, off offset:200
	scratch_load_b128 v[8:11], off, off offset:216
	;; [unrolled: 1-line block ×4, first 2 shown]
	v_mov_b32_e32 v1, 0
	ds_load_b128 v[87:90], v1 offset:480
	ds_load_b128 v[91:94], v1 offset:496
	s_mov_b32 s0, exec_lo
	s_waitcnt vmcnt(3) lgkmcnt(1)
	v_fma_f64 v[6:7], v[6:7], v[87:88], 0
	s_waitcnt vmcnt(2)
	s_delay_alu instid0(VALU_DEP_1) | instskip(SKIP_1) | instid1(VALU_DEP_1)
	v_fma_f64 v[6:7], v[8:9], v[89:90], v[6:7]
	s_waitcnt lgkmcnt(0)
	v_fma_f64 v[6:7], v[10:11], v[91:92], v[6:7]
	s_waitcnt vmcnt(1)
	s_delay_alu instid0(VALU_DEP_1)
	v_fma_f64 v[10:11], v[12:13], v[93:94], v[6:7]
	ds_load_b128 v[6:9], v1 offset:512
	ds_load_b64 v[12:13], v1 offset:528
	s_waitcnt lgkmcnt(1)
	v_fma_f64 v[6:7], v[14:15], v[6:7], v[10:11]
	s_waitcnt vmcnt(0)
	s_delay_alu instid0(VALU_DEP_1) | instskip(SKIP_1) | instid1(VALU_DEP_1)
	v_fma_f64 v[6:7], v[16:17], v[8:9], v[6:7]
	s_waitcnt lgkmcnt(0)
	v_fma_f64 v[6:7], v[18:19], v[12:13], v[6:7]
	s_delay_alu instid0(VALU_DEP_1)
	v_add_f64 v[4:5], v[4:5], -v[6:7]
	scratch_store_b64 off, v[4:5], off offset:200
	v_cmpx_lt_u32_e32 24, v0
	s_cbranch_execz .LBB32_159
; %bb.158:
	scratch_load_b64 v[4:5], off, off offset:192
	v_mov_b32_e32 v2, v1
	scratch_store_b64 off, v[1:2], off offset:192
	s_waitcnt vmcnt(0)
	ds_store_b64 v3, v[4:5]
.LBB32_159:
	s_or_b32 exec_lo, exec_lo, s0
	s_waitcnt lgkmcnt(0)
	s_waitcnt_vscnt null, 0x0
	s_barrier
	buffer_gl0_inv
	s_clause 0x4
	scratch_load_b128 v[4:7], off, off offset:192
	scratch_load_b128 v[8:11], off, off offset:208
	;; [unrolled: 1-line block ×4, first 2 shown]
	scratch_load_b64 v[91:92], off, off offset:256
	ds_load_2addr_b64 v[87:90], v1 offset0:59 offset1:60
	s_mov_b32 s0, exec_lo
	s_waitcnt vmcnt(4) lgkmcnt(0)
	v_fma_f64 v[6:7], v[6:7], v[87:88], 0
	s_waitcnt vmcnt(3)
	s_delay_alu instid0(VALU_DEP_1) | instskip(SKIP_4) | instid1(VALU_DEP_1)
	v_fma_f64 v[87:88], v[8:9], v[89:90], v[6:7]
	ds_load_2addr_b64 v[6:9], v1 offset0:61 offset1:62
	s_waitcnt lgkmcnt(0)
	v_fma_f64 v[6:7], v[10:11], v[6:7], v[87:88]
	s_waitcnt vmcnt(2)
	v_fma_f64 v[10:11], v[12:13], v[8:9], v[6:7]
	ds_load_2addr_b64 v[6:9], v1 offset0:63 offset1:64
	s_waitcnt lgkmcnt(0)
	v_fma_f64 v[6:7], v[14:15], v[6:7], v[10:11]
	s_waitcnt vmcnt(1)
	s_delay_alu instid0(VALU_DEP_1) | instskip(SKIP_4) | instid1(VALU_DEP_1)
	v_fma_f64 v[10:11], v[16:17], v[8:9], v[6:7]
	ds_load_2addr_b64 v[6:9], v1 offset0:65 offset1:66
	s_waitcnt lgkmcnt(0)
	v_fma_f64 v[1:2], v[18:19], v[6:7], v[10:11]
	s_waitcnt vmcnt(0)
	v_fma_f64 v[1:2], v[91:92], v[8:9], v[1:2]
	s_delay_alu instid0(VALU_DEP_1)
	v_add_f64 v[1:2], v[4:5], -v[1:2]
	scratch_store_b64 off, v[1:2], off offset:192
	v_cmpx_lt_u32_e32 23, v0
	s_cbranch_execz .LBB32_161
; %bb.160:
	scratch_load_b64 v[1:2], off, off offset:184
	v_mov_b32_e32 v4, 0
	s_delay_alu instid0(VALU_DEP_1)
	v_mov_b32_e32 v5, v4
	scratch_store_b64 off, v[4:5], off offset:184
	s_waitcnt vmcnt(0)
	ds_store_b64 v3, v[1:2]
.LBB32_161:
	s_or_b32 exec_lo, exec_lo, s0
	s_waitcnt lgkmcnt(0)
	s_waitcnt_vscnt null, 0x0
	s_barrier
	buffer_gl0_inv
	s_clause 0x4
	scratch_load_b128 v[4:7], off, off offset:184
	scratch_load_b128 v[8:11], off, off offset:200
	;; [unrolled: 1-line block ×5, first 2 shown]
	v_mov_b32_e32 v1, 0
	s_mov_b32 s0, exec_lo
	ds_load_b128 v[91:94], v1 offset:464
	s_waitcnt vmcnt(4) lgkmcnt(0)
	v_fma_f64 v[6:7], v[6:7], v[91:92], 0
	s_waitcnt vmcnt(3)
	s_delay_alu instid0(VALU_DEP_1) | instskip(SKIP_4) | instid1(VALU_DEP_1)
	v_fma_f64 v[91:92], v[8:9], v[93:94], v[6:7]
	ds_load_b128 v[6:9], v1 offset:480
	s_waitcnt lgkmcnt(0)
	v_fma_f64 v[6:7], v[10:11], v[6:7], v[91:92]
	s_waitcnt vmcnt(2)
	v_fma_f64 v[10:11], v[12:13], v[8:9], v[6:7]
	ds_load_b128 v[6:9], v1 offset:496
	s_waitcnt lgkmcnt(0)
	v_fma_f64 v[6:7], v[14:15], v[6:7], v[10:11]
	s_waitcnt vmcnt(1)
	s_delay_alu instid0(VALU_DEP_1) | instskip(SKIP_4) | instid1(VALU_DEP_1)
	v_fma_f64 v[10:11], v[16:17], v[8:9], v[6:7]
	ds_load_b128 v[6:9], v1 offset:512
	s_waitcnt lgkmcnt(0)
	v_fma_f64 v[6:7], v[18:19], v[6:7], v[10:11]
	s_waitcnt vmcnt(0)
	v_fma_f64 v[6:7], v[87:88], v[8:9], v[6:7]
	ds_load_b64 v[8:9], v1 offset:528
	s_waitcnt lgkmcnt(0)
	v_fma_f64 v[6:7], v[89:90], v[8:9], v[6:7]
	s_delay_alu instid0(VALU_DEP_1)
	v_add_f64 v[4:5], v[4:5], -v[6:7]
	scratch_store_b64 off, v[4:5], off offset:184
	v_cmpx_lt_u32_e32 22, v0
	s_cbranch_execz .LBB32_163
; %bb.162:
	scratch_load_b64 v[4:5], off, off offset:176
	v_mov_b32_e32 v2, v1
	scratch_store_b64 off, v[1:2], off offset:176
	s_waitcnt vmcnt(0)
	ds_store_b64 v3, v[4:5]
.LBB32_163:
	s_or_b32 exec_lo, exec_lo, s0
	s_waitcnt lgkmcnt(0)
	s_waitcnt_vscnt null, 0x0
	s_barrier
	buffer_gl0_inv
	s_clause 0x4
	scratch_load_b128 v[4:7], off, off offset:176
	scratch_load_b128 v[8:11], off, off offset:192
	;; [unrolled: 1-line block ×5, first 2 shown]
	ds_load_2addr_b64 v[91:94], v1 offset0:57 offset1:58
	s_mov_b32 s0, exec_lo
	s_waitcnt vmcnt(4) lgkmcnt(0)
	v_fma_f64 v[6:7], v[6:7], v[91:92], 0
	scratch_load_b64 v[91:92], off, off offset:256
	s_waitcnt vmcnt(4)
	v_fma_f64 v[93:94], v[8:9], v[93:94], v[6:7]
	ds_load_2addr_b64 v[6:9], v1 offset0:59 offset1:60
	s_waitcnt lgkmcnt(0)
	v_fma_f64 v[6:7], v[10:11], v[6:7], v[93:94]
	s_waitcnt vmcnt(3)
	s_delay_alu instid0(VALU_DEP_1) | instskip(SKIP_4) | instid1(VALU_DEP_1)
	v_fma_f64 v[10:11], v[12:13], v[8:9], v[6:7]
	ds_load_2addr_b64 v[6:9], v1 offset0:61 offset1:62
	s_waitcnt lgkmcnt(0)
	v_fma_f64 v[6:7], v[14:15], v[6:7], v[10:11]
	s_waitcnt vmcnt(2)
	v_fma_f64 v[10:11], v[16:17], v[8:9], v[6:7]
	ds_load_2addr_b64 v[6:9], v1 offset0:63 offset1:64
	s_waitcnt lgkmcnt(0)
	v_fma_f64 v[6:7], v[18:19], v[6:7], v[10:11]
	s_waitcnt vmcnt(1)
	s_delay_alu instid0(VALU_DEP_1) | instskip(SKIP_4) | instid1(VALU_DEP_1)
	v_fma_f64 v[10:11], v[87:88], v[8:9], v[6:7]
	ds_load_2addr_b64 v[6:9], v1 offset0:65 offset1:66
	s_waitcnt lgkmcnt(0)
	v_fma_f64 v[1:2], v[89:90], v[6:7], v[10:11]
	s_waitcnt vmcnt(0)
	v_fma_f64 v[1:2], v[91:92], v[8:9], v[1:2]
	s_delay_alu instid0(VALU_DEP_1)
	v_add_f64 v[1:2], v[4:5], -v[1:2]
	scratch_store_b64 off, v[1:2], off offset:176
	v_cmpx_lt_u32_e32 21, v0
	s_cbranch_execz .LBB32_165
; %bb.164:
	scratch_load_b64 v[1:2], off, off offset:168
	v_mov_b32_e32 v4, 0
	s_delay_alu instid0(VALU_DEP_1)
	v_mov_b32_e32 v5, v4
	scratch_store_b64 off, v[4:5], off offset:168
	s_waitcnt vmcnt(0)
	ds_store_b64 v3, v[1:2]
.LBB32_165:
	s_or_b32 exec_lo, exec_lo, s0
	s_waitcnt lgkmcnt(0)
	s_waitcnt_vscnt null, 0x0
	s_barrier
	buffer_gl0_inv
	s_clause 0x4
	scratch_load_b128 v[4:7], off, off offset:168
	scratch_load_b128 v[8:11], off, off offset:184
	;; [unrolled: 1-line block ×5, first 2 shown]
	v_mov_b32_e32 v1, 0
	scratch_load_b128 v[95:98], off, off offset:248
	s_mov_b32 s0, exec_lo
	ds_load_b128 v[91:94], v1 offset:448
	s_waitcnt vmcnt(5) lgkmcnt(0)
	v_fma_f64 v[6:7], v[6:7], v[91:92], 0
	s_waitcnt vmcnt(4)
	s_delay_alu instid0(VALU_DEP_1) | instskip(SKIP_4) | instid1(VALU_DEP_1)
	v_fma_f64 v[91:92], v[8:9], v[93:94], v[6:7]
	ds_load_b128 v[6:9], v1 offset:464
	s_waitcnt lgkmcnt(0)
	v_fma_f64 v[6:7], v[10:11], v[6:7], v[91:92]
	s_waitcnt vmcnt(3)
	v_fma_f64 v[10:11], v[12:13], v[8:9], v[6:7]
	ds_load_b128 v[6:9], v1 offset:480
	s_waitcnt lgkmcnt(0)
	v_fma_f64 v[6:7], v[14:15], v[6:7], v[10:11]
	s_waitcnt vmcnt(2)
	s_delay_alu instid0(VALU_DEP_1) | instskip(SKIP_4) | instid1(VALU_DEP_1)
	v_fma_f64 v[10:11], v[16:17], v[8:9], v[6:7]
	ds_load_b128 v[6:9], v1 offset:496
	s_waitcnt lgkmcnt(0)
	v_fma_f64 v[6:7], v[18:19], v[6:7], v[10:11]
	s_waitcnt vmcnt(1)
	v_fma_f64 v[10:11], v[87:88], v[8:9], v[6:7]
	ds_load_b128 v[6:9], v1 offset:512
	s_waitcnt lgkmcnt(0)
	v_fma_f64 v[6:7], v[89:90], v[6:7], v[10:11]
	s_waitcnt vmcnt(0)
	s_delay_alu instid0(VALU_DEP_1) | instskip(SKIP_3) | instid1(VALU_DEP_1)
	v_fma_f64 v[6:7], v[95:96], v[8:9], v[6:7]
	ds_load_b64 v[8:9], v1 offset:528
	s_waitcnt lgkmcnt(0)
	v_fma_f64 v[6:7], v[97:98], v[8:9], v[6:7]
	v_add_f64 v[4:5], v[4:5], -v[6:7]
	scratch_store_b64 off, v[4:5], off offset:168
	v_cmpx_lt_u32_e32 20, v0
	s_cbranch_execz .LBB32_167
; %bb.166:
	scratch_load_b64 v[4:5], off, off offset:160
	v_mov_b32_e32 v2, v1
	scratch_store_b64 off, v[1:2], off offset:160
	s_waitcnt vmcnt(0)
	ds_store_b64 v3, v[4:5]
.LBB32_167:
	s_or_b32 exec_lo, exec_lo, s0
	s_waitcnt lgkmcnt(0)
	s_waitcnt_vscnt null, 0x0
	s_barrier
	buffer_gl0_inv
	s_clause 0x4
	scratch_load_b128 v[4:7], off, off offset:160
	scratch_load_b128 v[8:11], off, off offset:176
	;; [unrolled: 1-line block ×5, first 2 shown]
	ds_load_2addr_b64 v[91:94], v1 offset0:55 offset1:56
	ds_load_2addr_b64 v[95:98], v1 offset0:57 offset1:58
	scratch_load_b128 v[99:102], off, off offset:240
	s_mov_b32 s0, exec_lo
	s_waitcnt vmcnt(5) lgkmcnt(1)
	v_fma_f64 v[6:7], v[6:7], v[91:92], 0
	scratch_load_b64 v[91:92], off, off offset:256
	s_waitcnt vmcnt(5)
	v_fma_f64 v[6:7], v[8:9], v[93:94], v[6:7]
	s_waitcnt lgkmcnt(0)
	s_delay_alu instid0(VALU_DEP_1) | instskip(SKIP_1) | instid1(VALU_DEP_1)
	v_fma_f64 v[6:7], v[10:11], v[95:96], v[6:7]
	s_waitcnt vmcnt(4)
	v_fma_f64 v[93:94], v[12:13], v[97:98], v[6:7]
	ds_load_2addr_b64 v[6:9], v1 offset0:59 offset1:60
	ds_load_2addr_b64 v[10:13], v1 offset0:61 offset1:62
	s_waitcnt lgkmcnt(1)
	v_fma_f64 v[6:7], v[14:15], v[6:7], v[93:94]
	s_waitcnt vmcnt(3)
	s_delay_alu instid0(VALU_DEP_1) | instskip(SKIP_1) | instid1(VALU_DEP_1)
	v_fma_f64 v[6:7], v[16:17], v[8:9], v[6:7]
	s_waitcnt lgkmcnt(0)
	v_fma_f64 v[6:7], v[18:19], v[10:11], v[6:7]
	s_waitcnt vmcnt(2)
	s_delay_alu instid0(VALU_DEP_1)
	v_fma_f64 v[14:15], v[87:88], v[12:13], v[6:7]
	ds_load_2addr_b64 v[6:9], v1 offset0:63 offset1:64
	ds_load_2addr_b64 v[10:13], v1 offset0:65 offset1:66
	s_waitcnt lgkmcnt(1)
	v_fma_f64 v[1:2], v[89:90], v[6:7], v[14:15]
	s_waitcnt vmcnt(1)
	s_delay_alu instid0(VALU_DEP_1) | instskip(SKIP_1) | instid1(VALU_DEP_1)
	v_fma_f64 v[1:2], v[99:100], v[8:9], v[1:2]
	s_waitcnt lgkmcnt(0)
	v_fma_f64 v[1:2], v[101:102], v[10:11], v[1:2]
	s_waitcnt vmcnt(0)
	s_delay_alu instid0(VALU_DEP_1) | instskip(NEXT) | instid1(VALU_DEP_1)
	v_fma_f64 v[1:2], v[91:92], v[12:13], v[1:2]
	v_add_f64 v[1:2], v[4:5], -v[1:2]
	scratch_store_b64 off, v[1:2], off offset:160
	v_cmpx_lt_u32_e32 19, v0
	s_cbranch_execz .LBB32_169
; %bb.168:
	scratch_load_b64 v[1:2], off, off offset:152
	v_mov_b32_e32 v4, 0
	s_delay_alu instid0(VALU_DEP_1)
	v_mov_b32_e32 v5, v4
	scratch_store_b64 off, v[4:5], off offset:152
	s_waitcnt vmcnt(0)
	ds_store_b64 v3, v[1:2]
.LBB32_169:
	s_or_b32 exec_lo, exec_lo, s0
	s_waitcnt lgkmcnt(0)
	s_waitcnt_vscnt null, 0x0
	s_barrier
	buffer_gl0_inv
	s_clause 0x4
	scratch_load_b128 v[4:7], off, off offset:152
	scratch_load_b128 v[8:11], off, off offset:168
	;; [unrolled: 1-line block ×5, first 2 shown]
	v_mov_b32_e32 v1, 0
	ds_load_b128 v[91:94], v1 offset:432
	ds_load_b128 v[95:98], v1 offset:448
	scratch_load_b128 v[99:102], off, off offset:232
	s_mov_b32 s0, exec_lo
	s_waitcnt vmcnt(5) lgkmcnt(1)
	v_fma_f64 v[6:7], v[6:7], v[91:92], 0
	s_waitcnt vmcnt(4)
	s_delay_alu instid0(VALU_DEP_1) | instskip(SKIP_1) | instid1(VALU_DEP_1)
	v_fma_f64 v[6:7], v[8:9], v[93:94], v[6:7]
	s_waitcnt lgkmcnt(0)
	v_fma_f64 v[10:11], v[10:11], v[95:96], v[6:7]
	scratch_load_b128 v[6:9], off, off offset:248
	s_waitcnt vmcnt(4)
	v_fma_f64 v[95:96], v[12:13], v[97:98], v[10:11]
	ds_load_b128 v[10:13], v1 offset:464
	ds_load_b128 v[91:94], v1 offset:480
	s_waitcnt lgkmcnt(1)
	v_fma_f64 v[10:11], v[14:15], v[10:11], v[95:96]
	s_waitcnt vmcnt(3)
	s_delay_alu instid0(VALU_DEP_1) | instskip(SKIP_1) | instid1(VALU_DEP_1)
	v_fma_f64 v[10:11], v[16:17], v[12:13], v[10:11]
	s_waitcnt lgkmcnt(0)
	v_fma_f64 v[10:11], v[18:19], v[91:92], v[10:11]
	s_waitcnt vmcnt(2)
	s_delay_alu instid0(VALU_DEP_1)
	v_fma_f64 v[18:19], v[87:88], v[93:94], v[10:11]
	ds_load_b128 v[10:13], v1 offset:496
	ds_load_b128 v[14:17], v1 offset:512
	s_waitcnt lgkmcnt(1)
	v_fma_f64 v[10:11], v[89:90], v[10:11], v[18:19]
	s_waitcnt vmcnt(1)
	s_delay_alu instid0(VALU_DEP_1) | instskip(SKIP_1) | instid1(VALU_DEP_1)
	v_fma_f64 v[10:11], v[99:100], v[12:13], v[10:11]
	s_waitcnt lgkmcnt(0)
	v_fma_f64 v[10:11], v[101:102], v[14:15], v[10:11]
	s_waitcnt vmcnt(0)
	s_delay_alu instid0(VALU_DEP_1) | instskip(SKIP_3) | instid1(VALU_DEP_1)
	v_fma_f64 v[6:7], v[6:7], v[16:17], v[10:11]
	ds_load_b64 v[10:11], v1 offset:528
	s_waitcnt lgkmcnt(0)
	v_fma_f64 v[6:7], v[8:9], v[10:11], v[6:7]
	v_add_f64 v[4:5], v[4:5], -v[6:7]
	scratch_store_b64 off, v[4:5], off offset:152
	v_cmpx_lt_u32_e32 18, v0
	s_cbranch_execz .LBB32_171
; %bb.170:
	scratch_load_b64 v[4:5], off, off offset:144
	v_mov_b32_e32 v2, v1
	scratch_store_b64 off, v[1:2], off offset:144
	s_waitcnt vmcnt(0)
	ds_store_b64 v3, v[4:5]
.LBB32_171:
	s_or_b32 exec_lo, exec_lo, s0
	s_waitcnt lgkmcnt(0)
	s_waitcnt_vscnt null, 0x0
	s_barrier
	buffer_gl0_inv
	s_clause 0x4
	scratch_load_b128 v[4:7], off, off offset:144
	scratch_load_b128 v[8:11], off, off offset:160
	;; [unrolled: 1-line block ×5, first 2 shown]
	ds_load_2addr_b64 v[91:94], v1 offset0:53 offset1:54
	ds_load_2addr_b64 v[95:98], v1 offset0:55 offset1:56
	scratch_load_b128 v[99:102], off, off offset:224
	s_mov_b32 s0, exec_lo
	s_waitcnt vmcnt(5) lgkmcnt(1)
	v_fma_f64 v[6:7], v[6:7], v[91:92], 0
	s_waitcnt vmcnt(4)
	s_delay_alu instid0(VALU_DEP_1) | instskip(SKIP_1) | instid1(VALU_DEP_1)
	v_fma_f64 v[6:7], v[8:9], v[93:94], v[6:7]
	s_waitcnt lgkmcnt(0)
	v_fma_f64 v[10:11], v[10:11], v[95:96], v[6:7]
	scratch_load_b128 v[6:9], off, off offset:240
	s_waitcnt vmcnt(4)
	v_fma_f64 v[95:96], v[12:13], v[97:98], v[10:11]
	ds_load_2addr_b64 v[10:13], v1 offset0:57 offset1:58
	ds_load_2addr_b64 v[91:94], v1 offset0:59 offset1:60
	s_waitcnt lgkmcnt(1)
	v_fma_f64 v[10:11], v[14:15], v[10:11], v[95:96]
	scratch_load_b64 v[95:96], off, off offset:256
	s_waitcnt vmcnt(4)
	v_fma_f64 v[10:11], v[16:17], v[12:13], v[10:11]
	s_waitcnt lgkmcnt(0)
	s_delay_alu instid0(VALU_DEP_1) | instskip(SKIP_1) | instid1(VALU_DEP_1)
	v_fma_f64 v[10:11], v[18:19], v[91:92], v[10:11]
	s_waitcnt vmcnt(3)
	v_fma_f64 v[18:19], v[87:88], v[93:94], v[10:11]
	ds_load_2addr_b64 v[10:13], v1 offset0:61 offset1:62
	ds_load_2addr_b64 v[14:17], v1 offset0:63 offset1:64
	s_waitcnt lgkmcnt(1)
	v_fma_f64 v[10:11], v[89:90], v[10:11], v[18:19]
	s_waitcnt vmcnt(2)
	s_delay_alu instid0(VALU_DEP_1) | instskip(SKIP_1) | instid1(VALU_DEP_1)
	v_fma_f64 v[10:11], v[99:100], v[12:13], v[10:11]
	s_waitcnt lgkmcnt(0)
	v_fma_f64 v[10:11], v[101:102], v[14:15], v[10:11]
	s_waitcnt vmcnt(1)
	s_delay_alu instid0(VALU_DEP_1) | instskip(SKIP_4) | instid1(VALU_DEP_1)
	v_fma_f64 v[6:7], v[6:7], v[16:17], v[10:11]
	ds_load_2addr_b64 v[10:13], v1 offset0:65 offset1:66
	s_waitcnt lgkmcnt(0)
	v_fma_f64 v[1:2], v[8:9], v[10:11], v[6:7]
	s_waitcnt vmcnt(0)
	v_fma_f64 v[1:2], v[95:96], v[12:13], v[1:2]
	s_delay_alu instid0(VALU_DEP_1)
	v_add_f64 v[1:2], v[4:5], -v[1:2]
	scratch_store_b64 off, v[1:2], off offset:144
	v_cmpx_lt_u32_e32 17, v0
	s_cbranch_execz .LBB32_173
; %bb.172:
	scratch_load_b64 v[1:2], off, off offset:136
	v_mov_b32_e32 v4, 0
	s_delay_alu instid0(VALU_DEP_1)
	v_mov_b32_e32 v5, v4
	scratch_store_b64 off, v[4:5], off offset:136
	s_waitcnt vmcnt(0)
	ds_store_b64 v3, v[1:2]
.LBB32_173:
	s_or_b32 exec_lo, exec_lo, s0
	s_waitcnt lgkmcnt(0)
	s_waitcnt_vscnt null, 0x0
	s_barrier
	buffer_gl0_inv
	s_clause 0x4
	scratch_load_b128 v[4:7], off, off offset:136
	scratch_load_b128 v[8:11], off, off offset:152
	;; [unrolled: 1-line block ×5, first 2 shown]
	v_mov_b32_e32 v1, 0
	ds_load_b128 v[91:94], v1 offset:416
	ds_load_b128 v[95:98], v1 offset:432
	scratch_load_b128 v[99:102], off, off offset:216
	s_mov_b32 s0, exec_lo
	s_waitcnt vmcnt(5) lgkmcnt(1)
	v_fma_f64 v[6:7], v[6:7], v[91:92], 0
	s_waitcnt vmcnt(4)
	s_delay_alu instid0(VALU_DEP_1) | instskip(SKIP_1) | instid1(VALU_DEP_1)
	v_fma_f64 v[6:7], v[8:9], v[93:94], v[6:7]
	s_waitcnt lgkmcnt(0)
	v_fma_f64 v[10:11], v[10:11], v[95:96], v[6:7]
	scratch_load_b128 v[6:9], off, off offset:232
	s_waitcnt vmcnt(4)
	v_fma_f64 v[95:96], v[12:13], v[97:98], v[10:11]
	ds_load_b128 v[10:13], v1 offset:448
	ds_load_b128 v[91:94], v1 offset:464
	s_waitcnt lgkmcnt(1)
	v_fma_f64 v[10:11], v[14:15], v[10:11], v[95:96]
	scratch_load_b128 v[95:98], off, off offset:248
	s_waitcnt vmcnt(4)
	v_fma_f64 v[10:11], v[16:17], v[12:13], v[10:11]
	s_waitcnt lgkmcnt(0)
	s_delay_alu instid0(VALU_DEP_1) | instskip(SKIP_1) | instid1(VALU_DEP_1)
	v_fma_f64 v[10:11], v[18:19], v[91:92], v[10:11]
	s_waitcnt vmcnt(3)
	v_fma_f64 v[18:19], v[87:88], v[93:94], v[10:11]
	ds_load_b128 v[10:13], v1 offset:480
	ds_load_b128 v[14:17], v1 offset:496
	s_waitcnt lgkmcnt(1)
	v_fma_f64 v[10:11], v[89:90], v[10:11], v[18:19]
	s_waitcnt vmcnt(2)
	s_delay_alu instid0(VALU_DEP_1) | instskip(SKIP_1) | instid1(VALU_DEP_1)
	v_fma_f64 v[10:11], v[99:100], v[12:13], v[10:11]
	s_waitcnt lgkmcnt(0)
	v_fma_f64 v[10:11], v[101:102], v[14:15], v[10:11]
	s_waitcnt vmcnt(1)
	s_delay_alu instid0(VALU_DEP_1)
	v_fma_f64 v[6:7], v[6:7], v[16:17], v[10:11]
	ds_load_b128 v[10:13], v1 offset:512
	ds_load_b64 v[14:15], v1 offset:528
	s_waitcnt lgkmcnt(1)
	v_fma_f64 v[6:7], v[8:9], v[10:11], v[6:7]
	s_waitcnt vmcnt(0)
	s_delay_alu instid0(VALU_DEP_1) | instskip(SKIP_1) | instid1(VALU_DEP_1)
	v_fma_f64 v[6:7], v[95:96], v[12:13], v[6:7]
	s_waitcnt lgkmcnt(0)
	v_fma_f64 v[6:7], v[97:98], v[14:15], v[6:7]
	s_delay_alu instid0(VALU_DEP_1)
	v_add_f64 v[4:5], v[4:5], -v[6:7]
	scratch_store_b64 off, v[4:5], off offset:136
	v_cmpx_lt_u32_e32 16, v0
	s_cbranch_execz .LBB32_175
; %bb.174:
	scratch_load_b64 v[4:5], off, off offset:128
	v_mov_b32_e32 v2, v1
	scratch_store_b64 off, v[1:2], off offset:128
	s_waitcnt vmcnt(0)
	ds_store_b64 v3, v[4:5]
.LBB32_175:
	s_or_b32 exec_lo, exec_lo, s0
	s_waitcnt lgkmcnt(0)
	s_waitcnt_vscnt null, 0x0
	s_barrier
	buffer_gl0_inv
	s_clause 0x4
	scratch_load_b128 v[4:7], off, off offset:128
	scratch_load_b128 v[8:11], off, off offset:144
	;; [unrolled: 1-line block ×5, first 2 shown]
	ds_load_2addr_b64 v[91:94], v1 offset0:51 offset1:52
	ds_load_2addr_b64 v[95:98], v1 offset0:53 offset1:54
	scratch_load_b128 v[99:102], off, off offset:208
	s_mov_b32 s0, exec_lo
	s_waitcnt vmcnt(5) lgkmcnt(1)
	v_fma_f64 v[6:7], v[6:7], v[91:92], 0
	s_waitcnt vmcnt(4)
	s_delay_alu instid0(VALU_DEP_1) | instskip(SKIP_1) | instid1(VALU_DEP_1)
	v_fma_f64 v[6:7], v[8:9], v[93:94], v[6:7]
	s_waitcnt lgkmcnt(0)
	v_fma_f64 v[10:11], v[10:11], v[95:96], v[6:7]
	scratch_load_b128 v[6:9], off, off offset:224
	s_waitcnt vmcnt(4)
	v_fma_f64 v[95:96], v[12:13], v[97:98], v[10:11]
	ds_load_2addr_b64 v[10:13], v1 offset0:55 offset1:56
	ds_load_2addr_b64 v[91:94], v1 offset0:57 offset1:58
	s_waitcnt lgkmcnt(1)
	v_fma_f64 v[10:11], v[14:15], v[10:11], v[95:96]
	scratch_load_b128 v[95:98], off, off offset:240
	s_waitcnt vmcnt(4)
	v_fma_f64 v[10:11], v[16:17], v[12:13], v[10:11]
	s_waitcnt lgkmcnt(0)
	s_delay_alu instid0(VALU_DEP_1)
	v_fma_f64 v[10:11], v[18:19], v[91:92], v[10:11]
	scratch_load_b64 v[18:19], off, off offset:256
	s_waitcnt vmcnt(4)
	v_fma_f64 v[87:88], v[87:88], v[93:94], v[10:11]
	ds_load_2addr_b64 v[10:13], v1 offset0:59 offset1:60
	ds_load_2addr_b64 v[14:17], v1 offset0:61 offset1:62
	s_waitcnt lgkmcnt(1)
	v_fma_f64 v[10:11], v[89:90], v[10:11], v[87:88]
	s_waitcnt vmcnt(3)
	s_delay_alu instid0(VALU_DEP_1) | instskip(SKIP_1) | instid1(VALU_DEP_1)
	v_fma_f64 v[10:11], v[99:100], v[12:13], v[10:11]
	s_waitcnt lgkmcnt(0)
	v_fma_f64 v[10:11], v[101:102], v[14:15], v[10:11]
	s_waitcnt vmcnt(2)
	s_delay_alu instid0(VALU_DEP_1)
	v_fma_f64 v[6:7], v[6:7], v[16:17], v[10:11]
	ds_load_2addr_b64 v[10:13], v1 offset0:63 offset1:64
	ds_load_2addr_b64 v[14:17], v1 offset0:65 offset1:66
	s_waitcnt lgkmcnt(1)
	v_fma_f64 v[1:2], v[8:9], v[10:11], v[6:7]
	s_waitcnt vmcnt(1)
	s_delay_alu instid0(VALU_DEP_1) | instskip(SKIP_1) | instid1(VALU_DEP_1)
	v_fma_f64 v[1:2], v[95:96], v[12:13], v[1:2]
	s_waitcnt lgkmcnt(0)
	v_fma_f64 v[1:2], v[97:98], v[14:15], v[1:2]
	s_waitcnt vmcnt(0)
	s_delay_alu instid0(VALU_DEP_1) | instskip(NEXT) | instid1(VALU_DEP_1)
	v_fma_f64 v[1:2], v[18:19], v[16:17], v[1:2]
	v_add_f64 v[1:2], v[4:5], -v[1:2]
	scratch_store_b64 off, v[1:2], off offset:128
	v_cmpx_lt_u32_e32 15, v0
	s_cbranch_execz .LBB32_177
; %bb.176:
	scratch_load_b64 v[1:2], off, off offset:120
	v_mov_b32_e32 v4, 0
	s_delay_alu instid0(VALU_DEP_1)
	v_mov_b32_e32 v5, v4
	scratch_store_b64 off, v[4:5], off offset:120
	s_waitcnt vmcnt(0)
	ds_store_b64 v3, v[1:2]
.LBB32_177:
	s_or_b32 exec_lo, exec_lo, s0
	s_waitcnt lgkmcnt(0)
	s_waitcnt_vscnt null, 0x0
	s_barrier
	buffer_gl0_inv
	s_clause 0x4
	scratch_load_b128 v[4:7], off, off offset:120
	scratch_load_b128 v[8:11], off, off offset:136
	;; [unrolled: 1-line block ×5, first 2 shown]
	v_mov_b32_e32 v1, 0
	ds_load_b128 v[91:94], v1 offset:400
	ds_load_b128 v[95:98], v1 offset:416
	scratch_load_b128 v[99:102], off, off offset:200
	s_mov_b32 s0, exec_lo
	s_waitcnt vmcnt(5) lgkmcnt(1)
	v_fma_f64 v[6:7], v[6:7], v[91:92], 0
	s_waitcnt vmcnt(4)
	s_delay_alu instid0(VALU_DEP_1) | instskip(SKIP_1) | instid1(VALU_DEP_1)
	v_fma_f64 v[6:7], v[8:9], v[93:94], v[6:7]
	s_waitcnt lgkmcnt(0)
	v_fma_f64 v[10:11], v[10:11], v[95:96], v[6:7]
	scratch_load_b128 v[6:9], off, off offset:216
	s_waitcnt vmcnt(4)
	v_fma_f64 v[95:96], v[12:13], v[97:98], v[10:11]
	ds_load_b128 v[10:13], v1 offset:432
	ds_load_b128 v[91:94], v1 offset:448
	s_waitcnt lgkmcnt(1)
	v_fma_f64 v[10:11], v[14:15], v[10:11], v[95:96]
	scratch_load_b128 v[95:98], off, off offset:232
	s_waitcnt vmcnt(4)
	v_fma_f64 v[10:11], v[16:17], v[12:13], v[10:11]
	s_waitcnt lgkmcnt(0)
	s_delay_alu instid0(VALU_DEP_1)
	v_fma_f64 v[14:15], v[18:19], v[91:92], v[10:11]
	scratch_load_b128 v[10:13], off, off offset:248
	s_waitcnt vmcnt(4)
	v_fma_f64 v[18:19], v[87:88], v[93:94], v[14:15]
	ds_load_b128 v[14:17], v1 offset:464
	ds_load_b128 v[91:94], v1 offset:480
	s_waitcnt lgkmcnt(1)
	v_fma_f64 v[14:15], v[89:90], v[14:15], v[18:19]
	s_waitcnt vmcnt(3)
	s_delay_alu instid0(VALU_DEP_1) | instskip(SKIP_1) | instid1(VALU_DEP_1)
	v_fma_f64 v[14:15], v[99:100], v[16:17], v[14:15]
	s_waitcnt lgkmcnt(0)
	v_fma_f64 v[14:15], v[101:102], v[91:92], v[14:15]
	s_waitcnt vmcnt(2)
	s_delay_alu instid0(VALU_DEP_1)
	v_fma_f64 v[6:7], v[6:7], v[93:94], v[14:15]
	ds_load_b128 v[14:17], v1 offset:496
	ds_load_b128 v[87:90], v1 offset:512
	s_waitcnt lgkmcnt(1)
	v_fma_f64 v[6:7], v[8:9], v[14:15], v[6:7]
	ds_load_b64 v[8:9], v1 offset:528
	s_waitcnt vmcnt(1)
	v_fma_f64 v[6:7], v[95:96], v[16:17], v[6:7]
	s_waitcnt lgkmcnt(1)
	s_delay_alu instid0(VALU_DEP_1) | instskip(SKIP_1) | instid1(VALU_DEP_1)
	v_fma_f64 v[6:7], v[97:98], v[87:88], v[6:7]
	s_waitcnt vmcnt(0)
	v_fma_f64 v[6:7], v[10:11], v[89:90], v[6:7]
	s_waitcnt lgkmcnt(0)
	s_delay_alu instid0(VALU_DEP_1) | instskip(NEXT) | instid1(VALU_DEP_1)
	v_fma_f64 v[6:7], v[12:13], v[8:9], v[6:7]
	v_add_f64 v[4:5], v[4:5], -v[6:7]
	scratch_store_b64 off, v[4:5], off offset:120
	v_cmpx_lt_u32_e32 14, v0
	s_cbranch_execz .LBB32_179
; %bb.178:
	scratch_load_b64 v[4:5], off, off offset:112
	v_mov_b32_e32 v2, v1
	scratch_store_b64 off, v[1:2], off offset:112
	s_waitcnt vmcnt(0)
	ds_store_b64 v3, v[4:5]
.LBB32_179:
	s_or_b32 exec_lo, exec_lo, s0
	s_waitcnt lgkmcnt(0)
	s_waitcnt_vscnt null, 0x0
	s_barrier
	buffer_gl0_inv
	s_clause 0x4
	scratch_load_b128 v[4:7], off, off offset:112
	scratch_load_b128 v[8:11], off, off offset:128
	;; [unrolled: 1-line block ×5, first 2 shown]
	ds_load_2addr_b64 v[91:94], v1 offset0:49 offset1:50
	ds_load_2addr_b64 v[95:98], v1 offset0:51 offset1:52
	scratch_load_b128 v[99:102], off, off offset:192
	s_mov_b32 s0, exec_lo
	s_waitcnt vmcnt(5) lgkmcnt(1)
	v_fma_f64 v[6:7], v[6:7], v[91:92], 0
	s_waitcnt vmcnt(4)
	s_delay_alu instid0(VALU_DEP_1) | instskip(SKIP_1) | instid1(VALU_DEP_1)
	v_fma_f64 v[6:7], v[8:9], v[93:94], v[6:7]
	s_waitcnt lgkmcnt(0)
	v_fma_f64 v[10:11], v[10:11], v[95:96], v[6:7]
	scratch_load_b128 v[6:9], off, off offset:208
	s_waitcnt vmcnt(4)
	v_fma_f64 v[95:96], v[12:13], v[97:98], v[10:11]
	ds_load_2addr_b64 v[10:13], v1 offset0:53 offset1:54
	ds_load_2addr_b64 v[91:94], v1 offset0:55 offset1:56
	s_waitcnt lgkmcnt(1)
	v_fma_f64 v[10:11], v[14:15], v[10:11], v[95:96]
	scratch_load_b128 v[95:98], off, off offset:224
	s_waitcnt vmcnt(4)
	v_fma_f64 v[10:11], v[16:17], v[12:13], v[10:11]
	s_waitcnt lgkmcnt(0)
	s_delay_alu instid0(VALU_DEP_1)
	v_fma_f64 v[14:15], v[18:19], v[91:92], v[10:11]
	scratch_load_b128 v[10:13], off, off offset:240
	s_waitcnt vmcnt(4)
	v_fma_f64 v[18:19], v[87:88], v[93:94], v[14:15]
	ds_load_2addr_b64 v[14:17], v1 offset0:57 offset1:58
	ds_load_2addr_b64 v[91:94], v1 offset0:59 offset1:60
	s_waitcnt lgkmcnt(1)
	v_fma_f64 v[14:15], v[89:90], v[14:15], v[18:19]
	scratch_load_b64 v[18:19], off, off offset:256
	s_waitcnt vmcnt(4)
	v_fma_f64 v[14:15], v[99:100], v[16:17], v[14:15]
	s_waitcnt lgkmcnt(0)
	s_delay_alu instid0(VALU_DEP_1) | instskip(SKIP_1) | instid1(VALU_DEP_1)
	v_fma_f64 v[14:15], v[101:102], v[91:92], v[14:15]
	s_waitcnt vmcnt(3)
	v_fma_f64 v[6:7], v[6:7], v[93:94], v[14:15]
	ds_load_2addr_b64 v[14:17], v1 offset0:61 offset1:62
	ds_load_2addr_b64 v[87:90], v1 offset0:63 offset1:64
	s_waitcnt lgkmcnt(1)
	v_fma_f64 v[6:7], v[8:9], v[14:15], v[6:7]
	s_waitcnt vmcnt(2)
	s_delay_alu instid0(VALU_DEP_1) | instskip(SKIP_1) | instid1(VALU_DEP_1)
	v_fma_f64 v[6:7], v[95:96], v[16:17], v[6:7]
	s_waitcnt lgkmcnt(0)
	v_fma_f64 v[6:7], v[97:98], v[87:88], v[6:7]
	s_waitcnt vmcnt(1)
	s_delay_alu instid0(VALU_DEP_1) | instskip(SKIP_4) | instid1(VALU_DEP_1)
	v_fma_f64 v[10:11], v[10:11], v[89:90], v[6:7]
	ds_load_2addr_b64 v[6:9], v1 offset0:65 offset1:66
	s_waitcnt lgkmcnt(0)
	v_fma_f64 v[1:2], v[12:13], v[6:7], v[10:11]
	s_waitcnt vmcnt(0)
	v_fma_f64 v[1:2], v[18:19], v[8:9], v[1:2]
	s_delay_alu instid0(VALU_DEP_1)
	v_add_f64 v[1:2], v[4:5], -v[1:2]
	scratch_store_b64 off, v[1:2], off offset:112
	v_cmpx_lt_u32_e32 13, v0
	s_cbranch_execz .LBB32_181
; %bb.180:
	scratch_load_b64 v[1:2], off, off offset:104
	v_mov_b32_e32 v4, 0
	s_delay_alu instid0(VALU_DEP_1)
	v_mov_b32_e32 v5, v4
	scratch_store_b64 off, v[4:5], off offset:104
	s_waitcnt vmcnt(0)
	ds_store_b64 v3, v[1:2]
.LBB32_181:
	s_or_b32 exec_lo, exec_lo, s0
	s_waitcnt lgkmcnt(0)
	s_waitcnt_vscnt null, 0x0
	s_barrier
	buffer_gl0_inv
	s_clause 0x4
	scratch_load_b128 v[4:7], off, off offset:104
	scratch_load_b128 v[8:11], off, off offset:120
	;; [unrolled: 1-line block ×5, first 2 shown]
	v_mov_b32_e32 v1, 0
	ds_load_b128 v[91:94], v1 offset:384
	ds_load_b128 v[95:98], v1 offset:400
	scratch_load_b128 v[99:102], off, off offset:184
	s_mov_b32 s0, exec_lo
	s_waitcnt vmcnt(5) lgkmcnt(1)
	v_fma_f64 v[6:7], v[6:7], v[91:92], 0
	s_waitcnt vmcnt(4)
	s_delay_alu instid0(VALU_DEP_1) | instskip(SKIP_1) | instid1(VALU_DEP_1)
	v_fma_f64 v[6:7], v[8:9], v[93:94], v[6:7]
	s_waitcnt lgkmcnt(0)
	v_fma_f64 v[10:11], v[10:11], v[95:96], v[6:7]
	scratch_load_b128 v[6:9], off, off offset:200
	s_waitcnt vmcnt(4)
	v_fma_f64 v[95:96], v[12:13], v[97:98], v[10:11]
	ds_load_b128 v[10:13], v1 offset:416
	ds_load_b128 v[91:94], v1 offset:432
	s_waitcnt lgkmcnt(1)
	v_fma_f64 v[10:11], v[14:15], v[10:11], v[95:96]
	scratch_load_b128 v[95:98], off, off offset:216
	s_waitcnt vmcnt(4)
	v_fma_f64 v[10:11], v[16:17], v[12:13], v[10:11]
	s_waitcnt lgkmcnt(0)
	s_delay_alu instid0(VALU_DEP_1)
	v_fma_f64 v[14:15], v[18:19], v[91:92], v[10:11]
	scratch_load_b128 v[10:13], off, off offset:232
	s_waitcnt vmcnt(4)
	v_fma_f64 v[18:19], v[87:88], v[93:94], v[14:15]
	ds_load_b128 v[14:17], v1 offset:448
	ds_load_b128 v[91:94], v1 offset:464
	s_waitcnt lgkmcnt(1)
	v_fma_f64 v[14:15], v[89:90], v[14:15], v[18:19]
	scratch_load_b128 v[87:90], off, off offset:248
	s_waitcnt vmcnt(4)
	v_fma_f64 v[14:15], v[99:100], v[16:17], v[14:15]
	s_waitcnt lgkmcnt(0)
	s_delay_alu instid0(VALU_DEP_1) | instskip(SKIP_1) | instid1(VALU_DEP_1)
	v_fma_f64 v[14:15], v[101:102], v[91:92], v[14:15]
	s_waitcnt vmcnt(3)
	v_fma_f64 v[6:7], v[6:7], v[93:94], v[14:15]
	ds_load_b128 v[14:17], v1 offset:480
	ds_load_b128 v[91:94], v1 offset:496
	s_waitcnt lgkmcnt(1)
	v_fma_f64 v[6:7], v[8:9], v[14:15], v[6:7]
	s_waitcnt vmcnt(2)
	s_delay_alu instid0(VALU_DEP_1) | instskip(SKIP_1) | instid1(VALU_DEP_1)
	v_fma_f64 v[6:7], v[95:96], v[16:17], v[6:7]
	s_waitcnt lgkmcnt(0)
	v_fma_f64 v[6:7], v[97:98], v[91:92], v[6:7]
	s_waitcnt vmcnt(1)
	s_delay_alu instid0(VALU_DEP_1)
	v_fma_f64 v[10:11], v[10:11], v[93:94], v[6:7]
	ds_load_b128 v[6:9], v1 offset:512
	ds_load_b64 v[14:15], v1 offset:528
	s_waitcnt lgkmcnt(1)
	v_fma_f64 v[6:7], v[12:13], v[6:7], v[10:11]
	s_waitcnt vmcnt(0)
	s_delay_alu instid0(VALU_DEP_1) | instskip(SKIP_1) | instid1(VALU_DEP_1)
	v_fma_f64 v[6:7], v[87:88], v[8:9], v[6:7]
	s_waitcnt lgkmcnt(0)
	v_fma_f64 v[6:7], v[89:90], v[14:15], v[6:7]
	s_delay_alu instid0(VALU_DEP_1)
	v_add_f64 v[4:5], v[4:5], -v[6:7]
	scratch_store_b64 off, v[4:5], off offset:104
	v_cmpx_lt_u32_e32 12, v0
	s_cbranch_execz .LBB32_183
; %bb.182:
	scratch_load_b64 v[4:5], off, off offset:96
	v_mov_b32_e32 v2, v1
	scratch_store_b64 off, v[1:2], off offset:96
	s_waitcnt vmcnt(0)
	ds_store_b64 v3, v[4:5]
.LBB32_183:
	s_or_b32 exec_lo, exec_lo, s0
	s_waitcnt lgkmcnt(0)
	s_waitcnt_vscnt null, 0x0
	s_barrier
	buffer_gl0_inv
	s_clause 0x4
	scratch_load_b128 v[4:7], off, off offset:96
	scratch_load_b128 v[8:11], off, off offset:112
	;; [unrolled: 1-line block ×5, first 2 shown]
	ds_load_2addr_b64 v[91:94], v1 offset0:47 offset1:48
	ds_load_2addr_b64 v[95:98], v1 offset0:49 offset1:50
	scratch_load_b128 v[99:102], off, off offset:176
	s_mov_b32 s0, exec_lo
	s_waitcnt vmcnt(5) lgkmcnt(1)
	v_fma_f64 v[6:7], v[6:7], v[91:92], 0
	s_waitcnt vmcnt(4)
	s_delay_alu instid0(VALU_DEP_1) | instskip(SKIP_1) | instid1(VALU_DEP_1)
	v_fma_f64 v[6:7], v[8:9], v[93:94], v[6:7]
	s_waitcnt lgkmcnt(0)
	v_fma_f64 v[10:11], v[10:11], v[95:96], v[6:7]
	scratch_load_b128 v[6:9], off, off offset:192
	s_waitcnt vmcnt(4)
	v_fma_f64 v[95:96], v[12:13], v[97:98], v[10:11]
	ds_load_2addr_b64 v[10:13], v1 offset0:51 offset1:52
	ds_load_2addr_b64 v[91:94], v1 offset0:53 offset1:54
	s_waitcnt lgkmcnt(1)
	v_fma_f64 v[10:11], v[14:15], v[10:11], v[95:96]
	scratch_load_b128 v[95:98], off, off offset:208
	s_waitcnt vmcnt(4)
	v_fma_f64 v[10:11], v[16:17], v[12:13], v[10:11]
	s_waitcnt lgkmcnt(0)
	s_delay_alu instid0(VALU_DEP_1)
	v_fma_f64 v[14:15], v[18:19], v[91:92], v[10:11]
	scratch_load_b128 v[10:13], off, off offset:224
	s_waitcnt vmcnt(4)
	v_fma_f64 v[18:19], v[87:88], v[93:94], v[14:15]
	ds_load_2addr_b64 v[14:17], v1 offset0:55 offset1:56
	ds_load_2addr_b64 v[91:94], v1 offset0:57 offset1:58
	s_waitcnt lgkmcnt(1)
	v_fma_f64 v[14:15], v[89:90], v[14:15], v[18:19]
	s_clause 0x1
	scratch_load_b128 v[87:90], off, off offset:240
	scratch_load_b64 v[18:19], off, off offset:256
	s_waitcnt vmcnt(5)
	v_fma_f64 v[14:15], v[99:100], v[16:17], v[14:15]
	s_waitcnt lgkmcnt(0)
	s_delay_alu instid0(VALU_DEP_1) | instskip(SKIP_1) | instid1(VALU_DEP_1)
	v_fma_f64 v[14:15], v[101:102], v[91:92], v[14:15]
	s_waitcnt vmcnt(4)
	v_fma_f64 v[6:7], v[6:7], v[93:94], v[14:15]
	ds_load_2addr_b64 v[14:17], v1 offset0:59 offset1:60
	ds_load_2addr_b64 v[91:94], v1 offset0:61 offset1:62
	s_waitcnt lgkmcnt(1)
	v_fma_f64 v[6:7], v[8:9], v[14:15], v[6:7]
	s_waitcnt vmcnt(3)
	s_delay_alu instid0(VALU_DEP_1) | instskip(SKIP_1) | instid1(VALU_DEP_1)
	v_fma_f64 v[6:7], v[95:96], v[16:17], v[6:7]
	s_waitcnt lgkmcnt(0)
	v_fma_f64 v[6:7], v[97:98], v[91:92], v[6:7]
	s_waitcnt vmcnt(2)
	s_delay_alu instid0(VALU_DEP_1)
	v_fma_f64 v[10:11], v[10:11], v[93:94], v[6:7]
	ds_load_2addr_b64 v[6:9], v1 offset0:63 offset1:64
	ds_load_2addr_b64 v[14:17], v1 offset0:65 offset1:66
	s_waitcnt lgkmcnt(1)
	v_fma_f64 v[1:2], v[12:13], v[6:7], v[10:11]
	s_waitcnt vmcnt(1)
	s_delay_alu instid0(VALU_DEP_1) | instskip(SKIP_1) | instid1(VALU_DEP_1)
	v_fma_f64 v[1:2], v[87:88], v[8:9], v[1:2]
	s_waitcnt lgkmcnt(0)
	v_fma_f64 v[1:2], v[89:90], v[14:15], v[1:2]
	s_waitcnt vmcnt(0)
	s_delay_alu instid0(VALU_DEP_1) | instskip(NEXT) | instid1(VALU_DEP_1)
	v_fma_f64 v[1:2], v[18:19], v[16:17], v[1:2]
	v_add_f64 v[1:2], v[4:5], -v[1:2]
	scratch_store_b64 off, v[1:2], off offset:96
	v_cmpx_lt_u32_e32 11, v0
	s_cbranch_execz .LBB32_185
; %bb.184:
	scratch_load_b64 v[1:2], off, off offset:88
	v_mov_b32_e32 v4, 0
	s_delay_alu instid0(VALU_DEP_1)
	v_mov_b32_e32 v5, v4
	scratch_store_b64 off, v[4:5], off offset:88
	s_waitcnt vmcnt(0)
	ds_store_b64 v3, v[1:2]
.LBB32_185:
	s_or_b32 exec_lo, exec_lo, s0
	s_waitcnt lgkmcnt(0)
	s_waitcnt_vscnt null, 0x0
	s_barrier
	buffer_gl0_inv
	s_clause 0x4
	scratch_load_b128 v[4:7], off, off offset:88
	scratch_load_b128 v[8:11], off, off offset:104
	;; [unrolled: 1-line block ×5, first 2 shown]
	v_mov_b32_e32 v1, 0
	ds_load_b128 v[91:94], v1 offset:368
	ds_load_b128 v[95:98], v1 offset:384
	scratch_load_b128 v[99:102], off, off offset:168
	s_mov_b32 s0, exec_lo
	s_waitcnt vmcnt(5) lgkmcnt(1)
	v_fma_f64 v[6:7], v[6:7], v[91:92], 0
	s_waitcnt vmcnt(4)
	s_delay_alu instid0(VALU_DEP_1) | instskip(SKIP_1) | instid1(VALU_DEP_1)
	v_fma_f64 v[6:7], v[8:9], v[93:94], v[6:7]
	s_waitcnt lgkmcnt(0)
	v_fma_f64 v[10:11], v[10:11], v[95:96], v[6:7]
	scratch_load_b128 v[6:9], off, off offset:184
	s_waitcnt vmcnt(4)
	v_fma_f64 v[95:96], v[12:13], v[97:98], v[10:11]
	ds_load_b128 v[10:13], v1 offset:400
	ds_load_b128 v[91:94], v1 offset:416
	s_waitcnt lgkmcnt(1)
	v_fma_f64 v[10:11], v[14:15], v[10:11], v[95:96]
	scratch_load_b128 v[95:98], off, off offset:200
	s_waitcnt vmcnt(4)
	v_fma_f64 v[10:11], v[16:17], v[12:13], v[10:11]
	s_waitcnt lgkmcnt(0)
	s_delay_alu instid0(VALU_DEP_1)
	v_fma_f64 v[14:15], v[18:19], v[91:92], v[10:11]
	scratch_load_b128 v[10:13], off, off offset:216
	s_waitcnt vmcnt(4)
	v_fma_f64 v[18:19], v[87:88], v[93:94], v[14:15]
	ds_load_b128 v[14:17], v1 offset:432
	ds_load_b128 v[91:94], v1 offset:448
	s_waitcnt lgkmcnt(1)
	v_fma_f64 v[14:15], v[89:90], v[14:15], v[18:19]
	scratch_load_b128 v[87:90], off, off offset:232
	s_waitcnt vmcnt(4)
	v_fma_f64 v[14:15], v[99:100], v[16:17], v[14:15]
	s_waitcnt lgkmcnt(0)
	s_delay_alu instid0(VALU_DEP_1)
	v_fma_f64 v[18:19], v[101:102], v[91:92], v[14:15]
	scratch_load_b128 v[14:17], off, off offset:248
	s_waitcnt vmcnt(4)
	v_fma_f64 v[6:7], v[6:7], v[93:94], v[18:19]
	ds_load_b128 v[91:94], v1 offset:464
	ds_load_b128 v[99:102], v1 offset:480
	s_waitcnt lgkmcnt(1)
	v_fma_f64 v[6:7], v[8:9], v[91:92], v[6:7]
	s_waitcnt vmcnt(3)
	s_delay_alu instid0(VALU_DEP_1) | instskip(SKIP_1) | instid1(VALU_DEP_1)
	v_fma_f64 v[6:7], v[95:96], v[93:94], v[6:7]
	s_waitcnt lgkmcnt(0)
	v_fma_f64 v[6:7], v[97:98], v[99:100], v[6:7]
	s_waitcnt vmcnt(2)
	s_delay_alu instid0(VALU_DEP_1)
	v_fma_f64 v[10:11], v[10:11], v[101:102], v[6:7]
	ds_load_b128 v[6:9], v1 offset:496
	ds_load_b128 v[91:94], v1 offset:512
	s_waitcnt lgkmcnt(1)
	v_fma_f64 v[6:7], v[12:13], v[6:7], v[10:11]
	s_waitcnt vmcnt(1)
	s_delay_alu instid0(VALU_DEP_1) | instskip(SKIP_4) | instid1(VALU_DEP_1)
	v_fma_f64 v[6:7], v[87:88], v[8:9], v[6:7]
	ds_load_b64 v[8:9], v1 offset:528
	s_waitcnt lgkmcnt(1)
	v_fma_f64 v[6:7], v[89:90], v[91:92], v[6:7]
	s_waitcnt vmcnt(0)
	v_fma_f64 v[6:7], v[14:15], v[93:94], v[6:7]
	s_waitcnt lgkmcnt(0)
	s_delay_alu instid0(VALU_DEP_1) | instskip(NEXT) | instid1(VALU_DEP_1)
	v_fma_f64 v[6:7], v[16:17], v[8:9], v[6:7]
	v_add_f64 v[4:5], v[4:5], -v[6:7]
	scratch_store_b64 off, v[4:5], off offset:88
	v_cmpx_lt_u32_e32 10, v0
	s_cbranch_execz .LBB32_187
; %bb.186:
	scratch_load_b64 v[4:5], off, off offset:80
	v_mov_b32_e32 v2, v1
	scratch_store_b64 off, v[1:2], off offset:80
	s_waitcnt vmcnt(0)
	ds_store_b64 v3, v[4:5]
.LBB32_187:
	s_or_b32 exec_lo, exec_lo, s0
	s_waitcnt lgkmcnt(0)
	s_waitcnt_vscnt null, 0x0
	s_barrier
	buffer_gl0_inv
	s_clause 0x4
	scratch_load_b128 v[4:7], off, off offset:80
	scratch_load_b128 v[8:11], off, off offset:96
	;; [unrolled: 1-line block ×5, first 2 shown]
	ds_load_2addr_b64 v[91:94], v1 offset0:45 offset1:46
	ds_load_2addr_b64 v[95:98], v1 offset0:47 offset1:48
	scratch_load_b128 v[99:102], off, off offset:160
	s_mov_b32 s0, exec_lo
	s_waitcnt vmcnt(5) lgkmcnt(1)
	v_fma_f64 v[6:7], v[6:7], v[91:92], 0
	s_waitcnt vmcnt(4)
	s_delay_alu instid0(VALU_DEP_1) | instskip(SKIP_1) | instid1(VALU_DEP_1)
	v_fma_f64 v[6:7], v[8:9], v[93:94], v[6:7]
	s_waitcnt lgkmcnt(0)
	v_fma_f64 v[10:11], v[10:11], v[95:96], v[6:7]
	scratch_load_b128 v[6:9], off, off offset:176
	s_waitcnt vmcnt(4)
	v_fma_f64 v[95:96], v[12:13], v[97:98], v[10:11]
	ds_load_2addr_b64 v[10:13], v1 offset0:49 offset1:50
	ds_load_2addr_b64 v[91:94], v1 offset0:51 offset1:52
	s_waitcnt lgkmcnt(1)
	v_fma_f64 v[10:11], v[14:15], v[10:11], v[95:96]
	scratch_load_b128 v[95:98], off, off offset:192
	s_waitcnt vmcnt(4)
	v_fma_f64 v[10:11], v[16:17], v[12:13], v[10:11]
	s_waitcnt lgkmcnt(0)
	s_delay_alu instid0(VALU_DEP_1)
	v_fma_f64 v[14:15], v[18:19], v[91:92], v[10:11]
	scratch_load_b128 v[10:13], off, off offset:208
	s_waitcnt vmcnt(4)
	v_fma_f64 v[18:19], v[87:88], v[93:94], v[14:15]
	ds_load_2addr_b64 v[14:17], v1 offset0:53 offset1:54
	ds_load_2addr_b64 v[91:94], v1 offset0:55 offset1:56
	s_waitcnt lgkmcnt(1)
	v_fma_f64 v[14:15], v[89:90], v[14:15], v[18:19]
	scratch_load_b128 v[87:90], off, off offset:224
	s_waitcnt vmcnt(4)
	v_fma_f64 v[14:15], v[99:100], v[16:17], v[14:15]
	s_waitcnt lgkmcnt(0)
	s_delay_alu instid0(VALU_DEP_1)
	v_fma_f64 v[18:19], v[101:102], v[91:92], v[14:15]
	scratch_load_b128 v[14:17], off, off offset:240
	s_waitcnt vmcnt(4)
	v_fma_f64 v[6:7], v[6:7], v[93:94], v[18:19]
	ds_load_2addr_b64 v[91:94], v1 offset0:57 offset1:58
	ds_load_2addr_b64 v[99:102], v1 offset0:59 offset1:60
	scratch_load_b64 v[18:19], off, off offset:256
	s_waitcnt lgkmcnt(1)
	v_fma_f64 v[6:7], v[8:9], v[91:92], v[6:7]
	s_waitcnt vmcnt(4)
	s_delay_alu instid0(VALU_DEP_1) | instskip(SKIP_1) | instid1(VALU_DEP_1)
	v_fma_f64 v[6:7], v[95:96], v[93:94], v[6:7]
	s_waitcnt lgkmcnt(0)
	v_fma_f64 v[6:7], v[97:98], v[99:100], v[6:7]
	s_waitcnt vmcnt(3)
	s_delay_alu instid0(VALU_DEP_1)
	v_fma_f64 v[10:11], v[10:11], v[101:102], v[6:7]
	ds_load_2addr_b64 v[6:9], v1 offset0:61 offset1:62
	ds_load_2addr_b64 v[91:94], v1 offset0:63 offset1:64
	s_waitcnt lgkmcnt(1)
	v_fma_f64 v[6:7], v[12:13], v[6:7], v[10:11]
	s_waitcnt vmcnt(2)
	s_delay_alu instid0(VALU_DEP_1) | instskip(SKIP_1) | instid1(VALU_DEP_1)
	v_fma_f64 v[6:7], v[87:88], v[8:9], v[6:7]
	s_waitcnt lgkmcnt(0)
	v_fma_f64 v[6:7], v[89:90], v[91:92], v[6:7]
	s_waitcnt vmcnt(1)
	s_delay_alu instid0(VALU_DEP_1) | instskip(SKIP_4) | instid1(VALU_DEP_1)
	v_fma_f64 v[10:11], v[14:15], v[93:94], v[6:7]
	ds_load_2addr_b64 v[6:9], v1 offset0:65 offset1:66
	s_waitcnt lgkmcnt(0)
	v_fma_f64 v[1:2], v[16:17], v[6:7], v[10:11]
	s_waitcnt vmcnt(0)
	v_fma_f64 v[1:2], v[18:19], v[8:9], v[1:2]
	s_delay_alu instid0(VALU_DEP_1)
	v_add_f64 v[1:2], v[4:5], -v[1:2]
	scratch_store_b64 off, v[1:2], off offset:80
	v_cmpx_lt_u32_e32 9, v0
	s_cbranch_execz .LBB32_189
; %bb.188:
	scratch_load_b64 v[1:2], off, off offset:72
	v_mov_b32_e32 v4, 0
	s_delay_alu instid0(VALU_DEP_1)
	v_mov_b32_e32 v5, v4
	scratch_store_b64 off, v[4:5], off offset:72
	s_waitcnt vmcnt(0)
	ds_store_b64 v3, v[1:2]
.LBB32_189:
	s_or_b32 exec_lo, exec_lo, s0
	s_waitcnt lgkmcnt(0)
	s_waitcnt_vscnt null, 0x0
	s_barrier
	buffer_gl0_inv
	s_clause 0x4
	scratch_load_b128 v[4:7], off, off offset:72
	scratch_load_b128 v[8:11], off, off offset:88
	;; [unrolled: 1-line block ×5, first 2 shown]
	v_mov_b32_e32 v1, 0
	ds_load_b128 v[91:94], v1 offset:352
	ds_load_b128 v[95:98], v1 offset:368
	scratch_load_b128 v[99:102], off, off offset:152
	s_mov_b32 s0, exec_lo
	s_waitcnt vmcnt(5) lgkmcnt(1)
	v_fma_f64 v[6:7], v[6:7], v[91:92], 0
	s_waitcnt vmcnt(4)
	s_delay_alu instid0(VALU_DEP_1) | instskip(SKIP_1) | instid1(VALU_DEP_1)
	v_fma_f64 v[6:7], v[8:9], v[93:94], v[6:7]
	s_waitcnt lgkmcnt(0)
	v_fma_f64 v[10:11], v[10:11], v[95:96], v[6:7]
	scratch_load_b128 v[6:9], off, off offset:168
	s_waitcnt vmcnt(4)
	v_fma_f64 v[95:96], v[12:13], v[97:98], v[10:11]
	ds_load_b128 v[10:13], v1 offset:384
	ds_load_b128 v[91:94], v1 offset:400
	s_waitcnt lgkmcnt(1)
	v_fma_f64 v[10:11], v[14:15], v[10:11], v[95:96]
	scratch_load_b128 v[95:98], off, off offset:184
	s_waitcnt vmcnt(4)
	v_fma_f64 v[10:11], v[16:17], v[12:13], v[10:11]
	s_waitcnt lgkmcnt(0)
	s_delay_alu instid0(VALU_DEP_1)
	v_fma_f64 v[14:15], v[18:19], v[91:92], v[10:11]
	scratch_load_b128 v[10:13], off, off offset:200
	s_waitcnt vmcnt(4)
	v_fma_f64 v[18:19], v[87:88], v[93:94], v[14:15]
	ds_load_b128 v[14:17], v1 offset:416
	ds_load_b128 v[91:94], v1 offset:432
	s_waitcnt lgkmcnt(1)
	v_fma_f64 v[14:15], v[89:90], v[14:15], v[18:19]
	scratch_load_b128 v[87:90], off, off offset:216
	s_waitcnt vmcnt(4)
	v_fma_f64 v[14:15], v[99:100], v[16:17], v[14:15]
	s_waitcnt lgkmcnt(0)
	s_delay_alu instid0(VALU_DEP_1)
	;; [unrolled: 13-line block ×3, first 2 shown]
	v_fma_f64 v[18:19], v[97:98], v[99:100], v[18:19]
	ds_load_b128 v[91:94], v1 offset:480
	ds_load_b128 v[95:98], v1 offset:496
	s_waitcnt vmcnt(3)
	v_fma_f64 v[10:11], v[10:11], v[101:102], v[18:19]
	s_waitcnt lgkmcnt(1)
	s_delay_alu instid0(VALU_DEP_1) | instskip(SKIP_1) | instid1(VALU_DEP_1)
	v_fma_f64 v[10:11], v[12:13], v[91:92], v[10:11]
	s_waitcnt vmcnt(2)
	v_fma_f64 v[10:11], v[87:88], v[93:94], v[10:11]
	s_waitcnt lgkmcnt(0)
	s_delay_alu instid0(VALU_DEP_1) | instskip(SKIP_1) | instid1(VALU_DEP_1)
	v_fma_f64 v[10:11], v[89:90], v[95:96], v[10:11]
	s_waitcnt vmcnt(1)
	v_fma_f64 v[14:15], v[14:15], v[97:98], v[10:11]
	ds_load_b128 v[10:13], v1 offset:512
	ds_load_b64 v[18:19], v1 offset:528
	s_waitcnt lgkmcnt(1)
	v_fma_f64 v[10:11], v[16:17], v[10:11], v[14:15]
	s_waitcnt vmcnt(0)
	s_delay_alu instid0(VALU_DEP_1) | instskip(SKIP_1) | instid1(VALU_DEP_1)
	v_fma_f64 v[6:7], v[6:7], v[12:13], v[10:11]
	s_waitcnt lgkmcnt(0)
	v_fma_f64 v[6:7], v[8:9], v[18:19], v[6:7]
	s_delay_alu instid0(VALU_DEP_1)
	v_add_f64 v[4:5], v[4:5], -v[6:7]
	scratch_store_b64 off, v[4:5], off offset:72
	v_cmpx_lt_u32_e32 8, v0
	s_cbranch_execz .LBB32_191
; %bb.190:
	scratch_load_b64 v[4:5], off, off offset:64
	v_mov_b32_e32 v2, v1
	scratch_store_b64 off, v[1:2], off offset:64
	s_waitcnt vmcnt(0)
	ds_store_b64 v3, v[4:5]
.LBB32_191:
	s_or_b32 exec_lo, exec_lo, s0
	s_waitcnt lgkmcnt(0)
	s_waitcnt_vscnt null, 0x0
	s_barrier
	buffer_gl0_inv
	s_clause 0x4
	scratch_load_b128 v[4:7], off, off offset:64
	scratch_load_b128 v[8:11], off, off offset:80
	;; [unrolled: 1-line block ×5, first 2 shown]
	ds_load_2addr_b64 v[91:94], v1 offset0:43 offset1:44
	ds_load_2addr_b64 v[95:98], v1 offset0:45 offset1:46
	scratch_load_b128 v[99:102], off, off offset:144
	s_mov_b32 s0, exec_lo
	s_waitcnt vmcnt(5) lgkmcnt(1)
	v_fma_f64 v[6:7], v[6:7], v[91:92], 0
	s_waitcnt vmcnt(4)
	s_delay_alu instid0(VALU_DEP_1) | instskip(SKIP_1) | instid1(VALU_DEP_1)
	v_fma_f64 v[6:7], v[8:9], v[93:94], v[6:7]
	s_waitcnt lgkmcnt(0)
	v_fma_f64 v[10:11], v[10:11], v[95:96], v[6:7]
	scratch_load_b128 v[6:9], off, off offset:160
	s_waitcnt vmcnt(4)
	v_fma_f64 v[95:96], v[12:13], v[97:98], v[10:11]
	ds_load_2addr_b64 v[10:13], v1 offset0:47 offset1:48
	ds_load_2addr_b64 v[91:94], v1 offset0:49 offset1:50
	s_waitcnt lgkmcnt(1)
	v_fma_f64 v[10:11], v[14:15], v[10:11], v[95:96]
	scratch_load_b128 v[95:98], off, off offset:176
	s_waitcnt vmcnt(4)
	v_fma_f64 v[10:11], v[16:17], v[12:13], v[10:11]
	s_waitcnt lgkmcnt(0)
	s_delay_alu instid0(VALU_DEP_1)
	v_fma_f64 v[14:15], v[18:19], v[91:92], v[10:11]
	scratch_load_b128 v[10:13], off, off offset:192
	s_waitcnt vmcnt(4)
	v_fma_f64 v[18:19], v[87:88], v[93:94], v[14:15]
	ds_load_2addr_b64 v[14:17], v1 offset0:51 offset1:52
	ds_load_2addr_b64 v[91:94], v1 offset0:53 offset1:54
	s_waitcnt lgkmcnt(1)
	v_fma_f64 v[14:15], v[89:90], v[14:15], v[18:19]
	scratch_load_b128 v[87:90], off, off offset:208
	s_waitcnt vmcnt(4)
	v_fma_f64 v[14:15], v[99:100], v[16:17], v[14:15]
	s_waitcnt lgkmcnt(0)
	s_delay_alu instid0(VALU_DEP_1)
	;; [unrolled: 13-line block ×3, first 2 shown]
	v_fma_f64 v[18:19], v[97:98], v[99:100], v[18:19]
	scratch_load_b64 v[99:100], off, off offset:256
	ds_load_2addr_b64 v[91:94], v1 offset0:59 offset1:60
	ds_load_2addr_b64 v[95:98], v1 offset0:61 offset1:62
	s_waitcnt vmcnt(4)
	v_fma_f64 v[10:11], v[10:11], v[101:102], v[18:19]
	s_waitcnt lgkmcnt(1)
	s_delay_alu instid0(VALU_DEP_1) | instskip(SKIP_1) | instid1(VALU_DEP_1)
	v_fma_f64 v[10:11], v[12:13], v[91:92], v[10:11]
	s_waitcnt vmcnt(3)
	v_fma_f64 v[10:11], v[87:88], v[93:94], v[10:11]
	s_waitcnt lgkmcnt(0)
	s_delay_alu instid0(VALU_DEP_1) | instskip(SKIP_1) | instid1(VALU_DEP_1)
	v_fma_f64 v[10:11], v[89:90], v[95:96], v[10:11]
	s_waitcnt vmcnt(2)
	v_fma_f64 v[14:15], v[14:15], v[97:98], v[10:11]
	ds_load_2addr_b64 v[10:13], v1 offset0:63 offset1:64
	ds_load_2addr_b64 v[87:90], v1 offset0:65 offset1:66
	s_waitcnt lgkmcnt(1)
	v_fma_f64 v[1:2], v[16:17], v[10:11], v[14:15]
	s_waitcnt vmcnt(1)
	s_delay_alu instid0(VALU_DEP_1) | instskip(SKIP_1) | instid1(VALU_DEP_1)
	v_fma_f64 v[1:2], v[6:7], v[12:13], v[1:2]
	s_waitcnt lgkmcnt(0)
	v_fma_f64 v[1:2], v[8:9], v[87:88], v[1:2]
	s_waitcnt vmcnt(0)
	s_delay_alu instid0(VALU_DEP_1) | instskip(NEXT) | instid1(VALU_DEP_1)
	v_fma_f64 v[1:2], v[99:100], v[89:90], v[1:2]
	v_add_f64 v[1:2], v[4:5], -v[1:2]
	scratch_store_b64 off, v[1:2], off offset:64
	v_cmpx_lt_u32_e32 7, v0
	s_cbranch_execz .LBB32_193
; %bb.192:
	scratch_load_b64 v[1:2], off, off offset:56
	v_mov_b32_e32 v4, 0
	s_delay_alu instid0(VALU_DEP_1)
	v_mov_b32_e32 v5, v4
	scratch_store_b64 off, v[4:5], off offset:56
	s_waitcnt vmcnt(0)
	ds_store_b64 v3, v[1:2]
.LBB32_193:
	s_or_b32 exec_lo, exec_lo, s0
	s_waitcnt lgkmcnt(0)
	s_waitcnt_vscnt null, 0x0
	s_barrier
	buffer_gl0_inv
	s_clause 0x4
	scratch_load_b128 v[4:7], off, off offset:56
	scratch_load_b128 v[8:11], off, off offset:72
	;; [unrolled: 1-line block ×5, first 2 shown]
	v_mov_b32_e32 v1, 0
	ds_load_b128 v[91:94], v1 offset:336
	ds_load_b128 v[95:98], v1 offset:352
	scratch_load_b128 v[99:102], off, off offset:136
	s_mov_b32 s0, exec_lo
	s_waitcnt vmcnt(5) lgkmcnt(1)
	v_fma_f64 v[6:7], v[6:7], v[91:92], 0
	s_waitcnt vmcnt(4)
	s_delay_alu instid0(VALU_DEP_1) | instskip(SKIP_1) | instid1(VALU_DEP_1)
	v_fma_f64 v[6:7], v[8:9], v[93:94], v[6:7]
	s_waitcnt lgkmcnt(0)
	v_fma_f64 v[10:11], v[10:11], v[95:96], v[6:7]
	scratch_load_b128 v[6:9], off, off offset:152
	s_waitcnt vmcnt(4)
	v_fma_f64 v[95:96], v[12:13], v[97:98], v[10:11]
	ds_load_b128 v[10:13], v1 offset:368
	ds_load_b128 v[91:94], v1 offset:384
	s_waitcnt lgkmcnt(1)
	v_fma_f64 v[10:11], v[14:15], v[10:11], v[95:96]
	scratch_load_b128 v[95:98], off, off offset:168
	s_waitcnt vmcnt(4)
	v_fma_f64 v[10:11], v[16:17], v[12:13], v[10:11]
	s_waitcnt lgkmcnt(0)
	s_delay_alu instid0(VALU_DEP_1)
	v_fma_f64 v[14:15], v[18:19], v[91:92], v[10:11]
	scratch_load_b128 v[10:13], off, off offset:184
	s_waitcnt vmcnt(4)
	v_fma_f64 v[18:19], v[87:88], v[93:94], v[14:15]
	ds_load_b128 v[14:17], v1 offset:400
	ds_load_b128 v[91:94], v1 offset:416
	s_waitcnt lgkmcnt(1)
	v_fma_f64 v[14:15], v[89:90], v[14:15], v[18:19]
	scratch_load_b128 v[87:90], off, off offset:200
	s_waitcnt vmcnt(4)
	v_fma_f64 v[14:15], v[99:100], v[16:17], v[14:15]
	s_waitcnt lgkmcnt(0)
	s_delay_alu instid0(VALU_DEP_1)
	v_fma_f64 v[18:19], v[101:102], v[91:92], v[14:15]
	scratch_load_b128 v[14:17], off, off offset:216
	s_waitcnt vmcnt(4)
	v_fma_f64 v[6:7], v[6:7], v[93:94], v[18:19]
	ds_load_b128 v[91:94], v1 offset:432
	ds_load_b128 v[99:102], v1 offset:448
	s_waitcnt lgkmcnt(1)
	v_fma_f64 v[18:19], v[8:9], v[91:92], v[6:7]
	scratch_load_b128 v[6:9], off, off offset:232
	s_waitcnt vmcnt(4)
	v_fma_f64 v[18:19], v[95:96], v[93:94], v[18:19]
	scratch_load_b128 v[91:94], off, off offset:248
	s_waitcnt lgkmcnt(0)
	v_fma_f64 v[18:19], v[97:98], v[99:100], v[18:19]
	s_waitcnt vmcnt(4)
	s_delay_alu instid0(VALU_DEP_1)
	v_fma_f64 v[10:11], v[10:11], v[101:102], v[18:19]
	ds_load_b128 v[95:98], v1 offset:464
	ds_load_b128 v[99:102], v1 offset:480
	s_waitcnt lgkmcnt(1)
	v_fma_f64 v[10:11], v[12:13], v[95:96], v[10:11]
	s_waitcnt vmcnt(3)
	s_delay_alu instid0(VALU_DEP_1) | instskip(SKIP_1) | instid1(VALU_DEP_1)
	v_fma_f64 v[10:11], v[87:88], v[97:98], v[10:11]
	s_waitcnt lgkmcnt(0)
	v_fma_f64 v[10:11], v[89:90], v[99:100], v[10:11]
	s_waitcnt vmcnt(2)
	s_delay_alu instid0(VALU_DEP_1)
	v_fma_f64 v[14:15], v[14:15], v[101:102], v[10:11]
	ds_load_b128 v[10:13], v1 offset:496
	ds_load_b128 v[87:90], v1 offset:512
	s_waitcnt lgkmcnt(1)
	v_fma_f64 v[10:11], v[16:17], v[10:11], v[14:15]
	s_waitcnt vmcnt(1)
	s_delay_alu instid0(VALU_DEP_1) | instskip(SKIP_1) | instid1(VALU_DEP_1)
	v_fma_f64 v[6:7], v[6:7], v[12:13], v[10:11]
	s_waitcnt lgkmcnt(0)
	v_fma_f64 v[6:7], v[8:9], v[87:88], v[6:7]
	ds_load_b64 v[8:9], v1 offset:528
	s_waitcnt vmcnt(0)
	v_fma_f64 v[6:7], v[91:92], v[89:90], v[6:7]
	s_waitcnt lgkmcnt(0)
	s_delay_alu instid0(VALU_DEP_1) | instskip(NEXT) | instid1(VALU_DEP_1)
	v_fma_f64 v[6:7], v[93:94], v[8:9], v[6:7]
	v_add_f64 v[4:5], v[4:5], -v[6:7]
	scratch_store_b64 off, v[4:5], off offset:56
	v_cmpx_lt_u32_e32 6, v0
	s_cbranch_execz .LBB32_195
; %bb.194:
	scratch_load_b64 v[4:5], off, off offset:48
	v_mov_b32_e32 v2, v1
	scratch_store_b64 off, v[1:2], off offset:48
	s_waitcnt vmcnt(0)
	ds_store_b64 v3, v[4:5]
.LBB32_195:
	s_or_b32 exec_lo, exec_lo, s0
	s_waitcnt lgkmcnt(0)
	s_waitcnt_vscnt null, 0x0
	s_barrier
	buffer_gl0_inv
	s_clause 0x4
	scratch_load_b128 v[4:7], off, off offset:48
	scratch_load_b128 v[8:11], off, off offset:64
	;; [unrolled: 1-line block ×5, first 2 shown]
	ds_load_2addr_b64 v[91:94], v1 offset0:41 offset1:42
	ds_load_2addr_b64 v[95:98], v1 offset0:43 offset1:44
	scratch_load_b128 v[99:102], off, off offset:128
	s_mov_b32 s0, exec_lo
	s_waitcnt vmcnt(5) lgkmcnt(1)
	v_fma_f64 v[6:7], v[6:7], v[91:92], 0
	s_waitcnt vmcnt(4)
	s_delay_alu instid0(VALU_DEP_1) | instskip(SKIP_1) | instid1(VALU_DEP_1)
	v_fma_f64 v[6:7], v[8:9], v[93:94], v[6:7]
	s_waitcnt lgkmcnt(0)
	v_fma_f64 v[10:11], v[10:11], v[95:96], v[6:7]
	scratch_load_b128 v[6:9], off, off offset:144
	s_waitcnt vmcnt(4)
	v_fma_f64 v[95:96], v[12:13], v[97:98], v[10:11]
	ds_load_2addr_b64 v[10:13], v1 offset0:45 offset1:46
	ds_load_2addr_b64 v[91:94], v1 offset0:47 offset1:48
	s_waitcnt lgkmcnt(1)
	v_fma_f64 v[10:11], v[14:15], v[10:11], v[95:96]
	scratch_load_b128 v[95:98], off, off offset:160
	s_waitcnt vmcnt(4)
	v_fma_f64 v[10:11], v[16:17], v[12:13], v[10:11]
	s_waitcnt lgkmcnt(0)
	s_delay_alu instid0(VALU_DEP_1)
	v_fma_f64 v[14:15], v[18:19], v[91:92], v[10:11]
	scratch_load_b128 v[10:13], off, off offset:176
	s_waitcnt vmcnt(4)
	v_fma_f64 v[18:19], v[87:88], v[93:94], v[14:15]
	ds_load_2addr_b64 v[14:17], v1 offset0:49 offset1:50
	ds_load_2addr_b64 v[91:94], v1 offset0:51 offset1:52
	s_waitcnt lgkmcnt(1)
	v_fma_f64 v[14:15], v[89:90], v[14:15], v[18:19]
	scratch_load_b128 v[87:90], off, off offset:192
	s_waitcnt vmcnt(4)
	v_fma_f64 v[14:15], v[99:100], v[16:17], v[14:15]
	s_waitcnt lgkmcnt(0)
	s_delay_alu instid0(VALU_DEP_1)
	v_fma_f64 v[18:19], v[101:102], v[91:92], v[14:15]
	scratch_load_b128 v[14:17], off, off offset:208
	s_waitcnt vmcnt(4)
	v_fma_f64 v[6:7], v[6:7], v[93:94], v[18:19]
	ds_load_2addr_b64 v[91:94], v1 offset0:53 offset1:54
	ds_load_2addr_b64 v[99:102], v1 offset0:55 offset1:56
	s_waitcnt lgkmcnt(1)
	v_fma_f64 v[18:19], v[8:9], v[91:92], v[6:7]
	scratch_load_b128 v[6:9], off, off offset:224
	s_waitcnt vmcnt(4)
	v_fma_f64 v[18:19], v[95:96], v[93:94], v[18:19]
	scratch_load_b128 v[91:94], off, off offset:240
	s_waitcnt lgkmcnt(0)
	v_fma_f64 v[18:19], v[97:98], v[99:100], v[18:19]
	s_waitcnt vmcnt(4)
	s_delay_alu instid0(VALU_DEP_1)
	v_fma_f64 v[10:11], v[10:11], v[101:102], v[18:19]
	ds_load_2addr_b64 v[95:98], v1 offset0:57 offset1:58
	ds_load_2addr_b64 v[99:102], v1 offset0:59 offset1:60
	scratch_load_b64 v[18:19], off, off offset:256
	s_waitcnt lgkmcnt(1)
	v_fma_f64 v[10:11], v[12:13], v[95:96], v[10:11]
	s_waitcnt vmcnt(4)
	s_delay_alu instid0(VALU_DEP_1) | instskip(SKIP_1) | instid1(VALU_DEP_1)
	v_fma_f64 v[10:11], v[87:88], v[97:98], v[10:11]
	s_waitcnt lgkmcnt(0)
	v_fma_f64 v[10:11], v[89:90], v[99:100], v[10:11]
	s_waitcnt vmcnt(3)
	s_delay_alu instid0(VALU_DEP_1)
	v_fma_f64 v[14:15], v[14:15], v[101:102], v[10:11]
	ds_load_2addr_b64 v[10:13], v1 offset0:61 offset1:62
	ds_load_2addr_b64 v[87:90], v1 offset0:63 offset1:64
	s_waitcnt lgkmcnt(1)
	v_fma_f64 v[10:11], v[16:17], v[10:11], v[14:15]
	s_waitcnt vmcnt(2)
	s_delay_alu instid0(VALU_DEP_1) | instskip(SKIP_1) | instid1(VALU_DEP_1)
	v_fma_f64 v[6:7], v[6:7], v[12:13], v[10:11]
	s_waitcnt lgkmcnt(0)
	v_fma_f64 v[6:7], v[8:9], v[87:88], v[6:7]
	s_waitcnt vmcnt(1)
	s_delay_alu instid0(VALU_DEP_1) | instskip(SKIP_4) | instid1(VALU_DEP_1)
	v_fma_f64 v[10:11], v[91:92], v[89:90], v[6:7]
	ds_load_2addr_b64 v[6:9], v1 offset0:65 offset1:66
	s_waitcnt lgkmcnt(0)
	v_fma_f64 v[1:2], v[93:94], v[6:7], v[10:11]
	s_waitcnt vmcnt(0)
	v_fma_f64 v[1:2], v[18:19], v[8:9], v[1:2]
	s_delay_alu instid0(VALU_DEP_1)
	v_add_f64 v[1:2], v[4:5], -v[1:2]
	scratch_store_b64 off, v[1:2], off offset:48
	v_cmpx_lt_u32_e32 5, v0
	s_cbranch_execz .LBB32_197
; %bb.196:
	scratch_load_b64 v[1:2], off, off offset:40
	v_mov_b32_e32 v4, 0
	s_delay_alu instid0(VALU_DEP_1)
	v_mov_b32_e32 v5, v4
	scratch_store_b64 off, v[4:5], off offset:40
	s_waitcnt vmcnt(0)
	ds_store_b64 v3, v[1:2]
.LBB32_197:
	s_or_b32 exec_lo, exec_lo, s0
	s_waitcnt lgkmcnt(0)
	s_waitcnt_vscnt null, 0x0
	s_barrier
	buffer_gl0_inv
	s_clause 0x4
	scratch_load_b128 v[4:7], off, off offset:40
	scratch_load_b128 v[8:11], off, off offset:56
	;; [unrolled: 1-line block ×5, first 2 shown]
	v_mov_b32_e32 v1, 0
	ds_load_b128 v[91:94], v1 offset:320
	ds_load_b128 v[95:98], v1 offset:336
	scratch_load_b128 v[99:102], off, off offset:120
	s_mov_b32 s0, exec_lo
	s_waitcnt vmcnt(5) lgkmcnt(1)
	v_fma_f64 v[6:7], v[6:7], v[91:92], 0
	s_waitcnt vmcnt(4)
	s_delay_alu instid0(VALU_DEP_1) | instskip(SKIP_1) | instid1(VALU_DEP_1)
	v_fma_f64 v[6:7], v[8:9], v[93:94], v[6:7]
	s_waitcnt lgkmcnt(0)
	v_fma_f64 v[10:11], v[10:11], v[95:96], v[6:7]
	scratch_load_b128 v[6:9], off, off offset:136
	s_waitcnt vmcnt(4)
	v_fma_f64 v[95:96], v[12:13], v[97:98], v[10:11]
	ds_load_b128 v[10:13], v1 offset:352
	ds_load_b128 v[91:94], v1 offset:368
	s_waitcnt lgkmcnt(1)
	v_fma_f64 v[10:11], v[14:15], v[10:11], v[95:96]
	scratch_load_b128 v[95:98], off, off offset:152
	s_waitcnt vmcnt(4)
	v_fma_f64 v[10:11], v[16:17], v[12:13], v[10:11]
	s_waitcnt lgkmcnt(0)
	s_delay_alu instid0(VALU_DEP_1)
	v_fma_f64 v[14:15], v[18:19], v[91:92], v[10:11]
	scratch_load_b128 v[10:13], off, off offset:168
	s_waitcnt vmcnt(4)
	v_fma_f64 v[18:19], v[87:88], v[93:94], v[14:15]
	ds_load_b128 v[14:17], v1 offset:384
	ds_load_b128 v[91:94], v1 offset:400
	s_waitcnt lgkmcnt(1)
	v_fma_f64 v[14:15], v[89:90], v[14:15], v[18:19]
	scratch_load_b128 v[87:90], off, off offset:184
	s_waitcnt vmcnt(4)
	v_fma_f64 v[14:15], v[99:100], v[16:17], v[14:15]
	s_waitcnt lgkmcnt(0)
	s_delay_alu instid0(VALU_DEP_1)
	v_fma_f64 v[18:19], v[101:102], v[91:92], v[14:15]
	scratch_load_b128 v[14:17], off, off offset:200
	s_waitcnt vmcnt(4)
	v_fma_f64 v[6:7], v[6:7], v[93:94], v[18:19]
	ds_load_b128 v[91:94], v1 offset:416
	ds_load_b128 v[99:102], v1 offset:432
	s_waitcnt lgkmcnt(1)
	v_fma_f64 v[18:19], v[8:9], v[91:92], v[6:7]
	scratch_load_b128 v[6:9], off, off offset:216
	s_waitcnt vmcnt(4)
	v_fma_f64 v[18:19], v[95:96], v[93:94], v[18:19]
	scratch_load_b128 v[91:94], off, off offset:232
	s_waitcnt lgkmcnt(0)
	v_fma_f64 v[18:19], v[97:98], v[99:100], v[18:19]
	s_waitcnt vmcnt(4)
	s_delay_alu instid0(VALU_DEP_1)
	v_fma_f64 v[10:11], v[10:11], v[101:102], v[18:19]
	ds_load_b128 v[95:98], v1 offset:448
	ds_load_b128 v[99:102], v1 offset:464
	s_waitcnt lgkmcnt(1)
	v_fma_f64 v[18:19], v[12:13], v[95:96], v[10:11]
	scratch_load_b128 v[10:13], off, off offset:248
	s_waitcnt vmcnt(4)
	v_fma_f64 v[18:19], v[87:88], v[97:98], v[18:19]
	s_waitcnt lgkmcnt(0)
	s_delay_alu instid0(VALU_DEP_1)
	v_fma_f64 v[18:19], v[89:90], v[99:100], v[18:19]
	ds_load_b128 v[87:90], v1 offset:480
	ds_load_b128 v[95:98], v1 offset:496
	s_waitcnt vmcnt(3)
	v_fma_f64 v[14:15], v[14:15], v[101:102], v[18:19]
	s_waitcnt lgkmcnt(1)
	s_delay_alu instid0(VALU_DEP_1) | instskip(SKIP_1) | instid1(VALU_DEP_1)
	v_fma_f64 v[14:15], v[16:17], v[87:88], v[14:15]
	s_waitcnt vmcnt(2)
	v_fma_f64 v[6:7], v[6:7], v[89:90], v[14:15]
	s_waitcnt lgkmcnt(0)
	s_delay_alu instid0(VALU_DEP_1) | instskip(SKIP_1) | instid1(VALU_DEP_1)
	v_fma_f64 v[6:7], v[8:9], v[95:96], v[6:7]
	s_waitcnt vmcnt(1)
	v_fma_f64 v[14:15], v[91:92], v[97:98], v[6:7]
	ds_load_b128 v[6:9], v1 offset:512
	ds_load_b64 v[16:17], v1 offset:528
	s_waitcnt lgkmcnt(1)
	v_fma_f64 v[6:7], v[93:94], v[6:7], v[14:15]
	s_waitcnt vmcnt(0)
	s_delay_alu instid0(VALU_DEP_1) | instskip(SKIP_1) | instid1(VALU_DEP_1)
	v_fma_f64 v[6:7], v[10:11], v[8:9], v[6:7]
	s_waitcnt lgkmcnt(0)
	v_fma_f64 v[6:7], v[12:13], v[16:17], v[6:7]
	s_delay_alu instid0(VALU_DEP_1)
	v_add_f64 v[4:5], v[4:5], -v[6:7]
	scratch_store_b64 off, v[4:5], off offset:40
	v_cmpx_lt_u32_e32 4, v0
	s_cbranch_execz .LBB32_199
; %bb.198:
	scratch_load_b64 v[4:5], off, off offset:32
	v_mov_b32_e32 v2, v1
	scratch_store_b64 off, v[1:2], off offset:32
	s_waitcnt vmcnt(0)
	ds_store_b64 v3, v[4:5]
.LBB32_199:
	s_or_b32 exec_lo, exec_lo, s0
	s_waitcnt lgkmcnt(0)
	s_waitcnt_vscnt null, 0x0
	s_barrier
	buffer_gl0_inv
	s_clause 0x4
	scratch_load_b128 v[4:7], off, off offset:32
	scratch_load_b128 v[8:11], off, off offset:48
	;; [unrolled: 1-line block ×5, first 2 shown]
	ds_load_2addr_b64 v[91:94], v1 offset0:39 offset1:40
	ds_load_2addr_b64 v[95:98], v1 offset0:41 offset1:42
	scratch_load_b128 v[99:102], off, off offset:112
	s_mov_b32 s0, exec_lo
	s_waitcnt vmcnt(5) lgkmcnt(1)
	v_fma_f64 v[6:7], v[6:7], v[91:92], 0
	s_waitcnt vmcnt(4)
	s_delay_alu instid0(VALU_DEP_1) | instskip(SKIP_1) | instid1(VALU_DEP_1)
	v_fma_f64 v[6:7], v[8:9], v[93:94], v[6:7]
	s_waitcnt lgkmcnt(0)
	v_fma_f64 v[10:11], v[10:11], v[95:96], v[6:7]
	scratch_load_b128 v[6:9], off, off offset:128
	s_waitcnt vmcnt(4)
	v_fma_f64 v[95:96], v[12:13], v[97:98], v[10:11]
	ds_load_2addr_b64 v[10:13], v1 offset0:43 offset1:44
	ds_load_2addr_b64 v[91:94], v1 offset0:45 offset1:46
	s_waitcnt lgkmcnt(1)
	v_fma_f64 v[10:11], v[14:15], v[10:11], v[95:96]
	scratch_load_b128 v[95:98], off, off offset:144
	s_waitcnt vmcnt(4)
	v_fma_f64 v[10:11], v[16:17], v[12:13], v[10:11]
	s_waitcnt lgkmcnt(0)
	s_delay_alu instid0(VALU_DEP_1)
	v_fma_f64 v[14:15], v[18:19], v[91:92], v[10:11]
	scratch_load_b128 v[10:13], off, off offset:160
	s_waitcnt vmcnt(4)
	v_fma_f64 v[18:19], v[87:88], v[93:94], v[14:15]
	ds_load_2addr_b64 v[14:17], v1 offset0:47 offset1:48
	ds_load_2addr_b64 v[91:94], v1 offset0:49 offset1:50
	s_waitcnt lgkmcnt(1)
	v_fma_f64 v[14:15], v[89:90], v[14:15], v[18:19]
	scratch_load_b128 v[87:90], off, off offset:176
	s_waitcnt vmcnt(4)
	v_fma_f64 v[14:15], v[99:100], v[16:17], v[14:15]
	s_waitcnt lgkmcnt(0)
	s_delay_alu instid0(VALU_DEP_1)
	v_fma_f64 v[18:19], v[101:102], v[91:92], v[14:15]
	scratch_load_b128 v[14:17], off, off offset:192
	s_waitcnt vmcnt(4)
	v_fma_f64 v[6:7], v[6:7], v[93:94], v[18:19]
	ds_load_2addr_b64 v[91:94], v1 offset0:51 offset1:52
	ds_load_2addr_b64 v[99:102], v1 offset0:53 offset1:54
	s_waitcnt lgkmcnt(1)
	v_fma_f64 v[18:19], v[8:9], v[91:92], v[6:7]
	scratch_load_b128 v[6:9], off, off offset:208
	s_waitcnt vmcnt(4)
	v_fma_f64 v[18:19], v[95:96], v[93:94], v[18:19]
	scratch_load_b128 v[91:94], off, off offset:224
	s_waitcnt lgkmcnt(0)
	v_fma_f64 v[18:19], v[97:98], v[99:100], v[18:19]
	s_waitcnt vmcnt(4)
	s_delay_alu instid0(VALU_DEP_1)
	v_fma_f64 v[10:11], v[10:11], v[101:102], v[18:19]
	ds_load_2addr_b64 v[95:98], v1 offset0:55 offset1:56
	ds_load_2addr_b64 v[99:102], v1 offset0:57 offset1:58
	s_waitcnt lgkmcnt(1)
	v_fma_f64 v[18:19], v[12:13], v[95:96], v[10:11]
	scratch_load_b128 v[10:13], off, off offset:240
	s_waitcnt vmcnt(4)
	v_fma_f64 v[18:19], v[87:88], v[97:98], v[18:19]
	s_waitcnt lgkmcnt(0)
	s_delay_alu instid0(VALU_DEP_1)
	v_fma_f64 v[18:19], v[89:90], v[99:100], v[18:19]
	scratch_load_b64 v[99:100], off, off offset:256
	ds_load_2addr_b64 v[87:90], v1 offset0:59 offset1:60
	ds_load_2addr_b64 v[95:98], v1 offset0:61 offset1:62
	s_waitcnt vmcnt(4)
	v_fma_f64 v[14:15], v[14:15], v[101:102], v[18:19]
	s_waitcnt lgkmcnt(1)
	s_delay_alu instid0(VALU_DEP_1) | instskip(SKIP_1) | instid1(VALU_DEP_1)
	v_fma_f64 v[14:15], v[16:17], v[87:88], v[14:15]
	s_waitcnt vmcnt(3)
	v_fma_f64 v[6:7], v[6:7], v[89:90], v[14:15]
	s_waitcnt lgkmcnt(0)
	s_delay_alu instid0(VALU_DEP_1) | instskip(SKIP_1) | instid1(VALU_DEP_1)
	v_fma_f64 v[6:7], v[8:9], v[95:96], v[6:7]
	s_waitcnt vmcnt(2)
	v_fma_f64 v[18:19], v[91:92], v[97:98], v[6:7]
	ds_load_2addr_b64 v[6:9], v1 offset0:63 offset1:64
	ds_load_2addr_b64 v[14:17], v1 offset0:65 offset1:66
	s_waitcnt lgkmcnt(1)
	v_fma_f64 v[1:2], v[93:94], v[6:7], v[18:19]
	s_waitcnt vmcnt(1)
	s_delay_alu instid0(VALU_DEP_1) | instskip(SKIP_1) | instid1(VALU_DEP_1)
	v_fma_f64 v[1:2], v[10:11], v[8:9], v[1:2]
	s_waitcnt lgkmcnt(0)
	v_fma_f64 v[1:2], v[12:13], v[14:15], v[1:2]
	s_waitcnt vmcnt(0)
	s_delay_alu instid0(VALU_DEP_1) | instskip(NEXT) | instid1(VALU_DEP_1)
	v_fma_f64 v[1:2], v[99:100], v[16:17], v[1:2]
	v_add_f64 v[1:2], v[4:5], -v[1:2]
	scratch_store_b64 off, v[1:2], off offset:32
	v_cmpx_lt_u32_e32 3, v0
	s_cbranch_execz .LBB32_201
; %bb.200:
	scratch_load_b64 v[1:2], off, off offset:24
	v_mov_b32_e32 v4, 0
	s_delay_alu instid0(VALU_DEP_1)
	v_mov_b32_e32 v5, v4
	scratch_store_b64 off, v[4:5], off offset:24
	s_waitcnt vmcnt(0)
	ds_store_b64 v3, v[1:2]
.LBB32_201:
	s_or_b32 exec_lo, exec_lo, s0
	s_waitcnt lgkmcnt(0)
	s_waitcnt_vscnt null, 0x0
	s_barrier
	buffer_gl0_inv
	s_clause 0x4
	scratch_load_b128 v[4:7], off, off offset:24
	scratch_load_b128 v[8:11], off, off offset:40
	;; [unrolled: 1-line block ×5, first 2 shown]
	v_mov_b32_e32 v1, 0
	ds_load_b128 v[91:94], v1 offset:304
	ds_load_b128 v[95:98], v1 offset:320
	scratch_load_b128 v[99:102], off, off offset:104
	s_mov_b32 s0, exec_lo
	s_waitcnt vmcnt(5) lgkmcnt(1)
	v_fma_f64 v[6:7], v[6:7], v[91:92], 0
	s_waitcnt vmcnt(4)
	s_delay_alu instid0(VALU_DEP_1) | instskip(SKIP_1) | instid1(VALU_DEP_1)
	v_fma_f64 v[6:7], v[8:9], v[93:94], v[6:7]
	s_waitcnt lgkmcnt(0)
	v_fma_f64 v[10:11], v[10:11], v[95:96], v[6:7]
	scratch_load_b128 v[6:9], off, off offset:120
	s_waitcnt vmcnt(4)
	v_fma_f64 v[95:96], v[12:13], v[97:98], v[10:11]
	ds_load_b128 v[10:13], v1 offset:336
	ds_load_b128 v[91:94], v1 offset:352
	s_waitcnt lgkmcnt(1)
	v_fma_f64 v[10:11], v[14:15], v[10:11], v[95:96]
	scratch_load_b128 v[95:98], off, off offset:136
	s_waitcnt vmcnt(4)
	v_fma_f64 v[10:11], v[16:17], v[12:13], v[10:11]
	s_waitcnt lgkmcnt(0)
	s_delay_alu instid0(VALU_DEP_1)
	v_fma_f64 v[14:15], v[18:19], v[91:92], v[10:11]
	scratch_load_b128 v[10:13], off, off offset:152
	s_waitcnt vmcnt(4)
	v_fma_f64 v[18:19], v[87:88], v[93:94], v[14:15]
	ds_load_b128 v[14:17], v1 offset:368
	ds_load_b128 v[91:94], v1 offset:384
	s_waitcnt lgkmcnt(1)
	v_fma_f64 v[14:15], v[89:90], v[14:15], v[18:19]
	scratch_load_b128 v[87:90], off, off offset:168
	s_waitcnt vmcnt(4)
	v_fma_f64 v[14:15], v[99:100], v[16:17], v[14:15]
	s_waitcnt lgkmcnt(0)
	s_delay_alu instid0(VALU_DEP_1)
	v_fma_f64 v[18:19], v[101:102], v[91:92], v[14:15]
	scratch_load_b128 v[14:17], off, off offset:184
	s_waitcnt vmcnt(4)
	v_fma_f64 v[6:7], v[6:7], v[93:94], v[18:19]
	ds_load_b128 v[91:94], v1 offset:400
	ds_load_b128 v[99:102], v1 offset:416
	s_waitcnt lgkmcnt(1)
	v_fma_f64 v[18:19], v[8:9], v[91:92], v[6:7]
	scratch_load_b128 v[6:9], off, off offset:200
	s_waitcnt vmcnt(4)
	v_fma_f64 v[18:19], v[95:96], v[93:94], v[18:19]
	scratch_load_b128 v[91:94], off, off offset:216
	s_waitcnt lgkmcnt(0)
	v_fma_f64 v[18:19], v[97:98], v[99:100], v[18:19]
	s_waitcnt vmcnt(4)
	s_delay_alu instid0(VALU_DEP_1)
	v_fma_f64 v[10:11], v[10:11], v[101:102], v[18:19]
	ds_load_b128 v[95:98], v1 offset:432
	ds_load_b128 v[99:102], v1 offset:448
	s_waitcnt lgkmcnt(1)
	v_fma_f64 v[18:19], v[12:13], v[95:96], v[10:11]
	scratch_load_b128 v[10:13], off, off offset:232
	s_waitcnt vmcnt(4)
	v_fma_f64 v[18:19], v[87:88], v[97:98], v[18:19]
	s_waitcnt lgkmcnt(0)
	s_delay_alu instid0(VALU_DEP_1)
	v_fma_f64 v[18:19], v[89:90], v[99:100], v[18:19]
	scratch_load_b128 v[87:90], off, off offset:248
	s_waitcnt vmcnt(4)
	v_fma_f64 v[14:15], v[14:15], v[101:102], v[18:19]
	ds_load_b128 v[95:98], v1 offset:464
	ds_load_b128 v[99:102], v1 offset:480
	s_waitcnt lgkmcnt(1)
	v_fma_f64 v[14:15], v[16:17], v[95:96], v[14:15]
	s_waitcnt vmcnt(3)
	s_delay_alu instid0(VALU_DEP_1) | instskip(SKIP_1) | instid1(VALU_DEP_1)
	v_fma_f64 v[6:7], v[6:7], v[97:98], v[14:15]
	s_waitcnt lgkmcnt(0)
	v_fma_f64 v[6:7], v[8:9], v[99:100], v[6:7]
	s_waitcnt vmcnt(2)
	s_delay_alu instid0(VALU_DEP_1)
	v_fma_f64 v[18:19], v[91:92], v[101:102], v[6:7]
	ds_load_b128 v[6:9], v1 offset:496
	ds_load_b128 v[14:17], v1 offset:512
	s_waitcnt lgkmcnt(1)
	v_fma_f64 v[6:7], v[93:94], v[6:7], v[18:19]
	s_waitcnt vmcnt(1)
	s_delay_alu instid0(VALU_DEP_1) | instskip(SKIP_4) | instid1(VALU_DEP_1)
	v_fma_f64 v[6:7], v[10:11], v[8:9], v[6:7]
	ds_load_b64 v[8:9], v1 offset:528
	s_waitcnt lgkmcnt(1)
	v_fma_f64 v[6:7], v[12:13], v[14:15], v[6:7]
	s_waitcnt vmcnt(0)
	v_fma_f64 v[6:7], v[87:88], v[16:17], v[6:7]
	s_waitcnt lgkmcnt(0)
	s_delay_alu instid0(VALU_DEP_1) | instskip(NEXT) | instid1(VALU_DEP_1)
	v_fma_f64 v[6:7], v[89:90], v[8:9], v[6:7]
	v_add_f64 v[4:5], v[4:5], -v[6:7]
	scratch_store_b64 off, v[4:5], off offset:24
	v_cmpx_lt_u32_e32 2, v0
	s_cbranch_execz .LBB32_203
; %bb.202:
	scratch_load_b64 v[4:5], off, off offset:16
	v_mov_b32_e32 v2, v1
	scratch_store_b64 off, v[1:2], off offset:16
	s_waitcnt vmcnt(0)
	ds_store_b64 v3, v[4:5]
.LBB32_203:
	s_or_b32 exec_lo, exec_lo, s0
	s_waitcnt lgkmcnt(0)
	s_waitcnt_vscnt null, 0x0
	s_barrier
	buffer_gl0_inv
	s_clause 0x4
	scratch_load_b128 v[4:7], off, off offset:16
	scratch_load_b128 v[8:11], off, off offset:32
	;; [unrolled: 1-line block ×5, first 2 shown]
	ds_load_2addr_b64 v[91:94], v1 offset0:37 offset1:38
	ds_load_2addr_b64 v[95:98], v1 offset0:39 offset1:40
	scratch_load_b128 v[99:102], off, off offset:96
	s_mov_b32 s0, exec_lo
	s_waitcnt vmcnt(5) lgkmcnt(1)
	v_fma_f64 v[6:7], v[6:7], v[91:92], 0
	s_waitcnt vmcnt(4)
	s_delay_alu instid0(VALU_DEP_1) | instskip(SKIP_1) | instid1(VALU_DEP_1)
	v_fma_f64 v[6:7], v[8:9], v[93:94], v[6:7]
	s_waitcnt lgkmcnt(0)
	v_fma_f64 v[10:11], v[10:11], v[95:96], v[6:7]
	scratch_load_b128 v[6:9], off, off offset:112
	s_waitcnt vmcnt(4)
	v_fma_f64 v[95:96], v[12:13], v[97:98], v[10:11]
	ds_load_2addr_b64 v[10:13], v1 offset0:41 offset1:42
	ds_load_2addr_b64 v[91:94], v1 offset0:43 offset1:44
	s_waitcnt lgkmcnt(1)
	v_fma_f64 v[10:11], v[14:15], v[10:11], v[95:96]
	scratch_load_b128 v[95:98], off, off offset:128
	s_waitcnt vmcnt(4)
	v_fma_f64 v[10:11], v[16:17], v[12:13], v[10:11]
	s_waitcnt lgkmcnt(0)
	s_delay_alu instid0(VALU_DEP_1)
	v_fma_f64 v[14:15], v[18:19], v[91:92], v[10:11]
	scratch_load_b128 v[10:13], off, off offset:144
	s_waitcnt vmcnt(4)
	v_fma_f64 v[18:19], v[87:88], v[93:94], v[14:15]
	ds_load_2addr_b64 v[14:17], v1 offset0:45 offset1:46
	ds_load_2addr_b64 v[91:94], v1 offset0:47 offset1:48
	s_waitcnt lgkmcnt(1)
	v_fma_f64 v[14:15], v[89:90], v[14:15], v[18:19]
	scratch_load_b128 v[87:90], off, off offset:160
	s_waitcnt vmcnt(4)
	v_fma_f64 v[14:15], v[99:100], v[16:17], v[14:15]
	s_waitcnt lgkmcnt(0)
	s_delay_alu instid0(VALU_DEP_1)
	v_fma_f64 v[18:19], v[101:102], v[91:92], v[14:15]
	scratch_load_b128 v[14:17], off, off offset:176
	s_waitcnt vmcnt(4)
	v_fma_f64 v[6:7], v[6:7], v[93:94], v[18:19]
	ds_load_2addr_b64 v[91:94], v1 offset0:49 offset1:50
	ds_load_2addr_b64 v[99:102], v1 offset0:51 offset1:52
	s_waitcnt lgkmcnt(1)
	v_fma_f64 v[18:19], v[8:9], v[91:92], v[6:7]
	scratch_load_b128 v[6:9], off, off offset:192
	s_waitcnt vmcnt(4)
	v_fma_f64 v[18:19], v[95:96], v[93:94], v[18:19]
	scratch_load_b128 v[91:94], off, off offset:208
	s_waitcnt lgkmcnt(0)
	v_fma_f64 v[18:19], v[97:98], v[99:100], v[18:19]
	s_waitcnt vmcnt(4)
	s_delay_alu instid0(VALU_DEP_1)
	v_fma_f64 v[10:11], v[10:11], v[101:102], v[18:19]
	ds_load_2addr_b64 v[95:98], v1 offset0:53 offset1:54
	ds_load_2addr_b64 v[99:102], v1 offset0:55 offset1:56
	s_waitcnt lgkmcnt(1)
	v_fma_f64 v[18:19], v[12:13], v[95:96], v[10:11]
	scratch_load_b128 v[10:13], off, off offset:224
	s_waitcnt vmcnt(4)
	v_fma_f64 v[18:19], v[87:88], v[97:98], v[18:19]
	s_waitcnt lgkmcnt(0)
	s_delay_alu instid0(VALU_DEP_1)
	v_fma_f64 v[18:19], v[89:90], v[99:100], v[18:19]
	scratch_load_b128 v[87:90], off, off offset:240
	s_waitcnt vmcnt(4)
	v_fma_f64 v[14:15], v[14:15], v[101:102], v[18:19]
	ds_load_2addr_b64 v[95:98], v1 offset0:57 offset1:58
	ds_load_2addr_b64 v[99:102], v1 offset0:59 offset1:60
	scratch_load_b64 v[18:19], off, off offset:256
	s_waitcnt lgkmcnt(1)
	v_fma_f64 v[14:15], v[16:17], v[95:96], v[14:15]
	s_waitcnt vmcnt(4)
	s_delay_alu instid0(VALU_DEP_1) | instskip(SKIP_1) | instid1(VALU_DEP_1)
	v_fma_f64 v[6:7], v[6:7], v[97:98], v[14:15]
	s_waitcnt lgkmcnt(0)
	v_fma_f64 v[6:7], v[8:9], v[99:100], v[6:7]
	s_waitcnt vmcnt(3)
	s_delay_alu instid0(VALU_DEP_1)
	v_fma_f64 v[91:92], v[91:92], v[101:102], v[6:7]
	ds_load_2addr_b64 v[6:9], v1 offset0:61 offset1:62
	ds_load_2addr_b64 v[14:17], v1 offset0:63 offset1:64
	s_waitcnt lgkmcnt(1)
	v_fma_f64 v[6:7], v[93:94], v[6:7], v[91:92]
	s_waitcnt vmcnt(2)
	s_delay_alu instid0(VALU_DEP_1) | instskip(SKIP_1) | instid1(VALU_DEP_1)
	v_fma_f64 v[6:7], v[10:11], v[8:9], v[6:7]
	s_waitcnt lgkmcnt(0)
	v_fma_f64 v[6:7], v[12:13], v[14:15], v[6:7]
	s_waitcnt vmcnt(1)
	s_delay_alu instid0(VALU_DEP_1) | instskip(SKIP_4) | instid1(VALU_DEP_1)
	v_fma_f64 v[10:11], v[87:88], v[16:17], v[6:7]
	ds_load_2addr_b64 v[6:9], v1 offset0:65 offset1:66
	s_waitcnt lgkmcnt(0)
	v_fma_f64 v[1:2], v[89:90], v[6:7], v[10:11]
	s_waitcnt vmcnt(0)
	v_fma_f64 v[1:2], v[18:19], v[8:9], v[1:2]
	s_delay_alu instid0(VALU_DEP_1)
	v_add_f64 v[1:2], v[4:5], -v[1:2]
	scratch_store_b64 off, v[1:2], off offset:16
	v_cmpx_lt_u32_e32 1, v0
	s_cbranch_execz .LBB32_205
; %bb.204:
	scratch_load_b64 v[1:2], off, off offset:8
	v_mov_b32_e32 v4, 0
	s_delay_alu instid0(VALU_DEP_1)
	v_mov_b32_e32 v5, v4
	scratch_store_b64 off, v[4:5], off offset:8
	s_waitcnt vmcnt(0)
	ds_store_b64 v3, v[1:2]
.LBB32_205:
	s_or_b32 exec_lo, exec_lo, s0
	s_waitcnt lgkmcnt(0)
	s_waitcnt_vscnt null, 0x0
	s_barrier
	buffer_gl0_inv
	s_clause 0x4
	scratch_load_b128 v[5:8], off, off offset:8
	scratch_load_b128 v[9:12], off, off offset:24
	;; [unrolled: 1-line block ×5, first 2 shown]
	v_mov_b32_e32 v4, 0
	ds_load_b128 v[91:94], v4 offset:288
	ds_load_b128 v[95:98], v4 offset:304
	scratch_load_b128 v[99:102], off, off offset:88
	s_mov_b32 s0, exec_lo
	s_waitcnt vmcnt(5) lgkmcnt(1)
	v_fma_f64 v[1:2], v[7:8], v[91:92], 0
	s_waitcnt vmcnt(4)
	s_delay_alu instid0(VALU_DEP_1) | instskip(SKIP_4) | instid1(VALU_DEP_1)
	v_fma_f64 v[1:2], v[9:10], v[93:94], v[1:2]
	scratch_load_b128 v[7:10], off, off offset:104
	s_waitcnt lgkmcnt(0)
	v_fma_f64 v[1:2], v[11:12], v[95:96], v[1:2]
	s_waitcnt vmcnt(4)
	v_fma_f64 v[1:2], v[13:14], v[97:98], v[1:2]
	ds_load_b128 v[11:14], v4 offset:320
	ds_load_b128 v[91:94], v4 offset:336
	scratch_load_b128 v[95:98], off, off offset:120
	s_waitcnt lgkmcnt(1)
	v_fma_f64 v[1:2], v[15:16], v[11:12], v[1:2]
	s_waitcnt vmcnt(4)
	s_delay_alu instid0(VALU_DEP_1) | instskip(SKIP_4) | instid1(VALU_DEP_1)
	v_fma_f64 v[1:2], v[17:18], v[13:14], v[1:2]
	scratch_load_b128 v[11:14], off, off offset:136
	s_waitcnt lgkmcnt(0)
	v_fma_f64 v[1:2], v[19:20], v[91:92], v[1:2]
	s_waitcnt vmcnt(4)
	v_fma_f64 v[1:2], v[87:88], v[93:94], v[1:2]
	ds_load_b128 v[15:18], v4 offset:352
	ds_load_b128 v[91:94], v4 offset:368
	s_waitcnt lgkmcnt(1)
	v_fma_f64 v[1:2], v[89:90], v[15:16], v[1:2]
	scratch_load_b128 v[87:90], off, off offset:152
	s_waitcnt vmcnt(4)
	v_fma_f64 v[1:2], v[99:100], v[17:18], v[1:2]
	scratch_load_b128 v[15:18], off, off offset:168
	s_waitcnt lgkmcnt(0)
	v_fma_f64 v[1:2], v[101:102], v[91:92], v[1:2]
	s_waitcnt vmcnt(4)
	s_delay_alu instid0(VALU_DEP_1)
	v_fma_f64 v[1:2], v[7:8], v[93:94], v[1:2]
	ds_load_b128 v[91:94], v4 offset:384
	ds_load_b128 v[99:102], v4 offset:400
	s_waitcnt lgkmcnt(1)
	v_fma_f64 v[1:2], v[9:10], v[91:92], v[1:2]
	scratch_load_b128 v[7:10], off, off offset:184
	s_waitcnt vmcnt(4)
	v_fma_f64 v[1:2], v[95:96], v[93:94], v[1:2]
	scratch_load_b128 v[91:94], off, off offset:200
	s_waitcnt lgkmcnt(0)
	v_fma_f64 v[1:2], v[97:98], v[99:100], v[1:2]
	s_waitcnt vmcnt(4)
	s_delay_alu instid0(VALU_DEP_1)
	v_fma_f64 v[1:2], v[11:12], v[101:102], v[1:2]
	ds_load_b128 v[95:98], v4 offset:416
	ds_load_b128 v[99:102], v4 offset:432
	s_waitcnt lgkmcnt(1)
	v_fma_f64 v[1:2], v[13:14], v[95:96], v[1:2]
	scratch_load_b128 v[11:14], off, off offset:216
	s_waitcnt vmcnt(4)
	v_fma_f64 v[1:2], v[87:88], v[97:98], v[1:2]
	s_waitcnt lgkmcnt(0)
	s_delay_alu instid0(VALU_DEP_1)
	v_fma_f64 v[1:2], v[89:90], v[99:100], v[1:2]
	scratch_load_b128 v[87:90], off, off offset:232
	s_waitcnt vmcnt(4)
	v_fma_f64 v[1:2], v[15:16], v[101:102], v[1:2]
	ds_load_b128 v[95:98], v4 offset:448
	ds_load_b128 v[99:102], v4 offset:464
	s_waitcnt lgkmcnt(1)
	v_fma_f64 v[1:2], v[17:18], v[95:96], v[1:2]
	scratch_load_b128 v[15:18], off, off offset:248
	s_waitcnt vmcnt(4)
	v_fma_f64 v[1:2], v[7:8], v[97:98], v[1:2]
	s_waitcnt lgkmcnt(0)
	s_delay_alu instid0(VALU_DEP_1)
	v_fma_f64 v[1:2], v[9:10], v[99:100], v[1:2]
	ds_load_b128 v[7:10], v4 offset:480
	ds_load_b128 v[95:98], v4 offset:496
	s_waitcnt vmcnt(3)
	v_fma_f64 v[1:2], v[91:92], v[101:102], v[1:2]
	s_waitcnt lgkmcnt(1)
	s_delay_alu instid0(VALU_DEP_1) | instskip(SKIP_1) | instid1(VALU_DEP_1)
	v_fma_f64 v[1:2], v[93:94], v[7:8], v[1:2]
	s_waitcnt vmcnt(2)
	v_fma_f64 v[1:2], v[11:12], v[9:10], v[1:2]
	ds_load_b128 v[7:10], v4 offset:512
	ds_load_b64 v[11:12], v4 offset:528
	s_waitcnt lgkmcnt(2)
	v_fma_f64 v[1:2], v[13:14], v[95:96], v[1:2]
	s_waitcnt vmcnt(1)
	s_delay_alu instid0(VALU_DEP_1) | instskip(SKIP_1) | instid1(VALU_DEP_1)
	v_fma_f64 v[1:2], v[87:88], v[97:98], v[1:2]
	s_waitcnt lgkmcnt(1)
	v_fma_f64 v[1:2], v[89:90], v[7:8], v[1:2]
	s_waitcnt vmcnt(0)
	s_delay_alu instid0(VALU_DEP_1) | instskip(SKIP_1) | instid1(VALU_DEP_1)
	v_fma_f64 v[1:2], v[15:16], v[9:10], v[1:2]
	s_waitcnt lgkmcnt(0)
	v_fma_f64 v[1:2], v[17:18], v[11:12], v[1:2]
	s_delay_alu instid0(VALU_DEP_1)
	v_add_f64 v[1:2], v[5:6], -v[1:2]
	scratch_store_b64 off, v[1:2], off offset:8
	v_cmpx_ne_u32_e32 0, v0
	s_cbranch_execz .LBB32_207
; %bb.206:
	scratch_load_b64 v[0:1], off, off
	v_mov_b32_e32 v5, v4
	scratch_store_b64 off, v[4:5], off
	s_waitcnt vmcnt(0)
	ds_store_b64 v3, v[0:1]
.LBB32_207:
	s_or_b32 exec_lo, exec_lo, s0
	s_waitcnt lgkmcnt(0)
	s_waitcnt_vscnt null, 0x0
	s_barrier
	buffer_gl0_inv
	s_clause 0x4
	scratch_load_b128 v[5:8], off, off
	scratch_load_b128 v[0:3], off, off offset:16
	scratch_load_b128 v[9:12], off, off offset:32
	;; [unrolled: 1-line block ×4, first 2 shown]
	ds_load_2addr_b64 v[87:90], v4 offset0:35 offset1:36
	ds_load_2addr_b64 v[91:94], v4 offset0:37 offset1:38
	scratch_load_b128 v[95:98], off, off offset:80
	s_and_b32 vcc_lo, exec_lo, s16
	s_waitcnt vmcnt(5) lgkmcnt(1)
	v_fma_f64 v[7:8], v[7:8], v[87:88], 0
	s_waitcnt vmcnt(4)
	s_delay_alu instid0(VALU_DEP_1) | instskip(SKIP_1) | instid1(VALU_DEP_1)
	v_fma_f64 v[0:1], v[0:1], v[89:90], v[7:8]
	s_waitcnt lgkmcnt(0)
	v_fma_f64 v[7:8], v[2:3], v[91:92], v[0:1]
	scratch_load_b128 v[0:3], off, off offset:96
	s_waitcnt vmcnt(4)
	v_fma_f64 v[91:92], v[9:10], v[93:94], v[7:8]
	ds_load_2addr_b64 v[7:10], v4 offset0:39 offset1:40
	ds_load_2addr_b64 v[87:90], v4 offset0:41 offset1:42
	s_waitcnt lgkmcnt(1)
	v_fma_f64 v[7:8], v[11:12], v[7:8], v[91:92]
	scratch_load_b128 v[91:94], off, off offset:112
	s_waitcnt vmcnt(4)
	v_fma_f64 v[7:8], v[13:14], v[9:10], v[7:8]
	s_waitcnt lgkmcnt(0)
	s_delay_alu instid0(VALU_DEP_1)
	v_fma_f64 v[11:12], v[15:16], v[87:88], v[7:8]
	scratch_load_b128 v[7:10], off, off offset:128
	s_waitcnt vmcnt(4)
	v_fma_f64 v[87:88], v[17:18], v[89:90], v[11:12]
	ds_load_2addr_b64 v[11:14], v4 offset0:43 offset1:44
	ds_load_2addr_b64 v[15:18], v4 offset0:45 offset1:46
	s_waitcnt lgkmcnt(1)
	v_fma_f64 v[11:12], v[19:20], v[11:12], v[87:88]
	scratch_load_b128 v[87:90], off, off offset:144
	s_waitcnt vmcnt(4)
	v_fma_f64 v[11:12], v[95:96], v[13:14], v[11:12]
	s_waitcnt lgkmcnt(0)
	s_delay_alu instid0(VALU_DEP_1)
	v_fma_f64 v[15:16], v[97:98], v[15:16], v[11:12]
	scratch_load_b128 v[11:14], off, off offset:160
	s_waitcnt vmcnt(4)
	v_fma_f64 v[0:1], v[0:1], v[17:18], v[15:16]
	ds_load_2addr_b64 v[15:18], v4 offset0:47 offset1:48
	ds_load_2addr_b64 v[95:98], v4 offset0:49 offset1:50
	scratch_load_b128 v[99:102], off, off offset:176
	s_waitcnt lgkmcnt(1)
	v_fma_f64 v[0:1], v[2:3], v[15:16], v[0:1]
	s_waitcnt vmcnt(4)
	s_delay_alu instid0(VALU_DEP_1) | instskip(SKIP_4) | instid1(VALU_DEP_1)
	v_fma_f64 v[0:1], v[91:92], v[17:18], v[0:1]
	scratch_load_b128 v[15:18], off, off offset:192
	s_waitcnt lgkmcnt(0)
	v_fma_f64 v[0:1], v[93:94], v[95:96], v[0:1]
	s_waitcnt vmcnt(4)
	v_fma_f64 v[7:8], v[7:8], v[97:98], v[0:1]
	ds_load_2addr_b64 v[0:3], v4 offset0:51 offset1:52
	ds_load_2addr_b64 v[91:94], v4 offset0:53 offset1:54
	s_waitcnt lgkmcnt(1)
	v_fma_f64 v[0:1], v[9:10], v[0:1], v[7:8]
	scratch_load_b128 v[7:10], off, off offset:208
	s_waitcnt vmcnt(4)
	v_fma_f64 v[0:1], v[87:88], v[2:3], v[0:1]
	s_waitcnt lgkmcnt(0)
	s_delay_alu instid0(VALU_DEP_1)
	v_fma_f64 v[0:1], v[89:90], v[91:92], v[0:1]
	scratch_load_b128 v[87:90], off, off offset:224
	s_waitcnt vmcnt(4)
	v_fma_f64 v[0:1], v[11:12], v[93:94], v[0:1]
	ds_load_2addr_b64 v[91:94], v4 offset0:55 offset1:56
	ds_load_2addr_b64 v[95:98], v4 offset0:57 offset1:58
	scratch_load_b64 v[19:20], off, off offset:256
	s_waitcnt lgkmcnt(1)
	v_fma_f64 v[11:12], v[13:14], v[91:92], v[0:1]
	scratch_load_b128 v[0:3], off, off offset:240
	s_waitcnt vmcnt(5)
	v_fma_f64 v[11:12], v[99:100], v[93:94], v[11:12]
	s_waitcnt lgkmcnt(0)
	s_delay_alu instid0(VALU_DEP_1) | instskip(SKIP_1) | instid1(VALU_DEP_1)
	v_fma_f64 v[11:12], v[101:102], v[95:96], v[11:12]
	s_waitcnt vmcnt(4)
	v_fma_f64 v[15:16], v[15:16], v[97:98], v[11:12]
	ds_load_2addr_b64 v[11:14], v4 offset0:59 offset1:60
	ds_load_2addr_b64 v[91:94], v4 offset0:61 offset1:62
	s_waitcnt lgkmcnt(1)
	v_fma_f64 v[11:12], v[17:18], v[11:12], v[15:16]
	s_waitcnt vmcnt(3)
	s_delay_alu instid0(VALU_DEP_1) | instskip(SKIP_1) | instid1(VALU_DEP_1)
	v_fma_f64 v[7:8], v[7:8], v[13:14], v[11:12]
	s_waitcnt lgkmcnt(0)
	v_fma_f64 v[7:8], v[9:10], v[91:92], v[7:8]
	s_waitcnt vmcnt(2)
	s_delay_alu instid0(VALU_DEP_1)
	v_fma_f64 v[15:16], v[87:88], v[93:94], v[7:8]
	ds_load_2addr_b64 v[7:10], v4 offset0:63 offset1:64
	ds_load_2addr_b64 v[11:14], v4 offset0:65 offset1:66
	s_waitcnt lgkmcnt(1)
	v_fma_f64 v[7:8], v[89:90], v[7:8], v[15:16]
	s_waitcnt vmcnt(0)
	s_delay_alu instid0(VALU_DEP_1) | instskip(SKIP_1) | instid1(VALU_DEP_1)
	v_fma_f64 v[0:1], v[0:1], v[9:10], v[7:8]
	s_waitcnt lgkmcnt(0)
	v_fma_f64 v[0:1], v[2:3], v[11:12], v[0:1]
	s_delay_alu instid0(VALU_DEP_1) | instskip(NEXT) | instid1(VALU_DEP_1)
	v_fma_f64 v[0:1], v[19:20], v[13:14], v[0:1]
	v_add_f64 v[0:1], v[5:6], -v[0:1]
	scratch_store_b64 off, v[0:1], off
	s_cbranch_vccz .LBB32_273
; %bb.208:
	v_dual_mov_b32 v0, s12 :: v_dual_mov_b32 v1, s13
	s_mov_b32 s0, exec_lo
	flat_load_b32 v0, v[0:1] offset:124
	s_waitcnt vmcnt(0) lgkmcnt(0)
	v_cmpx_ne_u32_e32 32, v0
	s_cbranch_execz .LBB32_210
; %bb.209:
	v_lshl_add_u32 v4, v0, 3, 0
	scratch_load_b64 v[0:1], v4, off offset:-8
	s_waitcnt vmcnt(0)
	scratch_store_b64 off, v[0:1], off offset:248
	scratch_store_b64 v4, v[2:3], off offset:-8
.LBB32_210:
	s_or_b32 exec_lo, exec_lo, s0
	v_dual_mov_b32 v0, s12 :: v_dual_mov_b32 v1, s13
	s_mov_b32 s0, exec_lo
	flat_load_b32 v0, v[0:1] offset:120
	s_waitcnt vmcnt(0) lgkmcnt(0)
	v_cmpx_ne_u32_e32 31, v0
	s_cbranch_execz .LBB32_212
; %bb.211:
	v_lshl_add_u32 v4, v0, 3, 0
	scratch_load_b64 v[0:1], v4, off offset:-8
	scratch_load_b64 v[2:3], off, off offset:240
	s_waitcnt vmcnt(1)
	scratch_store_b64 off, v[0:1], off offset:240
	s_waitcnt vmcnt(0)
	scratch_store_b64 v4, v[2:3], off offset:-8
.LBB32_212:
	s_or_b32 exec_lo, exec_lo, s0
	v_dual_mov_b32 v0, s12 :: v_dual_mov_b32 v1, s13
	s_mov_b32 s0, exec_lo
	flat_load_b32 v0, v[0:1] offset:116
	s_waitcnt vmcnt(0) lgkmcnt(0)
	v_cmpx_ne_u32_e32 30, v0
	s_cbranch_execz .LBB32_214
; %bb.213:
	v_lshl_add_u32 v4, v0, 3, 0
	scratch_load_b64 v[0:1], v4, off offset:-8
	scratch_load_b64 v[2:3], off, off offset:232
	s_waitcnt vmcnt(1)
	scratch_store_b64 off, v[0:1], off offset:232
	s_waitcnt vmcnt(0)
	scratch_store_b64 v4, v[2:3], off offset:-8
.LBB32_214:
	;; [unrolled: 16-line block ×30, first 2 shown]
	s_or_b32 exec_lo, exec_lo, s0
	v_dual_mov_b32 v0, s12 :: v_dual_mov_b32 v1, s13
	s_mov_b32 s0, exec_lo
	flat_load_b32 v2, v[0:1]
	scratch_load_b64 v[0:1], off, off
	s_waitcnt vmcnt(1) lgkmcnt(0)
	v_cmpx_ne_u32_e32 1, v2
	s_cbranch_execz .LBB32_272
; %bb.271:
	v_lshl_add_u32 v4, v2, 3, 0
	scratch_load_b64 v[2:3], v4, off offset:-8
	s_waitcnt vmcnt(0)
	scratch_store_b64 off, v[2:3], off
	scratch_store_b64 v4, v[0:1], off offset:-8
	scratch_load_b64 v[0:1], off, off
.LBB32_272:
	s_or_b32 exec_lo, exec_lo, s0
.LBB32_273:
	s_clause 0xa
	scratch_load_b128 v[2:5], off, off offset:8
	scratch_load_b128 v[6:9], off, off offset:24
	;; [unrolled: 1-line block ×11, first 2 shown]
	s_waitcnt vmcnt(11)
	global_store_b64 v[21:22], v[0:1], off
	s_clause 0x1
	scratch_load_b128 v[18:21], off, off offset:184
	scratch_load_b128 v[115:118], off, off offset:216
	s_waitcnt vmcnt(12)
	global_store_b64 v[25:26], v[2:3], off
	scratch_load_b128 v[0:3], off, off offset:200
	global_store_b64 v[29:30], v[4:5], off
	s_waitcnt vmcnt(12)
	global_store_b64 v[23:24], v[6:7], off
	s_clause 0x1
	scratch_load_b128 v[4:7], off, off offset:232
	scratch_load_b128 v[22:25], off, off offset:248
	global_store_b64 v[27:28], v[8:9], off
	s_waitcnt vmcnt(13)
	s_clause 0x1
	global_store_b64 v[31:32], v[10:11], off
	global_store_b64 v[33:34], v[12:13], off
	s_waitcnt vmcnt(12)
	s_clause 0x1
	global_store_b64 v[35:36], v[14:15], off
	;; [unrolled: 4-line block ×11, first 2 shown]
	global_store_b64 v[73:74], v[2:3], off
	global_store_b64 v[75:76], v[115:116], off
	;; [unrolled: 1-line block ×3, first 2 shown]
	s_waitcnt vmcnt(1)
	s_clause 0x1
	global_store_b64 v[83:84], v[4:5], off
	global_store_b64 v[85:86], v[6:7], off
	s_waitcnt vmcnt(0)
	s_clause 0x1
	global_store_b64 v[79:80], v[22:23], off
	global_store_b64 v[81:82], v[24:25], off
	s_endpgm
	.section	.rodata,"a",@progbits
	.p2align	6, 0x0
	.amdhsa_kernel _ZN9rocsolver6v33100L18getri_kernel_smallILi33EdPdEEvT1_iilPiilS4_bb
		.amdhsa_group_segment_fixed_size 536
		.amdhsa_private_segment_fixed_size 272
		.amdhsa_kernarg_size 60
		.amdhsa_user_sgpr_count 15
		.amdhsa_user_sgpr_dispatch_ptr 0
		.amdhsa_user_sgpr_queue_ptr 0
		.amdhsa_user_sgpr_kernarg_segment_ptr 1
		.amdhsa_user_sgpr_dispatch_id 0
		.amdhsa_user_sgpr_private_segment_size 0
		.amdhsa_wavefront_size32 1
		.amdhsa_uses_dynamic_stack 0
		.amdhsa_enable_private_segment 1
		.amdhsa_system_sgpr_workgroup_id_x 1
		.amdhsa_system_sgpr_workgroup_id_y 0
		.amdhsa_system_sgpr_workgroup_id_z 0
		.amdhsa_system_sgpr_workgroup_info 0
		.amdhsa_system_vgpr_workitem_id 0
		.amdhsa_next_free_vgpr 119
		.amdhsa_next_free_sgpr 18
		.amdhsa_reserve_vcc 1
		.amdhsa_float_round_mode_32 0
		.amdhsa_float_round_mode_16_64 0
		.amdhsa_float_denorm_mode_32 3
		.amdhsa_float_denorm_mode_16_64 3
		.amdhsa_dx10_clamp 1
		.amdhsa_ieee_mode 1
		.amdhsa_fp16_overflow 0
		.amdhsa_workgroup_processor_mode 1
		.amdhsa_memory_ordered 1
		.amdhsa_forward_progress 0
		.amdhsa_shared_vgpr_count 0
		.amdhsa_exception_fp_ieee_invalid_op 0
		.amdhsa_exception_fp_denorm_src 0
		.amdhsa_exception_fp_ieee_div_zero 0
		.amdhsa_exception_fp_ieee_overflow 0
		.amdhsa_exception_fp_ieee_underflow 0
		.amdhsa_exception_fp_ieee_inexact 0
		.amdhsa_exception_int_div_zero 0
	.end_amdhsa_kernel
	.section	.text._ZN9rocsolver6v33100L18getri_kernel_smallILi33EdPdEEvT1_iilPiilS4_bb,"axG",@progbits,_ZN9rocsolver6v33100L18getri_kernel_smallILi33EdPdEEvT1_iilPiilS4_bb,comdat
.Lfunc_end32:
	.size	_ZN9rocsolver6v33100L18getri_kernel_smallILi33EdPdEEvT1_iilPiilS4_bb, .Lfunc_end32-_ZN9rocsolver6v33100L18getri_kernel_smallILi33EdPdEEvT1_iilPiilS4_bb
                                        ; -- End function
	.section	.AMDGPU.csdata,"",@progbits
; Kernel info:
; codeLenInByte = 26000
; NumSgprs: 20
; NumVgprs: 119
; ScratchSize: 272
; MemoryBound: 0
; FloatMode: 240
; IeeeMode: 1
; LDSByteSize: 536 bytes/workgroup (compile time only)
; SGPRBlocks: 2
; VGPRBlocks: 14
; NumSGPRsForWavesPerEU: 20
; NumVGPRsForWavesPerEU: 119
; Occupancy: 12
; WaveLimiterHint : 1
; COMPUTE_PGM_RSRC2:SCRATCH_EN: 1
; COMPUTE_PGM_RSRC2:USER_SGPR: 15
; COMPUTE_PGM_RSRC2:TRAP_HANDLER: 0
; COMPUTE_PGM_RSRC2:TGID_X_EN: 1
; COMPUTE_PGM_RSRC2:TGID_Y_EN: 0
; COMPUTE_PGM_RSRC2:TGID_Z_EN: 0
; COMPUTE_PGM_RSRC2:TIDIG_COMP_CNT: 0
	.section	.text._ZN9rocsolver6v33100L18getri_kernel_smallILi34EdPdEEvT1_iilPiilS4_bb,"axG",@progbits,_ZN9rocsolver6v33100L18getri_kernel_smallILi34EdPdEEvT1_iilPiilS4_bb,comdat
	.globl	_ZN9rocsolver6v33100L18getri_kernel_smallILi34EdPdEEvT1_iilPiilS4_bb ; -- Begin function _ZN9rocsolver6v33100L18getri_kernel_smallILi34EdPdEEvT1_iilPiilS4_bb
	.p2align	8
	.type	_ZN9rocsolver6v33100L18getri_kernel_smallILi34EdPdEEvT1_iilPiilS4_bb,@function
_ZN9rocsolver6v33100L18getri_kernel_smallILi34EdPdEEvT1_iilPiilS4_bb: ; @_ZN9rocsolver6v33100L18getri_kernel_smallILi34EdPdEEvT1_iilPiilS4_bb
; %bb.0:
	s_mov_b32 s2, exec_lo
	v_cmpx_gt_u32_e32 34, v0
	s_cbranch_execz .LBB33_146
; %bb.1:
	s_clause 0x2
	s_load_b32 s17, s[0:1], 0x38
	s_load_b128 s[8:11], s[0:1], 0x10
	s_load_b128 s[4:7], s[0:1], 0x28
	s_mov_b32 s14, s15
                                        ; implicit-def: $sgpr12_sgpr13
	s_waitcnt lgkmcnt(0)
	s_bitcmp1_b32 s17, 8
	s_cselect_b32 s16, -1, 0
	s_bfe_u32 s2, s17, 0x10008
	s_ashr_i32 s15, s15, 31
	s_cmp_eq_u32 s2, 0
	s_cbranch_scc1 .LBB33_3
; %bb.2:
	s_load_b32 s2, s[0:1], 0x20
	s_mul_i32 s3, s14, s5
	s_mul_hi_u32 s5, s14, s4
	s_mul_i32 s12, s15, s4
	s_add_i32 s3, s5, s3
	s_mul_i32 s4, s14, s4
	s_add_i32 s5, s3, s12
	s_delay_alu instid0(SALU_CYCLE_1)
	s_lshl_b64 s[4:5], s[4:5], 2
	s_waitcnt lgkmcnt(0)
	s_ashr_i32 s3, s2, 31
	s_add_u32 s4, s10, s4
	s_addc_u32 s5, s11, s5
	s_lshl_b64 s[2:3], s[2:3], 2
	s_delay_alu instid0(SALU_CYCLE_1)
	s_add_u32 s12, s4, s2
	s_addc_u32 s13, s5, s3
.LBB33_3:
	s_load_b128 s[0:3], s[0:1], 0x0
	s_mul_i32 s4, s14, s9
	s_mul_hi_u32 s5, s14, s8
	s_mul_i32 s9, s15, s8
	s_add_i32 s5, s5, s4
	s_mul_i32 s4, s14, s8
	s_add_i32 s5, s5, s9
	v_lshlrev_b32_e32 v73, 3, v0
	s_lshl_b64 s[4:5], s[4:5], 3
	s_waitcnt lgkmcnt(0)
	v_add3_u32 v3, s3, s3, v0
	s_ashr_i32 s9, s2, 31
	s_mov_b32 s8, s2
	s_add_u32 s2, s0, s4
	s_addc_u32 s5, s1, s5
	v_add_nc_u32_e32 v5, s3, v3
	s_lshl_b64 s[0:1], s[8:9], 3
	v_ashrrev_i32_e32 v4, 31, v3
	s_add_u32 s0, s2, s0
	s_addc_u32 s1, s5, s1
	v_add_nc_u32_e32 v7, s3, v5
	v_add_co_u32 v15, s2, s0, v73
	s_mov_b32 s4, s3
	s_ashr_i32 s5, s3, 31
	s_delay_alu instid0(VALU_DEP_2) | instskip(SKIP_3) | instid1(VALU_DEP_3)
	v_add_nc_u32_e32 v11, s3, v7
	v_add_co_ci_u32_e64 v16, null, s1, 0, s2
	s_lshl_b64 s[4:5], s[4:5], 3
	v_ashrrev_i32_e32 v6, 31, v5
	v_add_nc_u32_e32 v25, s3, v11
	v_add_co_u32 v21, vcc_lo, v15, s4
	v_lshlrev_b64 v[9:10], 3, v[3:4]
	v_add_co_ci_u32_e32 v22, vcc_lo, s5, v16, vcc_lo
	v_lshlrev_b64 v[5:6], 3, v[5:6]
	v_ashrrev_i32_e32 v8, 31, v7
	v_add_nc_u32_e32 v27, s3, v25
	v_add_co_u32 v23, vcc_lo, s0, v9
	v_ashrrev_i32_e32 v12, 31, v11
	s_clause 0x1
	global_load_b64 v[1:2], v73, s[0:1]
	global_load_b64 v[3:4], v[21:22], off
	v_add_co_ci_u32_e32 v24, vcc_lo, s1, v10, vcc_lo
	v_lshlrev_b64 v[7:8], 3, v[7:8]
	v_add_co_u32 v19, vcc_lo, s0, v5
	v_add_nc_u32_e32 v29, s3, v27
	v_add_co_ci_u32_e32 v20, vcc_lo, s1, v6, vcc_lo
	v_lshlrev_b64 v[5:6], 3, v[11:12]
	v_ashrrev_i32_e32 v26, 31, v25
	v_add_co_u32 v17, vcc_lo, s0, v7
	v_add_nc_u32_e32 v33, s3, v29
	v_add_co_ci_u32_e32 v18, vcc_lo, s1, v8, vcc_lo
	v_ashrrev_i32_e32 v28, 31, v27
	v_add_co_u32 v13, vcc_lo, s0, v5
	v_lshlrev_b64 v[25:26], 3, v[25:26]
	v_add_co_ci_u32_e32 v14, vcc_lo, s1, v6, vcc_lo
	v_ashrrev_i32_e32 v30, 31, v29
	v_ashrrev_i32_e32 v34, 31, v33
	v_lshlrev_b64 v[27:28], 3, v[27:28]
	s_clause 0x3
	global_load_b64 v[5:6], v[23:24], off
	global_load_b64 v[7:8], v[19:20], off
	;; [unrolled: 1-line block ×4, first 2 shown]
	v_add_co_u32 v25, vcc_lo, s0, v25
	v_lshlrev_b64 v[29:30], 3, v[29:30]
	v_lshlrev_b64 v[31:32], 3, v[33:34]
	v_add_nc_u32_e32 v33, s3, v33
	v_add_co_ci_u32_e32 v26, vcc_lo, s1, v26, vcc_lo
	v_add_co_u32 v27, vcc_lo, s0, v27
	v_add_co_ci_u32_e32 v28, vcc_lo, s1, v28, vcc_lo
	s_delay_alu instid0(VALU_DEP_4)
	v_add_nc_u32_e32 v37, s3, v33
	v_add_co_u32 v29, vcc_lo, s0, v29
	v_ashrrev_i32_e32 v34, 31, v33
	v_add_co_ci_u32_e32 v30, vcc_lo, s1, v30, vcc_lo
	v_add_co_u32 v31, vcc_lo, s0, v31
	v_ashrrev_i32_e32 v38, 31, v37
	v_add_co_ci_u32_e32 v32, vcc_lo, s1, v32, vcc_lo
	v_lshlrev_b64 v[33:34], 3, v[33:34]
	s_clause 0x3
	global_load_b64 v[65:66], v[25:26], off
	global_load_b64 v[67:68], v[27:28], off
	;; [unrolled: 1-line block ×4, first 2 shown]
	v_lshlrev_b64 v[35:36], 3, v[37:38]
	v_add_nc_u32_e32 v37, s3, v37
	s_bitcmp0_b32 s17, 0
	v_add_co_u32 v33, vcc_lo, s0, v33
	v_add_co_ci_u32_e32 v34, vcc_lo, s1, v34, vcc_lo
	s_delay_alu instid0(VALU_DEP_4)
	v_add_co_u32 v35, vcc_lo, s0, v35
	v_add_co_ci_u32_e32 v36, vcc_lo, s1, v36, vcc_lo
	s_clause 0x1
	global_load_b64 v[74:75], v[33:34], off
	global_load_b64 v[76:77], v[35:36], off
	v_add_nc_u32_e32 v39, s3, v37
	v_ashrrev_i32_e32 v38, 31, v37
	s_delay_alu instid0(VALU_DEP_2) | instskip(SKIP_1) | instid1(VALU_DEP_3)
	v_add_nc_u32_e32 v41, s3, v39
	v_ashrrev_i32_e32 v40, 31, v39
	v_lshlrev_b64 v[37:38], 3, v[37:38]
	s_delay_alu instid0(VALU_DEP_3) | instskip(SKIP_1) | instid1(VALU_DEP_4)
	v_add_nc_u32_e32 v43, s3, v41
	v_ashrrev_i32_e32 v42, 31, v41
	v_lshlrev_b64 v[39:40], 3, v[39:40]
	s_delay_alu instid0(VALU_DEP_4) | instskip(NEXT) | instid1(VALU_DEP_4)
	v_add_co_u32 v37, vcc_lo, s0, v37
	v_add_nc_u32_e32 v45, s3, v43
	v_ashrrev_i32_e32 v44, 31, v43
	v_lshlrev_b64 v[41:42], 3, v[41:42]
	v_add_co_ci_u32_e32 v38, vcc_lo, s1, v38, vcc_lo
	s_delay_alu instid0(VALU_DEP_4) | instskip(SKIP_3) | instid1(VALU_DEP_4)
	v_add_nc_u32_e32 v47, s3, v45
	v_ashrrev_i32_e32 v46, 31, v45
	v_add_co_u32 v39, vcc_lo, s0, v39
	v_lshlrev_b64 v[43:44], 3, v[43:44]
	v_add_nc_u32_e32 v49, s3, v47
	v_ashrrev_i32_e32 v48, 31, v47
	v_add_co_ci_u32_e32 v40, vcc_lo, s1, v40, vcc_lo
	v_add_co_u32 v41, vcc_lo, s0, v41
	s_delay_alu instid0(VALU_DEP_4) | instskip(SKIP_3) | instid1(VALU_DEP_4)
	v_add_nc_u32_e32 v51, s3, v49
	v_lshlrev_b64 v[45:46], 3, v[45:46]
	v_ashrrev_i32_e32 v50, 31, v49
	v_add_co_ci_u32_e32 v42, vcc_lo, s1, v42, vcc_lo
	v_add_nc_u32_e32 v53, s3, v51
	v_add_co_u32 v43, vcc_lo, s0, v43
	v_lshlrev_b64 v[47:48], 3, v[47:48]
	v_ashrrev_i32_e32 v52, 31, v51
	s_delay_alu instid0(VALU_DEP_4) | instskip(SKIP_2) | instid1(VALU_DEP_3)
	v_add_nc_u32_e32 v55, s3, v53
	v_add_co_ci_u32_e32 v44, vcc_lo, s1, v44, vcc_lo
	v_add_co_u32 v45, vcc_lo, s0, v45
	v_add_nc_u32_e32 v57, s3, v55
	v_lshlrev_b64 v[49:50], 3, v[49:50]
	v_ashrrev_i32_e32 v54, 31, v53
	v_add_co_ci_u32_e32 v46, vcc_lo, s1, v46, vcc_lo
	s_delay_alu instid0(VALU_DEP_4) | instskip(SKIP_3) | instid1(VALU_DEP_4)
	v_add_nc_u32_e32 v59, s3, v57
	v_add_co_u32 v47, vcc_lo, s0, v47
	v_lshlrev_b64 v[51:52], 3, v[51:52]
	v_add_co_ci_u32_e32 v48, vcc_lo, s1, v48, vcc_lo
	v_add_nc_u32_e32 v61, s3, v59
	v_add_co_u32 v49, vcc_lo, s0, v49
	v_lshlrev_b64 v[53:54], 3, v[53:54]
	v_ashrrev_i32_e32 v56, 31, v55
	s_delay_alu instid0(VALU_DEP_4) | instskip(SKIP_2) | instid1(VALU_DEP_3)
	v_add_nc_u32_e32 v63, s3, v61
	v_add_co_ci_u32_e32 v50, vcc_lo, s1, v50, vcc_lo
	v_add_co_u32 v51, vcc_lo, s0, v51
	v_add_nc_u32_e32 v90, s3, v63
	v_ashrrev_i32_e32 v58, 31, v57
	v_add_co_ci_u32_e32 v52, vcc_lo, s1, v52, vcc_lo
	v_lshlrev_b64 v[91:92], 3, v[55:56]
	s_delay_alu instid0(VALU_DEP_4) | instskip(SKIP_3) | instid1(VALU_DEP_4)
	v_add_nc_u32_e32 v108, s3, v90
	v_add_co_u32 v55, vcc_lo, s0, v53
	v_ashrrev_i32_e32 v60, 31, v59
	v_add_co_ci_u32_e32 v56, vcc_lo, s1, v54, vcc_lo
	v_add_nc_u32_e32 v110, s3, v108
	v_lshlrev_b64 v[100:101], 3, v[57:58]
	s_clause 0x4
	global_load_b64 v[78:79], v[37:38], off
	global_load_b64 v[80:81], v[39:40], off
	;; [unrolled: 1-line block ×5, first 2 shown]
	v_ashrrev_i32_e32 v62, 31, v61
	v_add_nc_u32_e32 v112, s3, v110
	v_ashrrev_i32_e32 v64, 31, v63
	v_ashrrev_i32_e32 v109, 31, v108
	;; [unrolled: 1-line block ×3, first 2 shown]
	s_delay_alu instid0(VALU_DEP_4) | instskip(SKIP_1) | instid1(VALU_DEP_2)
	v_add_nc_u32_e32 v114, s3, v112
	v_ashrrev_i32_e32 v113, 31, v112
	v_add_nc_u32_e32 v116, s3, v114
	v_ashrrev_i32_e32 v115, 31, v114
	s_delay_alu instid0(VALU_DEP_2) | instskip(SKIP_1) | instid1(VALU_DEP_2)
	v_add_nc_u32_e32 v118, s3, v116
	v_ashrrev_i32_e32 v117, 31, v116
	v_add_nc_u32_e32 v88, s3, v118
	v_ashrrev_i32_e32 v119, 31, v118
	s_delay_alu instid0(VALU_DEP_2) | instskip(NEXT) | instid1(VALU_DEP_1)
	v_ashrrev_i32_e32 v89, 31, v88
	v_lshlrev_b64 v[88:89], 3, v[88:89]
	s_delay_alu instid0(VALU_DEP_1) | instskip(NEXT) | instid1(VALU_DEP_2)
	v_add_co_u32 v53, vcc_lo, s0, v88
	v_add_co_ci_u32_e32 v54, vcc_lo, s1, v89, vcc_lo
	v_add_co_u32 v57, vcc_lo, s0, v91
	v_add_co_ci_u32_e32 v58, vcc_lo, s1, v92, vcc_lo
	v_ashrrev_i32_e32 v91, 31, v90
	global_load_b64 v[92:93], v[53:54], off
	v_lshlrev_b64 v[90:91], 3, v[90:91]
	s_waitcnt vmcnt(16)
	scratch_store_b128 off, v[1:4], off
	v_lshlrev_b64 v[1:2], 3, v[59:60]
	v_add_co_u32 v59, vcc_lo, s0, v100
	v_add_co_ci_u32_e32 v60, vcc_lo, s1, v101, vcc_lo
	v_lshlrev_b64 v[3:4], 3, v[61:62]
	s_delay_alu instid0(VALU_DEP_4) | instskip(SKIP_2) | instid1(VALU_DEP_4)
	v_add_co_u32 v61, vcc_lo, s0, v1
	v_add_co_ci_u32_e32 v62, vcc_lo, s1, v2, vcc_lo
	v_lshlrev_b64 v[1:2], 3, v[63:64]
	v_add_co_u32 v63, vcc_lo, s0, v3
	v_add_co_ci_u32_e32 v64, vcc_lo, s1, v4, vcc_lo
	s_clause 0x3
	global_load_b64 v[88:89], v[47:48], off
	global_load_b64 v[94:95], v[49:50], off
	;; [unrolled: 1-line block ×4, first 2 shown]
	v_add_co_u32 v4, vcc_lo, s0, v1
	s_waitcnt vmcnt(18)
	scratch_store_b128 off, v[5:8], off offset:16
	s_waitcnt vmcnt(16)
	scratch_store_b128 off, v[9:12], off offset:32
	v_add_co_ci_u32_e32 v5, vcc_lo, s1, v2, vcc_lo
	v_lshlrev_b64 v[1:2], 3, v[108:109]
	v_add_co_u32 v6, vcc_lo, s0, v90
	v_add_co_ci_u32_e32 v7, vcc_lo, s1, v91, vcc_lo
	v_lshlrev_b64 v[10:11], 3, v[110:111]
	s_delay_alu instid0(VALU_DEP_4) | instskip(SKIP_2) | instid1(VALU_DEP_4)
	v_add_co_u32 v8, vcc_lo, s0, v1
	v_add_co_ci_u32_e32 v9, vcc_lo, s1, v2, vcc_lo
	v_lshlrev_b64 v[1:2], 3, v[112:113]
	v_add_co_u32 v10, vcc_lo, s0, v10
	v_add_co_ci_u32_e32 v11, vcc_lo, s1, v11, vcc_lo
	v_lshlrev_b64 v[90:91], 3, v[114:115]
	s_clause 0x3
	global_load_b64 v[100:101], v[57:58], off
	global_load_b64 v[102:103], v[59:60], off
	;; [unrolled: 1-line block ×4, first 2 shown]
	s_waitcnt vmcnt(18)
	scratch_store_b128 off, v[65:68], off offset:48
	s_waitcnt vmcnt(16)
	scratch_store_b128 off, v[69:72], off offset:64
	v_add_co_u32 v65, vcc_lo, s0, v1
	v_add_co_ci_u32_e32 v66, vcc_lo, s1, v2, vcc_lo
	v_lshlrev_b64 v[1:2], 3, v[116:117]
	v_add_co_u32 v67, vcc_lo, s0, v90
	v_lshlrev_b64 v[71:72], 3, v[118:119]
	v_add_co_ci_u32_e32 v68, vcc_lo, s1, v91, vcc_lo
	s_delay_alu instid0(VALU_DEP_4) | instskip(SKIP_1) | instid1(VALU_DEP_4)
	v_add_co_u32 v69, vcc_lo, s0, v1
	v_add_co_ci_u32_e32 v70, vcc_lo, s1, v2, vcc_lo
	v_add_co_u32 v71, vcc_lo, s0, v71
	v_add_co_ci_u32_e32 v72, vcc_lo, s1, v72, vcc_lo
	s_clause 0x3
	global_load_b64 v[108:109], v[4:5], off
	global_load_b64 v[110:111], v[6:7], off
	;; [unrolled: 1-line block ×4, first 2 shown]
	s_waitcnt vmcnt(18)
	scratch_store_b128 off, v[74:77], off offset:80
	s_clause 0x3
	global_load_b64 v[116:117], v[65:66], off
	global_load_b64 v[74:75], v[67:68], off
	;; [unrolled: 1-line block ×4, first 2 shown]
	s_mov_b32 s1, -1
	s_waitcnt vmcnt(20)
	scratch_store_b128 off, v[78:81], off offset:96
	s_waitcnt vmcnt(18)
	scratch_store_b128 off, v[82:85], off offset:112
	;; [unrolled: 2-line block ×11, first 2 shown]
	s_cbranch_scc1 .LBB33_144
; %bb.4:
	v_cmp_eq_u32_e64 s0, 0, v0
	s_delay_alu instid0(VALU_DEP_1)
	s_and_saveexec_b32 s1, s0
	s_cbranch_execz .LBB33_6
; %bb.5:
	v_mov_b32_e32 v1, 0
	ds_store_b32 v1, v1 offset:544
.LBB33_6:
	s_or_b32 exec_lo, exec_lo, s1
	s_waitcnt lgkmcnt(0)
	s_waitcnt_vscnt null, 0x0
	s_barrier
	buffer_gl0_inv
	scratch_load_b64 v[1:2], v73, off
	s_mov_b32 s2, exec_lo
	s_waitcnt vmcnt(0)
	v_cmpx_eq_f64_e32 0, v[1:2]
	s_cbranch_execz .LBB33_10
; %bb.7:
	v_mov_b32_e32 v1, 0
	s_mov_b32 s3, 0
	ds_load_b32 v2, v1 offset:544
	s_waitcnt lgkmcnt(0)
	v_readfirstlane_b32 s1, v2
	v_add_nc_u32_e32 v2, 1, v0
	s_delay_alu instid0(VALU_DEP_2) | instskip(NEXT) | instid1(VALU_DEP_1)
	s_cmp_eq_u32 s1, 0
	v_cmp_gt_i32_e32 vcc_lo, s1, v2
	s_cselect_b32 s4, -1, 0
	s_delay_alu instid0(SALU_CYCLE_1) | instskip(NEXT) | instid1(SALU_CYCLE_1)
	s_or_b32 s4, s4, vcc_lo
	s_and_b32 exec_lo, exec_lo, s4
	s_cbranch_execz .LBB33_10
; %bb.8:
	v_mov_b32_e32 v3, s1
.LBB33_9:                               ; =>This Inner Loop Header: Depth=1
	ds_cmpstore_rtn_b32 v3, v1, v2, v3 offset:544
	s_waitcnt lgkmcnt(0)
	v_cmp_ne_u32_e32 vcc_lo, 0, v3
	v_cmp_le_i32_e64 s1, v3, v2
	s_delay_alu instid0(VALU_DEP_1) | instskip(NEXT) | instid1(SALU_CYCLE_1)
	s_and_b32 s1, vcc_lo, s1
	s_and_b32 s1, exec_lo, s1
	s_delay_alu instid0(SALU_CYCLE_1) | instskip(NEXT) | instid1(SALU_CYCLE_1)
	s_or_b32 s3, s1, s3
	s_and_not1_b32 exec_lo, exec_lo, s3
	s_cbranch_execnz .LBB33_9
.LBB33_10:
	s_or_b32 exec_lo, exec_lo, s2
	v_mov_b32_e32 v1, 0
	s_barrier
	buffer_gl0_inv
	ds_load_b32 v2, v1 offset:544
	s_and_saveexec_b32 s1, s0
	s_cbranch_execz .LBB33_12
; %bb.11:
	s_lshl_b64 s[2:3], s[14:15], 2
	s_delay_alu instid0(SALU_CYCLE_1)
	s_add_u32 s2, s6, s2
	s_addc_u32 s3, s7, s3
	s_waitcnt lgkmcnt(0)
	global_store_b32 v1, v2, s[2:3]
.LBB33_12:
	s_or_b32 exec_lo, exec_lo, s1
	s_waitcnt lgkmcnt(0)
	v_cmp_ne_u32_e32 vcc_lo, 0, v2
	s_mov_b32 s1, 0
	s_cbranch_vccnz .LBB33_144
; %bb.13:
	v_add_nc_u32_e32 v3, 0, v73
	v_add_nc_u32_e32 v12, 0x110, v73
	scratch_load_b64 v[1:2], v3, off
	s_waitcnt vmcnt(0)
	v_div_scale_f64 v[74:75], null, v[1:2], v[1:2], 1.0
	v_div_scale_f64 v[80:81], vcc_lo, 1.0, v[1:2], 1.0
	s_delay_alu instid0(VALU_DEP_2) | instskip(SKIP_2) | instid1(VALU_DEP_1)
	v_rcp_f64_e32 v[76:77], v[74:75]
	s_waitcnt_depctr 0xfff
	v_fma_f64 v[78:79], -v[74:75], v[76:77], 1.0
	v_fma_f64 v[76:77], v[76:77], v[78:79], v[76:77]
	s_delay_alu instid0(VALU_DEP_1) | instskip(NEXT) | instid1(VALU_DEP_1)
	v_fma_f64 v[78:79], -v[74:75], v[76:77], 1.0
	v_fma_f64 v[76:77], v[76:77], v[78:79], v[76:77]
	s_delay_alu instid0(VALU_DEP_1) | instskip(NEXT) | instid1(VALU_DEP_1)
	v_mul_f64 v[78:79], v[80:81], v[76:77]
	v_fma_f64 v[74:75], -v[74:75], v[78:79], v[80:81]
	s_delay_alu instid0(VALU_DEP_1) | instskip(NEXT) | instid1(VALU_DEP_1)
	v_div_fmas_f64 v[74:75], v[74:75], v[76:77], v[78:79]
	v_div_fixup_f64 v[1:2], v[74:75], v[1:2], 1.0
	scratch_store_b64 v3, v[1:2], off
	scratch_load_b64 v[74:75], off, off offset:8
	v_xor_b32_e32 v2, 0x80000000, v2
	s_waitcnt vmcnt(0)
	ds_store_2addr_b64 v73, v[1:2], v[74:75] offset1:34
	s_waitcnt lgkmcnt(0)
	s_waitcnt_vscnt null, 0x0
	s_barrier
	buffer_gl0_inv
	s_and_saveexec_b32 s1, s0
	s_cbranch_execz .LBB33_15
; %bb.14:
	scratch_load_b64 v[1:2], v3, off
	ds_load_b64 v[74:75], v12
	s_waitcnt vmcnt(0) lgkmcnt(0)
	v_fma_f64 v[1:2], v[1:2], v[74:75], 0
	v_mov_b32_e32 v74, 0
	ds_load_b64 v[74:75], v74 offset:8
	s_waitcnt lgkmcnt(0)
	v_mul_f64 v[1:2], v[1:2], v[74:75]
	scratch_store_b64 off, v[1:2], off offset:8
.LBB33_15:
	s_or_b32 exec_lo, exec_lo, s1
	s_waitcnt_vscnt null, 0x0
	s_barrier
	buffer_gl0_inv
	scratch_load_b64 v[1:2], off, off offset:16
	s_mov_b32 s1, exec_lo
	s_waitcnt vmcnt(0)
	ds_store_b64 v12, v[1:2]
	s_waitcnt lgkmcnt(0)
	s_barrier
	buffer_gl0_inv
	v_cmpx_gt_u32_e32 2, v0
	s_cbranch_execz .LBB33_19
; %bb.16:
	scratch_load_b64 v[1:2], v3, off
	ds_load_b64 v[74:75], v12
	s_waitcnt vmcnt(0) lgkmcnt(0)
	v_fma_f64 v[1:2], v[1:2], v[74:75], 0
	s_and_saveexec_b32 s2, s0
	s_cbranch_execz .LBB33_18
; %bb.17:
	scratch_load_b64 v[74:75], off, off offset:8
	v_mov_b32_e32 v76, 0
	ds_load_b64 v[76:77], v76 offset:280
	s_waitcnt vmcnt(0) lgkmcnt(0)
	v_fma_f64 v[1:2], v[74:75], v[76:77], v[1:2]
.LBB33_18:
	s_or_b32 exec_lo, exec_lo, s2
	v_mov_b32_e32 v74, 0
	ds_load_b64 v[74:75], v74 offset:16
	s_waitcnt lgkmcnt(0)
	v_mul_f64 v[1:2], v[1:2], v[74:75]
	scratch_store_b64 off, v[1:2], off offset:16
.LBB33_19:
	s_or_b32 exec_lo, exec_lo, s1
	s_waitcnt_vscnt null, 0x0
	s_barrier
	buffer_gl0_inv
	scratch_load_b64 v[1:2], off, off offset:24
	v_add_nc_u32_e32 v74, -1, v0
	s_mov_b32 s0, exec_lo
	s_waitcnt vmcnt(0)
	ds_store_b64 v12, v[1:2]
	s_waitcnt lgkmcnt(0)
	s_barrier
	buffer_gl0_inv
	v_cmpx_gt_u32_e32 3, v0
	s_cbranch_execz .LBB33_23
; %bb.20:
	v_dual_mov_b32 v1, 0 :: v_dual_add_nc_u32 v76, 0x110, v73
	v_dual_mov_b32 v2, 0 :: v_dual_add_nc_u32 v75, -1, v0
	v_add_nc_u32_e32 v77, 0, v73
	s_mov_b32 s1, 0
.LBB33_21:                              ; =>This Inner Loop Header: Depth=1
	scratch_load_b64 v[78:79], v77, off
	ds_load_b64 v[80:81], v76
	v_add_nc_u32_e32 v75, 1, v75
	v_add_nc_u32_e32 v76, 8, v76
	v_add_nc_u32_e32 v77, 8, v77
	s_delay_alu instid0(VALU_DEP_3)
	v_cmp_lt_u32_e32 vcc_lo, 1, v75
	s_or_b32 s1, vcc_lo, s1
	s_waitcnt vmcnt(0) lgkmcnt(0)
	v_fma_f64 v[1:2], v[78:79], v[80:81], v[1:2]
	s_and_not1_b32 exec_lo, exec_lo, s1
	s_cbranch_execnz .LBB33_21
; %bb.22:
	s_or_b32 exec_lo, exec_lo, s1
	v_mov_b32_e32 v75, 0
	ds_load_b64 v[75:76], v75 offset:24
	s_waitcnt lgkmcnt(0)
	v_mul_f64 v[1:2], v[1:2], v[75:76]
	scratch_store_b64 off, v[1:2], off offset:24
.LBB33_23:
	s_or_b32 exec_lo, exec_lo, s0
	s_waitcnt_vscnt null, 0x0
	s_barrier
	buffer_gl0_inv
	scratch_load_b64 v[1:2], off, off offset:32
	s_mov_b32 s0, exec_lo
	s_waitcnt vmcnt(0)
	ds_store_b64 v12, v[1:2]
	s_waitcnt lgkmcnt(0)
	s_barrier
	buffer_gl0_inv
	v_cmpx_gt_u32_e32 4, v0
	s_cbranch_execz .LBB33_27
; %bb.24:
	v_dual_mov_b32 v1, 0 :: v_dual_add_nc_u32 v76, 0x110, v73
	v_dual_mov_b32 v2, 0 :: v_dual_add_nc_u32 v75, -1, v0
	v_add_nc_u32_e32 v77, 0, v73
	s_mov_b32 s1, 0
.LBB33_25:                              ; =>This Inner Loop Header: Depth=1
	scratch_load_b64 v[78:79], v77, off
	ds_load_b64 v[80:81], v76
	v_add_nc_u32_e32 v75, 1, v75
	v_add_nc_u32_e32 v76, 8, v76
	v_add_nc_u32_e32 v77, 8, v77
	s_delay_alu instid0(VALU_DEP_3)
	v_cmp_lt_u32_e32 vcc_lo, 2, v75
	s_or_b32 s1, vcc_lo, s1
	s_waitcnt vmcnt(0) lgkmcnt(0)
	v_fma_f64 v[1:2], v[78:79], v[80:81], v[1:2]
	s_and_not1_b32 exec_lo, exec_lo, s1
	s_cbranch_execnz .LBB33_25
; %bb.26:
	s_or_b32 exec_lo, exec_lo, s1
	v_mov_b32_e32 v75, 0
	ds_load_b64 v[75:76], v75 offset:32
	s_waitcnt lgkmcnt(0)
	v_mul_f64 v[1:2], v[1:2], v[75:76]
	scratch_store_b64 off, v[1:2], off offset:32
.LBB33_27:
	s_or_b32 exec_lo, exec_lo, s0
	s_waitcnt_vscnt null, 0x0
	s_barrier
	buffer_gl0_inv
	scratch_load_b64 v[1:2], off, off offset:40
	;; [unrolled: 39-line block ×20, first 2 shown]
	s_mov_b32 s0, exec_lo
	s_waitcnt vmcnt(0)
	ds_store_b64 v12, v[1:2]
	s_waitcnt lgkmcnt(0)
	s_barrier
	buffer_gl0_inv
	v_cmpx_gt_u32_e32 23, v0
	s_cbranch_execz .LBB33_103
; %bb.100:
	v_dual_mov_b32 v1, 0 :: v_dual_add_nc_u32 v76, 0x110, v73
	v_dual_mov_b32 v2, 0 :: v_dual_add_nc_u32 v75, -1, v0
	v_add_nc_u32_e32 v77, 0, v73
	s_mov_b32 s1, 0
.LBB33_101:                             ; =>This Inner Loop Header: Depth=1
	scratch_load_b64 v[78:79], v77, off
	ds_load_b64 v[80:81], v76
	v_add_nc_u32_e32 v75, 1, v75
	v_add_nc_u32_e32 v76, 8, v76
	v_add_nc_u32_e32 v77, 8, v77
	s_delay_alu instid0(VALU_DEP_3)
	v_cmp_lt_u32_e32 vcc_lo, 21, v75
	s_or_b32 s1, vcc_lo, s1
	s_waitcnt vmcnt(0) lgkmcnt(0)
	v_fma_f64 v[1:2], v[78:79], v[80:81], v[1:2]
	s_and_not1_b32 exec_lo, exec_lo, s1
	s_cbranch_execnz .LBB33_101
; %bb.102:
	s_or_b32 exec_lo, exec_lo, s1
	v_mov_b32_e32 v75, 0
	ds_load_b64 v[75:76], v75 offset:184
	s_waitcnt lgkmcnt(0)
	v_mul_f64 v[1:2], v[1:2], v[75:76]
	scratch_store_b64 off, v[1:2], off offset:184
.LBB33_103:
	s_or_b32 exec_lo, exec_lo, s0
	s_waitcnt_vscnt null, 0x0
	s_barrier
	buffer_gl0_inv
	scratch_load_b64 v[1:2], off, off offset:192
	s_mov_b32 s0, exec_lo
	s_waitcnt vmcnt(0)
	ds_store_b64 v12, v[1:2]
	s_waitcnt lgkmcnt(0)
	s_barrier
	buffer_gl0_inv
	v_cmpx_gt_u32_e32 24, v0
	s_cbranch_execz .LBB33_107
; %bb.104:
	v_dual_mov_b32 v1, 0 :: v_dual_add_nc_u32 v76, 0x110, v73
	v_dual_mov_b32 v2, 0 :: v_dual_add_nc_u32 v75, -1, v0
	v_add_nc_u32_e32 v77, 0, v73
	s_mov_b32 s1, 0
.LBB33_105:                             ; =>This Inner Loop Header: Depth=1
	scratch_load_b64 v[78:79], v77, off
	ds_load_b64 v[80:81], v76
	v_add_nc_u32_e32 v75, 1, v75
	v_add_nc_u32_e32 v76, 8, v76
	v_add_nc_u32_e32 v77, 8, v77
	s_delay_alu instid0(VALU_DEP_3)
	v_cmp_lt_u32_e32 vcc_lo, 22, v75
	s_or_b32 s1, vcc_lo, s1
	s_waitcnt vmcnt(0) lgkmcnt(0)
	v_fma_f64 v[1:2], v[78:79], v[80:81], v[1:2]
	s_and_not1_b32 exec_lo, exec_lo, s1
	s_cbranch_execnz .LBB33_105
; %bb.106:
	s_or_b32 exec_lo, exec_lo, s1
	v_mov_b32_e32 v75, 0
	ds_load_b64 v[75:76], v75 offset:192
	s_waitcnt lgkmcnt(0)
	v_mul_f64 v[1:2], v[1:2], v[75:76]
	scratch_store_b64 off, v[1:2], off offset:192
.LBB33_107:
	s_or_b32 exec_lo, exec_lo, s0
	s_waitcnt_vscnt null, 0x0
	s_barrier
	buffer_gl0_inv
	scratch_load_b64 v[1:2], off, off offset:200
	;; [unrolled: 39-line block ×10, first 2 shown]
	s_mov_b32 s0, exec_lo
	s_waitcnt vmcnt(0)
	ds_store_b64 v12, v[1:2]
	s_waitcnt lgkmcnt(0)
	s_barrier
	buffer_gl0_inv
	v_cmpx_ne_u32_e32 33, v0
	s_cbranch_execz .LBB33_143
; %bb.140:
	v_mov_b32_e32 v1, 0
	v_mov_b32_e32 v2, 0
	s_mov_b32 s1, 0
.LBB33_141:                             ; =>This Inner Loop Header: Depth=1
	scratch_load_b64 v[75:76], v3, off
	ds_load_b64 v[77:78], v12
	v_add_nc_u32_e32 v74, 1, v74
	v_add_nc_u32_e32 v12, 8, v12
	;; [unrolled: 1-line block ×3, first 2 shown]
	s_delay_alu instid0(VALU_DEP_3)
	v_cmp_lt_u32_e32 vcc_lo, 31, v74
	s_or_b32 s1, vcc_lo, s1
	s_waitcnt vmcnt(0) lgkmcnt(0)
	v_fma_f64 v[1:2], v[75:76], v[77:78], v[1:2]
	s_and_not1_b32 exec_lo, exec_lo, s1
	s_cbranch_execnz .LBB33_141
; %bb.142:
	s_or_b32 exec_lo, exec_lo, s1
	v_mov_b32_e32 v3, 0
	ds_load_b64 v[73:74], v3 offset:264
	s_waitcnt lgkmcnt(0)
	v_mul_f64 v[1:2], v[1:2], v[73:74]
	scratch_store_b64 off, v[1:2], off offset:264
.LBB33_143:
	s_or_b32 exec_lo, exec_lo, s0
	s_mov_b32 s1, -1
	s_waitcnt_vscnt null, 0x0
	s_barrier
	buffer_gl0_inv
.LBB33_144:
	s_and_b32 vcc_lo, exec_lo, s1
	s_cbranch_vccz .LBB33_146
; %bb.145:
	s_lshl_b64 s[0:1], s[14:15], 2
	v_mov_b32_e32 v1, 0
	s_add_u32 s0, s6, s0
	s_addc_u32 s1, s7, s1
	global_load_b32 v1, v1, s[0:1]
	s_waitcnt vmcnt(0)
	v_cmp_ne_u32_e32 vcc_lo, 0, v1
	s_cbranch_vccz .LBB33_147
.LBB33_146:
	s_endpgm
.LBB33_147:
	v_lshl_add_u32 v3, v0, 3, 0x110
	s_mov_b32 s0, exec_lo
	v_cmpx_eq_u32_e32 33, v0
	s_cbranch_execz .LBB33_149
; %bb.148:
	scratch_load_b64 v[1:2], off, off offset:256
	v_mov_b32_e32 v73, 0
	s_delay_alu instid0(VALU_DEP_1)
	v_mov_b32_e32 v74, v73
	scratch_store_b64 off, v[73:74], off offset:256
	s_waitcnt vmcnt(0)
	ds_store_b64 v3, v[1:2]
.LBB33_149:
	s_or_b32 exec_lo, exec_lo, s0
	s_waitcnt lgkmcnt(0)
	s_waitcnt_vscnt null, 0x0
	s_barrier
	buffer_gl0_inv
	scratch_load_b128 v[73:76], off, off offset:256
	v_mov_b32_e32 v1, 0
	s_mov_b32 s0, exec_lo
	ds_load_b64 v[77:78], v1 offset:536
	s_waitcnt vmcnt(0) lgkmcnt(0)
	v_fma_f64 v[75:76], v[75:76], v[77:78], 0
	s_delay_alu instid0(VALU_DEP_1)
	v_add_f64 v[73:74], v[73:74], -v[75:76]
	scratch_store_b64 off, v[73:74], off offset:256
	v_cmpx_lt_u32_e32 31, v0
	s_cbranch_execz .LBB33_151
; %bb.150:
	scratch_load_b64 v[73:74], off, off offset:248
	v_mov_b32_e32 v2, v1
	scratch_store_b64 off, v[1:2], off offset:248
	s_waitcnt vmcnt(0)
	ds_store_b64 v3, v[73:74]
.LBB33_151:
	s_or_b32 exec_lo, exec_lo, s0
	s_waitcnt lgkmcnt(0)
	s_waitcnt_vscnt null, 0x0
	s_barrier
	buffer_gl0_inv
	s_clause 0x1
	scratch_load_b128 v[73:76], off, off offset:248
	scratch_load_b64 v[81:82], off, off offset:264
	ds_load_b128 v[77:80], v1 offset:528
	s_mov_b32 s0, exec_lo
	s_waitcnt vmcnt(1) lgkmcnt(0)
	v_fma_f64 v[1:2], v[75:76], v[77:78], 0
	s_waitcnt vmcnt(0)
	s_delay_alu instid0(VALU_DEP_1) | instskip(NEXT) | instid1(VALU_DEP_1)
	v_fma_f64 v[1:2], v[81:82], v[79:80], v[1:2]
	v_add_f64 v[1:2], v[73:74], -v[1:2]
	scratch_store_b64 off, v[1:2], off offset:248
	v_cmpx_lt_u32_e32 30, v0
	s_cbranch_execz .LBB33_153
; %bb.152:
	scratch_load_b64 v[1:2], off, off offset:240
	v_mov_b32_e32 v73, 0
	s_delay_alu instid0(VALU_DEP_1)
	v_mov_b32_e32 v74, v73
	scratch_store_b64 off, v[73:74], off offset:240
	s_waitcnt vmcnt(0)
	ds_store_b64 v3, v[1:2]
.LBB33_153:
	s_or_b32 exec_lo, exec_lo, s0
	s_waitcnt lgkmcnt(0)
	s_waitcnt_vscnt null, 0x0
	s_barrier
	buffer_gl0_inv
	s_clause 0x1
	scratch_load_b128 v[73:76], off, off offset:240
	scratch_load_b128 v[77:80], off, off offset:256
	v_mov_b32_e32 v1, 0
	ds_load_2addr_b64 v[81:84], v1 offset0:65 offset1:66
	ds_load_b64 v[85:86], v1 offset:536
	s_mov_b32 s0, exec_lo
	s_waitcnt vmcnt(1) lgkmcnt(1)
	v_fma_f64 v[75:76], v[75:76], v[81:82], 0
	s_waitcnt vmcnt(0)
	s_delay_alu instid0(VALU_DEP_1) | instskip(SKIP_1) | instid1(VALU_DEP_1)
	v_fma_f64 v[75:76], v[77:78], v[83:84], v[75:76]
	s_waitcnt lgkmcnt(0)
	v_fma_f64 v[75:76], v[79:80], v[85:86], v[75:76]
	s_delay_alu instid0(VALU_DEP_1)
	v_add_f64 v[73:74], v[73:74], -v[75:76]
	scratch_store_b64 off, v[73:74], off offset:240
	v_cmpx_lt_u32_e32 29, v0
	s_cbranch_execz .LBB33_155
; %bb.154:
	scratch_load_b64 v[73:74], off, off offset:232
	v_mov_b32_e32 v2, v1
	scratch_store_b64 off, v[1:2], off offset:232
	s_waitcnt vmcnt(0)
	ds_store_b64 v3, v[73:74]
.LBB33_155:
	s_or_b32 exec_lo, exec_lo, s0
	s_waitcnt lgkmcnt(0)
	s_waitcnt_vscnt null, 0x0
	s_barrier
	buffer_gl0_inv
	s_clause 0x2
	scratch_load_b128 v[73:76], off, off offset:232
	scratch_load_b128 v[77:80], off, off offset:248
	scratch_load_b64 v[89:90], off, off offset:264
	ds_load_b128 v[81:84], v1 offset:512
	ds_load_b128 v[85:88], v1 offset:528
	s_mov_b32 s0, exec_lo
	s_waitcnt vmcnt(2) lgkmcnt(1)
	v_fma_f64 v[1:2], v[75:76], v[81:82], 0
	s_waitcnt vmcnt(1)
	s_delay_alu instid0(VALU_DEP_1) | instskip(SKIP_1) | instid1(VALU_DEP_1)
	v_fma_f64 v[1:2], v[77:78], v[83:84], v[1:2]
	s_waitcnt lgkmcnt(0)
	v_fma_f64 v[1:2], v[79:80], v[85:86], v[1:2]
	s_waitcnt vmcnt(0)
	s_delay_alu instid0(VALU_DEP_1) | instskip(NEXT) | instid1(VALU_DEP_1)
	v_fma_f64 v[1:2], v[89:90], v[87:88], v[1:2]
	v_add_f64 v[1:2], v[73:74], -v[1:2]
	scratch_store_b64 off, v[1:2], off offset:232
	v_cmpx_lt_u32_e32 28, v0
	s_cbranch_execz .LBB33_157
; %bb.156:
	scratch_load_b64 v[1:2], off, off offset:224
	v_mov_b32_e32 v73, 0
	s_delay_alu instid0(VALU_DEP_1)
	v_mov_b32_e32 v74, v73
	scratch_store_b64 off, v[73:74], off offset:224
	s_waitcnt vmcnt(0)
	ds_store_b64 v3, v[1:2]
.LBB33_157:
	s_or_b32 exec_lo, exec_lo, s0
	s_waitcnt lgkmcnt(0)
	s_waitcnt_vscnt null, 0x0
	s_barrier
	buffer_gl0_inv
	s_clause 0x2
	scratch_load_b128 v[73:76], off, off offset:224
	scratch_load_b128 v[77:80], off, off offset:240
	;; [unrolled: 1-line block ×3, first 2 shown]
	v_mov_b32_e32 v1, 0
	ds_load_2addr_b64 v[85:88], v1 offset0:63 offset1:64
	ds_load_2addr_b64 v[89:92], v1 offset0:65 offset1:66
	s_mov_b32 s0, exec_lo
	s_waitcnt vmcnt(2) lgkmcnt(1)
	v_fma_f64 v[75:76], v[75:76], v[85:86], 0
	s_waitcnt vmcnt(1)
	s_delay_alu instid0(VALU_DEP_1) | instskip(SKIP_4) | instid1(VALU_DEP_1)
	v_fma_f64 v[75:76], v[77:78], v[87:88], v[75:76]
	ds_load_b64 v[77:78], v1 offset:536
	s_waitcnt lgkmcnt(1)
	v_fma_f64 v[75:76], v[79:80], v[89:90], v[75:76]
	s_waitcnt vmcnt(0)
	v_fma_f64 v[75:76], v[81:82], v[91:92], v[75:76]
	s_waitcnt lgkmcnt(0)
	s_delay_alu instid0(VALU_DEP_1) | instskip(NEXT) | instid1(VALU_DEP_1)
	v_fma_f64 v[75:76], v[83:84], v[77:78], v[75:76]
	v_add_f64 v[73:74], v[73:74], -v[75:76]
	scratch_store_b64 off, v[73:74], off offset:224
	v_cmpx_lt_u32_e32 27, v0
	s_cbranch_execz .LBB33_159
; %bb.158:
	scratch_load_b64 v[73:74], off, off offset:216
	v_mov_b32_e32 v2, v1
	scratch_store_b64 off, v[1:2], off offset:216
	s_waitcnt vmcnt(0)
	ds_store_b64 v3, v[73:74]
.LBB33_159:
	s_or_b32 exec_lo, exec_lo, s0
	s_waitcnt lgkmcnt(0)
	s_waitcnt_vscnt null, 0x0
	s_barrier
	buffer_gl0_inv
	s_clause 0x3
	scratch_load_b128 v[73:76], off, off offset:216
	scratch_load_b128 v[77:80], off, off offset:232
	;; [unrolled: 1-line block ×3, first 2 shown]
	scratch_load_b64 v[93:94], off, off offset:264
	ds_load_b128 v[85:88], v1 offset:496
	ds_load_b128 v[89:92], v1 offset:512
	s_mov_b32 s0, exec_lo
	s_waitcnt vmcnt(3) lgkmcnt(1)
	v_fma_f64 v[75:76], v[75:76], v[85:86], 0
	s_waitcnt vmcnt(2)
	s_delay_alu instid0(VALU_DEP_1) | instskip(SKIP_1) | instid1(VALU_DEP_1)
	v_fma_f64 v[75:76], v[77:78], v[87:88], v[75:76]
	s_waitcnt lgkmcnt(0)
	v_fma_f64 v[75:76], v[79:80], v[89:90], v[75:76]
	s_waitcnt vmcnt(1)
	s_delay_alu instid0(VALU_DEP_1) | instskip(SKIP_4) | instid1(VALU_DEP_1)
	v_fma_f64 v[79:80], v[81:82], v[91:92], v[75:76]
	ds_load_b128 v[75:78], v1 offset:528
	s_waitcnt lgkmcnt(0)
	v_fma_f64 v[1:2], v[83:84], v[75:76], v[79:80]
	s_waitcnt vmcnt(0)
	v_fma_f64 v[1:2], v[93:94], v[77:78], v[1:2]
	s_delay_alu instid0(VALU_DEP_1)
	v_add_f64 v[1:2], v[73:74], -v[1:2]
	scratch_store_b64 off, v[1:2], off offset:216
	v_cmpx_lt_u32_e32 26, v0
	s_cbranch_execz .LBB33_161
; %bb.160:
	scratch_load_b64 v[1:2], off, off offset:208
	v_mov_b32_e32 v73, 0
	s_delay_alu instid0(VALU_DEP_1)
	v_mov_b32_e32 v74, v73
	scratch_store_b64 off, v[73:74], off offset:208
	s_waitcnt vmcnt(0)
	ds_store_b64 v3, v[1:2]
.LBB33_161:
	s_or_b32 exec_lo, exec_lo, s0
	s_waitcnt lgkmcnt(0)
	s_waitcnt_vscnt null, 0x0
	s_barrier
	buffer_gl0_inv
	s_clause 0x3
	scratch_load_b128 v[73:76], off, off offset:208
	scratch_load_b128 v[77:80], off, off offset:224
	scratch_load_b128 v[81:84], off, off offset:240
	scratch_load_b128 v[85:88], off, off offset:256
	v_mov_b32_e32 v1, 0
	s_mov_b32 s0, exec_lo
	ds_load_2addr_b64 v[89:92], v1 offset0:61 offset1:62
	s_waitcnt vmcnt(3) lgkmcnt(0)
	v_fma_f64 v[75:76], v[75:76], v[89:90], 0
	s_waitcnt vmcnt(2)
	s_delay_alu instid0(VALU_DEP_1) | instskip(SKIP_4) | instid1(VALU_DEP_1)
	v_fma_f64 v[89:90], v[77:78], v[91:92], v[75:76]
	ds_load_2addr_b64 v[75:78], v1 offset0:63 offset1:64
	s_waitcnt lgkmcnt(0)
	v_fma_f64 v[75:76], v[79:80], v[75:76], v[89:90]
	s_waitcnt vmcnt(1)
	v_fma_f64 v[79:80], v[81:82], v[77:78], v[75:76]
	ds_load_2addr_b64 v[75:78], v1 offset0:65 offset1:66
	s_waitcnt lgkmcnt(0)
	v_fma_f64 v[75:76], v[83:84], v[75:76], v[79:80]
	s_waitcnt vmcnt(0)
	s_delay_alu instid0(VALU_DEP_1) | instskip(SKIP_3) | instid1(VALU_DEP_1)
	v_fma_f64 v[75:76], v[85:86], v[77:78], v[75:76]
	ds_load_b64 v[77:78], v1 offset:536
	s_waitcnt lgkmcnt(0)
	v_fma_f64 v[75:76], v[87:88], v[77:78], v[75:76]
	v_add_f64 v[73:74], v[73:74], -v[75:76]
	scratch_store_b64 off, v[73:74], off offset:208
	v_cmpx_lt_u32_e32 25, v0
	s_cbranch_execz .LBB33_163
; %bb.162:
	scratch_load_b64 v[73:74], off, off offset:200
	v_mov_b32_e32 v2, v1
	scratch_store_b64 off, v[1:2], off offset:200
	s_waitcnt vmcnt(0)
	ds_store_b64 v3, v[73:74]
.LBB33_163:
	s_or_b32 exec_lo, exec_lo, s0
	s_waitcnt lgkmcnt(0)
	s_waitcnt_vscnt null, 0x0
	s_barrier
	buffer_gl0_inv
	s_clause 0x4
	scratch_load_b128 v[73:76], off, off offset:200
	scratch_load_b128 v[77:80], off, off offset:216
	;; [unrolled: 1-line block ×4, first 2 shown]
	scratch_load_b64 v[93:94], off, off offset:264
	ds_load_b128 v[89:92], v1 offset:480
	s_mov_b32 s0, exec_lo
	s_waitcnt vmcnt(4) lgkmcnt(0)
	v_fma_f64 v[75:76], v[75:76], v[89:90], 0
	s_waitcnt vmcnt(3)
	s_delay_alu instid0(VALU_DEP_1) | instskip(SKIP_4) | instid1(VALU_DEP_1)
	v_fma_f64 v[89:90], v[77:78], v[91:92], v[75:76]
	ds_load_b128 v[75:78], v1 offset:496
	s_waitcnt lgkmcnt(0)
	v_fma_f64 v[75:76], v[79:80], v[75:76], v[89:90]
	s_waitcnt vmcnt(2)
	v_fma_f64 v[79:80], v[81:82], v[77:78], v[75:76]
	ds_load_b128 v[75:78], v1 offset:512
	s_waitcnt lgkmcnt(0)
	v_fma_f64 v[75:76], v[83:84], v[75:76], v[79:80]
	s_waitcnt vmcnt(1)
	s_delay_alu instid0(VALU_DEP_1) | instskip(SKIP_4) | instid1(VALU_DEP_1)
	v_fma_f64 v[79:80], v[85:86], v[77:78], v[75:76]
	ds_load_b128 v[75:78], v1 offset:528
	s_waitcnt lgkmcnt(0)
	v_fma_f64 v[1:2], v[87:88], v[75:76], v[79:80]
	s_waitcnt vmcnt(0)
	v_fma_f64 v[1:2], v[93:94], v[77:78], v[1:2]
	s_delay_alu instid0(VALU_DEP_1)
	v_add_f64 v[1:2], v[73:74], -v[1:2]
	scratch_store_b64 off, v[1:2], off offset:200
	v_cmpx_lt_u32_e32 24, v0
	s_cbranch_execz .LBB33_165
; %bb.164:
	scratch_load_b64 v[1:2], off, off offset:192
	v_mov_b32_e32 v73, 0
	s_delay_alu instid0(VALU_DEP_1)
	v_mov_b32_e32 v74, v73
	scratch_store_b64 off, v[73:74], off offset:192
	s_waitcnt vmcnt(0)
	ds_store_b64 v3, v[1:2]
.LBB33_165:
	s_or_b32 exec_lo, exec_lo, s0
	s_waitcnt lgkmcnt(0)
	s_waitcnt_vscnt null, 0x0
	s_barrier
	buffer_gl0_inv
	s_clause 0x4
	scratch_load_b128 v[73:76], off, off offset:192
	scratch_load_b128 v[77:80], off, off offset:208
	;; [unrolled: 1-line block ×5, first 2 shown]
	v_mov_b32_e32 v1, 0
	s_mov_b32 s0, exec_lo
	ds_load_2addr_b64 v[93:96], v1 offset0:59 offset1:60
	s_waitcnt vmcnt(4) lgkmcnt(0)
	v_fma_f64 v[75:76], v[75:76], v[93:94], 0
	s_waitcnt vmcnt(3)
	s_delay_alu instid0(VALU_DEP_1) | instskip(SKIP_4) | instid1(VALU_DEP_1)
	v_fma_f64 v[93:94], v[77:78], v[95:96], v[75:76]
	ds_load_2addr_b64 v[75:78], v1 offset0:61 offset1:62
	s_waitcnt lgkmcnt(0)
	v_fma_f64 v[75:76], v[79:80], v[75:76], v[93:94]
	s_waitcnt vmcnt(2)
	v_fma_f64 v[79:80], v[81:82], v[77:78], v[75:76]
	ds_load_2addr_b64 v[75:78], v1 offset0:63 offset1:64
	s_waitcnt lgkmcnt(0)
	v_fma_f64 v[75:76], v[83:84], v[75:76], v[79:80]
	s_waitcnt vmcnt(1)
	s_delay_alu instid0(VALU_DEP_1) | instskip(SKIP_4) | instid1(VALU_DEP_1)
	v_fma_f64 v[79:80], v[85:86], v[77:78], v[75:76]
	ds_load_2addr_b64 v[75:78], v1 offset0:65 offset1:66
	s_waitcnt lgkmcnt(0)
	v_fma_f64 v[75:76], v[87:88], v[75:76], v[79:80]
	s_waitcnt vmcnt(0)
	v_fma_f64 v[75:76], v[89:90], v[77:78], v[75:76]
	ds_load_b64 v[77:78], v1 offset:536
	s_waitcnt lgkmcnt(0)
	v_fma_f64 v[75:76], v[91:92], v[77:78], v[75:76]
	s_delay_alu instid0(VALU_DEP_1)
	v_add_f64 v[73:74], v[73:74], -v[75:76]
	scratch_store_b64 off, v[73:74], off offset:192
	v_cmpx_lt_u32_e32 23, v0
	s_cbranch_execz .LBB33_167
; %bb.166:
	scratch_load_b64 v[73:74], off, off offset:184
	v_mov_b32_e32 v2, v1
	scratch_store_b64 off, v[1:2], off offset:184
	s_waitcnt vmcnt(0)
	ds_store_b64 v3, v[73:74]
.LBB33_167:
	s_or_b32 exec_lo, exec_lo, s0
	s_waitcnt lgkmcnt(0)
	s_waitcnt_vscnt null, 0x0
	s_barrier
	buffer_gl0_inv
	s_clause 0x4
	scratch_load_b128 v[73:76], off, off offset:184
	scratch_load_b128 v[77:80], off, off offset:200
	scratch_load_b128 v[81:84], off, off offset:216
	scratch_load_b128 v[85:88], off, off offset:232
	scratch_load_b128 v[89:92], off, off offset:248
	ds_load_b128 v[93:96], v1 offset:464
	ds_load_b128 v[97:100], v1 offset:480
	s_mov_b32 s0, exec_lo
	s_waitcnt vmcnt(4) lgkmcnt(1)
	v_fma_f64 v[75:76], v[75:76], v[93:94], 0
	scratch_load_b64 v[93:94], off, off offset:264
	s_waitcnt vmcnt(4)
	v_fma_f64 v[75:76], v[77:78], v[95:96], v[75:76]
	s_waitcnt lgkmcnt(0)
	s_delay_alu instid0(VALU_DEP_1) | instskip(SKIP_1) | instid1(VALU_DEP_1)
	v_fma_f64 v[75:76], v[79:80], v[97:98], v[75:76]
	s_waitcnt vmcnt(3)
	v_fma_f64 v[95:96], v[81:82], v[99:100], v[75:76]
	ds_load_b128 v[75:78], v1 offset:496
	ds_load_b128 v[79:82], v1 offset:512
	s_waitcnt lgkmcnt(1)
	v_fma_f64 v[75:76], v[83:84], v[75:76], v[95:96]
	s_waitcnt vmcnt(2)
	s_delay_alu instid0(VALU_DEP_1) | instskip(SKIP_1) | instid1(VALU_DEP_1)
	v_fma_f64 v[75:76], v[85:86], v[77:78], v[75:76]
	s_waitcnt lgkmcnt(0)
	v_fma_f64 v[75:76], v[87:88], v[79:80], v[75:76]
	s_waitcnt vmcnt(1)
	s_delay_alu instid0(VALU_DEP_1) | instskip(SKIP_4) | instid1(VALU_DEP_1)
	v_fma_f64 v[79:80], v[89:90], v[81:82], v[75:76]
	ds_load_b128 v[75:78], v1 offset:528
	s_waitcnt lgkmcnt(0)
	v_fma_f64 v[1:2], v[91:92], v[75:76], v[79:80]
	s_waitcnt vmcnt(0)
	v_fma_f64 v[1:2], v[93:94], v[77:78], v[1:2]
	s_delay_alu instid0(VALU_DEP_1)
	v_add_f64 v[1:2], v[73:74], -v[1:2]
	scratch_store_b64 off, v[1:2], off offset:184
	v_cmpx_lt_u32_e32 22, v0
	s_cbranch_execz .LBB33_169
; %bb.168:
	scratch_load_b64 v[1:2], off, off offset:176
	v_mov_b32_e32 v73, 0
	s_delay_alu instid0(VALU_DEP_1)
	v_mov_b32_e32 v74, v73
	scratch_store_b64 off, v[73:74], off offset:176
	s_waitcnt vmcnt(0)
	ds_store_b64 v3, v[1:2]
.LBB33_169:
	s_or_b32 exec_lo, exec_lo, s0
	s_waitcnt lgkmcnt(0)
	s_waitcnt_vscnt null, 0x0
	s_barrier
	buffer_gl0_inv
	s_clause 0x4
	scratch_load_b128 v[73:76], off, off offset:176
	scratch_load_b128 v[77:80], off, off offset:192
	;; [unrolled: 1-line block ×5, first 2 shown]
	v_mov_b32_e32 v1, 0
	ds_load_2addr_b64 v[93:96], v1 offset0:57 offset1:58
	ds_load_2addr_b64 v[97:100], v1 offset0:59 offset1:60
	scratch_load_b128 v[101:104], off, off offset:256
	s_mov_b32 s0, exec_lo
	s_waitcnt vmcnt(5) lgkmcnt(1)
	v_fma_f64 v[75:76], v[75:76], v[93:94], 0
	s_waitcnt vmcnt(4)
	s_delay_alu instid0(VALU_DEP_1) | instskip(SKIP_1) | instid1(VALU_DEP_1)
	v_fma_f64 v[75:76], v[77:78], v[95:96], v[75:76]
	s_waitcnt lgkmcnt(0)
	v_fma_f64 v[75:76], v[79:80], v[97:98], v[75:76]
	s_waitcnt vmcnt(3)
	s_delay_alu instid0(VALU_DEP_1)
	v_fma_f64 v[93:94], v[81:82], v[99:100], v[75:76]
	ds_load_2addr_b64 v[75:78], v1 offset0:61 offset1:62
	ds_load_2addr_b64 v[79:82], v1 offset0:63 offset1:64
	s_waitcnt lgkmcnt(1)
	v_fma_f64 v[75:76], v[83:84], v[75:76], v[93:94]
	s_waitcnt vmcnt(2)
	s_delay_alu instid0(VALU_DEP_1) | instskip(SKIP_1) | instid1(VALU_DEP_1)
	v_fma_f64 v[75:76], v[85:86], v[77:78], v[75:76]
	s_waitcnt lgkmcnt(0)
	v_fma_f64 v[75:76], v[87:88], v[79:80], v[75:76]
	s_waitcnt vmcnt(1)
	s_delay_alu instid0(VALU_DEP_1)
	v_fma_f64 v[79:80], v[89:90], v[81:82], v[75:76]
	ds_load_2addr_b64 v[75:78], v1 offset0:65 offset1:66
	ds_load_b64 v[81:82], v1 offset:536
	s_waitcnt lgkmcnt(1)
	v_fma_f64 v[75:76], v[91:92], v[75:76], v[79:80]
	s_waitcnt vmcnt(0)
	s_delay_alu instid0(VALU_DEP_1) | instskip(SKIP_1) | instid1(VALU_DEP_1)
	v_fma_f64 v[75:76], v[101:102], v[77:78], v[75:76]
	s_waitcnt lgkmcnt(0)
	v_fma_f64 v[75:76], v[103:104], v[81:82], v[75:76]
	s_delay_alu instid0(VALU_DEP_1)
	v_add_f64 v[73:74], v[73:74], -v[75:76]
	scratch_store_b64 off, v[73:74], off offset:176
	v_cmpx_lt_u32_e32 21, v0
	s_cbranch_execz .LBB33_171
; %bb.170:
	scratch_load_b64 v[73:74], off, off offset:168
	v_mov_b32_e32 v2, v1
	scratch_store_b64 off, v[1:2], off offset:168
	s_waitcnt vmcnt(0)
	ds_store_b64 v3, v[73:74]
.LBB33_171:
	s_or_b32 exec_lo, exec_lo, s0
	s_waitcnt lgkmcnt(0)
	s_waitcnt_vscnt null, 0x0
	s_barrier
	buffer_gl0_inv
	s_clause 0x4
	scratch_load_b128 v[73:76], off, off offset:168
	scratch_load_b128 v[77:80], off, off offset:184
	;; [unrolled: 1-line block ×5, first 2 shown]
	ds_load_b128 v[93:96], v1 offset:448
	ds_load_b128 v[97:100], v1 offset:464
	scratch_load_b128 v[101:104], off, off offset:248
	s_mov_b32 s0, exec_lo
	s_waitcnt vmcnt(5) lgkmcnt(1)
	v_fma_f64 v[75:76], v[75:76], v[93:94], 0
	scratch_load_b64 v[93:94], off, off offset:264
	s_waitcnt vmcnt(5)
	v_fma_f64 v[75:76], v[77:78], v[95:96], v[75:76]
	s_waitcnt lgkmcnt(0)
	s_delay_alu instid0(VALU_DEP_1) | instskip(SKIP_1) | instid1(VALU_DEP_1)
	v_fma_f64 v[75:76], v[79:80], v[97:98], v[75:76]
	s_waitcnt vmcnt(4)
	v_fma_f64 v[95:96], v[81:82], v[99:100], v[75:76]
	ds_load_b128 v[75:78], v1 offset:480
	ds_load_b128 v[79:82], v1 offset:496
	s_waitcnt lgkmcnt(1)
	v_fma_f64 v[75:76], v[83:84], v[75:76], v[95:96]
	s_waitcnt vmcnt(3)
	s_delay_alu instid0(VALU_DEP_1) | instskip(SKIP_1) | instid1(VALU_DEP_1)
	v_fma_f64 v[75:76], v[85:86], v[77:78], v[75:76]
	s_waitcnt lgkmcnt(0)
	v_fma_f64 v[75:76], v[87:88], v[79:80], v[75:76]
	s_waitcnt vmcnt(2)
	s_delay_alu instid0(VALU_DEP_1)
	v_fma_f64 v[83:84], v[89:90], v[81:82], v[75:76]
	ds_load_b128 v[75:78], v1 offset:512
	ds_load_b128 v[79:82], v1 offset:528
	s_waitcnt lgkmcnt(1)
	v_fma_f64 v[1:2], v[91:92], v[75:76], v[83:84]
	s_waitcnt vmcnt(1)
	s_delay_alu instid0(VALU_DEP_1) | instskip(SKIP_1) | instid1(VALU_DEP_1)
	v_fma_f64 v[1:2], v[101:102], v[77:78], v[1:2]
	s_waitcnt lgkmcnt(0)
	v_fma_f64 v[1:2], v[103:104], v[79:80], v[1:2]
	s_waitcnt vmcnt(0)
	s_delay_alu instid0(VALU_DEP_1) | instskip(NEXT) | instid1(VALU_DEP_1)
	v_fma_f64 v[1:2], v[93:94], v[81:82], v[1:2]
	v_add_f64 v[1:2], v[73:74], -v[1:2]
	scratch_store_b64 off, v[1:2], off offset:168
	v_cmpx_lt_u32_e32 20, v0
	s_cbranch_execz .LBB33_173
; %bb.172:
	scratch_load_b64 v[1:2], off, off offset:160
	v_mov_b32_e32 v73, 0
	s_delay_alu instid0(VALU_DEP_1)
	v_mov_b32_e32 v74, v73
	scratch_store_b64 off, v[73:74], off offset:160
	s_waitcnt vmcnt(0)
	ds_store_b64 v3, v[1:2]
.LBB33_173:
	s_or_b32 exec_lo, exec_lo, s0
	s_waitcnt lgkmcnt(0)
	s_waitcnt_vscnt null, 0x0
	s_barrier
	buffer_gl0_inv
	s_clause 0x4
	scratch_load_b128 v[73:76], off, off offset:160
	scratch_load_b128 v[77:80], off, off offset:176
	;; [unrolled: 1-line block ×5, first 2 shown]
	v_mov_b32_e32 v1, 0
	ds_load_2addr_b64 v[93:96], v1 offset0:55 offset1:56
	ds_load_2addr_b64 v[97:100], v1 offset0:57 offset1:58
	scratch_load_b128 v[101:104], off, off offset:240
	s_mov_b32 s0, exec_lo
	s_waitcnt vmcnt(5) lgkmcnt(1)
	v_fma_f64 v[75:76], v[75:76], v[93:94], 0
	s_waitcnt vmcnt(4)
	s_delay_alu instid0(VALU_DEP_1) | instskip(SKIP_1) | instid1(VALU_DEP_1)
	v_fma_f64 v[75:76], v[77:78], v[95:96], v[75:76]
	s_waitcnt lgkmcnt(0)
	v_fma_f64 v[79:80], v[79:80], v[97:98], v[75:76]
	scratch_load_b128 v[75:78], off, off offset:256
	s_waitcnt vmcnt(4)
	v_fma_f64 v[97:98], v[81:82], v[99:100], v[79:80]
	ds_load_2addr_b64 v[79:82], v1 offset0:59 offset1:60
	ds_load_2addr_b64 v[93:96], v1 offset0:61 offset1:62
	s_waitcnt lgkmcnt(1)
	v_fma_f64 v[79:80], v[83:84], v[79:80], v[97:98]
	s_waitcnt vmcnt(3)
	s_delay_alu instid0(VALU_DEP_1) | instskip(SKIP_1) | instid1(VALU_DEP_1)
	v_fma_f64 v[79:80], v[85:86], v[81:82], v[79:80]
	s_waitcnt lgkmcnt(0)
	v_fma_f64 v[79:80], v[87:88], v[93:94], v[79:80]
	s_waitcnt vmcnt(2)
	s_delay_alu instid0(VALU_DEP_1)
	v_fma_f64 v[87:88], v[89:90], v[95:96], v[79:80]
	ds_load_2addr_b64 v[79:82], v1 offset0:63 offset1:64
	ds_load_2addr_b64 v[83:86], v1 offset0:65 offset1:66
	s_waitcnt lgkmcnt(1)
	v_fma_f64 v[79:80], v[91:92], v[79:80], v[87:88]
	s_waitcnt vmcnt(1)
	s_delay_alu instid0(VALU_DEP_1) | instskip(SKIP_1) | instid1(VALU_DEP_1)
	v_fma_f64 v[79:80], v[101:102], v[81:82], v[79:80]
	s_waitcnt lgkmcnt(0)
	v_fma_f64 v[79:80], v[103:104], v[83:84], v[79:80]
	s_waitcnt vmcnt(0)
	s_delay_alu instid0(VALU_DEP_1) | instskip(SKIP_3) | instid1(VALU_DEP_1)
	v_fma_f64 v[75:76], v[75:76], v[85:86], v[79:80]
	ds_load_b64 v[79:80], v1 offset:536
	s_waitcnt lgkmcnt(0)
	v_fma_f64 v[75:76], v[77:78], v[79:80], v[75:76]
	v_add_f64 v[73:74], v[73:74], -v[75:76]
	scratch_store_b64 off, v[73:74], off offset:160
	v_cmpx_lt_u32_e32 19, v0
	s_cbranch_execz .LBB33_175
; %bb.174:
	scratch_load_b64 v[73:74], off, off offset:152
	v_mov_b32_e32 v2, v1
	scratch_store_b64 off, v[1:2], off offset:152
	s_waitcnt vmcnt(0)
	ds_store_b64 v3, v[73:74]
.LBB33_175:
	s_or_b32 exec_lo, exec_lo, s0
	s_waitcnt lgkmcnt(0)
	s_waitcnt_vscnt null, 0x0
	s_barrier
	buffer_gl0_inv
	s_clause 0x4
	scratch_load_b128 v[73:76], off, off offset:152
	scratch_load_b128 v[77:80], off, off offset:168
	scratch_load_b128 v[81:84], off, off offset:184
	scratch_load_b128 v[85:88], off, off offset:200
	scratch_load_b128 v[89:92], off, off offset:216
	ds_load_b128 v[93:96], v1 offset:432
	ds_load_b128 v[97:100], v1 offset:448
	scratch_load_b128 v[101:104], off, off offset:232
	s_mov_b32 s0, exec_lo
	s_waitcnt vmcnt(5) lgkmcnt(1)
	v_fma_f64 v[75:76], v[75:76], v[93:94], 0
	s_waitcnt vmcnt(4)
	s_delay_alu instid0(VALU_DEP_1) | instskip(SKIP_1) | instid1(VALU_DEP_1)
	v_fma_f64 v[75:76], v[77:78], v[95:96], v[75:76]
	s_waitcnt lgkmcnt(0)
	v_fma_f64 v[79:80], v[79:80], v[97:98], v[75:76]
	scratch_load_b128 v[75:78], off, off offset:248
	s_waitcnt vmcnt(4)
	v_fma_f64 v[97:98], v[81:82], v[99:100], v[79:80]
	ds_load_b128 v[79:82], v1 offset:464
	ds_load_b128 v[93:96], v1 offset:480
	s_waitcnt lgkmcnt(1)
	v_fma_f64 v[79:80], v[83:84], v[79:80], v[97:98]
	scratch_load_b64 v[97:98], off, off offset:264
	s_waitcnt vmcnt(4)
	v_fma_f64 v[79:80], v[85:86], v[81:82], v[79:80]
	s_waitcnt lgkmcnt(0)
	s_delay_alu instid0(VALU_DEP_1) | instskip(SKIP_1) | instid1(VALU_DEP_1)
	v_fma_f64 v[79:80], v[87:88], v[93:94], v[79:80]
	s_waitcnt vmcnt(3)
	v_fma_f64 v[87:88], v[89:90], v[95:96], v[79:80]
	ds_load_b128 v[79:82], v1 offset:496
	ds_load_b128 v[83:86], v1 offset:512
	s_waitcnt lgkmcnt(1)
	v_fma_f64 v[79:80], v[91:92], v[79:80], v[87:88]
	s_waitcnt vmcnt(2)
	s_delay_alu instid0(VALU_DEP_1) | instskip(SKIP_1) | instid1(VALU_DEP_1)
	v_fma_f64 v[79:80], v[101:102], v[81:82], v[79:80]
	s_waitcnt lgkmcnt(0)
	v_fma_f64 v[79:80], v[103:104], v[83:84], v[79:80]
	s_waitcnt vmcnt(1)
	s_delay_alu instid0(VALU_DEP_1) | instskip(SKIP_4) | instid1(VALU_DEP_1)
	v_fma_f64 v[75:76], v[75:76], v[85:86], v[79:80]
	ds_load_b128 v[79:82], v1 offset:528
	s_waitcnt lgkmcnt(0)
	v_fma_f64 v[1:2], v[77:78], v[79:80], v[75:76]
	s_waitcnt vmcnt(0)
	v_fma_f64 v[1:2], v[97:98], v[81:82], v[1:2]
	s_delay_alu instid0(VALU_DEP_1)
	v_add_f64 v[1:2], v[73:74], -v[1:2]
	scratch_store_b64 off, v[1:2], off offset:152
	v_cmpx_lt_u32_e32 18, v0
	s_cbranch_execz .LBB33_177
; %bb.176:
	scratch_load_b64 v[1:2], off, off offset:144
	v_mov_b32_e32 v73, 0
	s_delay_alu instid0(VALU_DEP_1)
	v_mov_b32_e32 v74, v73
	scratch_store_b64 off, v[73:74], off offset:144
	s_waitcnt vmcnt(0)
	ds_store_b64 v3, v[1:2]
.LBB33_177:
	s_or_b32 exec_lo, exec_lo, s0
	s_waitcnt lgkmcnt(0)
	s_waitcnt_vscnt null, 0x0
	s_barrier
	buffer_gl0_inv
	s_clause 0x4
	scratch_load_b128 v[73:76], off, off offset:144
	scratch_load_b128 v[77:80], off, off offset:160
	;; [unrolled: 1-line block ×5, first 2 shown]
	v_mov_b32_e32 v1, 0
	ds_load_2addr_b64 v[93:96], v1 offset0:53 offset1:54
	ds_load_2addr_b64 v[97:100], v1 offset0:55 offset1:56
	scratch_load_b128 v[101:104], off, off offset:224
	s_mov_b32 s0, exec_lo
	s_waitcnt vmcnt(5) lgkmcnt(1)
	v_fma_f64 v[75:76], v[75:76], v[93:94], 0
	s_waitcnt vmcnt(4)
	s_delay_alu instid0(VALU_DEP_1) | instskip(SKIP_1) | instid1(VALU_DEP_1)
	v_fma_f64 v[75:76], v[77:78], v[95:96], v[75:76]
	s_waitcnt lgkmcnt(0)
	v_fma_f64 v[79:80], v[79:80], v[97:98], v[75:76]
	scratch_load_b128 v[75:78], off, off offset:240
	s_waitcnt vmcnt(4)
	v_fma_f64 v[97:98], v[81:82], v[99:100], v[79:80]
	ds_load_2addr_b64 v[79:82], v1 offset0:57 offset1:58
	ds_load_2addr_b64 v[93:96], v1 offset0:59 offset1:60
	s_waitcnt lgkmcnt(1)
	v_fma_f64 v[79:80], v[83:84], v[79:80], v[97:98]
	scratch_load_b128 v[97:100], off, off offset:256
	s_waitcnt vmcnt(4)
	v_fma_f64 v[79:80], v[85:86], v[81:82], v[79:80]
	s_waitcnt lgkmcnt(0)
	s_delay_alu instid0(VALU_DEP_1) | instskip(SKIP_1) | instid1(VALU_DEP_1)
	v_fma_f64 v[79:80], v[87:88], v[93:94], v[79:80]
	s_waitcnt vmcnt(3)
	v_fma_f64 v[87:88], v[89:90], v[95:96], v[79:80]
	ds_load_2addr_b64 v[79:82], v1 offset0:61 offset1:62
	ds_load_2addr_b64 v[83:86], v1 offset0:63 offset1:64
	s_waitcnt lgkmcnt(1)
	v_fma_f64 v[79:80], v[91:92], v[79:80], v[87:88]
	s_waitcnt vmcnt(2)
	s_delay_alu instid0(VALU_DEP_1) | instskip(SKIP_1) | instid1(VALU_DEP_1)
	v_fma_f64 v[79:80], v[101:102], v[81:82], v[79:80]
	s_waitcnt lgkmcnt(0)
	v_fma_f64 v[79:80], v[103:104], v[83:84], v[79:80]
	s_waitcnt vmcnt(1)
	s_delay_alu instid0(VALU_DEP_1)
	v_fma_f64 v[75:76], v[75:76], v[85:86], v[79:80]
	ds_load_2addr_b64 v[79:82], v1 offset0:65 offset1:66
	ds_load_b64 v[83:84], v1 offset:536
	s_waitcnt lgkmcnt(1)
	v_fma_f64 v[75:76], v[77:78], v[79:80], v[75:76]
	s_waitcnt vmcnt(0)
	s_delay_alu instid0(VALU_DEP_1) | instskip(SKIP_1) | instid1(VALU_DEP_1)
	v_fma_f64 v[75:76], v[97:98], v[81:82], v[75:76]
	s_waitcnt lgkmcnt(0)
	v_fma_f64 v[75:76], v[99:100], v[83:84], v[75:76]
	s_delay_alu instid0(VALU_DEP_1)
	v_add_f64 v[73:74], v[73:74], -v[75:76]
	scratch_store_b64 off, v[73:74], off offset:144
	v_cmpx_lt_u32_e32 17, v0
	s_cbranch_execz .LBB33_179
; %bb.178:
	scratch_load_b64 v[73:74], off, off offset:136
	v_mov_b32_e32 v2, v1
	scratch_store_b64 off, v[1:2], off offset:136
	s_waitcnt vmcnt(0)
	ds_store_b64 v3, v[73:74]
.LBB33_179:
	s_or_b32 exec_lo, exec_lo, s0
	s_waitcnt lgkmcnt(0)
	s_waitcnt_vscnt null, 0x0
	s_barrier
	buffer_gl0_inv
	s_clause 0x4
	scratch_load_b128 v[73:76], off, off offset:136
	scratch_load_b128 v[77:80], off, off offset:152
	;; [unrolled: 1-line block ×5, first 2 shown]
	ds_load_b128 v[93:96], v1 offset:416
	ds_load_b128 v[97:100], v1 offset:432
	scratch_load_b128 v[101:104], off, off offset:216
	s_mov_b32 s0, exec_lo
	s_waitcnt vmcnt(5) lgkmcnt(1)
	v_fma_f64 v[75:76], v[75:76], v[93:94], 0
	s_waitcnt vmcnt(4)
	s_delay_alu instid0(VALU_DEP_1) | instskip(SKIP_1) | instid1(VALU_DEP_1)
	v_fma_f64 v[75:76], v[77:78], v[95:96], v[75:76]
	s_waitcnt lgkmcnt(0)
	v_fma_f64 v[79:80], v[79:80], v[97:98], v[75:76]
	scratch_load_b128 v[75:78], off, off offset:232
	s_waitcnt vmcnt(4)
	v_fma_f64 v[97:98], v[81:82], v[99:100], v[79:80]
	ds_load_b128 v[79:82], v1 offset:448
	ds_load_b128 v[93:96], v1 offset:464
	s_waitcnt lgkmcnt(1)
	v_fma_f64 v[79:80], v[83:84], v[79:80], v[97:98]
	scratch_load_b128 v[97:100], off, off offset:248
	s_waitcnt vmcnt(4)
	v_fma_f64 v[79:80], v[85:86], v[81:82], v[79:80]
	s_waitcnt lgkmcnt(0)
	s_delay_alu instid0(VALU_DEP_1)
	v_fma_f64 v[79:80], v[87:88], v[93:94], v[79:80]
	scratch_load_b64 v[87:88], off, off offset:264
	s_waitcnt vmcnt(4)
	v_fma_f64 v[89:90], v[89:90], v[95:96], v[79:80]
	ds_load_b128 v[79:82], v1 offset:480
	ds_load_b128 v[83:86], v1 offset:496
	s_waitcnt lgkmcnt(1)
	v_fma_f64 v[79:80], v[91:92], v[79:80], v[89:90]
	s_waitcnt vmcnt(3)
	s_delay_alu instid0(VALU_DEP_1) | instskip(SKIP_1) | instid1(VALU_DEP_1)
	v_fma_f64 v[79:80], v[101:102], v[81:82], v[79:80]
	s_waitcnt lgkmcnt(0)
	v_fma_f64 v[79:80], v[103:104], v[83:84], v[79:80]
	s_waitcnt vmcnt(2)
	s_delay_alu instid0(VALU_DEP_1)
	v_fma_f64 v[75:76], v[75:76], v[85:86], v[79:80]
	ds_load_b128 v[79:82], v1 offset:512
	ds_load_b128 v[83:86], v1 offset:528
	s_waitcnt lgkmcnt(1)
	v_fma_f64 v[1:2], v[77:78], v[79:80], v[75:76]
	s_waitcnt vmcnt(1)
	s_delay_alu instid0(VALU_DEP_1) | instskip(SKIP_1) | instid1(VALU_DEP_1)
	v_fma_f64 v[1:2], v[97:98], v[81:82], v[1:2]
	s_waitcnt lgkmcnt(0)
	v_fma_f64 v[1:2], v[99:100], v[83:84], v[1:2]
	s_waitcnt vmcnt(0)
	s_delay_alu instid0(VALU_DEP_1) | instskip(NEXT) | instid1(VALU_DEP_1)
	v_fma_f64 v[1:2], v[87:88], v[85:86], v[1:2]
	v_add_f64 v[1:2], v[73:74], -v[1:2]
	scratch_store_b64 off, v[1:2], off offset:136
	v_cmpx_lt_u32_e32 16, v0
	s_cbranch_execz .LBB33_181
; %bb.180:
	scratch_load_b64 v[1:2], off, off offset:128
	v_mov_b32_e32 v73, 0
	s_delay_alu instid0(VALU_DEP_1)
	v_mov_b32_e32 v74, v73
	scratch_store_b64 off, v[73:74], off offset:128
	s_waitcnt vmcnt(0)
	ds_store_b64 v3, v[1:2]
.LBB33_181:
	s_or_b32 exec_lo, exec_lo, s0
	s_waitcnt lgkmcnt(0)
	s_waitcnt_vscnt null, 0x0
	s_barrier
	buffer_gl0_inv
	s_clause 0x4
	scratch_load_b128 v[73:76], off, off offset:128
	scratch_load_b128 v[77:80], off, off offset:144
	;; [unrolled: 1-line block ×5, first 2 shown]
	v_mov_b32_e32 v1, 0
	ds_load_2addr_b64 v[93:96], v1 offset0:51 offset1:52
	ds_load_2addr_b64 v[97:100], v1 offset0:53 offset1:54
	scratch_load_b128 v[101:104], off, off offset:208
	s_mov_b32 s0, exec_lo
	s_waitcnt vmcnt(5) lgkmcnt(1)
	v_fma_f64 v[75:76], v[75:76], v[93:94], 0
	s_waitcnt vmcnt(4)
	s_delay_alu instid0(VALU_DEP_1) | instskip(SKIP_1) | instid1(VALU_DEP_1)
	v_fma_f64 v[75:76], v[77:78], v[95:96], v[75:76]
	s_waitcnt lgkmcnt(0)
	v_fma_f64 v[79:80], v[79:80], v[97:98], v[75:76]
	scratch_load_b128 v[75:78], off, off offset:224
	s_waitcnt vmcnt(4)
	v_fma_f64 v[97:98], v[81:82], v[99:100], v[79:80]
	ds_load_2addr_b64 v[79:82], v1 offset0:55 offset1:56
	ds_load_2addr_b64 v[93:96], v1 offset0:57 offset1:58
	s_waitcnt lgkmcnt(1)
	v_fma_f64 v[79:80], v[83:84], v[79:80], v[97:98]
	scratch_load_b128 v[97:100], off, off offset:240
	s_waitcnt vmcnt(4)
	v_fma_f64 v[79:80], v[85:86], v[81:82], v[79:80]
	s_waitcnt lgkmcnt(0)
	s_delay_alu instid0(VALU_DEP_1)
	v_fma_f64 v[83:84], v[87:88], v[93:94], v[79:80]
	scratch_load_b128 v[79:82], off, off offset:256
	s_waitcnt vmcnt(4)
	v_fma_f64 v[93:94], v[89:90], v[95:96], v[83:84]
	ds_load_2addr_b64 v[83:86], v1 offset0:59 offset1:60
	ds_load_2addr_b64 v[87:90], v1 offset0:61 offset1:62
	s_waitcnt lgkmcnt(1)
	v_fma_f64 v[83:84], v[91:92], v[83:84], v[93:94]
	s_waitcnt vmcnt(3)
	s_delay_alu instid0(VALU_DEP_1) | instskip(SKIP_1) | instid1(VALU_DEP_1)
	v_fma_f64 v[83:84], v[101:102], v[85:86], v[83:84]
	s_waitcnt lgkmcnt(0)
	v_fma_f64 v[83:84], v[103:104], v[87:88], v[83:84]
	s_waitcnt vmcnt(2)
	s_delay_alu instid0(VALU_DEP_1)
	v_fma_f64 v[75:76], v[75:76], v[89:90], v[83:84]
	ds_load_2addr_b64 v[83:86], v1 offset0:63 offset1:64
	ds_load_2addr_b64 v[87:90], v1 offset0:65 offset1:66
	s_waitcnt lgkmcnt(1)
	v_fma_f64 v[75:76], v[77:78], v[83:84], v[75:76]
	ds_load_b64 v[77:78], v1 offset:536
	s_waitcnt vmcnt(1)
	v_fma_f64 v[75:76], v[97:98], v[85:86], v[75:76]
	s_waitcnt lgkmcnt(1)
	s_delay_alu instid0(VALU_DEP_1) | instskip(SKIP_1) | instid1(VALU_DEP_1)
	v_fma_f64 v[75:76], v[99:100], v[87:88], v[75:76]
	s_waitcnt vmcnt(0)
	v_fma_f64 v[75:76], v[79:80], v[89:90], v[75:76]
	s_waitcnt lgkmcnt(0)
	s_delay_alu instid0(VALU_DEP_1) | instskip(NEXT) | instid1(VALU_DEP_1)
	v_fma_f64 v[75:76], v[81:82], v[77:78], v[75:76]
	v_add_f64 v[73:74], v[73:74], -v[75:76]
	scratch_store_b64 off, v[73:74], off offset:128
	v_cmpx_lt_u32_e32 15, v0
	s_cbranch_execz .LBB33_183
; %bb.182:
	scratch_load_b64 v[73:74], off, off offset:120
	v_mov_b32_e32 v2, v1
	scratch_store_b64 off, v[1:2], off offset:120
	s_waitcnt vmcnt(0)
	ds_store_b64 v3, v[73:74]
.LBB33_183:
	s_or_b32 exec_lo, exec_lo, s0
	s_waitcnt lgkmcnt(0)
	s_waitcnt_vscnt null, 0x0
	s_barrier
	buffer_gl0_inv
	s_clause 0x4
	scratch_load_b128 v[73:76], off, off offset:120
	scratch_load_b128 v[77:80], off, off offset:136
	;; [unrolled: 1-line block ×5, first 2 shown]
	ds_load_b128 v[93:96], v1 offset:400
	ds_load_b128 v[97:100], v1 offset:416
	scratch_load_b128 v[101:104], off, off offset:200
	s_mov_b32 s0, exec_lo
	s_waitcnt vmcnt(5) lgkmcnt(1)
	v_fma_f64 v[75:76], v[75:76], v[93:94], 0
	s_waitcnt vmcnt(4)
	s_delay_alu instid0(VALU_DEP_1) | instskip(SKIP_1) | instid1(VALU_DEP_1)
	v_fma_f64 v[75:76], v[77:78], v[95:96], v[75:76]
	s_waitcnt lgkmcnt(0)
	v_fma_f64 v[79:80], v[79:80], v[97:98], v[75:76]
	scratch_load_b128 v[75:78], off, off offset:216
	s_waitcnt vmcnt(4)
	v_fma_f64 v[97:98], v[81:82], v[99:100], v[79:80]
	ds_load_b128 v[79:82], v1 offset:432
	ds_load_b128 v[93:96], v1 offset:448
	s_waitcnt lgkmcnt(1)
	v_fma_f64 v[79:80], v[83:84], v[79:80], v[97:98]
	scratch_load_b128 v[97:100], off, off offset:232
	s_waitcnt vmcnt(4)
	v_fma_f64 v[79:80], v[85:86], v[81:82], v[79:80]
	s_waitcnt lgkmcnt(0)
	s_delay_alu instid0(VALU_DEP_1)
	v_fma_f64 v[83:84], v[87:88], v[93:94], v[79:80]
	scratch_load_b128 v[79:82], off, off offset:248
	s_waitcnt vmcnt(4)
	v_fma_f64 v[93:94], v[89:90], v[95:96], v[83:84]
	ds_load_b128 v[83:86], v1 offset:464
	ds_load_b128 v[87:90], v1 offset:480
	s_waitcnt lgkmcnt(1)
	v_fma_f64 v[83:84], v[91:92], v[83:84], v[93:94]
	scratch_load_b64 v[91:92], off, off offset:264
	s_waitcnt vmcnt(4)
	v_fma_f64 v[83:84], v[101:102], v[85:86], v[83:84]
	s_waitcnt lgkmcnt(0)
	s_delay_alu instid0(VALU_DEP_1) | instskip(SKIP_1) | instid1(VALU_DEP_1)
	v_fma_f64 v[83:84], v[103:104], v[87:88], v[83:84]
	s_waitcnt vmcnt(3)
	v_fma_f64 v[75:76], v[75:76], v[89:90], v[83:84]
	ds_load_b128 v[83:86], v1 offset:496
	ds_load_b128 v[87:90], v1 offset:512
	s_waitcnt lgkmcnt(1)
	v_fma_f64 v[75:76], v[77:78], v[83:84], v[75:76]
	s_waitcnt vmcnt(2)
	s_delay_alu instid0(VALU_DEP_1) | instskip(SKIP_1) | instid1(VALU_DEP_1)
	v_fma_f64 v[75:76], v[97:98], v[85:86], v[75:76]
	s_waitcnt lgkmcnt(0)
	v_fma_f64 v[75:76], v[99:100], v[87:88], v[75:76]
	s_waitcnt vmcnt(1)
	s_delay_alu instid0(VALU_DEP_1) | instskip(SKIP_4) | instid1(VALU_DEP_1)
	v_fma_f64 v[79:80], v[79:80], v[89:90], v[75:76]
	ds_load_b128 v[75:78], v1 offset:528
	s_waitcnt lgkmcnt(0)
	v_fma_f64 v[1:2], v[81:82], v[75:76], v[79:80]
	s_waitcnt vmcnt(0)
	v_fma_f64 v[1:2], v[91:92], v[77:78], v[1:2]
	s_delay_alu instid0(VALU_DEP_1)
	v_add_f64 v[1:2], v[73:74], -v[1:2]
	scratch_store_b64 off, v[1:2], off offset:120
	v_cmpx_lt_u32_e32 14, v0
	s_cbranch_execz .LBB33_185
; %bb.184:
	scratch_load_b64 v[1:2], off, off offset:112
	v_mov_b32_e32 v73, 0
	s_delay_alu instid0(VALU_DEP_1)
	v_mov_b32_e32 v74, v73
	scratch_store_b64 off, v[73:74], off offset:112
	s_waitcnt vmcnt(0)
	ds_store_b64 v3, v[1:2]
.LBB33_185:
	s_or_b32 exec_lo, exec_lo, s0
	s_waitcnt lgkmcnt(0)
	s_waitcnt_vscnt null, 0x0
	s_barrier
	buffer_gl0_inv
	s_clause 0x4
	scratch_load_b128 v[73:76], off, off offset:112
	scratch_load_b128 v[77:80], off, off offset:128
	;; [unrolled: 1-line block ×5, first 2 shown]
	v_mov_b32_e32 v1, 0
	ds_load_2addr_b64 v[93:96], v1 offset0:49 offset1:50
	ds_load_2addr_b64 v[97:100], v1 offset0:51 offset1:52
	scratch_load_b128 v[101:104], off, off offset:192
	s_mov_b32 s0, exec_lo
	s_waitcnt vmcnt(5) lgkmcnt(1)
	v_fma_f64 v[75:76], v[75:76], v[93:94], 0
	s_waitcnt vmcnt(4)
	s_delay_alu instid0(VALU_DEP_1) | instskip(SKIP_1) | instid1(VALU_DEP_1)
	v_fma_f64 v[75:76], v[77:78], v[95:96], v[75:76]
	s_waitcnt lgkmcnt(0)
	v_fma_f64 v[79:80], v[79:80], v[97:98], v[75:76]
	scratch_load_b128 v[75:78], off, off offset:208
	s_waitcnt vmcnt(4)
	v_fma_f64 v[97:98], v[81:82], v[99:100], v[79:80]
	ds_load_2addr_b64 v[79:82], v1 offset0:53 offset1:54
	ds_load_2addr_b64 v[93:96], v1 offset0:55 offset1:56
	s_waitcnt lgkmcnt(1)
	v_fma_f64 v[79:80], v[83:84], v[79:80], v[97:98]
	scratch_load_b128 v[97:100], off, off offset:224
	s_waitcnt vmcnt(4)
	v_fma_f64 v[79:80], v[85:86], v[81:82], v[79:80]
	s_waitcnt lgkmcnt(0)
	s_delay_alu instid0(VALU_DEP_1)
	v_fma_f64 v[83:84], v[87:88], v[93:94], v[79:80]
	scratch_load_b128 v[79:82], off, off offset:240
	s_waitcnt vmcnt(4)
	v_fma_f64 v[93:94], v[89:90], v[95:96], v[83:84]
	ds_load_2addr_b64 v[83:86], v1 offset0:57 offset1:58
	ds_load_2addr_b64 v[87:90], v1 offset0:59 offset1:60
	s_waitcnt lgkmcnt(1)
	v_fma_f64 v[83:84], v[91:92], v[83:84], v[93:94]
	scratch_load_b128 v[91:94], off, off offset:256
	s_waitcnt vmcnt(4)
	v_fma_f64 v[83:84], v[101:102], v[85:86], v[83:84]
	s_waitcnt lgkmcnt(0)
	s_delay_alu instid0(VALU_DEP_1) | instskip(SKIP_1) | instid1(VALU_DEP_1)
	v_fma_f64 v[83:84], v[103:104], v[87:88], v[83:84]
	s_waitcnt vmcnt(3)
	v_fma_f64 v[75:76], v[75:76], v[89:90], v[83:84]
	ds_load_2addr_b64 v[83:86], v1 offset0:61 offset1:62
	ds_load_2addr_b64 v[87:90], v1 offset0:63 offset1:64
	s_waitcnt lgkmcnt(1)
	v_fma_f64 v[75:76], v[77:78], v[83:84], v[75:76]
	s_waitcnt vmcnt(2)
	s_delay_alu instid0(VALU_DEP_1) | instskip(SKIP_1) | instid1(VALU_DEP_1)
	v_fma_f64 v[75:76], v[97:98], v[85:86], v[75:76]
	s_waitcnt lgkmcnt(0)
	v_fma_f64 v[75:76], v[99:100], v[87:88], v[75:76]
	s_waitcnt vmcnt(1)
	s_delay_alu instid0(VALU_DEP_1)
	v_fma_f64 v[79:80], v[79:80], v[89:90], v[75:76]
	ds_load_2addr_b64 v[75:78], v1 offset0:65 offset1:66
	ds_load_b64 v[83:84], v1 offset:536
	s_waitcnt lgkmcnt(1)
	v_fma_f64 v[75:76], v[81:82], v[75:76], v[79:80]
	s_waitcnt vmcnt(0)
	s_delay_alu instid0(VALU_DEP_1) | instskip(SKIP_1) | instid1(VALU_DEP_1)
	v_fma_f64 v[75:76], v[91:92], v[77:78], v[75:76]
	s_waitcnt lgkmcnt(0)
	v_fma_f64 v[75:76], v[93:94], v[83:84], v[75:76]
	s_delay_alu instid0(VALU_DEP_1)
	v_add_f64 v[73:74], v[73:74], -v[75:76]
	scratch_store_b64 off, v[73:74], off offset:112
	v_cmpx_lt_u32_e32 13, v0
	s_cbranch_execz .LBB33_187
; %bb.186:
	scratch_load_b64 v[73:74], off, off offset:104
	v_mov_b32_e32 v2, v1
	scratch_store_b64 off, v[1:2], off offset:104
	s_waitcnt vmcnt(0)
	ds_store_b64 v3, v[73:74]
.LBB33_187:
	s_or_b32 exec_lo, exec_lo, s0
	s_waitcnt lgkmcnt(0)
	s_waitcnt_vscnt null, 0x0
	s_barrier
	buffer_gl0_inv
	s_clause 0x4
	scratch_load_b128 v[73:76], off, off offset:104
	scratch_load_b128 v[77:80], off, off offset:120
	scratch_load_b128 v[81:84], off, off offset:136
	scratch_load_b128 v[85:88], off, off offset:152
	scratch_load_b128 v[89:92], off, off offset:168
	ds_load_b128 v[93:96], v1 offset:384
	ds_load_b128 v[97:100], v1 offset:400
	scratch_load_b128 v[101:104], off, off offset:184
	s_mov_b32 s0, exec_lo
	s_waitcnt vmcnt(5) lgkmcnt(1)
	v_fma_f64 v[75:76], v[75:76], v[93:94], 0
	s_waitcnt vmcnt(4)
	s_delay_alu instid0(VALU_DEP_1) | instskip(SKIP_1) | instid1(VALU_DEP_1)
	v_fma_f64 v[75:76], v[77:78], v[95:96], v[75:76]
	s_waitcnt lgkmcnt(0)
	v_fma_f64 v[79:80], v[79:80], v[97:98], v[75:76]
	scratch_load_b128 v[75:78], off, off offset:200
	s_waitcnt vmcnt(4)
	v_fma_f64 v[97:98], v[81:82], v[99:100], v[79:80]
	ds_load_b128 v[79:82], v1 offset:416
	ds_load_b128 v[93:96], v1 offset:432
	s_waitcnt lgkmcnt(1)
	v_fma_f64 v[79:80], v[83:84], v[79:80], v[97:98]
	scratch_load_b128 v[97:100], off, off offset:216
	s_waitcnt vmcnt(4)
	v_fma_f64 v[79:80], v[85:86], v[81:82], v[79:80]
	s_waitcnt lgkmcnt(0)
	s_delay_alu instid0(VALU_DEP_1)
	v_fma_f64 v[83:84], v[87:88], v[93:94], v[79:80]
	scratch_load_b128 v[79:82], off, off offset:232
	s_waitcnt vmcnt(4)
	v_fma_f64 v[93:94], v[89:90], v[95:96], v[83:84]
	ds_load_b128 v[83:86], v1 offset:448
	ds_load_b128 v[87:90], v1 offset:464
	scratch_load_b64 v[95:96], off, off offset:264
	s_waitcnt lgkmcnt(1)
	v_fma_f64 v[83:84], v[91:92], v[83:84], v[93:94]
	scratch_load_b128 v[91:94], off, off offset:248
	s_waitcnt vmcnt(5)
	v_fma_f64 v[83:84], v[101:102], v[85:86], v[83:84]
	s_waitcnt lgkmcnt(0)
	s_delay_alu instid0(VALU_DEP_1) | instskip(SKIP_1) | instid1(VALU_DEP_1)
	v_fma_f64 v[83:84], v[103:104], v[87:88], v[83:84]
	s_waitcnt vmcnt(4)
	v_fma_f64 v[75:76], v[75:76], v[89:90], v[83:84]
	ds_load_b128 v[83:86], v1 offset:480
	ds_load_b128 v[87:90], v1 offset:496
	s_waitcnt lgkmcnt(1)
	v_fma_f64 v[75:76], v[77:78], v[83:84], v[75:76]
	s_waitcnt vmcnt(3)
	s_delay_alu instid0(VALU_DEP_1) | instskip(SKIP_1) | instid1(VALU_DEP_1)
	v_fma_f64 v[75:76], v[97:98], v[85:86], v[75:76]
	s_waitcnt lgkmcnt(0)
	v_fma_f64 v[75:76], v[99:100], v[87:88], v[75:76]
	s_waitcnt vmcnt(2)
	s_delay_alu instid0(VALU_DEP_1)
	v_fma_f64 v[79:80], v[79:80], v[89:90], v[75:76]
	ds_load_b128 v[75:78], v1 offset:512
	ds_load_b128 v[83:86], v1 offset:528
	s_waitcnt lgkmcnt(1)
	v_fma_f64 v[1:2], v[81:82], v[75:76], v[79:80]
	s_waitcnt vmcnt(0)
	s_delay_alu instid0(VALU_DEP_1) | instskip(SKIP_1) | instid1(VALU_DEP_1)
	v_fma_f64 v[1:2], v[91:92], v[77:78], v[1:2]
	s_waitcnt lgkmcnt(0)
	v_fma_f64 v[1:2], v[93:94], v[83:84], v[1:2]
	s_delay_alu instid0(VALU_DEP_1) | instskip(NEXT) | instid1(VALU_DEP_1)
	v_fma_f64 v[1:2], v[95:96], v[85:86], v[1:2]
	v_add_f64 v[1:2], v[73:74], -v[1:2]
	scratch_store_b64 off, v[1:2], off offset:104
	v_cmpx_lt_u32_e32 12, v0
	s_cbranch_execz .LBB33_189
; %bb.188:
	scratch_load_b64 v[1:2], off, off offset:96
	v_mov_b32_e32 v73, 0
	s_delay_alu instid0(VALU_DEP_1)
	v_mov_b32_e32 v74, v73
	scratch_store_b64 off, v[73:74], off offset:96
	s_waitcnt vmcnt(0)
	ds_store_b64 v3, v[1:2]
.LBB33_189:
	s_or_b32 exec_lo, exec_lo, s0
	s_waitcnt lgkmcnt(0)
	s_waitcnt_vscnt null, 0x0
	s_barrier
	buffer_gl0_inv
	s_clause 0x4
	scratch_load_b128 v[73:76], off, off offset:96
	scratch_load_b128 v[77:80], off, off offset:112
	;; [unrolled: 1-line block ×5, first 2 shown]
	v_mov_b32_e32 v1, 0
	ds_load_2addr_b64 v[93:96], v1 offset0:47 offset1:48
	ds_load_2addr_b64 v[97:100], v1 offset0:49 offset1:50
	scratch_load_b128 v[101:104], off, off offset:176
	s_mov_b32 s0, exec_lo
	s_waitcnt vmcnt(5) lgkmcnt(1)
	v_fma_f64 v[75:76], v[75:76], v[93:94], 0
	s_waitcnt vmcnt(4)
	s_delay_alu instid0(VALU_DEP_1) | instskip(SKIP_1) | instid1(VALU_DEP_1)
	v_fma_f64 v[75:76], v[77:78], v[95:96], v[75:76]
	s_waitcnt lgkmcnt(0)
	v_fma_f64 v[79:80], v[79:80], v[97:98], v[75:76]
	scratch_load_b128 v[75:78], off, off offset:192
	s_waitcnt vmcnt(4)
	v_fma_f64 v[97:98], v[81:82], v[99:100], v[79:80]
	ds_load_2addr_b64 v[79:82], v1 offset0:51 offset1:52
	ds_load_2addr_b64 v[93:96], v1 offset0:53 offset1:54
	s_waitcnt lgkmcnt(1)
	v_fma_f64 v[79:80], v[83:84], v[79:80], v[97:98]
	scratch_load_b128 v[97:100], off, off offset:208
	s_waitcnt vmcnt(4)
	v_fma_f64 v[79:80], v[85:86], v[81:82], v[79:80]
	s_waitcnt lgkmcnt(0)
	s_delay_alu instid0(VALU_DEP_1)
	v_fma_f64 v[83:84], v[87:88], v[93:94], v[79:80]
	scratch_load_b128 v[79:82], off, off offset:224
	s_waitcnt vmcnt(4)
	v_fma_f64 v[93:94], v[89:90], v[95:96], v[83:84]
	ds_load_2addr_b64 v[83:86], v1 offset0:55 offset1:56
	ds_load_2addr_b64 v[87:90], v1 offset0:57 offset1:58
	s_waitcnt lgkmcnt(1)
	v_fma_f64 v[83:84], v[91:92], v[83:84], v[93:94]
	scratch_load_b128 v[91:94], off, off offset:240
	s_waitcnt vmcnt(4)
	v_fma_f64 v[83:84], v[101:102], v[85:86], v[83:84]
	s_waitcnt lgkmcnt(0)
	s_delay_alu instid0(VALU_DEP_1)
	v_fma_f64 v[87:88], v[103:104], v[87:88], v[83:84]
	scratch_load_b128 v[83:86], off, off offset:256
	s_waitcnt vmcnt(4)
	v_fma_f64 v[75:76], v[75:76], v[89:90], v[87:88]
	ds_load_2addr_b64 v[87:90], v1 offset0:59 offset1:60
	ds_load_2addr_b64 v[101:104], v1 offset0:61 offset1:62
	s_waitcnt lgkmcnt(1)
	v_fma_f64 v[75:76], v[77:78], v[87:88], v[75:76]
	s_waitcnt vmcnt(3)
	s_delay_alu instid0(VALU_DEP_1) | instskip(SKIP_1) | instid1(VALU_DEP_1)
	v_fma_f64 v[75:76], v[97:98], v[89:90], v[75:76]
	s_waitcnt lgkmcnt(0)
	v_fma_f64 v[75:76], v[99:100], v[101:102], v[75:76]
	s_waitcnt vmcnt(2)
	s_delay_alu instid0(VALU_DEP_1)
	v_fma_f64 v[79:80], v[79:80], v[103:104], v[75:76]
	ds_load_2addr_b64 v[75:78], v1 offset0:63 offset1:64
	ds_load_2addr_b64 v[87:90], v1 offset0:65 offset1:66
	s_waitcnt lgkmcnt(1)
	v_fma_f64 v[75:76], v[81:82], v[75:76], v[79:80]
	s_waitcnt vmcnt(1)
	s_delay_alu instid0(VALU_DEP_1) | instskip(SKIP_4) | instid1(VALU_DEP_1)
	v_fma_f64 v[75:76], v[91:92], v[77:78], v[75:76]
	ds_load_b64 v[77:78], v1 offset:536
	s_waitcnt lgkmcnt(1)
	v_fma_f64 v[75:76], v[93:94], v[87:88], v[75:76]
	s_waitcnt vmcnt(0)
	v_fma_f64 v[75:76], v[83:84], v[89:90], v[75:76]
	s_waitcnt lgkmcnt(0)
	s_delay_alu instid0(VALU_DEP_1) | instskip(NEXT) | instid1(VALU_DEP_1)
	v_fma_f64 v[75:76], v[85:86], v[77:78], v[75:76]
	v_add_f64 v[73:74], v[73:74], -v[75:76]
	scratch_store_b64 off, v[73:74], off offset:96
	v_cmpx_lt_u32_e32 11, v0
	s_cbranch_execz .LBB33_191
; %bb.190:
	scratch_load_b64 v[73:74], off, off offset:88
	v_mov_b32_e32 v2, v1
	scratch_store_b64 off, v[1:2], off offset:88
	s_waitcnt vmcnt(0)
	ds_store_b64 v3, v[73:74]
.LBB33_191:
	s_or_b32 exec_lo, exec_lo, s0
	s_waitcnt lgkmcnt(0)
	s_waitcnt_vscnt null, 0x0
	s_barrier
	buffer_gl0_inv
	s_clause 0x4
	scratch_load_b128 v[73:76], off, off offset:88
	scratch_load_b128 v[77:80], off, off offset:104
	;; [unrolled: 1-line block ×5, first 2 shown]
	ds_load_b128 v[93:96], v1 offset:368
	ds_load_b128 v[97:100], v1 offset:384
	scratch_load_b128 v[101:104], off, off offset:168
	s_mov_b32 s0, exec_lo
	s_waitcnt vmcnt(5) lgkmcnt(1)
	v_fma_f64 v[75:76], v[75:76], v[93:94], 0
	s_waitcnt vmcnt(4)
	s_delay_alu instid0(VALU_DEP_1) | instskip(SKIP_1) | instid1(VALU_DEP_1)
	v_fma_f64 v[75:76], v[77:78], v[95:96], v[75:76]
	s_waitcnt lgkmcnt(0)
	v_fma_f64 v[79:80], v[79:80], v[97:98], v[75:76]
	scratch_load_b128 v[75:78], off, off offset:184
	s_waitcnt vmcnt(4)
	v_fma_f64 v[97:98], v[81:82], v[99:100], v[79:80]
	ds_load_b128 v[79:82], v1 offset:400
	ds_load_b128 v[93:96], v1 offset:416
	s_waitcnt lgkmcnt(1)
	v_fma_f64 v[79:80], v[83:84], v[79:80], v[97:98]
	scratch_load_b128 v[97:100], off, off offset:200
	s_waitcnt vmcnt(4)
	v_fma_f64 v[79:80], v[85:86], v[81:82], v[79:80]
	s_waitcnt lgkmcnt(0)
	s_delay_alu instid0(VALU_DEP_1)
	v_fma_f64 v[83:84], v[87:88], v[93:94], v[79:80]
	scratch_load_b128 v[79:82], off, off offset:216
	s_waitcnt vmcnt(4)
	v_fma_f64 v[93:94], v[89:90], v[95:96], v[83:84]
	ds_load_b128 v[83:86], v1 offset:432
	ds_load_b128 v[87:90], v1 offset:448
	s_waitcnt lgkmcnt(1)
	v_fma_f64 v[83:84], v[91:92], v[83:84], v[93:94]
	scratch_load_b128 v[91:94], off, off offset:232
	s_waitcnt vmcnt(4)
	v_fma_f64 v[83:84], v[101:102], v[85:86], v[83:84]
	s_waitcnt lgkmcnt(0)
	s_delay_alu instid0(VALU_DEP_1)
	v_fma_f64 v[87:88], v[103:104], v[87:88], v[83:84]
	scratch_load_b128 v[83:86], off, off offset:248
	s_waitcnt vmcnt(4)
	v_fma_f64 v[75:76], v[75:76], v[89:90], v[87:88]
	ds_load_b128 v[87:90], v1 offset:464
	ds_load_b128 v[101:104], v1 offset:480
	scratch_load_b64 v[95:96], off, off offset:264
	s_waitcnt lgkmcnt(1)
	v_fma_f64 v[75:76], v[77:78], v[87:88], v[75:76]
	s_waitcnt vmcnt(4)
	s_delay_alu instid0(VALU_DEP_1) | instskip(SKIP_1) | instid1(VALU_DEP_1)
	v_fma_f64 v[75:76], v[97:98], v[89:90], v[75:76]
	s_waitcnt lgkmcnt(0)
	v_fma_f64 v[75:76], v[99:100], v[101:102], v[75:76]
	s_waitcnt vmcnt(3)
	s_delay_alu instid0(VALU_DEP_1)
	v_fma_f64 v[79:80], v[79:80], v[103:104], v[75:76]
	ds_load_b128 v[75:78], v1 offset:496
	ds_load_b128 v[87:90], v1 offset:512
	s_waitcnt lgkmcnt(1)
	v_fma_f64 v[75:76], v[81:82], v[75:76], v[79:80]
	s_waitcnt vmcnt(2)
	s_delay_alu instid0(VALU_DEP_1) | instskip(SKIP_1) | instid1(VALU_DEP_1)
	v_fma_f64 v[75:76], v[91:92], v[77:78], v[75:76]
	s_waitcnt lgkmcnt(0)
	v_fma_f64 v[75:76], v[93:94], v[87:88], v[75:76]
	s_waitcnt vmcnt(1)
	s_delay_alu instid0(VALU_DEP_1) | instskip(SKIP_4) | instid1(VALU_DEP_1)
	v_fma_f64 v[79:80], v[83:84], v[89:90], v[75:76]
	ds_load_b128 v[75:78], v1 offset:528
	s_waitcnt lgkmcnt(0)
	v_fma_f64 v[1:2], v[85:86], v[75:76], v[79:80]
	s_waitcnt vmcnt(0)
	v_fma_f64 v[1:2], v[95:96], v[77:78], v[1:2]
	s_delay_alu instid0(VALU_DEP_1)
	v_add_f64 v[1:2], v[73:74], -v[1:2]
	scratch_store_b64 off, v[1:2], off offset:88
	v_cmpx_lt_u32_e32 10, v0
	s_cbranch_execz .LBB33_193
; %bb.192:
	scratch_load_b64 v[1:2], off, off offset:80
	v_mov_b32_e32 v73, 0
	s_delay_alu instid0(VALU_DEP_1)
	v_mov_b32_e32 v74, v73
	scratch_store_b64 off, v[73:74], off offset:80
	s_waitcnt vmcnt(0)
	ds_store_b64 v3, v[1:2]
.LBB33_193:
	s_or_b32 exec_lo, exec_lo, s0
	s_waitcnt lgkmcnt(0)
	s_waitcnt_vscnt null, 0x0
	s_barrier
	buffer_gl0_inv
	s_clause 0x4
	scratch_load_b128 v[73:76], off, off offset:80
	scratch_load_b128 v[77:80], off, off offset:96
	;; [unrolled: 1-line block ×5, first 2 shown]
	v_mov_b32_e32 v1, 0
	ds_load_2addr_b64 v[93:96], v1 offset0:45 offset1:46
	ds_load_2addr_b64 v[97:100], v1 offset0:47 offset1:48
	scratch_load_b128 v[101:104], off, off offset:160
	s_mov_b32 s0, exec_lo
	s_waitcnt vmcnt(5) lgkmcnt(1)
	v_fma_f64 v[75:76], v[75:76], v[93:94], 0
	s_waitcnt vmcnt(4)
	s_delay_alu instid0(VALU_DEP_1) | instskip(SKIP_1) | instid1(VALU_DEP_1)
	v_fma_f64 v[75:76], v[77:78], v[95:96], v[75:76]
	s_waitcnt lgkmcnt(0)
	v_fma_f64 v[79:80], v[79:80], v[97:98], v[75:76]
	scratch_load_b128 v[75:78], off, off offset:176
	s_waitcnt vmcnt(4)
	v_fma_f64 v[97:98], v[81:82], v[99:100], v[79:80]
	ds_load_2addr_b64 v[79:82], v1 offset0:49 offset1:50
	ds_load_2addr_b64 v[93:96], v1 offset0:51 offset1:52
	s_waitcnt lgkmcnt(1)
	v_fma_f64 v[79:80], v[83:84], v[79:80], v[97:98]
	scratch_load_b128 v[97:100], off, off offset:192
	s_waitcnt vmcnt(4)
	v_fma_f64 v[79:80], v[85:86], v[81:82], v[79:80]
	s_waitcnt lgkmcnt(0)
	s_delay_alu instid0(VALU_DEP_1)
	v_fma_f64 v[83:84], v[87:88], v[93:94], v[79:80]
	scratch_load_b128 v[79:82], off, off offset:208
	s_waitcnt vmcnt(4)
	v_fma_f64 v[93:94], v[89:90], v[95:96], v[83:84]
	ds_load_2addr_b64 v[83:86], v1 offset0:53 offset1:54
	ds_load_2addr_b64 v[87:90], v1 offset0:55 offset1:56
	s_waitcnt lgkmcnt(1)
	v_fma_f64 v[83:84], v[91:92], v[83:84], v[93:94]
	scratch_load_b128 v[91:94], off, off offset:224
	s_waitcnt vmcnt(4)
	v_fma_f64 v[83:84], v[101:102], v[85:86], v[83:84]
	s_waitcnt lgkmcnt(0)
	s_delay_alu instid0(VALU_DEP_1)
	v_fma_f64 v[87:88], v[103:104], v[87:88], v[83:84]
	scratch_load_b128 v[83:86], off, off offset:240
	s_waitcnt vmcnt(4)
	v_fma_f64 v[75:76], v[75:76], v[89:90], v[87:88]
	ds_load_2addr_b64 v[87:90], v1 offset0:57 offset1:58
	ds_load_2addr_b64 v[101:104], v1 offset0:59 offset1:60
	s_waitcnt lgkmcnt(1)
	v_fma_f64 v[87:88], v[77:78], v[87:88], v[75:76]
	scratch_load_b128 v[75:78], off, off offset:256
	s_waitcnt vmcnt(4)
	v_fma_f64 v[87:88], v[97:98], v[89:90], v[87:88]
	s_waitcnt lgkmcnt(0)
	s_delay_alu instid0(VALU_DEP_1) | instskip(SKIP_1) | instid1(VALU_DEP_1)
	v_fma_f64 v[87:88], v[99:100], v[101:102], v[87:88]
	s_waitcnt vmcnt(3)
	v_fma_f64 v[79:80], v[79:80], v[103:104], v[87:88]
	ds_load_2addr_b64 v[87:90], v1 offset0:61 offset1:62
	ds_load_2addr_b64 v[95:98], v1 offset0:63 offset1:64
	s_waitcnt lgkmcnt(1)
	v_fma_f64 v[79:80], v[81:82], v[87:88], v[79:80]
	s_waitcnt vmcnt(2)
	s_delay_alu instid0(VALU_DEP_1) | instskip(SKIP_1) | instid1(VALU_DEP_1)
	v_fma_f64 v[79:80], v[91:92], v[89:90], v[79:80]
	s_waitcnt lgkmcnt(0)
	v_fma_f64 v[79:80], v[93:94], v[95:96], v[79:80]
	s_waitcnt vmcnt(1)
	s_delay_alu instid0(VALU_DEP_1)
	v_fma_f64 v[83:84], v[83:84], v[97:98], v[79:80]
	ds_load_2addr_b64 v[79:82], v1 offset0:65 offset1:66
	ds_load_b64 v[87:88], v1 offset:536
	s_waitcnt lgkmcnt(1)
	v_fma_f64 v[79:80], v[85:86], v[79:80], v[83:84]
	s_waitcnt vmcnt(0)
	s_delay_alu instid0(VALU_DEP_1) | instskip(SKIP_1) | instid1(VALU_DEP_1)
	v_fma_f64 v[75:76], v[75:76], v[81:82], v[79:80]
	s_waitcnt lgkmcnt(0)
	v_fma_f64 v[75:76], v[77:78], v[87:88], v[75:76]
	s_delay_alu instid0(VALU_DEP_1)
	v_add_f64 v[73:74], v[73:74], -v[75:76]
	scratch_store_b64 off, v[73:74], off offset:80
	v_cmpx_lt_u32_e32 9, v0
	s_cbranch_execz .LBB33_195
; %bb.194:
	scratch_load_b64 v[73:74], off, off offset:72
	v_mov_b32_e32 v2, v1
	scratch_store_b64 off, v[1:2], off offset:72
	s_waitcnt vmcnt(0)
	ds_store_b64 v3, v[73:74]
.LBB33_195:
	s_or_b32 exec_lo, exec_lo, s0
	s_waitcnt lgkmcnt(0)
	s_waitcnt_vscnt null, 0x0
	s_barrier
	buffer_gl0_inv
	s_clause 0x4
	scratch_load_b128 v[73:76], off, off offset:72
	scratch_load_b128 v[77:80], off, off offset:88
	;; [unrolled: 1-line block ×5, first 2 shown]
	ds_load_b128 v[93:96], v1 offset:352
	ds_load_b128 v[97:100], v1 offset:368
	scratch_load_b128 v[101:104], off, off offset:152
	s_mov_b32 s0, exec_lo
	s_waitcnt vmcnt(5) lgkmcnt(1)
	v_fma_f64 v[75:76], v[75:76], v[93:94], 0
	s_waitcnt vmcnt(4)
	s_delay_alu instid0(VALU_DEP_1) | instskip(SKIP_1) | instid1(VALU_DEP_1)
	v_fma_f64 v[75:76], v[77:78], v[95:96], v[75:76]
	s_waitcnt lgkmcnt(0)
	v_fma_f64 v[79:80], v[79:80], v[97:98], v[75:76]
	scratch_load_b128 v[75:78], off, off offset:168
	s_waitcnt vmcnt(4)
	v_fma_f64 v[97:98], v[81:82], v[99:100], v[79:80]
	ds_load_b128 v[79:82], v1 offset:384
	ds_load_b128 v[93:96], v1 offset:400
	s_waitcnt lgkmcnt(1)
	v_fma_f64 v[79:80], v[83:84], v[79:80], v[97:98]
	scratch_load_b128 v[97:100], off, off offset:184
	s_waitcnt vmcnt(4)
	v_fma_f64 v[79:80], v[85:86], v[81:82], v[79:80]
	s_waitcnt lgkmcnt(0)
	s_delay_alu instid0(VALU_DEP_1)
	v_fma_f64 v[83:84], v[87:88], v[93:94], v[79:80]
	scratch_load_b128 v[79:82], off, off offset:200
	s_waitcnt vmcnt(4)
	v_fma_f64 v[93:94], v[89:90], v[95:96], v[83:84]
	ds_load_b128 v[83:86], v1 offset:416
	ds_load_b128 v[87:90], v1 offset:432
	s_waitcnt lgkmcnt(1)
	v_fma_f64 v[83:84], v[91:92], v[83:84], v[93:94]
	scratch_load_b128 v[91:94], off, off offset:216
	s_waitcnt vmcnt(4)
	v_fma_f64 v[83:84], v[101:102], v[85:86], v[83:84]
	s_waitcnt lgkmcnt(0)
	s_delay_alu instid0(VALU_DEP_1)
	;; [unrolled: 13-line block ×3, first 2 shown]
	v_fma_f64 v[87:88], v[99:100], v[101:102], v[87:88]
	scratch_load_b64 v[99:100], off, off offset:264
	s_waitcnt vmcnt(4)
	v_fma_f64 v[79:80], v[79:80], v[103:104], v[87:88]
	ds_load_b128 v[87:90], v1 offset:480
	ds_load_b128 v[95:98], v1 offset:496
	s_waitcnt lgkmcnt(1)
	v_fma_f64 v[79:80], v[81:82], v[87:88], v[79:80]
	s_waitcnt vmcnt(3)
	s_delay_alu instid0(VALU_DEP_1) | instskip(SKIP_1) | instid1(VALU_DEP_1)
	v_fma_f64 v[79:80], v[91:92], v[89:90], v[79:80]
	s_waitcnt lgkmcnt(0)
	v_fma_f64 v[79:80], v[93:94], v[95:96], v[79:80]
	s_waitcnt vmcnt(2)
	s_delay_alu instid0(VALU_DEP_1)
	v_fma_f64 v[83:84], v[83:84], v[97:98], v[79:80]
	ds_load_b128 v[79:82], v1 offset:512
	ds_load_b128 v[87:90], v1 offset:528
	s_waitcnt lgkmcnt(1)
	v_fma_f64 v[1:2], v[85:86], v[79:80], v[83:84]
	s_waitcnt vmcnt(1)
	s_delay_alu instid0(VALU_DEP_1) | instskip(SKIP_1) | instid1(VALU_DEP_1)
	v_fma_f64 v[1:2], v[75:76], v[81:82], v[1:2]
	s_waitcnt lgkmcnt(0)
	v_fma_f64 v[1:2], v[77:78], v[87:88], v[1:2]
	s_waitcnt vmcnt(0)
	s_delay_alu instid0(VALU_DEP_1) | instskip(NEXT) | instid1(VALU_DEP_1)
	v_fma_f64 v[1:2], v[99:100], v[89:90], v[1:2]
	v_add_f64 v[1:2], v[73:74], -v[1:2]
	scratch_store_b64 off, v[1:2], off offset:72
	v_cmpx_lt_u32_e32 8, v0
	s_cbranch_execz .LBB33_197
; %bb.196:
	scratch_load_b64 v[1:2], off, off offset:64
	v_mov_b32_e32 v73, 0
	s_delay_alu instid0(VALU_DEP_1)
	v_mov_b32_e32 v74, v73
	scratch_store_b64 off, v[73:74], off offset:64
	s_waitcnt vmcnt(0)
	ds_store_b64 v3, v[1:2]
.LBB33_197:
	s_or_b32 exec_lo, exec_lo, s0
	s_waitcnt lgkmcnt(0)
	s_waitcnt_vscnt null, 0x0
	s_barrier
	buffer_gl0_inv
	s_clause 0x4
	scratch_load_b128 v[73:76], off, off offset:64
	scratch_load_b128 v[77:80], off, off offset:80
	;; [unrolled: 1-line block ×5, first 2 shown]
	v_mov_b32_e32 v1, 0
	ds_load_2addr_b64 v[93:96], v1 offset0:43 offset1:44
	ds_load_2addr_b64 v[97:100], v1 offset0:45 offset1:46
	scratch_load_b128 v[101:104], off, off offset:144
	s_mov_b32 s0, exec_lo
	s_waitcnt vmcnt(5) lgkmcnt(1)
	v_fma_f64 v[75:76], v[75:76], v[93:94], 0
	s_waitcnt vmcnt(4)
	s_delay_alu instid0(VALU_DEP_1) | instskip(SKIP_1) | instid1(VALU_DEP_1)
	v_fma_f64 v[75:76], v[77:78], v[95:96], v[75:76]
	s_waitcnt lgkmcnt(0)
	v_fma_f64 v[79:80], v[79:80], v[97:98], v[75:76]
	scratch_load_b128 v[75:78], off, off offset:160
	s_waitcnt vmcnt(4)
	v_fma_f64 v[97:98], v[81:82], v[99:100], v[79:80]
	ds_load_2addr_b64 v[79:82], v1 offset0:47 offset1:48
	ds_load_2addr_b64 v[93:96], v1 offset0:49 offset1:50
	s_waitcnt lgkmcnt(1)
	v_fma_f64 v[79:80], v[83:84], v[79:80], v[97:98]
	scratch_load_b128 v[97:100], off, off offset:176
	s_waitcnt vmcnt(4)
	v_fma_f64 v[79:80], v[85:86], v[81:82], v[79:80]
	s_waitcnt lgkmcnt(0)
	s_delay_alu instid0(VALU_DEP_1)
	v_fma_f64 v[83:84], v[87:88], v[93:94], v[79:80]
	scratch_load_b128 v[79:82], off, off offset:192
	s_waitcnt vmcnt(4)
	v_fma_f64 v[93:94], v[89:90], v[95:96], v[83:84]
	ds_load_2addr_b64 v[83:86], v1 offset0:51 offset1:52
	ds_load_2addr_b64 v[87:90], v1 offset0:53 offset1:54
	s_waitcnt lgkmcnt(1)
	v_fma_f64 v[83:84], v[91:92], v[83:84], v[93:94]
	scratch_load_b128 v[91:94], off, off offset:208
	s_waitcnt vmcnt(4)
	v_fma_f64 v[83:84], v[101:102], v[85:86], v[83:84]
	s_waitcnt lgkmcnt(0)
	s_delay_alu instid0(VALU_DEP_1)
	;; [unrolled: 13-line block ×3, first 2 shown]
	v_fma_f64 v[95:96], v[99:100], v[101:102], v[87:88]
	scratch_load_b128 v[87:90], off, off offset:256
	s_waitcnt vmcnt(4)
	v_fma_f64 v[79:80], v[79:80], v[103:104], v[95:96]
	ds_load_2addr_b64 v[95:98], v1 offset0:59 offset1:60
	ds_load_2addr_b64 v[99:102], v1 offset0:61 offset1:62
	s_waitcnt lgkmcnt(1)
	v_fma_f64 v[79:80], v[81:82], v[95:96], v[79:80]
	s_waitcnt vmcnt(3)
	s_delay_alu instid0(VALU_DEP_1) | instskip(SKIP_1) | instid1(VALU_DEP_1)
	v_fma_f64 v[79:80], v[91:92], v[97:98], v[79:80]
	s_waitcnt lgkmcnt(0)
	v_fma_f64 v[79:80], v[93:94], v[99:100], v[79:80]
	s_waitcnt vmcnt(2)
	s_delay_alu instid0(VALU_DEP_1)
	v_fma_f64 v[83:84], v[83:84], v[101:102], v[79:80]
	ds_load_2addr_b64 v[79:82], v1 offset0:63 offset1:64
	ds_load_2addr_b64 v[91:94], v1 offset0:65 offset1:66
	s_waitcnt lgkmcnt(1)
	v_fma_f64 v[79:80], v[85:86], v[79:80], v[83:84]
	s_waitcnt vmcnt(1)
	s_delay_alu instid0(VALU_DEP_1) | instskip(SKIP_1) | instid1(VALU_DEP_1)
	v_fma_f64 v[75:76], v[75:76], v[81:82], v[79:80]
	s_waitcnt lgkmcnt(0)
	v_fma_f64 v[75:76], v[77:78], v[91:92], v[75:76]
	ds_load_b64 v[77:78], v1 offset:536
	s_waitcnt vmcnt(0)
	v_fma_f64 v[75:76], v[87:88], v[93:94], v[75:76]
	s_waitcnt lgkmcnt(0)
	s_delay_alu instid0(VALU_DEP_1) | instskip(NEXT) | instid1(VALU_DEP_1)
	v_fma_f64 v[75:76], v[89:90], v[77:78], v[75:76]
	v_add_f64 v[73:74], v[73:74], -v[75:76]
	scratch_store_b64 off, v[73:74], off offset:64
	v_cmpx_lt_u32_e32 7, v0
	s_cbranch_execz .LBB33_199
; %bb.198:
	scratch_load_b64 v[73:74], off, off offset:56
	v_mov_b32_e32 v2, v1
	scratch_store_b64 off, v[1:2], off offset:56
	s_waitcnt vmcnt(0)
	ds_store_b64 v3, v[73:74]
.LBB33_199:
	s_or_b32 exec_lo, exec_lo, s0
	s_waitcnt lgkmcnt(0)
	s_waitcnt_vscnt null, 0x0
	s_barrier
	buffer_gl0_inv
	s_clause 0x4
	scratch_load_b128 v[73:76], off, off offset:56
	scratch_load_b128 v[77:80], off, off offset:72
	;; [unrolled: 1-line block ×5, first 2 shown]
	ds_load_b128 v[93:96], v1 offset:336
	ds_load_b128 v[97:100], v1 offset:352
	scratch_load_b128 v[101:104], off, off offset:136
	s_mov_b32 s0, exec_lo
	s_waitcnt vmcnt(5) lgkmcnt(1)
	v_fma_f64 v[75:76], v[75:76], v[93:94], 0
	s_waitcnt vmcnt(4)
	s_delay_alu instid0(VALU_DEP_1) | instskip(SKIP_1) | instid1(VALU_DEP_1)
	v_fma_f64 v[75:76], v[77:78], v[95:96], v[75:76]
	s_waitcnt lgkmcnt(0)
	v_fma_f64 v[79:80], v[79:80], v[97:98], v[75:76]
	scratch_load_b128 v[75:78], off, off offset:152
	s_waitcnt vmcnt(4)
	v_fma_f64 v[97:98], v[81:82], v[99:100], v[79:80]
	ds_load_b128 v[79:82], v1 offset:368
	ds_load_b128 v[93:96], v1 offset:384
	s_waitcnt lgkmcnt(1)
	v_fma_f64 v[79:80], v[83:84], v[79:80], v[97:98]
	scratch_load_b128 v[97:100], off, off offset:168
	s_waitcnt vmcnt(4)
	v_fma_f64 v[79:80], v[85:86], v[81:82], v[79:80]
	s_waitcnt lgkmcnt(0)
	s_delay_alu instid0(VALU_DEP_1)
	v_fma_f64 v[83:84], v[87:88], v[93:94], v[79:80]
	scratch_load_b128 v[79:82], off, off offset:184
	s_waitcnt vmcnt(4)
	v_fma_f64 v[93:94], v[89:90], v[95:96], v[83:84]
	ds_load_b128 v[83:86], v1 offset:400
	ds_load_b128 v[87:90], v1 offset:416
	s_waitcnt lgkmcnt(1)
	v_fma_f64 v[83:84], v[91:92], v[83:84], v[93:94]
	scratch_load_b128 v[91:94], off, off offset:200
	s_waitcnt vmcnt(4)
	v_fma_f64 v[83:84], v[101:102], v[85:86], v[83:84]
	s_waitcnt lgkmcnt(0)
	s_delay_alu instid0(VALU_DEP_1)
	;; [unrolled: 13-line block ×3, first 2 shown]
	v_fma_f64 v[95:96], v[99:100], v[101:102], v[87:88]
	scratch_load_b128 v[87:90], off, off offset:248
	s_waitcnt vmcnt(4)
	v_fma_f64 v[79:80], v[79:80], v[103:104], v[95:96]
	ds_load_b128 v[95:98], v1 offset:464
	ds_load_b128 v[99:102], v1 offset:480
	s_waitcnt lgkmcnt(1)
	v_fma_f64 v[79:80], v[81:82], v[95:96], v[79:80]
	scratch_load_b64 v[95:96], off, off offset:264
	s_waitcnt vmcnt(4)
	v_fma_f64 v[79:80], v[91:92], v[97:98], v[79:80]
	s_waitcnt lgkmcnt(0)
	s_delay_alu instid0(VALU_DEP_1) | instskip(SKIP_1) | instid1(VALU_DEP_1)
	v_fma_f64 v[79:80], v[93:94], v[99:100], v[79:80]
	s_waitcnt vmcnt(3)
	v_fma_f64 v[83:84], v[83:84], v[101:102], v[79:80]
	ds_load_b128 v[79:82], v1 offset:496
	ds_load_b128 v[91:94], v1 offset:512
	s_waitcnt lgkmcnt(1)
	v_fma_f64 v[79:80], v[85:86], v[79:80], v[83:84]
	s_waitcnt vmcnt(2)
	s_delay_alu instid0(VALU_DEP_1) | instskip(SKIP_1) | instid1(VALU_DEP_1)
	v_fma_f64 v[75:76], v[75:76], v[81:82], v[79:80]
	s_waitcnt lgkmcnt(0)
	v_fma_f64 v[75:76], v[77:78], v[91:92], v[75:76]
	s_waitcnt vmcnt(1)
	s_delay_alu instid0(VALU_DEP_1) | instskip(SKIP_4) | instid1(VALU_DEP_1)
	v_fma_f64 v[79:80], v[87:88], v[93:94], v[75:76]
	ds_load_b128 v[75:78], v1 offset:528
	s_waitcnt lgkmcnt(0)
	v_fma_f64 v[1:2], v[89:90], v[75:76], v[79:80]
	s_waitcnt vmcnt(0)
	v_fma_f64 v[1:2], v[95:96], v[77:78], v[1:2]
	s_delay_alu instid0(VALU_DEP_1)
	v_add_f64 v[1:2], v[73:74], -v[1:2]
	scratch_store_b64 off, v[1:2], off offset:56
	v_cmpx_lt_u32_e32 6, v0
	s_cbranch_execz .LBB33_201
; %bb.200:
	scratch_load_b64 v[1:2], off, off offset:48
	v_mov_b32_e32 v73, 0
	s_delay_alu instid0(VALU_DEP_1)
	v_mov_b32_e32 v74, v73
	scratch_store_b64 off, v[73:74], off offset:48
	s_waitcnt vmcnt(0)
	ds_store_b64 v3, v[1:2]
.LBB33_201:
	s_or_b32 exec_lo, exec_lo, s0
	s_waitcnt lgkmcnt(0)
	s_waitcnt_vscnt null, 0x0
	s_barrier
	buffer_gl0_inv
	s_clause 0x4
	scratch_load_b128 v[73:76], off, off offset:48
	scratch_load_b128 v[77:80], off, off offset:64
	;; [unrolled: 1-line block ×5, first 2 shown]
	v_mov_b32_e32 v1, 0
	ds_load_2addr_b64 v[93:96], v1 offset0:41 offset1:42
	ds_load_2addr_b64 v[97:100], v1 offset0:43 offset1:44
	scratch_load_b128 v[101:104], off, off offset:128
	s_mov_b32 s0, exec_lo
	s_waitcnt vmcnt(5) lgkmcnt(1)
	v_fma_f64 v[75:76], v[75:76], v[93:94], 0
	s_waitcnt vmcnt(4)
	s_delay_alu instid0(VALU_DEP_1) | instskip(SKIP_1) | instid1(VALU_DEP_1)
	v_fma_f64 v[75:76], v[77:78], v[95:96], v[75:76]
	s_waitcnt lgkmcnt(0)
	v_fma_f64 v[79:80], v[79:80], v[97:98], v[75:76]
	scratch_load_b128 v[75:78], off, off offset:144
	s_waitcnt vmcnt(4)
	v_fma_f64 v[97:98], v[81:82], v[99:100], v[79:80]
	ds_load_2addr_b64 v[79:82], v1 offset0:45 offset1:46
	ds_load_2addr_b64 v[93:96], v1 offset0:47 offset1:48
	s_waitcnt lgkmcnt(1)
	v_fma_f64 v[79:80], v[83:84], v[79:80], v[97:98]
	scratch_load_b128 v[97:100], off, off offset:160
	s_waitcnt vmcnt(4)
	v_fma_f64 v[79:80], v[85:86], v[81:82], v[79:80]
	s_waitcnt lgkmcnt(0)
	s_delay_alu instid0(VALU_DEP_1)
	v_fma_f64 v[83:84], v[87:88], v[93:94], v[79:80]
	scratch_load_b128 v[79:82], off, off offset:176
	s_waitcnt vmcnt(4)
	v_fma_f64 v[93:94], v[89:90], v[95:96], v[83:84]
	ds_load_2addr_b64 v[83:86], v1 offset0:49 offset1:50
	ds_load_2addr_b64 v[87:90], v1 offset0:51 offset1:52
	s_waitcnt lgkmcnt(1)
	v_fma_f64 v[83:84], v[91:92], v[83:84], v[93:94]
	scratch_load_b128 v[91:94], off, off offset:192
	s_waitcnt vmcnt(4)
	v_fma_f64 v[83:84], v[101:102], v[85:86], v[83:84]
	s_waitcnt lgkmcnt(0)
	s_delay_alu instid0(VALU_DEP_1)
	;; [unrolled: 13-line block ×3, first 2 shown]
	v_fma_f64 v[95:96], v[99:100], v[101:102], v[87:88]
	scratch_load_b128 v[87:90], off, off offset:240
	s_waitcnt vmcnt(4)
	v_fma_f64 v[79:80], v[79:80], v[103:104], v[95:96]
	ds_load_2addr_b64 v[95:98], v1 offset0:57 offset1:58
	ds_load_2addr_b64 v[99:102], v1 offset0:59 offset1:60
	s_waitcnt lgkmcnt(1)
	v_fma_f64 v[95:96], v[81:82], v[95:96], v[79:80]
	scratch_load_b128 v[79:82], off, off offset:256
	s_waitcnt vmcnt(4)
	v_fma_f64 v[91:92], v[91:92], v[97:98], v[95:96]
	s_waitcnt lgkmcnt(0)
	s_delay_alu instid0(VALU_DEP_1) | instskip(SKIP_1) | instid1(VALU_DEP_1)
	v_fma_f64 v[91:92], v[93:94], v[99:100], v[91:92]
	s_waitcnt vmcnt(3)
	v_fma_f64 v[83:84], v[83:84], v[101:102], v[91:92]
	ds_load_2addr_b64 v[91:94], v1 offset0:61 offset1:62
	ds_load_2addr_b64 v[95:98], v1 offset0:63 offset1:64
	s_waitcnt lgkmcnt(1)
	v_fma_f64 v[83:84], v[85:86], v[91:92], v[83:84]
	s_waitcnt vmcnt(2)
	s_delay_alu instid0(VALU_DEP_1) | instskip(SKIP_1) | instid1(VALU_DEP_1)
	v_fma_f64 v[75:76], v[75:76], v[93:94], v[83:84]
	s_waitcnt lgkmcnt(0)
	v_fma_f64 v[75:76], v[77:78], v[95:96], v[75:76]
	s_waitcnt vmcnt(1)
	s_delay_alu instid0(VALU_DEP_1)
	v_fma_f64 v[83:84], v[87:88], v[97:98], v[75:76]
	ds_load_2addr_b64 v[75:78], v1 offset0:65 offset1:66
	ds_load_b64 v[85:86], v1 offset:536
	s_waitcnt lgkmcnt(1)
	v_fma_f64 v[75:76], v[89:90], v[75:76], v[83:84]
	s_waitcnt vmcnt(0)
	s_delay_alu instid0(VALU_DEP_1) | instskip(SKIP_1) | instid1(VALU_DEP_1)
	v_fma_f64 v[75:76], v[79:80], v[77:78], v[75:76]
	s_waitcnt lgkmcnt(0)
	v_fma_f64 v[75:76], v[81:82], v[85:86], v[75:76]
	s_delay_alu instid0(VALU_DEP_1)
	v_add_f64 v[73:74], v[73:74], -v[75:76]
	scratch_store_b64 off, v[73:74], off offset:48
	v_cmpx_lt_u32_e32 5, v0
	s_cbranch_execz .LBB33_203
; %bb.202:
	scratch_load_b64 v[73:74], off, off offset:40
	v_mov_b32_e32 v2, v1
	scratch_store_b64 off, v[1:2], off offset:40
	s_waitcnt vmcnt(0)
	ds_store_b64 v3, v[73:74]
.LBB33_203:
	s_or_b32 exec_lo, exec_lo, s0
	s_waitcnt lgkmcnt(0)
	s_waitcnt_vscnt null, 0x0
	s_barrier
	buffer_gl0_inv
	s_clause 0x4
	scratch_load_b128 v[73:76], off, off offset:40
	scratch_load_b128 v[77:80], off, off offset:56
	;; [unrolled: 1-line block ×5, first 2 shown]
	ds_load_b128 v[93:96], v1 offset:320
	ds_load_b128 v[97:100], v1 offset:336
	scratch_load_b128 v[101:104], off, off offset:120
	s_mov_b32 s0, exec_lo
	s_waitcnt vmcnt(5) lgkmcnt(1)
	v_fma_f64 v[75:76], v[75:76], v[93:94], 0
	s_waitcnt vmcnt(4)
	s_delay_alu instid0(VALU_DEP_1) | instskip(SKIP_1) | instid1(VALU_DEP_1)
	v_fma_f64 v[75:76], v[77:78], v[95:96], v[75:76]
	s_waitcnt lgkmcnt(0)
	v_fma_f64 v[79:80], v[79:80], v[97:98], v[75:76]
	scratch_load_b128 v[75:78], off, off offset:136
	s_waitcnt vmcnt(4)
	v_fma_f64 v[97:98], v[81:82], v[99:100], v[79:80]
	ds_load_b128 v[79:82], v1 offset:352
	ds_load_b128 v[93:96], v1 offset:368
	s_waitcnt lgkmcnt(1)
	v_fma_f64 v[79:80], v[83:84], v[79:80], v[97:98]
	scratch_load_b128 v[97:100], off, off offset:152
	s_waitcnt vmcnt(4)
	v_fma_f64 v[79:80], v[85:86], v[81:82], v[79:80]
	s_waitcnt lgkmcnt(0)
	s_delay_alu instid0(VALU_DEP_1)
	v_fma_f64 v[83:84], v[87:88], v[93:94], v[79:80]
	scratch_load_b128 v[79:82], off, off offset:168
	s_waitcnt vmcnt(4)
	v_fma_f64 v[93:94], v[89:90], v[95:96], v[83:84]
	ds_load_b128 v[83:86], v1 offset:384
	ds_load_b128 v[87:90], v1 offset:400
	s_waitcnt lgkmcnt(1)
	v_fma_f64 v[83:84], v[91:92], v[83:84], v[93:94]
	scratch_load_b128 v[91:94], off, off offset:184
	s_waitcnt vmcnt(4)
	v_fma_f64 v[83:84], v[101:102], v[85:86], v[83:84]
	s_waitcnt lgkmcnt(0)
	s_delay_alu instid0(VALU_DEP_1)
	v_fma_f64 v[87:88], v[103:104], v[87:88], v[83:84]
	scratch_load_b128 v[83:86], off, off offset:200
	s_waitcnt vmcnt(4)
	v_fma_f64 v[75:76], v[75:76], v[89:90], v[87:88]
	ds_load_b128 v[87:90], v1 offset:416
	ds_load_b128 v[101:104], v1 offset:432
	s_waitcnt lgkmcnt(1)
	v_fma_f64 v[87:88], v[77:78], v[87:88], v[75:76]
	scratch_load_b128 v[75:78], off, off offset:216
	s_waitcnt vmcnt(4)
	v_fma_f64 v[87:88], v[97:98], v[89:90], v[87:88]
	s_waitcnt lgkmcnt(0)
	s_delay_alu instid0(VALU_DEP_1)
	v_fma_f64 v[95:96], v[99:100], v[101:102], v[87:88]
	scratch_load_b128 v[87:90], off, off offset:232
	s_waitcnt vmcnt(4)
	v_fma_f64 v[79:80], v[79:80], v[103:104], v[95:96]
	ds_load_b128 v[95:98], v1 offset:448
	ds_load_b128 v[99:102], v1 offset:464
	s_waitcnt lgkmcnt(1)
	v_fma_f64 v[95:96], v[81:82], v[95:96], v[79:80]
	scratch_load_b128 v[79:82], off, off offset:248
	s_waitcnt vmcnt(4)
	v_fma_f64 v[91:92], v[91:92], v[97:98], v[95:96]
	s_waitcnt lgkmcnt(0)
	s_delay_alu instid0(VALU_DEP_1)
	v_fma_f64 v[91:92], v[93:94], v[99:100], v[91:92]
	scratch_load_b64 v[99:100], off, off offset:264
	s_waitcnt vmcnt(4)
	v_fma_f64 v[83:84], v[83:84], v[101:102], v[91:92]
	ds_load_b128 v[91:94], v1 offset:480
	ds_load_b128 v[95:98], v1 offset:496
	s_waitcnt lgkmcnt(1)
	v_fma_f64 v[83:84], v[85:86], v[91:92], v[83:84]
	s_waitcnt vmcnt(3)
	s_delay_alu instid0(VALU_DEP_1) | instskip(SKIP_1) | instid1(VALU_DEP_1)
	v_fma_f64 v[75:76], v[75:76], v[93:94], v[83:84]
	s_waitcnt lgkmcnt(0)
	v_fma_f64 v[75:76], v[77:78], v[95:96], v[75:76]
	s_waitcnt vmcnt(2)
	s_delay_alu instid0(VALU_DEP_1)
	v_fma_f64 v[87:88], v[87:88], v[97:98], v[75:76]
	ds_load_b128 v[75:78], v1 offset:512
	ds_load_b128 v[83:86], v1 offset:528
	s_waitcnt lgkmcnt(1)
	v_fma_f64 v[1:2], v[89:90], v[75:76], v[87:88]
	s_waitcnt vmcnt(1)
	s_delay_alu instid0(VALU_DEP_1) | instskip(SKIP_1) | instid1(VALU_DEP_1)
	v_fma_f64 v[1:2], v[79:80], v[77:78], v[1:2]
	s_waitcnt lgkmcnt(0)
	v_fma_f64 v[1:2], v[81:82], v[83:84], v[1:2]
	s_waitcnt vmcnt(0)
	s_delay_alu instid0(VALU_DEP_1) | instskip(NEXT) | instid1(VALU_DEP_1)
	v_fma_f64 v[1:2], v[99:100], v[85:86], v[1:2]
	v_add_f64 v[1:2], v[73:74], -v[1:2]
	scratch_store_b64 off, v[1:2], off offset:40
	v_cmpx_lt_u32_e32 4, v0
	s_cbranch_execz .LBB33_205
; %bb.204:
	scratch_load_b64 v[1:2], off, off offset:32
	v_mov_b32_e32 v73, 0
	s_delay_alu instid0(VALU_DEP_1)
	v_mov_b32_e32 v74, v73
	scratch_store_b64 off, v[73:74], off offset:32
	s_waitcnt vmcnt(0)
	ds_store_b64 v3, v[1:2]
.LBB33_205:
	s_or_b32 exec_lo, exec_lo, s0
	s_waitcnt lgkmcnt(0)
	s_waitcnt_vscnt null, 0x0
	s_barrier
	buffer_gl0_inv
	s_clause 0x4
	scratch_load_b128 v[73:76], off, off offset:32
	scratch_load_b128 v[77:80], off, off offset:48
	;; [unrolled: 1-line block ×5, first 2 shown]
	v_mov_b32_e32 v1, 0
	ds_load_2addr_b64 v[93:96], v1 offset0:39 offset1:40
	ds_load_2addr_b64 v[97:100], v1 offset0:41 offset1:42
	scratch_load_b128 v[101:104], off, off offset:112
	s_mov_b32 s0, exec_lo
	s_waitcnt vmcnt(5) lgkmcnt(1)
	v_fma_f64 v[75:76], v[75:76], v[93:94], 0
	s_waitcnt vmcnt(4)
	s_delay_alu instid0(VALU_DEP_1) | instskip(SKIP_1) | instid1(VALU_DEP_1)
	v_fma_f64 v[75:76], v[77:78], v[95:96], v[75:76]
	s_waitcnt lgkmcnt(0)
	v_fma_f64 v[79:80], v[79:80], v[97:98], v[75:76]
	scratch_load_b128 v[75:78], off, off offset:128
	s_waitcnt vmcnt(4)
	v_fma_f64 v[97:98], v[81:82], v[99:100], v[79:80]
	ds_load_2addr_b64 v[79:82], v1 offset0:43 offset1:44
	ds_load_2addr_b64 v[93:96], v1 offset0:45 offset1:46
	s_waitcnt lgkmcnt(1)
	v_fma_f64 v[79:80], v[83:84], v[79:80], v[97:98]
	scratch_load_b128 v[97:100], off, off offset:144
	s_waitcnt vmcnt(4)
	v_fma_f64 v[79:80], v[85:86], v[81:82], v[79:80]
	s_waitcnt lgkmcnt(0)
	s_delay_alu instid0(VALU_DEP_1)
	v_fma_f64 v[83:84], v[87:88], v[93:94], v[79:80]
	scratch_load_b128 v[79:82], off, off offset:160
	s_waitcnt vmcnt(4)
	v_fma_f64 v[93:94], v[89:90], v[95:96], v[83:84]
	ds_load_2addr_b64 v[83:86], v1 offset0:47 offset1:48
	ds_load_2addr_b64 v[87:90], v1 offset0:49 offset1:50
	s_waitcnt lgkmcnt(1)
	v_fma_f64 v[83:84], v[91:92], v[83:84], v[93:94]
	scratch_load_b128 v[91:94], off, off offset:176
	s_waitcnt vmcnt(4)
	v_fma_f64 v[83:84], v[101:102], v[85:86], v[83:84]
	s_waitcnt lgkmcnt(0)
	s_delay_alu instid0(VALU_DEP_1)
	v_fma_f64 v[87:88], v[103:104], v[87:88], v[83:84]
	scratch_load_b128 v[83:86], off, off offset:192
	s_waitcnt vmcnt(4)
	v_fma_f64 v[75:76], v[75:76], v[89:90], v[87:88]
	ds_load_2addr_b64 v[87:90], v1 offset0:51 offset1:52
	ds_load_2addr_b64 v[101:104], v1 offset0:53 offset1:54
	s_waitcnt lgkmcnt(1)
	v_fma_f64 v[87:88], v[77:78], v[87:88], v[75:76]
	scratch_load_b128 v[75:78], off, off offset:208
	s_waitcnt vmcnt(4)
	v_fma_f64 v[87:88], v[97:98], v[89:90], v[87:88]
	s_waitcnt lgkmcnt(0)
	s_delay_alu instid0(VALU_DEP_1)
	v_fma_f64 v[95:96], v[99:100], v[101:102], v[87:88]
	scratch_load_b128 v[87:90], off, off offset:224
	s_waitcnt vmcnt(4)
	v_fma_f64 v[79:80], v[79:80], v[103:104], v[95:96]
	ds_load_2addr_b64 v[95:98], v1 offset0:55 offset1:56
	ds_load_2addr_b64 v[99:102], v1 offset0:57 offset1:58
	s_waitcnt lgkmcnt(1)
	v_fma_f64 v[95:96], v[81:82], v[95:96], v[79:80]
	scratch_load_b128 v[79:82], off, off offset:240
	s_waitcnt vmcnt(4)
	v_fma_f64 v[91:92], v[91:92], v[97:98], v[95:96]
	s_waitcnt lgkmcnt(0)
	s_delay_alu instid0(VALU_DEP_1)
	v_fma_f64 v[95:96], v[93:94], v[99:100], v[91:92]
	scratch_load_b128 v[91:94], off, off offset:256
	s_waitcnt vmcnt(4)
	v_fma_f64 v[83:84], v[83:84], v[101:102], v[95:96]
	ds_load_2addr_b64 v[95:98], v1 offset0:59 offset1:60
	ds_load_2addr_b64 v[99:102], v1 offset0:61 offset1:62
	s_waitcnt lgkmcnt(1)
	v_fma_f64 v[83:84], v[85:86], v[95:96], v[83:84]
	s_waitcnt vmcnt(3)
	s_delay_alu instid0(VALU_DEP_1) | instskip(SKIP_1) | instid1(VALU_DEP_1)
	v_fma_f64 v[75:76], v[75:76], v[97:98], v[83:84]
	s_waitcnt lgkmcnt(0)
	v_fma_f64 v[75:76], v[77:78], v[99:100], v[75:76]
	s_waitcnt vmcnt(2)
	s_delay_alu instid0(VALU_DEP_1)
	v_fma_f64 v[87:88], v[87:88], v[101:102], v[75:76]
	ds_load_2addr_b64 v[75:78], v1 offset0:63 offset1:64
	ds_load_2addr_b64 v[83:86], v1 offset0:65 offset1:66
	s_waitcnt lgkmcnt(1)
	v_fma_f64 v[75:76], v[89:90], v[75:76], v[87:88]
	s_waitcnt vmcnt(1)
	s_delay_alu instid0(VALU_DEP_1) | instskip(SKIP_4) | instid1(VALU_DEP_1)
	v_fma_f64 v[75:76], v[79:80], v[77:78], v[75:76]
	ds_load_b64 v[77:78], v1 offset:536
	s_waitcnt lgkmcnt(1)
	v_fma_f64 v[75:76], v[81:82], v[83:84], v[75:76]
	s_waitcnt vmcnt(0)
	v_fma_f64 v[75:76], v[91:92], v[85:86], v[75:76]
	s_waitcnt lgkmcnt(0)
	s_delay_alu instid0(VALU_DEP_1) | instskip(NEXT) | instid1(VALU_DEP_1)
	v_fma_f64 v[75:76], v[93:94], v[77:78], v[75:76]
	v_add_f64 v[73:74], v[73:74], -v[75:76]
	scratch_store_b64 off, v[73:74], off offset:32
	v_cmpx_lt_u32_e32 3, v0
	s_cbranch_execz .LBB33_207
; %bb.206:
	scratch_load_b64 v[73:74], off, off offset:24
	v_mov_b32_e32 v2, v1
	scratch_store_b64 off, v[1:2], off offset:24
	s_waitcnt vmcnt(0)
	ds_store_b64 v3, v[73:74]
.LBB33_207:
	s_or_b32 exec_lo, exec_lo, s0
	s_waitcnt lgkmcnt(0)
	s_waitcnt_vscnt null, 0x0
	s_barrier
	buffer_gl0_inv
	s_clause 0x4
	scratch_load_b128 v[73:76], off, off offset:24
	scratch_load_b128 v[77:80], off, off offset:40
	;; [unrolled: 1-line block ×5, first 2 shown]
	ds_load_b128 v[93:96], v1 offset:304
	ds_load_b128 v[97:100], v1 offset:320
	scratch_load_b128 v[101:104], off, off offset:104
	s_mov_b32 s0, exec_lo
	s_waitcnt vmcnt(5) lgkmcnt(1)
	v_fma_f64 v[75:76], v[75:76], v[93:94], 0
	s_waitcnt vmcnt(4)
	s_delay_alu instid0(VALU_DEP_1) | instskip(SKIP_1) | instid1(VALU_DEP_1)
	v_fma_f64 v[75:76], v[77:78], v[95:96], v[75:76]
	s_waitcnt lgkmcnt(0)
	v_fma_f64 v[79:80], v[79:80], v[97:98], v[75:76]
	scratch_load_b128 v[75:78], off, off offset:120
	s_waitcnt vmcnt(4)
	v_fma_f64 v[97:98], v[81:82], v[99:100], v[79:80]
	ds_load_b128 v[79:82], v1 offset:336
	ds_load_b128 v[93:96], v1 offset:352
	s_waitcnt lgkmcnt(1)
	v_fma_f64 v[79:80], v[83:84], v[79:80], v[97:98]
	scratch_load_b128 v[97:100], off, off offset:136
	s_waitcnt vmcnt(4)
	v_fma_f64 v[79:80], v[85:86], v[81:82], v[79:80]
	s_waitcnt lgkmcnt(0)
	s_delay_alu instid0(VALU_DEP_1)
	v_fma_f64 v[83:84], v[87:88], v[93:94], v[79:80]
	scratch_load_b128 v[79:82], off, off offset:152
	s_waitcnt vmcnt(4)
	v_fma_f64 v[93:94], v[89:90], v[95:96], v[83:84]
	ds_load_b128 v[83:86], v1 offset:368
	ds_load_b128 v[87:90], v1 offset:384
	s_waitcnt lgkmcnt(1)
	v_fma_f64 v[83:84], v[91:92], v[83:84], v[93:94]
	scratch_load_b128 v[91:94], off, off offset:168
	s_waitcnt vmcnt(4)
	v_fma_f64 v[83:84], v[101:102], v[85:86], v[83:84]
	s_waitcnt lgkmcnt(0)
	s_delay_alu instid0(VALU_DEP_1)
	v_fma_f64 v[87:88], v[103:104], v[87:88], v[83:84]
	scratch_load_b128 v[83:86], off, off offset:184
	s_waitcnt vmcnt(4)
	v_fma_f64 v[75:76], v[75:76], v[89:90], v[87:88]
	ds_load_b128 v[87:90], v1 offset:400
	ds_load_b128 v[101:104], v1 offset:416
	s_waitcnt lgkmcnt(1)
	v_fma_f64 v[87:88], v[77:78], v[87:88], v[75:76]
	scratch_load_b128 v[75:78], off, off offset:200
	s_waitcnt vmcnt(4)
	v_fma_f64 v[87:88], v[97:98], v[89:90], v[87:88]
	s_waitcnt lgkmcnt(0)
	s_delay_alu instid0(VALU_DEP_1)
	v_fma_f64 v[95:96], v[99:100], v[101:102], v[87:88]
	scratch_load_b128 v[87:90], off, off offset:216
	s_waitcnt vmcnt(4)
	v_fma_f64 v[79:80], v[79:80], v[103:104], v[95:96]
	ds_load_b128 v[95:98], v1 offset:432
	ds_load_b128 v[99:102], v1 offset:448
	s_waitcnt lgkmcnt(1)
	v_fma_f64 v[95:96], v[81:82], v[95:96], v[79:80]
	scratch_load_b128 v[79:82], off, off offset:232
	s_waitcnt vmcnt(4)
	v_fma_f64 v[91:92], v[91:92], v[97:98], v[95:96]
	s_waitcnt lgkmcnt(0)
	s_delay_alu instid0(VALU_DEP_1)
	v_fma_f64 v[95:96], v[93:94], v[99:100], v[91:92]
	scratch_load_b128 v[91:94], off, off offset:248
	s_waitcnt vmcnt(4)
	v_fma_f64 v[83:84], v[83:84], v[101:102], v[95:96]
	ds_load_b128 v[95:98], v1 offset:464
	ds_load_b128 v[99:102], v1 offset:480
	s_waitcnt lgkmcnt(1)
	v_fma_f64 v[83:84], v[85:86], v[95:96], v[83:84]
	scratch_load_b64 v[95:96], off, off offset:264
	s_waitcnt vmcnt(4)
	v_fma_f64 v[75:76], v[75:76], v[97:98], v[83:84]
	s_waitcnt lgkmcnt(0)
	s_delay_alu instid0(VALU_DEP_1) | instskip(SKIP_1) | instid1(VALU_DEP_1)
	v_fma_f64 v[75:76], v[77:78], v[99:100], v[75:76]
	s_waitcnt vmcnt(3)
	v_fma_f64 v[87:88], v[87:88], v[101:102], v[75:76]
	ds_load_b128 v[75:78], v1 offset:496
	ds_load_b128 v[83:86], v1 offset:512
	s_waitcnt lgkmcnt(1)
	v_fma_f64 v[75:76], v[89:90], v[75:76], v[87:88]
	s_waitcnt vmcnt(2)
	s_delay_alu instid0(VALU_DEP_1) | instskip(SKIP_1) | instid1(VALU_DEP_1)
	v_fma_f64 v[75:76], v[79:80], v[77:78], v[75:76]
	s_waitcnt lgkmcnt(0)
	v_fma_f64 v[75:76], v[81:82], v[83:84], v[75:76]
	s_waitcnt vmcnt(1)
	s_delay_alu instid0(VALU_DEP_1) | instskip(SKIP_4) | instid1(VALU_DEP_1)
	v_fma_f64 v[79:80], v[91:92], v[85:86], v[75:76]
	ds_load_b128 v[75:78], v1 offset:528
	s_waitcnt lgkmcnt(0)
	v_fma_f64 v[1:2], v[93:94], v[75:76], v[79:80]
	s_waitcnt vmcnt(0)
	v_fma_f64 v[1:2], v[95:96], v[77:78], v[1:2]
	s_delay_alu instid0(VALU_DEP_1)
	v_add_f64 v[1:2], v[73:74], -v[1:2]
	scratch_store_b64 off, v[1:2], off offset:24
	v_cmpx_lt_u32_e32 2, v0
	s_cbranch_execz .LBB33_209
; %bb.208:
	scratch_load_b64 v[1:2], off, off offset:16
	v_mov_b32_e32 v73, 0
	s_delay_alu instid0(VALU_DEP_1)
	v_mov_b32_e32 v74, v73
	scratch_store_b64 off, v[73:74], off offset:16
	s_waitcnt vmcnt(0)
	ds_store_b64 v3, v[1:2]
.LBB33_209:
	s_or_b32 exec_lo, exec_lo, s0
	s_waitcnt lgkmcnt(0)
	s_waitcnt_vscnt null, 0x0
	s_barrier
	buffer_gl0_inv
	s_clause 0x4
	scratch_load_b128 v[73:76], off, off offset:16
	scratch_load_b128 v[77:80], off, off offset:32
	;; [unrolled: 1-line block ×5, first 2 shown]
	v_mov_b32_e32 v1, 0
	ds_load_2addr_b64 v[93:96], v1 offset0:37 offset1:38
	ds_load_2addr_b64 v[97:100], v1 offset0:39 offset1:40
	scratch_load_b128 v[101:104], off, off offset:96
	s_mov_b32 s0, exec_lo
	s_waitcnt vmcnt(5) lgkmcnt(1)
	v_fma_f64 v[75:76], v[75:76], v[93:94], 0
	s_waitcnt vmcnt(4)
	s_delay_alu instid0(VALU_DEP_1) | instskip(SKIP_1) | instid1(VALU_DEP_1)
	v_fma_f64 v[75:76], v[77:78], v[95:96], v[75:76]
	s_waitcnt lgkmcnt(0)
	v_fma_f64 v[79:80], v[79:80], v[97:98], v[75:76]
	scratch_load_b128 v[75:78], off, off offset:112
	s_waitcnt vmcnt(4)
	v_fma_f64 v[97:98], v[81:82], v[99:100], v[79:80]
	ds_load_2addr_b64 v[79:82], v1 offset0:41 offset1:42
	ds_load_2addr_b64 v[93:96], v1 offset0:43 offset1:44
	s_waitcnt lgkmcnt(1)
	v_fma_f64 v[79:80], v[83:84], v[79:80], v[97:98]
	scratch_load_b128 v[97:100], off, off offset:128
	s_waitcnt vmcnt(4)
	v_fma_f64 v[79:80], v[85:86], v[81:82], v[79:80]
	s_waitcnt lgkmcnt(0)
	s_delay_alu instid0(VALU_DEP_1)
	v_fma_f64 v[83:84], v[87:88], v[93:94], v[79:80]
	scratch_load_b128 v[79:82], off, off offset:144
	s_waitcnt vmcnt(4)
	v_fma_f64 v[93:94], v[89:90], v[95:96], v[83:84]
	ds_load_2addr_b64 v[83:86], v1 offset0:45 offset1:46
	ds_load_2addr_b64 v[87:90], v1 offset0:47 offset1:48
	s_waitcnt lgkmcnt(1)
	v_fma_f64 v[83:84], v[91:92], v[83:84], v[93:94]
	scratch_load_b128 v[91:94], off, off offset:160
	s_waitcnt vmcnt(4)
	v_fma_f64 v[83:84], v[101:102], v[85:86], v[83:84]
	s_waitcnt lgkmcnt(0)
	s_delay_alu instid0(VALU_DEP_1)
	;; [unrolled: 13-line block ×4, first 2 shown]
	v_fma_f64 v[95:96], v[93:94], v[99:100], v[91:92]
	scratch_load_b128 v[91:94], off, off offset:240
	s_waitcnt vmcnt(4)
	v_fma_f64 v[83:84], v[83:84], v[101:102], v[95:96]
	ds_load_2addr_b64 v[95:98], v1 offset0:57 offset1:58
	ds_load_2addr_b64 v[99:102], v1 offset0:59 offset1:60
	s_waitcnt lgkmcnt(1)
	v_fma_f64 v[95:96], v[85:86], v[95:96], v[83:84]
	scratch_load_b128 v[83:86], off, off offset:256
	s_waitcnt vmcnt(4)
	v_fma_f64 v[75:76], v[75:76], v[97:98], v[95:96]
	s_waitcnt lgkmcnt(0)
	s_delay_alu instid0(VALU_DEP_1) | instskip(SKIP_1) | instid1(VALU_DEP_1)
	v_fma_f64 v[75:76], v[77:78], v[99:100], v[75:76]
	s_waitcnt vmcnt(3)
	v_fma_f64 v[87:88], v[87:88], v[101:102], v[75:76]
	ds_load_2addr_b64 v[75:78], v1 offset0:61 offset1:62
	ds_load_2addr_b64 v[95:98], v1 offset0:63 offset1:64
	s_waitcnt lgkmcnt(1)
	v_fma_f64 v[75:76], v[89:90], v[75:76], v[87:88]
	s_waitcnt vmcnt(2)
	s_delay_alu instid0(VALU_DEP_1) | instskip(SKIP_1) | instid1(VALU_DEP_1)
	v_fma_f64 v[75:76], v[79:80], v[77:78], v[75:76]
	s_waitcnt lgkmcnt(0)
	v_fma_f64 v[75:76], v[81:82], v[95:96], v[75:76]
	s_waitcnt vmcnt(1)
	s_delay_alu instid0(VALU_DEP_1)
	v_fma_f64 v[79:80], v[91:92], v[97:98], v[75:76]
	ds_load_2addr_b64 v[75:78], v1 offset0:65 offset1:66
	ds_load_b64 v[81:82], v1 offset:536
	s_waitcnt lgkmcnt(1)
	v_fma_f64 v[75:76], v[93:94], v[75:76], v[79:80]
	s_waitcnt vmcnt(0)
	s_delay_alu instid0(VALU_DEP_1) | instskip(SKIP_1) | instid1(VALU_DEP_1)
	v_fma_f64 v[75:76], v[83:84], v[77:78], v[75:76]
	s_waitcnt lgkmcnt(0)
	v_fma_f64 v[75:76], v[85:86], v[81:82], v[75:76]
	s_delay_alu instid0(VALU_DEP_1)
	v_add_f64 v[73:74], v[73:74], -v[75:76]
	scratch_store_b64 off, v[73:74], off offset:16
	v_cmpx_lt_u32_e32 1, v0
	s_cbranch_execz .LBB33_211
; %bb.210:
	scratch_load_b64 v[73:74], off, off offset:8
	v_mov_b32_e32 v2, v1
	scratch_store_b64 off, v[1:2], off offset:8
	s_waitcnt vmcnt(0)
	ds_store_b64 v3, v[73:74]
.LBB33_211:
	s_or_b32 exec_lo, exec_lo, s0
	s_waitcnt lgkmcnt(0)
	s_waitcnt_vscnt null, 0x0
	s_barrier
	buffer_gl0_inv
	s_clause 0x4
	scratch_load_b128 v[73:76], off, off offset:8
	scratch_load_b128 v[77:80], off, off offset:24
	;; [unrolled: 1-line block ×5, first 2 shown]
	ds_load_b128 v[93:96], v1 offset:288
	ds_load_b128 v[97:100], v1 offset:304
	scratch_load_b128 v[101:104], off, off offset:88
	s_mov_b32 s0, exec_lo
	s_waitcnt vmcnt(5) lgkmcnt(1)
	v_fma_f64 v[75:76], v[75:76], v[93:94], 0
	s_waitcnt vmcnt(4)
	s_delay_alu instid0(VALU_DEP_1) | instskip(SKIP_1) | instid1(VALU_DEP_1)
	v_fma_f64 v[75:76], v[77:78], v[95:96], v[75:76]
	s_waitcnt lgkmcnt(0)
	v_fma_f64 v[79:80], v[79:80], v[97:98], v[75:76]
	scratch_load_b128 v[75:78], off, off offset:104
	s_waitcnt vmcnt(4)
	v_fma_f64 v[97:98], v[81:82], v[99:100], v[79:80]
	ds_load_b128 v[79:82], v1 offset:320
	ds_load_b128 v[93:96], v1 offset:336
	s_waitcnt lgkmcnt(1)
	v_fma_f64 v[79:80], v[83:84], v[79:80], v[97:98]
	scratch_load_b128 v[97:100], off, off offset:120
	s_waitcnt vmcnt(4)
	v_fma_f64 v[79:80], v[85:86], v[81:82], v[79:80]
	s_waitcnt lgkmcnt(0)
	s_delay_alu instid0(VALU_DEP_1)
	v_fma_f64 v[83:84], v[87:88], v[93:94], v[79:80]
	scratch_load_b128 v[79:82], off, off offset:136
	s_waitcnt vmcnt(4)
	v_fma_f64 v[93:94], v[89:90], v[95:96], v[83:84]
	ds_load_b128 v[83:86], v1 offset:352
	ds_load_b128 v[87:90], v1 offset:368
	s_waitcnt lgkmcnt(1)
	v_fma_f64 v[83:84], v[91:92], v[83:84], v[93:94]
	scratch_load_b128 v[91:94], off, off offset:152
	s_waitcnt vmcnt(4)
	v_fma_f64 v[83:84], v[101:102], v[85:86], v[83:84]
	s_waitcnt lgkmcnt(0)
	s_delay_alu instid0(VALU_DEP_1)
	;; [unrolled: 13-line block ×5, first 2 shown]
	v_fma_f64 v[75:76], v[77:78], v[99:100], v[75:76]
	scratch_load_b64 v[99:100], off, off offset:264
	s_waitcnt vmcnt(4)
	v_fma_f64 v[87:88], v[87:88], v[101:102], v[75:76]
	ds_load_b128 v[75:78], v1 offset:480
	ds_load_b128 v[95:98], v1 offset:496
	s_waitcnt lgkmcnt(1)
	v_fma_f64 v[75:76], v[89:90], v[75:76], v[87:88]
	s_waitcnt vmcnt(3)
	s_delay_alu instid0(VALU_DEP_1) | instskip(SKIP_1) | instid1(VALU_DEP_1)
	v_fma_f64 v[75:76], v[79:80], v[77:78], v[75:76]
	s_waitcnt lgkmcnt(0)
	v_fma_f64 v[75:76], v[81:82], v[95:96], v[75:76]
	s_waitcnt vmcnt(2)
	s_delay_alu instid0(VALU_DEP_1)
	v_fma_f64 v[87:88], v[91:92], v[97:98], v[75:76]
	ds_load_b128 v[75:78], v1 offset:512
	ds_load_b128 v[79:82], v1 offset:528
	s_waitcnt lgkmcnt(1)
	v_fma_f64 v[1:2], v[93:94], v[75:76], v[87:88]
	s_waitcnt vmcnt(1)
	s_delay_alu instid0(VALU_DEP_1) | instskip(SKIP_1) | instid1(VALU_DEP_1)
	v_fma_f64 v[1:2], v[83:84], v[77:78], v[1:2]
	s_waitcnt lgkmcnt(0)
	v_fma_f64 v[1:2], v[85:86], v[79:80], v[1:2]
	s_waitcnt vmcnt(0)
	s_delay_alu instid0(VALU_DEP_1) | instskip(NEXT) | instid1(VALU_DEP_1)
	v_fma_f64 v[1:2], v[99:100], v[81:82], v[1:2]
	v_add_f64 v[1:2], v[73:74], -v[1:2]
	scratch_store_b64 off, v[1:2], off offset:8
	v_cmpx_ne_u32_e32 0, v0
	s_cbranch_execz .LBB33_213
; %bb.212:
	scratch_load_b64 v[0:1], off, off
	v_mov_b32_e32 v73, 0
	s_delay_alu instid0(VALU_DEP_1)
	v_mov_b32_e32 v74, v73
	scratch_store_b64 off, v[73:74], off
	s_waitcnt vmcnt(0)
	ds_store_b64 v3, v[0:1]
.LBB33_213:
	s_or_b32 exec_lo, exec_lo, s0
	s_waitcnt lgkmcnt(0)
	s_waitcnt_vscnt null, 0x0
	s_barrier
	buffer_gl0_inv
	s_clause 0x4
	scratch_load_b128 v[73:76], off, off
	scratch_load_b128 v[0:3], off, off offset:16
	scratch_load_b128 v[77:80], off, off offset:32
	scratch_load_b128 v[81:84], off, off offset:48
	scratch_load_b128 v[85:88], off, off offset:64
	v_mov_b32_e32 v12, 0
	ds_load_2addr_b64 v[89:92], v12 offset0:35 offset1:36
	ds_load_2addr_b64 v[93:96], v12 offset0:37 offset1:38
	scratch_load_b128 v[97:100], off, off offset:80
	s_and_b32 vcc_lo, exec_lo, s16
	s_waitcnt vmcnt(5) lgkmcnt(1)
	v_fma_f64 v[75:76], v[75:76], v[89:90], 0
	s_waitcnt vmcnt(4)
	s_delay_alu instid0(VALU_DEP_1) | instskip(SKIP_1) | instid1(VALU_DEP_1)
	v_fma_f64 v[0:1], v[0:1], v[91:92], v[75:76]
	s_waitcnt lgkmcnt(0)
	v_fma_f64 v[75:76], v[2:3], v[93:94], v[0:1]
	scratch_load_b128 v[0:3], off, off offset:96
	s_waitcnt vmcnt(4)
	v_fma_f64 v[93:94], v[77:78], v[95:96], v[75:76]
	ds_load_2addr_b64 v[75:78], v12 offset0:39 offset1:40
	ds_load_2addr_b64 v[89:92], v12 offset0:41 offset1:42
	s_waitcnt lgkmcnt(1)
	v_fma_f64 v[75:76], v[79:80], v[75:76], v[93:94]
	scratch_load_b128 v[93:96], off, off offset:112
	s_waitcnt vmcnt(4)
	v_fma_f64 v[75:76], v[81:82], v[77:78], v[75:76]
	s_waitcnt lgkmcnt(0)
	s_delay_alu instid0(VALU_DEP_1)
	v_fma_f64 v[79:80], v[83:84], v[89:90], v[75:76]
	scratch_load_b128 v[75:78], off, off offset:128
	s_waitcnt vmcnt(4)
	v_fma_f64 v[89:90], v[85:86], v[91:92], v[79:80]
	ds_load_2addr_b64 v[79:82], v12 offset0:43 offset1:44
	ds_load_2addr_b64 v[83:86], v12 offset0:45 offset1:46
	s_waitcnt lgkmcnt(1)
	v_fma_f64 v[79:80], v[87:88], v[79:80], v[89:90]
	scratch_load_b128 v[87:90], off, off offset:144
	s_waitcnt vmcnt(4)
	v_fma_f64 v[79:80], v[97:98], v[81:82], v[79:80]
	s_waitcnt lgkmcnt(0)
	s_delay_alu instid0(VALU_DEP_1)
	;; [unrolled: 13-line block ×5, first 2 shown]
	v_fma_f64 v[91:92], v[2:3], v[95:96], v[0:1]
	scratch_load_b128 v[0:3], off, off offset:256
	s_waitcnt vmcnt(4)
	v_fma_f64 v[83:84], v[83:84], v[97:98], v[91:92]
	ds_load_2addr_b64 v[91:94], v12 offset0:59 offset1:60
	ds_load_2addr_b64 v[95:98], v12 offset0:61 offset1:62
	s_waitcnt lgkmcnt(1)
	v_fma_f64 v[83:84], v[85:86], v[91:92], v[83:84]
	s_waitcnt vmcnt(3)
	s_delay_alu instid0(VALU_DEP_1) | instskip(SKIP_1) | instid1(VALU_DEP_1)
	v_fma_f64 v[75:76], v[75:76], v[93:94], v[83:84]
	s_waitcnt lgkmcnt(0)
	v_fma_f64 v[75:76], v[77:78], v[95:96], v[75:76]
	s_waitcnt vmcnt(2)
	s_delay_alu instid0(VALU_DEP_1)
	v_fma_f64 v[87:88], v[87:88], v[97:98], v[75:76]
	ds_load_2addr_b64 v[75:78], v12 offset0:63 offset1:64
	ds_load_2addr_b64 v[83:86], v12 offset0:65 offset1:66
	s_waitcnt lgkmcnt(1)
	v_fma_f64 v[75:76], v[89:90], v[75:76], v[87:88]
	s_waitcnt vmcnt(1)
	s_delay_alu instid0(VALU_DEP_1) | instskip(SKIP_4) | instid1(VALU_DEP_1)
	v_fma_f64 v[75:76], v[79:80], v[77:78], v[75:76]
	ds_load_b64 v[77:78], v12 offset:536
	s_waitcnt lgkmcnt(1)
	v_fma_f64 v[75:76], v[81:82], v[83:84], v[75:76]
	s_waitcnt vmcnt(0)
	v_fma_f64 v[75:76], v[0:1], v[85:86], v[75:76]
	s_waitcnt lgkmcnt(0)
	s_delay_alu instid0(VALU_DEP_1) | instskip(NEXT) | instid1(VALU_DEP_1)
	v_fma_f64 v[2:3], v[2:3], v[77:78], v[75:76]
	v_add_f64 v[2:3], v[73:74], -v[2:3]
	scratch_store_b64 off, v[2:3], off
	s_cbranch_vccz .LBB33_281
; %bb.214:
	v_dual_mov_b32 v2, s12 :: v_dual_mov_b32 v3, s13
	s_mov_b32 s0, exec_lo
	flat_load_b32 v2, v[2:3] offset:128
	s_waitcnt vmcnt(0) lgkmcnt(0)
	v_cmpx_ne_u32_e32 33, v2
	s_cbranch_execz .LBB33_216
; %bb.215:
	v_lshl_add_u32 v12, v2, 3, 0
	scratch_load_b64 v[2:3], v12, off offset:-8
	s_waitcnt vmcnt(0)
	scratch_store_b64 off, v[2:3], off offset:256
	scratch_store_b64 v12, v[0:1], off offset:-8
.LBB33_216:
	s_or_b32 exec_lo, exec_lo, s0
	v_dual_mov_b32 v0, s12 :: v_dual_mov_b32 v1, s13
	s_mov_b32 s0, exec_lo
	flat_load_b32 v0, v[0:1] offset:124
	s_waitcnt vmcnt(0) lgkmcnt(0)
	v_cmpx_ne_u32_e32 32, v0
	s_cbranch_execz .LBB33_218
; %bb.217:
	v_lshl_add_u32 v12, v0, 3, 0
	scratch_load_b64 v[0:1], v12, off offset:-8
	scratch_load_b64 v[2:3], off, off offset:248
	s_waitcnt vmcnt(1)
	scratch_store_b64 off, v[0:1], off offset:248
	s_waitcnt vmcnt(0)
	scratch_store_b64 v12, v[2:3], off offset:-8
.LBB33_218:
	s_or_b32 exec_lo, exec_lo, s0
	v_dual_mov_b32 v0, s12 :: v_dual_mov_b32 v1, s13
	s_mov_b32 s0, exec_lo
	flat_load_b32 v0, v[0:1] offset:120
	s_waitcnt vmcnt(0) lgkmcnt(0)
	v_cmpx_ne_u32_e32 31, v0
	s_cbranch_execz .LBB33_220
; %bb.219:
	v_lshl_add_u32 v12, v0, 3, 0
	scratch_load_b64 v[0:1], v12, off offset:-8
	scratch_load_b64 v[2:3], off, off offset:240
	s_waitcnt vmcnt(1)
	scratch_store_b64 off, v[0:1], off offset:240
	s_waitcnt vmcnt(0)
	scratch_store_b64 v12, v[2:3], off offset:-8
.LBB33_220:
	;; [unrolled: 16-line block ×31, first 2 shown]
	s_or_b32 exec_lo, exec_lo, s0
	v_dual_mov_b32 v0, s12 :: v_dual_mov_b32 v1, s13
	s_mov_b32 s0, exec_lo
	flat_load_b32 v0, v[0:1]
	scratch_load_b64 v[2:3], off, off
	s_waitcnt vmcnt(1) lgkmcnt(0)
	v_cmpx_ne_u32_e32 1, v0
	s_cbranch_execz .LBB33_280
; %bb.279:
	v_lshl_add_u32 v12, v0, 3, 0
	scratch_load_b64 v[0:1], v12, off offset:-8
	s_waitcnt vmcnt(0)
	scratch_store_b64 off, v[0:1], off
	scratch_store_b64 v12, v[2:3], off offset:-8
	scratch_load_b64 v[2:3], off, off
.LBB33_280:
	s_or_b32 exec_lo, exec_lo, s0
.LBB33_281:
	s_clause 0xa
	scratch_load_b128 v[73:76], off, off offset:8
	scratch_load_b128 v[77:80], off, off offset:24
	;; [unrolled: 1-line block ×11, first 2 shown]
	s_waitcnt vmcnt(11)
	global_store_b64 v[15:16], v[2:3], off
	s_clause 0x1
	scratch_load_b128 v[0:3], off, off offset:184
	scratch_load_b128 v[117:120], off, off offset:200
	s_waitcnt vmcnt(12)
	s_clause 0x1
	global_store_b64 v[21:22], v[73:74], off
	global_store_b64 v[23:24], v[75:76], off
	s_waitcnt vmcnt(11)
	s_clause 0x1
	global_store_b64 v[19:20], v[77:78], off
	global_store_b64 v[17:18], v[79:80], off
	s_clause 0x3
	scratch_load_b128 v[21:24], off, off offset:216
	scratch_load_b128 v[73:76], off, off offset:232
	;; [unrolled: 1-line block ×3, first 2 shown]
	scratch_load_b64 v[19:20], off, off offset:264
	s_waitcnt vmcnt(14)
	s_clause 0x1
	global_store_b64 v[13:14], v[81:82], off
	global_store_b64 v[25:26], v[83:84], off
	s_waitcnt vmcnt(13)
	s_clause 0x1
	global_store_b64 v[27:28], v[85:86], off
	global_store_b64 v[29:30], v[87:88], off
	s_waitcnt vmcnt(12)
	s_clause 0x1
	global_store_b64 v[31:32], v[89:90], off
	global_store_b64 v[33:34], v[91:92], off
	s_waitcnt vmcnt(11)
	s_clause 0x1
	global_store_b64 v[35:36], v[93:94], off
	global_store_b64 v[37:38], v[95:96], off
	s_waitcnt vmcnt(10)
	s_clause 0x1
	global_store_b64 v[39:40], v[97:98], off
	global_store_b64 v[41:42], v[99:100], off
	s_waitcnt vmcnt(9)
	s_clause 0x1
	global_store_b64 v[43:44], v[101:102], off
	global_store_b64 v[45:46], v[103:104], off
	s_waitcnt vmcnt(8)
	s_clause 0x1
	global_store_b64 v[47:48], v[105:106], off
	global_store_b64 v[49:50], v[107:108], off
	s_waitcnt vmcnt(7)
	s_clause 0x1
	global_store_b64 v[51:52], v[109:110], off
	global_store_b64 v[55:56], v[111:112], off
	s_waitcnt vmcnt(6)
	s_clause 0x1
	global_store_b64 v[57:58], v[113:114], off
	global_store_b64 v[59:60], v[115:116], off
	s_waitcnt vmcnt(5)
	s_clause 0x1
	global_store_b64 v[61:62], v[0:1], off
	global_store_b64 v[63:64], v[2:3], off
	s_waitcnt vmcnt(4)
	s_clause 0x1
	global_store_b64 v[4:5], v[117:118], off
	global_store_b64 v[6:7], v[119:120], off
	s_waitcnt vmcnt(3)
	s_clause 0x1
	global_store_b64 v[8:9], v[21:22], off
	global_store_b64 v[10:11], v[23:24], off
	s_waitcnt vmcnt(2)
	s_clause 0x1
	global_store_b64 v[65:66], v[73:74], off
	global_store_b64 v[67:68], v[75:76], off
	s_waitcnt vmcnt(1)
	s_clause 0x1
	global_store_b64 v[69:70], v[15:16], off
	global_store_b64 v[71:72], v[17:18], off
	s_waitcnt vmcnt(0)
	global_store_b64 v[53:54], v[19:20], off
	s_endpgm
	.section	.rodata,"a",@progbits
	.p2align	6, 0x0
	.amdhsa_kernel _ZN9rocsolver6v33100L18getri_kernel_smallILi34EdPdEEvT1_iilPiilS4_bb
		.amdhsa_group_segment_fixed_size 552
		.amdhsa_private_segment_fixed_size 288
		.amdhsa_kernarg_size 60
		.amdhsa_user_sgpr_count 15
		.amdhsa_user_sgpr_dispatch_ptr 0
		.amdhsa_user_sgpr_queue_ptr 0
		.amdhsa_user_sgpr_kernarg_segment_ptr 1
		.amdhsa_user_sgpr_dispatch_id 0
		.amdhsa_user_sgpr_private_segment_size 0
		.amdhsa_wavefront_size32 1
		.amdhsa_uses_dynamic_stack 0
		.amdhsa_enable_private_segment 1
		.amdhsa_system_sgpr_workgroup_id_x 1
		.amdhsa_system_sgpr_workgroup_id_y 0
		.amdhsa_system_sgpr_workgroup_id_z 0
		.amdhsa_system_sgpr_workgroup_info 0
		.amdhsa_system_vgpr_workitem_id 0
		.amdhsa_next_free_vgpr 121
		.amdhsa_next_free_sgpr 18
		.amdhsa_reserve_vcc 1
		.amdhsa_float_round_mode_32 0
		.amdhsa_float_round_mode_16_64 0
		.amdhsa_float_denorm_mode_32 3
		.amdhsa_float_denorm_mode_16_64 3
		.amdhsa_dx10_clamp 1
		.amdhsa_ieee_mode 1
		.amdhsa_fp16_overflow 0
		.amdhsa_workgroup_processor_mode 1
		.amdhsa_memory_ordered 1
		.amdhsa_forward_progress 0
		.amdhsa_shared_vgpr_count 0
		.amdhsa_exception_fp_ieee_invalid_op 0
		.amdhsa_exception_fp_denorm_src 0
		.amdhsa_exception_fp_ieee_div_zero 0
		.amdhsa_exception_fp_ieee_overflow 0
		.amdhsa_exception_fp_ieee_underflow 0
		.amdhsa_exception_fp_ieee_inexact 0
		.amdhsa_exception_int_div_zero 0
	.end_amdhsa_kernel
	.section	.text._ZN9rocsolver6v33100L18getri_kernel_smallILi34EdPdEEvT1_iilPiilS4_bb,"axG",@progbits,_ZN9rocsolver6v33100L18getri_kernel_smallILi34EdPdEEvT1_iilPiilS4_bb,comdat
.Lfunc_end33:
	.size	_ZN9rocsolver6v33100L18getri_kernel_smallILi34EdPdEEvT1_iilPiilS4_bb, .Lfunc_end33-_ZN9rocsolver6v33100L18getri_kernel_smallILi34EdPdEEvT1_iilPiilS4_bb
                                        ; -- End function
	.section	.AMDGPU.csdata,"",@progbits
; Kernel info:
; codeLenInByte = 27184
; NumSgprs: 20
; NumVgprs: 121
; ScratchSize: 288
; MemoryBound: 0
; FloatMode: 240
; IeeeMode: 1
; LDSByteSize: 552 bytes/workgroup (compile time only)
; SGPRBlocks: 2
; VGPRBlocks: 15
; NumSGPRsForWavesPerEU: 20
; NumVGPRsForWavesPerEU: 121
; Occupancy: 10
; WaveLimiterHint : 1
; COMPUTE_PGM_RSRC2:SCRATCH_EN: 1
; COMPUTE_PGM_RSRC2:USER_SGPR: 15
; COMPUTE_PGM_RSRC2:TRAP_HANDLER: 0
; COMPUTE_PGM_RSRC2:TGID_X_EN: 1
; COMPUTE_PGM_RSRC2:TGID_Y_EN: 0
; COMPUTE_PGM_RSRC2:TGID_Z_EN: 0
; COMPUTE_PGM_RSRC2:TIDIG_COMP_CNT: 0
	.section	.text._ZN9rocsolver6v33100L18getri_kernel_smallILi35EdPdEEvT1_iilPiilS4_bb,"axG",@progbits,_ZN9rocsolver6v33100L18getri_kernel_smallILi35EdPdEEvT1_iilPiilS4_bb,comdat
	.globl	_ZN9rocsolver6v33100L18getri_kernel_smallILi35EdPdEEvT1_iilPiilS4_bb ; -- Begin function _ZN9rocsolver6v33100L18getri_kernel_smallILi35EdPdEEvT1_iilPiilS4_bb
	.p2align	8
	.type	_ZN9rocsolver6v33100L18getri_kernel_smallILi35EdPdEEvT1_iilPiilS4_bb,@function
_ZN9rocsolver6v33100L18getri_kernel_smallILi35EdPdEEvT1_iilPiilS4_bb: ; @_ZN9rocsolver6v33100L18getri_kernel_smallILi35EdPdEEvT1_iilPiilS4_bb
; %bb.0:
	s_mov_b32 s2, exec_lo
	v_cmpx_gt_u32_e32 35, v0
	s_cbranch_execz .LBB34_150
; %bb.1:
	s_clause 0x2
	s_load_b32 s17, s[0:1], 0x38
	s_load_b128 s[8:11], s[0:1], 0x10
	s_load_b128 s[4:7], s[0:1], 0x28
	s_mov_b32 s14, s15
                                        ; implicit-def: $sgpr12_sgpr13
	s_waitcnt lgkmcnt(0)
	s_bitcmp1_b32 s17, 8
	s_cselect_b32 s16, -1, 0
	s_bfe_u32 s2, s17, 0x10008
	s_ashr_i32 s15, s15, 31
	s_cmp_eq_u32 s2, 0
	s_cbranch_scc1 .LBB34_3
; %bb.2:
	s_load_b32 s2, s[0:1], 0x20
	s_mul_i32 s3, s14, s5
	s_mul_hi_u32 s5, s14, s4
	s_mul_i32 s12, s15, s4
	s_add_i32 s3, s5, s3
	s_mul_i32 s4, s14, s4
	s_add_i32 s5, s3, s12
	s_delay_alu instid0(SALU_CYCLE_1)
	s_lshl_b64 s[4:5], s[4:5], 2
	s_waitcnt lgkmcnt(0)
	s_ashr_i32 s3, s2, 31
	s_add_u32 s4, s10, s4
	s_addc_u32 s5, s11, s5
	s_lshl_b64 s[2:3], s[2:3], 2
	s_delay_alu instid0(SALU_CYCLE_1)
	s_add_u32 s12, s4, s2
	s_addc_u32 s13, s5, s3
.LBB34_3:
	s_load_b128 s[0:3], s[0:1], 0x0
	s_mul_i32 s4, s14, s9
	s_mul_hi_u32 s5, s14, s8
	s_mul_i32 s9, s15, s8
	s_add_i32 s5, s5, s4
	s_mul_i32 s4, s14, s8
	s_add_i32 s5, s5, s9
	v_lshlrev_b32_e32 v3, 3, v0
	s_lshl_b64 s[8:9], s[4:5], 3
	s_waitcnt lgkmcnt(0)
	v_add3_u32 v1, s3, s3, v0
	s_ashr_i32 s11, s2, 31
	s_mov_b32 s10, s2
	s_add_u32 s2, s0, s8
	s_addc_u32 s5, s1, s9
	v_add_nc_u32_e32 v8, s3, v1
	s_lshl_b64 s[0:1], s[10:11], 3
	v_ashrrev_i32_e32 v2, 31, v1
	s_add_u32 s0, s2, s0
	s_addc_u32 s1, s5, s1
	v_add_nc_u32_e32 v12, s3, v8
	v_add_co_u32 v6, s2, s0, v3
	s_mov_b32 s4, s3
	s_ashr_i32 s5, s3, 31
	s_delay_alu instid0(VALU_DEP_2) | instskip(SKIP_3) | instid1(VALU_DEP_3)
	v_add_nc_u32_e32 v14, s3, v12
	v_add_co_ci_u32_e64 v7, null, s1, 0, s2
	s_lshl_b64 s[4:5], s[4:5], 3
	v_ashrrev_i32_e32 v9, 31, v8
	v_add_nc_u32_e32 v16, s3, v14
	v_add_co_u32 v4, vcc_lo, v6, s4
	v_lshlrev_b64 v[1:2], 3, v[1:2]
	v_add_co_ci_u32_e32 v5, vcc_lo, s5, v7, vcc_lo
	v_ashrrev_i32_e32 v13, 31, v12
	v_add_nc_u32_e32 v18, s3, v16
	v_lshlrev_b64 v[8:9], 3, v[8:9]
	v_add_co_u32 v10, vcc_lo, s0, v1
	s_clause 0x1
	global_load_b64 v[50:51], v3, s[0:1]
	global_load_b64 v[52:53], v[4:5], off
	v_add_co_ci_u32_e32 v11, vcc_lo, s1, v2, vcc_lo
	v_lshlrev_b64 v[1:2], 3, v[12:13]
	v_ashrrev_i32_e32 v15, 31, v14
	v_add_nc_u32_e32 v22, s3, v18
	v_add_co_u32 v8, vcc_lo, s0, v8
	v_ashrrev_i32_e32 v17, 31, v16
	v_add_co_ci_u32_e32 v9, vcc_lo, s1, v9, vcc_lo
	v_lshlrev_b64 v[14:15], 3, v[14:15]
	v_add_nc_u32_e32 v24, s3, v22
	v_add_co_u32 v12, vcc_lo, s0, v1
	v_add_co_ci_u32_e32 v13, vcc_lo, s1, v2, vcc_lo
	v_ashrrev_i32_e32 v19, 31, v18
	v_lshlrev_b64 v[1:2], 3, v[16:17]
	v_add_nc_u32_e32 v26, s3, v24
	v_add_co_u32 v14, vcc_lo, s0, v14
	v_ashrrev_i32_e32 v23, 31, v22
	v_add_co_ci_u32_e32 v15, vcc_lo, s1, v15, vcc_lo
	v_lshlrev_b64 v[16:17], 3, v[18:19]
	v_add_co_u32 v20, vcc_lo, s0, v1
	v_ashrrev_i32_e32 v25, 31, v24
	v_add_nc_u32_e32 v28, s3, v26
	s_clause 0x3
	global_load_b64 v[58:59], v[10:11], off
	global_load_b64 v[60:61], v[8:9], off
	;; [unrolled: 1-line block ×4, first 2 shown]
	v_add_co_ci_u32_e32 v21, vcc_lo, s1, v2, vcc_lo
	v_lshlrev_b64 v[1:2], 3, v[22:23]
	v_add_co_u32 v16, vcc_lo, s0, v16
	v_lshlrev_b64 v[22:23], 3, v[24:25]
	v_ashrrev_i32_e32 v27, 31, v26
	v_add_nc_u32_e32 v30, s3, v28
	v_add_co_ci_u32_e32 v17, vcc_lo, s1, v17, vcc_lo
	v_add_co_u32 v18, vcc_lo, s0, v1
	v_add_co_ci_u32_e32 v19, vcc_lo, s1, v2, vcc_lo
	v_ashrrev_i32_e32 v29, 31, v28
	v_lshlrev_b64 v[1:2], 3, v[26:27]
	v_add_co_u32 v22, vcc_lo, s0, v22
	v_add_nc_u32_e32 v32, s3, v30
	v_add_co_ci_u32_e32 v23, vcc_lo, s1, v23, vcc_lo
	v_ashrrev_i32_e32 v31, 31, v30
	s_clause 0x3
	global_load_b64 v[66:67], v[20:21], off
	global_load_b64 v[68:69], v[16:17], off
	;; [unrolled: 1-line block ×4, first 2 shown]
	v_lshlrev_b64 v[26:27], 3, v[28:29]
	v_add_co_u32 v24, vcc_lo, s0, v1
	v_ashrrev_i32_e32 v33, 31, v32
	v_add_co_ci_u32_e32 v25, vcc_lo, s1, v2, vcc_lo
	v_lshlrev_b64 v[1:2], 3, v[30:31]
	v_add_co_u32 v26, vcc_lo, s0, v26
	s_delay_alu instid0(VALU_DEP_4) | instskip(SKIP_1) | instid1(VALU_DEP_4)
	v_lshlrev_b64 v[30:31], 3, v[32:33]
	v_add_co_ci_u32_e32 v27, vcc_lo, s1, v27, vcc_lo
	v_add_co_u32 v28, vcc_lo, s0, v1
	v_add_co_ci_u32_e32 v29, vcc_lo, s1, v2, vcc_lo
	s_delay_alu instid0(VALU_DEP_4)
	v_add_co_u32 v30, vcc_lo, s0, v30
	v_add_co_ci_u32_e32 v31, vcc_lo, s1, v31, vcc_lo
	s_clause 0x3
	global_load_b64 v[74:75], v[24:25], off
	global_load_b64 v[76:77], v[26:27], off
	;; [unrolled: 1-line block ×4, first 2 shown]
	v_add_nc_u32_e32 v1, s3, v32
	s_bitcmp0_b32 s17, 0
	s_delay_alu instid0(VALU_DEP_1) | instskip(SKIP_1) | instid1(VALU_DEP_2)
	v_add_nc_u32_e32 v32, s3, v1
	v_ashrrev_i32_e32 v2, 31, v1
	v_add_nc_u32_e32 v34, s3, v32
	v_ashrrev_i32_e32 v33, 31, v32
	s_delay_alu instid0(VALU_DEP_3) | instskip(NEXT) | instid1(VALU_DEP_3)
	v_lshlrev_b64 v[1:2], 3, v[1:2]
	v_add_nc_u32_e32 v36, s3, v34
	v_ashrrev_i32_e32 v35, 31, v34
	s_delay_alu instid0(VALU_DEP_4) | instskip(NEXT) | instid1(VALU_DEP_4)
	v_lshlrev_b64 v[41:42], 3, v[32:33]
	v_add_co_u32 v32, vcc_lo, s0, v1
	s_delay_alu instid0(VALU_DEP_4) | instskip(SKIP_3) | instid1(VALU_DEP_4)
	v_add_nc_u32_e32 v38, s3, v36
	v_add_co_ci_u32_e32 v33, vcc_lo, s1, v2, vcc_lo
	v_lshlrev_b64 v[1:2], 3, v[34:35]
	v_ashrrev_i32_e32 v37, 31, v36
	v_add_nc_u32_e32 v40, s3, v38
	v_add_co_u32 v34, vcc_lo, s0, v41
	v_ashrrev_i32_e32 v39, 31, v38
	v_add_co_ci_u32_e32 v35, vcc_lo, s1, v42, vcc_lo
	s_delay_alu instid0(VALU_DEP_4) | instskip(SKIP_3) | instid1(VALU_DEP_4)
	v_add_nc_u32_e32 v44, s3, v40
	v_lshlrev_b64 v[42:43], 3, v[36:37]
	v_add_co_u32 v36, vcc_lo, s0, v1
	v_ashrrev_i32_e32 v41, 31, v40
	v_add_nc_u32_e32 v46, s3, v44
	v_add_co_ci_u32_e32 v37, vcc_lo, s1, v2, vcc_lo
	v_lshlrev_b64 v[1:2], 3, v[38:39]
	v_add_co_u32 v38, vcc_lo, s0, v42
	s_delay_alu instid0(VALU_DEP_4) | instskip(SKIP_3) | instid1(VALU_DEP_4)
	v_add_nc_u32_e32 v48, s3, v46
	v_lshlrev_b64 v[40:41], 3, v[40:41]
	v_ashrrev_i32_e32 v45, 31, v44
	v_add_co_ci_u32_e32 v39, vcc_lo, s1, v43, vcc_lo
	v_add_nc_u32_e32 v54, s3, v48
	v_add_co_u32 v42, vcc_lo, s0, v1
	v_add_co_ci_u32_e32 v43, vcc_lo, s1, v2, vcc_lo
	s_delay_alu instid0(VALU_DEP_3) | instskip(SKIP_3) | instid1(VALU_DEP_4)
	v_add_nc_u32_e32 v56, s3, v54
	v_lshlrev_b64 v[1:2], 3, v[44:45]
	v_ashrrev_i32_e32 v47, 31, v46
	v_add_co_u32 v44, vcc_lo, s0, v40
	v_add_nc_u32_e32 v96, s3, v56
	v_add_co_ci_u32_e32 v45, vcc_lo, s1, v41, vcc_lo
	v_ashrrev_i32_e32 v49, 31, v48
	v_lshlrev_b64 v[90:91], 3, v[46:47]
	s_delay_alu instid0(VALU_DEP_4) | instskip(SKIP_2) | instid1(VALU_DEP_3)
	v_add_nc_u32_e32 v98, s3, v96
	v_add_co_u32 v46, vcc_lo, s0, v1
	v_add_co_ci_u32_e32 v47, vcc_lo, s1, v2, vcc_lo
	v_add_nc_u32_e32 v104, s3, v98
	v_ashrrev_i32_e32 v55, 31, v54
	v_lshlrev_b64 v[1:2], 3, v[48:49]
	v_ashrrev_i32_e32 v57, 31, v56
	s_clause 0x2
	global_load_b64 v[82:83], v[32:33], off
	global_load_b64 v[84:85], v[34:35], off
	;; [unrolled: 1-line block ×3, first 2 shown]
	v_add_nc_u32_e32 v106, s3, v104
	v_ashrrev_i32_e32 v97, 31, v96
	v_ashrrev_i32_e32 v99, 31, v98
	;; [unrolled: 1-line block ×3, first 2 shown]
	s_delay_alu instid0(VALU_DEP_4) | instskip(SKIP_1) | instid1(VALU_DEP_2)
	v_add_nc_u32_e32 v108, s3, v106
	v_ashrrev_i32_e32 v107, 31, v106
	v_add_nc_u32_e32 v110, s3, v108
	v_ashrrev_i32_e32 v109, 31, v108
	s_delay_alu instid0(VALU_DEP_2) | instskip(SKIP_1) | instid1(VALU_DEP_2)
	v_add_nc_u32_e32 v112, s3, v110
	v_ashrrev_i32_e32 v111, 31, v110
	v_add_nc_u32_e32 v114, s3, v112
	v_ashrrev_i32_e32 v113, 31, v112
	s_delay_alu instid0(VALU_DEP_2) | instskip(SKIP_1) | instid1(VALU_DEP_2)
	v_add_nc_u32_e32 v116, s3, v114
	v_ashrrev_i32_e32 v115, 31, v114
	v_add_nc_u32_e32 v88, s3, v116
	v_ashrrev_i32_e32 v117, 31, v116
	s_delay_alu instid0(VALU_DEP_2) | instskip(NEXT) | instid1(VALU_DEP_1)
	v_ashrrev_i32_e32 v89, 31, v88
	v_lshlrev_b64 v[40:41], 3, v[88:89]
	s_delay_alu instid0(VALU_DEP_1) | instskip(NEXT) | instid1(VALU_DEP_2)
	v_add_co_u32 v40, vcc_lo, s0, v40
	v_add_co_ci_u32_e32 v41, vcc_lo, s1, v41, vcc_lo
	v_add_co_u32 v48, vcc_lo, s0, v90
	v_add_co_ci_u32_e32 v49, vcc_lo, s1, v91, vcc_lo
	global_load_b64 v[118:119], v[40:41], off
	s_waitcnt vmcnt(16)
	scratch_store_b128 off, v[50:53], off
	v_lshlrev_b64 v[52:53], 3, v[54:55]
	v_add_co_u32 v50, vcc_lo, s0, v1
	v_add_co_ci_u32_e32 v51, vcc_lo, s1, v2, vcc_lo
	v_lshlrev_b64 v[1:2], 3, v[56:57]
	s_delay_alu instid0(VALU_DEP_4) | instskip(SKIP_2) | instid1(VALU_DEP_4)
	v_add_co_u32 v52, vcc_lo, s0, v52
	v_add_co_ci_u32_e32 v53, vcc_lo, s1, v53, vcc_lo
	v_lshlrev_b64 v[56:57], 3, v[96:97]
	v_add_co_u32 v54, vcc_lo, s0, v1
	v_add_co_ci_u32_e32 v55, vcc_lo, s1, v2, vcc_lo
	v_lshlrev_b64 v[1:2], 3, v[98:99]
	s_delay_alu instid0(VALU_DEP_4)
	v_add_co_u32 v56, vcc_lo, s0, v56
	s_clause 0x3
	global_load_b64 v[88:89], v[38:39], off
	global_load_b64 v[90:91], v[42:43], off
	;; [unrolled: 1-line block ×4, first 2 shown]
	v_add_co_ci_u32_e32 v57, vcc_lo, s1, v57, vcc_lo
	s_waitcnt vmcnt(18)
	scratch_store_b128 off, v[58:61], off offset:16
	s_waitcnt vmcnt(16)
	scratch_store_b128 off, v[62:65], off offset:32
	v_lshlrev_b64 v[60:61], 3, v[104:105]
	v_add_co_u32 v58, vcc_lo, s0, v1
	v_add_co_ci_u32_e32 v59, vcc_lo, s1, v2, vcc_lo
	v_lshlrev_b64 v[1:2], 3, v[106:107]
	s_delay_alu instid0(VALU_DEP_4) | instskip(SKIP_2) | instid1(VALU_DEP_4)
	v_add_co_u32 v60, vcc_lo, s0, v60
	v_add_co_ci_u32_e32 v61, vcc_lo, s1, v61, vcc_lo
	v_lshlrev_b64 v[64:65], 3, v[108:109]
	v_add_co_u32 v62, vcc_lo, s0, v1
	v_add_co_ci_u32_e32 v63, vcc_lo, s1, v2, vcc_lo
	v_lshlrev_b64 v[1:2], 3, v[110:111]
	s_clause 0x3
	global_load_b64 v[96:97], v[48:49], off
	global_load_b64 v[98:99], v[50:51], off
	;; [unrolled: 1-line block ×4, first 2 shown]
	s_waitcnt vmcnt(18)
	scratch_store_b128 off, v[66:69], off offset:48
	s_waitcnt vmcnt(16)
	scratch_store_b128 off, v[70:73], off offset:64
	v_add_co_u32 v64, vcc_lo, s0, v64
	v_lshlrev_b64 v[66:67], 3, v[112:113]
	v_add_co_ci_u32_e32 v65, vcc_lo, s1, v65, vcc_lo
	v_add_co_u32 v68, vcc_lo, s0, v1
	v_add_co_ci_u32_e32 v69, vcc_lo, s1, v2, vcc_lo
	v_lshlrev_b64 v[1:2], 3, v[114:115]
	v_add_co_u32 v70, vcc_lo, s0, v66
	v_add_co_ci_u32_e32 v71, vcc_lo, s1, v67, vcc_lo
	v_lshlrev_b64 v[66:67], 3, v[116:117]
	s_delay_alu instid0(VALU_DEP_4)
	v_add_co_u32 v72, vcc_lo, s0, v1
	v_add_co_ci_u32_e32 v73, vcc_lo, s1, v2, vcc_lo
	s_clause 0x3
	global_load_b64 v[104:105], v[56:57], off
	global_load_b64 v[106:107], v[58:59], off
	;; [unrolled: 1-line block ×4, first 2 shown]
	v_add_co_u32 v66, vcc_lo, s0, v66
	v_add_co_ci_u32_e32 v67, vcc_lo, s1, v67, vcc_lo
	s_waitcnt vmcnt(18)
	scratch_store_b128 off, v[74:77], off offset:80
	s_waitcnt vmcnt(16)
	scratch_store_b128 off, v[78:81], off offset:96
	s_clause 0x4
	global_load_b64 v[112:113], v[64:65], off
	global_load_b64 v[74:75], v[68:69], off
	;; [unrolled: 1-line block ×5, first 2 shown]
	s_mov_b32 s1, -1
	s_waitcnt vmcnt(19)
	scratch_store_b128 off, v[82:85], off offset:112
	s_waitcnt vmcnt(16)
	scratch_store_b128 off, v[86:89], off offset:128
	;; [unrolled: 2-line block ×9, first 2 shown]
	s_waitcnt vmcnt(0)
	s_clause 0x1
	scratch_store_b128 off, v[78:81], off offset:256
	scratch_store_b64 off, v[118:119], off offset:272
	s_cbranch_scc1 .LBB34_148
; %bb.4:
	v_cmp_eq_u32_e64 s0, 0, v0
	s_delay_alu instid0(VALU_DEP_1)
	s_and_saveexec_b32 s1, s0
	s_cbranch_execz .LBB34_6
; %bb.5:
	v_mov_b32_e32 v1, 0
	ds_store_b32 v1, v1 offset:280
.LBB34_6:
	s_or_b32 exec_lo, exec_lo, s1
	s_waitcnt lgkmcnt(0)
	s_waitcnt_vscnt null, 0x0
	s_barrier
	buffer_gl0_inv
	scratch_load_b64 v[1:2], v3, off
	s_mov_b32 s2, exec_lo
	s_waitcnt vmcnt(0)
	v_cmpx_eq_f64_e32 0, v[1:2]
	s_cbranch_execz .LBB34_10
; %bb.7:
	v_mov_b32_e32 v1, 0
	s_mov_b32 s3, 0
	ds_load_b32 v2, v1 offset:280
	s_waitcnt lgkmcnt(0)
	v_readfirstlane_b32 s1, v2
	v_add_nc_u32_e32 v2, 1, v0
	s_delay_alu instid0(VALU_DEP_2) | instskip(NEXT) | instid1(VALU_DEP_1)
	s_cmp_eq_u32 s1, 0
	v_cmp_gt_i32_e32 vcc_lo, s1, v2
	s_cselect_b32 s4, -1, 0
	s_delay_alu instid0(SALU_CYCLE_1) | instskip(NEXT) | instid1(SALU_CYCLE_1)
	s_or_b32 s4, s4, vcc_lo
	s_and_b32 exec_lo, exec_lo, s4
	s_cbranch_execz .LBB34_10
; %bb.8:
	v_mov_b32_e32 v74, s1
.LBB34_9:                               ; =>This Inner Loop Header: Depth=1
	ds_cmpstore_rtn_b32 v74, v1, v2, v74 offset:280
	s_waitcnt lgkmcnt(0)
	v_cmp_ne_u32_e32 vcc_lo, 0, v74
	v_cmp_le_i32_e64 s1, v74, v2
	s_delay_alu instid0(VALU_DEP_1) | instskip(NEXT) | instid1(SALU_CYCLE_1)
	s_and_b32 s1, vcc_lo, s1
	s_and_b32 s1, exec_lo, s1
	s_delay_alu instid0(SALU_CYCLE_1) | instskip(NEXT) | instid1(SALU_CYCLE_1)
	s_or_b32 s3, s1, s3
	s_and_not1_b32 exec_lo, exec_lo, s3
	s_cbranch_execnz .LBB34_9
.LBB34_10:
	s_or_b32 exec_lo, exec_lo, s2
	v_mov_b32_e32 v1, 0
	s_barrier
	buffer_gl0_inv
	ds_load_b32 v2, v1 offset:280
	s_and_saveexec_b32 s1, s0
	s_cbranch_execz .LBB34_12
; %bb.11:
	s_lshl_b64 s[2:3], s[14:15], 2
	s_delay_alu instid0(SALU_CYCLE_1)
	s_add_u32 s2, s6, s2
	s_addc_u32 s3, s7, s3
	s_waitcnt lgkmcnt(0)
	global_store_b32 v1, v2, s[2:3]
.LBB34_12:
	s_or_b32 exec_lo, exec_lo, s1
	s_waitcnt lgkmcnt(0)
	v_cmp_ne_u32_e32 vcc_lo, 0, v2
	s_mov_b32 s1, 0
	s_cbranch_vccnz .LBB34_148
; %bb.13:
	v_add_nc_u32_e32 v74, 0, v3
	scratch_load_b64 v[1:2], v74, off
	s_waitcnt vmcnt(0)
	v_div_scale_f64 v[75:76], null, v[1:2], v[1:2], 1.0
	v_div_scale_f64 v[81:82], vcc_lo, 1.0, v[1:2], 1.0
	s_delay_alu instid0(VALU_DEP_2) | instskip(SKIP_2) | instid1(VALU_DEP_1)
	v_rcp_f64_e32 v[77:78], v[75:76]
	s_waitcnt_depctr 0xfff
	v_fma_f64 v[79:80], -v[75:76], v[77:78], 1.0
	v_fma_f64 v[77:78], v[77:78], v[79:80], v[77:78]
	s_delay_alu instid0(VALU_DEP_1) | instskip(NEXT) | instid1(VALU_DEP_1)
	v_fma_f64 v[79:80], -v[75:76], v[77:78], 1.0
	v_fma_f64 v[77:78], v[77:78], v[79:80], v[77:78]
	s_delay_alu instid0(VALU_DEP_1) | instskip(NEXT) | instid1(VALU_DEP_1)
	v_mul_f64 v[79:80], v[81:82], v[77:78]
	v_fma_f64 v[75:76], -v[75:76], v[79:80], v[81:82]
	s_delay_alu instid0(VALU_DEP_1) | instskip(NEXT) | instid1(VALU_DEP_1)
	v_div_fmas_f64 v[75:76], v[75:76], v[77:78], v[79:80]
	v_div_fixup_f64 v[1:2], v[75:76], v[1:2], 1.0
	v_add_nc_u32_e32 v75, 0x120, v3
	scratch_store_b64 v74, v[1:2], off
	scratch_load_b64 v[76:77], off, off offset:8
	v_xor_b32_e32 v2, 0x80000000, v2
	s_waitcnt vmcnt(0)
	ds_store_2addr_b64 v3, v[1:2], v[76:77] offset1:36
	s_waitcnt lgkmcnt(0)
	s_waitcnt_vscnt null, 0x0
	s_barrier
	buffer_gl0_inv
	s_and_saveexec_b32 s1, s0
	s_cbranch_execz .LBB34_15
; %bb.14:
	scratch_load_b64 v[1:2], v74, off
	ds_load_b64 v[76:77], v75
	s_waitcnt vmcnt(0) lgkmcnt(0)
	v_fma_f64 v[1:2], v[1:2], v[76:77], 0
	v_mov_b32_e32 v76, 0
	ds_load_b64 v[76:77], v76 offset:8
	s_waitcnt lgkmcnt(0)
	v_mul_f64 v[1:2], v[1:2], v[76:77]
	scratch_store_b64 off, v[1:2], off offset:8
.LBB34_15:
	s_or_b32 exec_lo, exec_lo, s1
	s_waitcnt_vscnt null, 0x0
	s_barrier
	buffer_gl0_inv
	scratch_load_b64 v[1:2], off, off offset:16
	s_mov_b32 s1, exec_lo
	s_waitcnt vmcnt(0)
	ds_store_b64 v75, v[1:2]
	s_waitcnt lgkmcnt(0)
	s_barrier
	buffer_gl0_inv
	v_cmpx_gt_u32_e32 2, v0
	s_cbranch_execz .LBB34_19
; %bb.16:
	scratch_load_b64 v[1:2], v74, off
	ds_load_b64 v[76:77], v75
	s_waitcnt vmcnt(0) lgkmcnt(0)
	v_fma_f64 v[1:2], v[1:2], v[76:77], 0
	s_and_saveexec_b32 s2, s0
	s_cbranch_execz .LBB34_18
; %bb.17:
	scratch_load_b64 v[76:77], off, off offset:8
	v_mov_b32_e32 v78, 0
	ds_load_b64 v[78:79], v78 offset:296
	s_waitcnt vmcnt(0) lgkmcnt(0)
	v_fma_f64 v[1:2], v[76:77], v[78:79], v[1:2]
.LBB34_18:
	s_or_b32 exec_lo, exec_lo, s2
	v_mov_b32_e32 v76, 0
	ds_load_b64 v[76:77], v76 offset:16
	s_waitcnt lgkmcnt(0)
	v_mul_f64 v[1:2], v[1:2], v[76:77]
	scratch_store_b64 off, v[1:2], off offset:16
.LBB34_19:
	s_or_b32 exec_lo, exec_lo, s1
	s_waitcnt_vscnt null, 0x0
	s_barrier
	buffer_gl0_inv
	scratch_load_b64 v[1:2], off, off offset:24
	v_add_nc_u32_e32 v76, -1, v0
	s_mov_b32 s0, exec_lo
	s_waitcnt vmcnt(0)
	ds_store_b64 v75, v[1:2]
	s_waitcnt lgkmcnt(0)
	s_barrier
	buffer_gl0_inv
	v_cmpx_gt_u32_e32 3, v0
	s_cbranch_execz .LBB34_23
; %bb.20:
	v_dual_mov_b32 v1, 0 :: v_dual_add_nc_u32 v78, 0x120, v3
	v_dual_mov_b32 v2, 0 :: v_dual_add_nc_u32 v77, -1, v0
	v_add_nc_u32_e32 v79, 0, v3
	s_mov_b32 s1, 0
.LBB34_21:                              ; =>This Inner Loop Header: Depth=1
	scratch_load_b64 v[80:81], v79, off
	ds_load_b64 v[82:83], v78
	v_add_nc_u32_e32 v77, 1, v77
	v_add_nc_u32_e32 v78, 8, v78
	v_add_nc_u32_e32 v79, 8, v79
	s_delay_alu instid0(VALU_DEP_3)
	v_cmp_lt_u32_e32 vcc_lo, 1, v77
	s_or_b32 s1, vcc_lo, s1
	s_waitcnt vmcnt(0) lgkmcnt(0)
	v_fma_f64 v[1:2], v[80:81], v[82:83], v[1:2]
	s_and_not1_b32 exec_lo, exec_lo, s1
	s_cbranch_execnz .LBB34_21
; %bb.22:
	s_or_b32 exec_lo, exec_lo, s1
	v_mov_b32_e32 v77, 0
	ds_load_b64 v[77:78], v77 offset:24
	s_waitcnt lgkmcnt(0)
	v_mul_f64 v[1:2], v[1:2], v[77:78]
	scratch_store_b64 off, v[1:2], off offset:24
.LBB34_23:
	s_or_b32 exec_lo, exec_lo, s0
	s_waitcnt_vscnt null, 0x0
	s_barrier
	buffer_gl0_inv
	scratch_load_b64 v[1:2], off, off offset:32
	s_mov_b32 s0, exec_lo
	s_waitcnt vmcnt(0)
	ds_store_b64 v75, v[1:2]
	s_waitcnt lgkmcnt(0)
	s_barrier
	buffer_gl0_inv
	v_cmpx_gt_u32_e32 4, v0
	s_cbranch_execz .LBB34_27
; %bb.24:
	v_dual_mov_b32 v1, 0 :: v_dual_add_nc_u32 v78, 0x120, v3
	v_dual_mov_b32 v2, 0 :: v_dual_add_nc_u32 v77, -1, v0
	v_add_nc_u32_e32 v79, 0, v3
	s_mov_b32 s1, 0
.LBB34_25:                              ; =>This Inner Loop Header: Depth=1
	scratch_load_b64 v[80:81], v79, off
	ds_load_b64 v[82:83], v78
	v_add_nc_u32_e32 v77, 1, v77
	v_add_nc_u32_e32 v78, 8, v78
	v_add_nc_u32_e32 v79, 8, v79
	s_delay_alu instid0(VALU_DEP_3)
	v_cmp_lt_u32_e32 vcc_lo, 2, v77
	s_or_b32 s1, vcc_lo, s1
	s_waitcnt vmcnt(0) lgkmcnt(0)
	v_fma_f64 v[1:2], v[80:81], v[82:83], v[1:2]
	s_and_not1_b32 exec_lo, exec_lo, s1
	s_cbranch_execnz .LBB34_25
; %bb.26:
	s_or_b32 exec_lo, exec_lo, s1
	v_mov_b32_e32 v77, 0
	ds_load_b64 v[77:78], v77 offset:32
	s_waitcnt lgkmcnt(0)
	v_mul_f64 v[1:2], v[1:2], v[77:78]
	scratch_store_b64 off, v[1:2], off offset:32
.LBB34_27:
	s_or_b32 exec_lo, exec_lo, s0
	s_waitcnt_vscnt null, 0x0
	s_barrier
	buffer_gl0_inv
	scratch_load_b64 v[1:2], off, off offset:40
	;; [unrolled: 39-line block ×20, first 2 shown]
	s_mov_b32 s0, exec_lo
	s_waitcnt vmcnt(0)
	ds_store_b64 v75, v[1:2]
	s_waitcnt lgkmcnt(0)
	s_barrier
	buffer_gl0_inv
	v_cmpx_gt_u32_e32 23, v0
	s_cbranch_execz .LBB34_103
; %bb.100:
	v_dual_mov_b32 v1, 0 :: v_dual_add_nc_u32 v78, 0x120, v3
	v_dual_mov_b32 v2, 0 :: v_dual_add_nc_u32 v77, -1, v0
	v_add_nc_u32_e32 v79, 0, v3
	s_mov_b32 s1, 0
.LBB34_101:                             ; =>This Inner Loop Header: Depth=1
	scratch_load_b64 v[80:81], v79, off
	ds_load_b64 v[82:83], v78
	v_add_nc_u32_e32 v77, 1, v77
	v_add_nc_u32_e32 v78, 8, v78
	v_add_nc_u32_e32 v79, 8, v79
	s_delay_alu instid0(VALU_DEP_3)
	v_cmp_lt_u32_e32 vcc_lo, 21, v77
	s_or_b32 s1, vcc_lo, s1
	s_waitcnt vmcnt(0) lgkmcnt(0)
	v_fma_f64 v[1:2], v[80:81], v[82:83], v[1:2]
	s_and_not1_b32 exec_lo, exec_lo, s1
	s_cbranch_execnz .LBB34_101
; %bb.102:
	s_or_b32 exec_lo, exec_lo, s1
	v_mov_b32_e32 v77, 0
	ds_load_b64 v[77:78], v77 offset:184
	s_waitcnt lgkmcnt(0)
	v_mul_f64 v[1:2], v[1:2], v[77:78]
	scratch_store_b64 off, v[1:2], off offset:184
.LBB34_103:
	s_or_b32 exec_lo, exec_lo, s0
	s_waitcnt_vscnt null, 0x0
	s_barrier
	buffer_gl0_inv
	scratch_load_b64 v[1:2], off, off offset:192
	s_mov_b32 s0, exec_lo
	s_waitcnt vmcnt(0)
	ds_store_b64 v75, v[1:2]
	s_waitcnt lgkmcnt(0)
	s_barrier
	buffer_gl0_inv
	v_cmpx_gt_u32_e32 24, v0
	s_cbranch_execz .LBB34_107
; %bb.104:
	v_dual_mov_b32 v1, 0 :: v_dual_add_nc_u32 v78, 0x120, v3
	v_dual_mov_b32 v2, 0 :: v_dual_add_nc_u32 v77, -1, v0
	v_add_nc_u32_e32 v79, 0, v3
	s_mov_b32 s1, 0
.LBB34_105:                             ; =>This Inner Loop Header: Depth=1
	scratch_load_b64 v[80:81], v79, off
	ds_load_b64 v[82:83], v78
	v_add_nc_u32_e32 v77, 1, v77
	v_add_nc_u32_e32 v78, 8, v78
	v_add_nc_u32_e32 v79, 8, v79
	s_delay_alu instid0(VALU_DEP_3)
	v_cmp_lt_u32_e32 vcc_lo, 22, v77
	s_or_b32 s1, vcc_lo, s1
	s_waitcnt vmcnt(0) lgkmcnt(0)
	v_fma_f64 v[1:2], v[80:81], v[82:83], v[1:2]
	s_and_not1_b32 exec_lo, exec_lo, s1
	s_cbranch_execnz .LBB34_105
; %bb.106:
	s_or_b32 exec_lo, exec_lo, s1
	v_mov_b32_e32 v77, 0
	ds_load_b64 v[77:78], v77 offset:192
	s_waitcnt lgkmcnt(0)
	v_mul_f64 v[1:2], v[1:2], v[77:78]
	scratch_store_b64 off, v[1:2], off offset:192
.LBB34_107:
	s_or_b32 exec_lo, exec_lo, s0
	s_waitcnt_vscnt null, 0x0
	s_barrier
	buffer_gl0_inv
	scratch_load_b64 v[1:2], off, off offset:200
	;; [unrolled: 39-line block ×11, first 2 shown]
	s_mov_b32 s0, exec_lo
	s_waitcnt vmcnt(0)
	ds_store_b64 v75, v[1:2]
	s_waitcnt lgkmcnt(0)
	s_barrier
	buffer_gl0_inv
	v_cmpx_ne_u32_e32 34, v0
	s_cbranch_execz .LBB34_147
; %bb.144:
	v_mov_b32_e32 v1, 0
	v_mov_b32_e32 v2, 0
	s_mov_b32 s1, 0
.LBB34_145:                             ; =>This Inner Loop Header: Depth=1
	scratch_load_b64 v[77:78], v74, off
	ds_load_b64 v[79:80], v75
	v_add_nc_u32_e32 v76, 1, v76
	v_add_nc_u32_e32 v75, 8, v75
	;; [unrolled: 1-line block ×3, first 2 shown]
	s_delay_alu instid0(VALU_DEP_3)
	v_cmp_lt_u32_e32 vcc_lo, 32, v76
	s_or_b32 s1, vcc_lo, s1
	s_waitcnt vmcnt(0) lgkmcnt(0)
	v_fma_f64 v[1:2], v[77:78], v[79:80], v[1:2]
	s_and_not1_b32 exec_lo, exec_lo, s1
	s_cbranch_execnz .LBB34_145
; %bb.146:
	s_or_b32 exec_lo, exec_lo, s1
	v_mov_b32_e32 v3, 0
	ds_load_b64 v[74:75], v3 offset:272
	s_waitcnt lgkmcnt(0)
	v_mul_f64 v[1:2], v[1:2], v[74:75]
	scratch_store_b64 off, v[1:2], off offset:272
.LBB34_147:
	s_or_b32 exec_lo, exec_lo, s0
	s_mov_b32 s1, -1
	s_waitcnt_vscnt null, 0x0
	s_barrier
	buffer_gl0_inv
.LBB34_148:
	s_and_b32 vcc_lo, exec_lo, s1
	s_cbranch_vccz .LBB34_150
; %bb.149:
	s_lshl_b64 s[0:1], s[14:15], 2
	v_mov_b32_e32 v1, 0
	s_add_u32 s0, s6, s0
	s_addc_u32 s1, s7, s1
	global_load_b32 v1, v1, s[0:1]
	s_waitcnt vmcnt(0)
	v_cmp_ne_u32_e32 vcc_lo, 0, v1
	s_cbranch_vccz .LBB34_151
.LBB34_150:
	s_endpgm
.LBB34_151:
	v_lshl_add_u32 v3, v0, 3, 0x120
	s_mov_b32 s0, exec_lo
	v_cmpx_eq_u32_e32 34, v0
	s_cbranch_execz .LBB34_153
; %bb.152:
	scratch_load_b64 v[1:2], off, off offset:264
	v_mov_b32_e32 v74, 0
	s_delay_alu instid0(VALU_DEP_1)
	v_mov_b32_e32 v75, v74
	scratch_store_b64 off, v[74:75], off offset:264
	s_waitcnt vmcnt(0)
	ds_store_b64 v3, v[1:2]
.LBB34_153:
	s_or_b32 exec_lo, exec_lo, s0
	s_waitcnt lgkmcnt(0)
	s_waitcnt_vscnt null, 0x0
	s_barrier
	buffer_gl0_inv
	scratch_load_b128 v[74:77], off, off offset:264
	v_mov_b32_e32 v1, 0
	s_mov_b32 s0, exec_lo
	ds_load_b64 v[78:79], v1 offset:560
	s_waitcnt vmcnt(0) lgkmcnt(0)
	v_fma_f64 v[76:77], v[76:77], v[78:79], 0
	s_delay_alu instid0(VALU_DEP_1)
	v_add_f64 v[74:75], v[74:75], -v[76:77]
	scratch_store_b64 off, v[74:75], off offset:264
	v_cmpx_lt_u32_e32 32, v0
	s_cbranch_execz .LBB34_155
; %bb.154:
	scratch_load_b64 v[74:75], off, off offset:256
	v_mov_b32_e32 v2, v1
	scratch_store_b64 off, v[1:2], off offset:256
	s_waitcnt vmcnt(0)
	ds_store_b64 v3, v[74:75]
.LBB34_155:
	s_or_b32 exec_lo, exec_lo, s0
	s_waitcnt lgkmcnt(0)
	s_waitcnt_vscnt null, 0x0
	s_barrier
	buffer_gl0_inv
	s_clause 0x1
	scratch_load_b128 v[74:77], off, off offset:256
	scratch_load_b64 v[82:83], off, off offset:272
	ds_load_2addr_b64 v[78:81], v1 offset0:69 offset1:70
	s_mov_b32 s0, exec_lo
	s_waitcnt vmcnt(1) lgkmcnt(0)
	v_fma_f64 v[1:2], v[76:77], v[78:79], 0
	s_waitcnt vmcnt(0)
	s_delay_alu instid0(VALU_DEP_1) | instskip(NEXT) | instid1(VALU_DEP_1)
	v_fma_f64 v[1:2], v[82:83], v[80:81], v[1:2]
	v_add_f64 v[1:2], v[74:75], -v[1:2]
	scratch_store_b64 off, v[1:2], off offset:256
	v_cmpx_lt_u32_e32 31, v0
	s_cbranch_execz .LBB34_157
; %bb.156:
	scratch_load_b64 v[1:2], off, off offset:248
	v_mov_b32_e32 v74, 0
	s_delay_alu instid0(VALU_DEP_1)
	v_mov_b32_e32 v75, v74
	scratch_store_b64 off, v[74:75], off offset:248
	s_waitcnt vmcnt(0)
	ds_store_b64 v3, v[1:2]
.LBB34_157:
	s_or_b32 exec_lo, exec_lo, s0
	s_waitcnt lgkmcnt(0)
	s_waitcnt_vscnt null, 0x0
	s_barrier
	buffer_gl0_inv
	s_clause 0x1
	scratch_load_b128 v[74:77], off, off offset:248
	scratch_load_b128 v[78:81], off, off offset:264
	v_mov_b32_e32 v1, 0
	ds_load_b128 v[82:85], v1 offset:544
	ds_load_b64 v[86:87], v1 offset:560
	s_mov_b32 s0, exec_lo
	s_waitcnt vmcnt(1) lgkmcnt(1)
	v_fma_f64 v[76:77], v[76:77], v[82:83], 0
	s_waitcnt vmcnt(0)
	s_delay_alu instid0(VALU_DEP_1) | instskip(SKIP_1) | instid1(VALU_DEP_1)
	v_fma_f64 v[76:77], v[78:79], v[84:85], v[76:77]
	s_waitcnt lgkmcnt(0)
	v_fma_f64 v[76:77], v[80:81], v[86:87], v[76:77]
	s_delay_alu instid0(VALU_DEP_1)
	v_add_f64 v[74:75], v[74:75], -v[76:77]
	scratch_store_b64 off, v[74:75], off offset:248
	v_cmpx_lt_u32_e32 30, v0
	s_cbranch_execz .LBB34_159
; %bb.158:
	scratch_load_b64 v[74:75], off, off offset:240
	v_mov_b32_e32 v2, v1
	scratch_store_b64 off, v[1:2], off offset:240
	s_waitcnt vmcnt(0)
	ds_store_b64 v3, v[74:75]
.LBB34_159:
	s_or_b32 exec_lo, exec_lo, s0
	s_waitcnt lgkmcnt(0)
	s_waitcnt_vscnt null, 0x0
	s_barrier
	buffer_gl0_inv
	s_clause 0x2
	scratch_load_b128 v[74:77], off, off offset:240
	scratch_load_b128 v[78:81], off, off offset:256
	scratch_load_b64 v[90:91], off, off offset:272
	ds_load_2addr_b64 v[82:85], v1 offset0:67 offset1:68
	ds_load_2addr_b64 v[86:89], v1 offset0:69 offset1:70
	s_mov_b32 s0, exec_lo
	s_waitcnt vmcnt(2) lgkmcnt(1)
	v_fma_f64 v[1:2], v[76:77], v[82:83], 0
	s_waitcnt vmcnt(1)
	s_delay_alu instid0(VALU_DEP_1) | instskip(SKIP_1) | instid1(VALU_DEP_1)
	v_fma_f64 v[1:2], v[78:79], v[84:85], v[1:2]
	s_waitcnt lgkmcnt(0)
	v_fma_f64 v[1:2], v[80:81], v[86:87], v[1:2]
	s_waitcnt vmcnt(0)
	s_delay_alu instid0(VALU_DEP_1) | instskip(NEXT) | instid1(VALU_DEP_1)
	v_fma_f64 v[1:2], v[90:91], v[88:89], v[1:2]
	v_add_f64 v[1:2], v[74:75], -v[1:2]
	scratch_store_b64 off, v[1:2], off offset:240
	v_cmpx_lt_u32_e32 29, v0
	s_cbranch_execz .LBB34_161
; %bb.160:
	scratch_load_b64 v[1:2], off, off offset:232
	v_mov_b32_e32 v74, 0
	s_delay_alu instid0(VALU_DEP_1)
	v_mov_b32_e32 v75, v74
	scratch_store_b64 off, v[74:75], off offset:232
	s_waitcnt vmcnt(0)
	ds_store_b64 v3, v[1:2]
.LBB34_161:
	s_or_b32 exec_lo, exec_lo, s0
	s_waitcnt lgkmcnt(0)
	s_waitcnt_vscnt null, 0x0
	s_barrier
	buffer_gl0_inv
	s_clause 0x2
	scratch_load_b128 v[74:77], off, off offset:232
	scratch_load_b128 v[78:81], off, off offset:248
	;; [unrolled: 1-line block ×3, first 2 shown]
	v_mov_b32_e32 v1, 0
	ds_load_b128 v[86:89], v1 offset:528
	ds_load_b128 v[90:93], v1 offset:544
	s_mov_b32 s0, exec_lo
	s_waitcnt vmcnt(2) lgkmcnt(1)
	v_fma_f64 v[76:77], v[76:77], v[86:87], 0
	s_waitcnt vmcnt(1)
	s_delay_alu instid0(VALU_DEP_1) | instskip(SKIP_4) | instid1(VALU_DEP_1)
	v_fma_f64 v[76:77], v[78:79], v[88:89], v[76:77]
	ds_load_b64 v[78:79], v1 offset:560
	s_waitcnt lgkmcnt(1)
	v_fma_f64 v[76:77], v[80:81], v[90:91], v[76:77]
	s_waitcnt vmcnt(0)
	v_fma_f64 v[76:77], v[82:83], v[92:93], v[76:77]
	s_waitcnt lgkmcnt(0)
	s_delay_alu instid0(VALU_DEP_1) | instskip(NEXT) | instid1(VALU_DEP_1)
	v_fma_f64 v[76:77], v[84:85], v[78:79], v[76:77]
	v_add_f64 v[74:75], v[74:75], -v[76:77]
	scratch_store_b64 off, v[74:75], off offset:232
	v_cmpx_lt_u32_e32 28, v0
	s_cbranch_execz .LBB34_163
; %bb.162:
	scratch_load_b64 v[74:75], off, off offset:224
	v_mov_b32_e32 v2, v1
	scratch_store_b64 off, v[1:2], off offset:224
	s_waitcnt vmcnt(0)
	ds_store_b64 v3, v[74:75]
.LBB34_163:
	s_or_b32 exec_lo, exec_lo, s0
	s_waitcnt lgkmcnt(0)
	s_waitcnt_vscnt null, 0x0
	s_barrier
	buffer_gl0_inv
	s_clause 0x3
	scratch_load_b128 v[74:77], off, off offset:224
	scratch_load_b128 v[78:81], off, off offset:240
	;; [unrolled: 1-line block ×3, first 2 shown]
	scratch_load_b64 v[90:91], off, off offset:272
	ds_load_2addr_b64 v[86:89], v1 offset0:65 offset1:66
	s_mov_b32 s0, exec_lo
	s_waitcnt vmcnt(3) lgkmcnt(0)
	v_fma_f64 v[76:77], v[76:77], v[86:87], 0
	s_waitcnt vmcnt(2)
	s_delay_alu instid0(VALU_DEP_1) | instskip(SKIP_4) | instid1(VALU_DEP_1)
	v_fma_f64 v[86:87], v[78:79], v[88:89], v[76:77]
	ds_load_2addr_b64 v[76:79], v1 offset0:67 offset1:68
	s_waitcnt lgkmcnt(0)
	v_fma_f64 v[76:77], v[80:81], v[76:77], v[86:87]
	s_waitcnt vmcnt(1)
	v_fma_f64 v[80:81], v[82:83], v[78:79], v[76:77]
	ds_load_2addr_b64 v[76:79], v1 offset0:69 offset1:70
	s_waitcnt lgkmcnt(0)
	v_fma_f64 v[1:2], v[84:85], v[76:77], v[80:81]
	s_waitcnt vmcnt(0)
	s_delay_alu instid0(VALU_DEP_1) | instskip(NEXT) | instid1(VALU_DEP_1)
	v_fma_f64 v[1:2], v[90:91], v[78:79], v[1:2]
	v_add_f64 v[1:2], v[74:75], -v[1:2]
	scratch_store_b64 off, v[1:2], off offset:224
	v_cmpx_lt_u32_e32 27, v0
	s_cbranch_execz .LBB34_165
; %bb.164:
	scratch_load_b64 v[1:2], off, off offset:216
	v_mov_b32_e32 v74, 0
	s_delay_alu instid0(VALU_DEP_1)
	v_mov_b32_e32 v75, v74
	scratch_store_b64 off, v[74:75], off offset:216
	s_waitcnt vmcnt(0)
	ds_store_b64 v3, v[1:2]
.LBB34_165:
	s_or_b32 exec_lo, exec_lo, s0
	s_waitcnt lgkmcnt(0)
	s_waitcnt_vscnt null, 0x0
	s_barrier
	buffer_gl0_inv
	s_clause 0x3
	scratch_load_b128 v[74:77], off, off offset:216
	scratch_load_b128 v[78:81], off, off offset:232
	;; [unrolled: 1-line block ×4, first 2 shown]
	v_mov_b32_e32 v1, 0
	s_mov_b32 s0, exec_lo
	ds_load_b128 v[90:93], v1 offset:512
	s_waitcnt vmcnt(3) lgkmcnt(0)
	v_fma_f64 v[76:77], v[76:77], v[90:91], 0
	s_waitcnt vmcnt(2)
	s_delay_alu instid0(VALU_DEP_1) | instskip(SKIP_4) | instid1(VALU_DEP_1)
	v_fma_f64 v[90:91], v[78:79], v[92:93], v[76:77]
	ds_load_b128 v[76:79], v1 offset:528
	s_waitcnt lgkmcnt(0)
	v_fma_f64 v[76:77], v[80:81], v[76:77], v[90:91]
	s_waitcnt vmcnt(1)
	v_fma_f64 v[80:81], v[82:83], v[78:79], v[76:77]
	ds_load_b128 v[76:79], v1 offset:544
	s_waitcnt lgkmcnt(0)
	v_fma_f64 v[76:77], v[84:85], v[76:77], v[80:81]
	s_waitcnt vmcnt(0)
	s_delay_alu instid0(VALU_DEP_1) | instskip(SKIP_3) | instid1(VALU_DEP_1)
	v_fma_f64 v[76:77], v[86:87], v[78:79], v[76:77]
	ds_load_b64 v[78:79], v1 offset:560
	s_waitcnt lgkmcnt(0)
	v_fma_f64 v[76:77], v[88:89], v[78:79], v[76:77]
	v_add_f64 v[74:75], v[74:75], -v[76:77]
	scratch_store_b64 off, v[74:75], off offset:216
	v_cmpx_lt_u32_e32 26, v0
	s_cbranch_execz .LBB34_167
; %bb.166:
	scratch_load_b64 v[74:75], off, off offset:208
	v_mov_b32_e32 v2, v1
	scratch_store_b64 off, v[1:2], off offset:208
	s_waitcnt vmcnt(0)
	ds_store_b64 v3, v[74:75]
.LBB34_167:
	s_or_b32 exec_lo, exec_lo, s0
	s_waitcnt lgkmcnt(0)
	s_waitcnt_vscnt null, 0x0
	s_barrier
	buffer_gl0_inv
	s_clause 0x4
	scratch_load_b128 v[74:77], off, off offset:208
	scratch_load_b128 v[78:81], off, off offset:224
	;; [unrolled: 1-line block ×4, first 2 shown]
	scratch_load_b64 v[94:95], off, off offset:272
	ds_load_2addr_b64 v[90:93], v1 offset0:63 offset1:64
	s_mov_b32 s0, exec_lo
	s_waitcnt vmcnt(4) lgkmcnt(0)
	v_fma_f64 v[76:77], v[76:77], v[90:91], 0
	s_waitcnt vmcnt(3)
	s_delay_alu instid0(VALU_DEP_1) | instskip(SKIP_4) | instid1(VALU_DEP_1)
	v_fma_f64 v[90:91], v[78:79], v[92:93], v[76:77]
	ds_load_2addr_b64 v[76:79], v1 offset0:65 offset1:66
	s_waitcnt lgkmcnt(0)
	v_fma_f64 v[76:77], v[80:81], v[76:77], v[90:91]
	s_waitcnt vmcnt(2)
	v_fma_f64 v[80:81], v[82:83], v[78:79], v[76:77]
	ds_load_2addr_b64 v[76:79], v1 offset0:67 offset1:68
	s_waitcnt lgkmcnt(0)
	v_fma_f64 v[76:77], v[84:85], v[76:77], v[80:81]
	s_waitcnt vmcnt(1)
	s_delay_alu instid0(VALU_DEP_1) | instskip(SKIP_4) | instid1(VALU_DEP_1)
	v_fma_f64 v[80:81], v[86:87], v[78:79], v[76:77]
	ds_load_2addr_b64 v[76:79], v1 offset0:69 offset1:70
	s_waitcnt lgkmcnt(0)
	v_fma_f64 v[1:2], v[88:89], v[76:77], v[80:81]
	s_waitcnt vmcnt(0)
	v_fma_f64 v[1:2], v[94:95], v[78:79], v[1:2]
	s_delay_alu instid0(VALU_DEP_1)
	v_add_f64 v[1:2], v[74:75], -v[1:2]
	scratch_store_b64 off, v[1:2], off offset:208
	v_cmpx_lt_u32_e32 25, v0
	s_cbranch_execz .LBB34_169
; %bb.168:
	scratch_load_b64 v[1:2], off, off offset:200
	v_mov_b32_e32 v74, 0
	s_delay_alu instid0(VALU_DEP_1)
	v_mov_b32_e32 v75, v74
	scratch_store_b64 off, v[74:75], off offset:200
	s_waitcnt vmcnt(0)
	ds_store_b64 v3, v[1:2]
.LBB34_169:
	s_or_b32 exec_lo, exec_lo, s0
	s_waitcnt lgkmcnt(0)
	s_waitcnt_vscnt null, 0x0
	s_barrier
	buffer_gl0_inv
	s_clause 0x4
	scratch_load_b128 v[74:77], off, off offset:200
	scratch_load_b128 v[78:81], off, off offset:216
	;; [unrolled: 1-line block ×5, first 2 shown]
	v_mov_b32_e32 v1, 0
	ds_load_b128 v[94:97], v1 offset:496
	ds_load_b128 v[98:101], v1 offset:512
	s_mov_b32 s0, exec_lo
	s_waitcnt vmcnt(4) lgkmcnt(1)
	v_fma_f64 v[76:77], v[76:77], v[94:95], 0
	s_waitcnt vmcnt(3)
	s_delay_alu instid0(VALU_DEP_1) | instskip(SKIP_1) | instid1(VALU_DEP_1)
	v_fma_f64 v[76:77], v[78:79], v[96:97], v[76:77]
	s_waitcnt lgkmcnt(0)
	v_fma_f64 v[76:77], v[80:81], v[98:99], v[76:77]
	s_waitcnt vmcnt(2)
	s_delay_alu instid0(VALU_DEP_1)
	v_fma_f64 v[94:95], v[82:83], v[100:101], v[76:77]
	ds_load_b128 v[76:79], v1 offset:528
	ds_load_b128 v[80:83], v1 offset:544
	s_waitcnt lgkmcnt(1)
	v_fma_f64 v[76:77], v[84:85], v[76:77], v[94:95]
	s_waitcnt vmcnt(1)
	s_delay_alu instid0(VALU_DEP_1) | instskip(SKIP_4) | instid1(VALU_DEP_1)
	v_fma_f64 v[76:77], v[86:87], v[78:79], v[76:77]
	ds_load_b64 v[78:79], v1 offset:560
	s_waitcnt lgkmcnt(1)
	v_fma_f64 v[76:77], v[88:89], v[80:81], v[76:77]
	s_waitcnt vmcnt(0)
	v_fma_f64 v[76:77], v[90:91], v[82:83], v[76:77]
	s_waitcnt lgkmcnt(0)
	s_delay_alu instid0(VALU_DEP_1) | instskip(NEXT) | instid1(VALU_DEP_1)
	v_fma_f64 v[76:77], v[92:93], v[78:79], v[76:77]
	v_add_f64 v[74:75], v[74:75], -v[76:77]
	scratch_store_b64 off, v[74:75], off offset:200
	v_cmpx_lt_u32_e32 24, v0
	s_cbranch_execz .LBB34_171
; %bb.170:
	scratch_load_b64 v[74:75], off, off offset:192
	v_mov_b32_e32 v2, v1
	scratch_store_b64 off, v[1:2], off offset:192
	s_waitcnt vmcnt(0)
	ds_store_b64 v3, v[74:75]
.LBB34_171:
	s_or_b32 exec_lo, exec_lo, s0
	s_waitcnt lgkmcnt(0)
	s_waitcnt_vscnt null, 0x0
	s_barrier
	buffer_gl0_inv
	s_clause 0x4
	scratch_load_b128 v[74:77], off, off offset:192
	scratch_load_b128 v[78:81], off, off offset:208
	;; [unrolled: 1-line block ×5, first 2 shown]
	ds_load_2addr_b64 v[94:97], v1 offset0:61 offset1:62
	ds_load_2addr_b64 v[98:101], v1 offset0:63 offset1:64
	s_mov_b32 s0, exec_lo
	s_waitcnt vmcnt(4) lgkmcnt(1)
	v_fma_f64 v[76:77], v[76:77], v[94:95], 0
	scratch_load_b64 v[94:95], off, off offset:272
	s_waitcnt vmcnt(4)
	v_fma_f64 v[76:77], v[78:79], v[96:97], v[76:77]
	s_waitcnt lgkmcnt(0)
	s_delay_alu instid0(VALU_DEP_1) | instskip(SKIP_1) | instid1(VALU_DEP_1)
	v_fma_f64 v[76:77], v[80:81], v[98:99], v[76:77]
	s_waitcnt vmcnt(3)
	v_fma_f64 v[96:97], v[82:83], v[100:101], v[76:77]
	ds_load_2addr_b64 v[76:79], v1 offset0:65 offset1:66
	ds_load_2addr_b64 v[80:83], v1 offset0:67 offset1:68
	s_waitcnt lgkmcnt(1)
	v_fma_f64 v[76:77], v[84:85], v[76:77], v[96:97]
	s_waitcnt vmcnt(2)
	s_delay_alu instid0(VALU_DEP_1) | instskip(SKIP_1) | instid1(VALU_DEP_1)
	v_fma_f64 v[76:77], v[86:87], v[78:79], v[76:77]
	s_waitcnt lgkmcnt(0)
	v_fma_f64 v[76:77], v[88:89], v[80:81], v[76:77]
	s_waitcnt vmcnt(1)
	s_delay_alu instid0(VALU_DEP_1) | instskip(SKIP_4) | instid1(VALU_DEP_1)
	v_fma_f64 v[80:81], v[90:91], v[82:83], v[76:77]
	ds_load_2addr_b64 v[76:79], v1 offset0:69 offset1:70
	s_waitcnt lgkmcnt(0)
	v_fma_f64 v[1:2], v[92:93], v[76:77], v[80:81]
	s_waitcnt vmcnt(0)
	v_fma_f64 v[1:2], v[94:95], v[78:79], v[1:2]
	s_delay_alu instid0(VALU_DEP_1)
	v_add_f64 v[1:2], v[74:75], -v[1:2]
	scratch_store_b64 off, v[1:2], off offset:192
	v_cmpx_lt_u32_e32 23, v0
	s_cbranch_execz .LBB34_173
; %bb.172:
	scratch_load_b64 v[1:2], off, off offset:184
	v_mov_b32_e32 v74, 0
	s_delay_alu instid0(VALU_DEP_1)
	v_mov_b32_e32 v75, v74
	scratch_store_b64 off, v[74:75], off offset:184
	s_waitcnt vmcnt(0)
	ds_store_b64 v3, v[1:2]
.LBB34_173:
	s_or_b32 exec_lo, exec_lo, s0
	s_waitcnt lgkmcnt(0)
	s_waitcnt_vscnt null, 0x0
	s_barrier
	buffer_gl0_inv
	s_clause 0x4
	scratch_load_b128 v[74:77], off, off offset:184
	scratch_load_b128 v[78:81], off, off offset:200
	;; [unrolled: 1-line block ×5, first 2 shown]
	v_mov_b32_e32 v1, 0
	ds_load_b128 v[94:97], v1 offset:480
	ds_load_b128 v[98:101], v1 offset:496
	scratch_load_b128 v[102:105], off, off offset:264
	s_mov_b32 s0, exec_lo
	s_waitcnt vmcnt(5) lgkmcnt(1)
	v_fma_f64 v[76:77], v[76:77], v[94:95], 0
	s_waitcnt vmcnt(4)
	s_delay_alu instid0(VALU_DEP_1) | instskip(SKIP_1) | instid1(VALU_DEP_1)
	v_fma_f64 v[76:77], v[78:79], v[96:97], v[76:77]
	s_waitcnt lgkmcnt(0)
	v_fma_f64 v[76:77], v[80:81], v[98:99], v[76:77]
	s_waitcnt vmcnt(3)
	s_delay_alu instid0(VALU_DEP_1)
	v_fma_f64 v[94:95], v[82:83], v[100:101], v[76:77]
	ds_load_b128 v[76:79], v1 offset:512
	ds_load_b128 v[80:83], v1 offset:528
	s_waitcnt lgkmcnt(1)
	v_fma_f64 v[76:77], v[84:85], v[76:77], v[94:95]
	s_waitcnt vmcnt(2)
	s_delay_alu instid0(VALU_DEP_1) | instskip(SKIP_1) | instid1(VALU_DEP_1)
	v_fma_f64 v[76:77], v[86:87], v[78:79], v[76:77]
	s_waitcnt lgkmcnt(0)
	v_fma_f64 v[76:77], v[88:89], v[80:81], v[76:77]
	s_waitcnt vmcnt(1)
	s_delay_alu instid0(VALU_DEP_1)
	v_fma_f64 v[80:81], v[90:91], v[82:83], v[76:77]
	ds_load_b128 v[76:79], v1 offset:544
	ds_load_b64 v[82:83], v1 offset:560
	s_waitcnt lgkmcnt(1)
	v_fma_f64 v[76:77], v[92:93], v[76:77], v[80:81]
	s_waitcnt vmcnt(0)
	s_delay_alu instid0(VALU_DEP_1) | instskip(SKIP_1) | instid1(VALU_DEP_1)
	v_fma_f64 v[76:77], v[102:103], v[78:79], v[76:77]
	s_waitcnt lgkmcnt(0)
	v_fma_f64 v[76:77], v[104:105], v[82:83], v[76:77]
	s_delay_alu instid0(VALU_DEP_1)
	v_add_f64 v[74:75], v[74:75], -v[76:77]
	scratch_store_b64 off, v[74:75], off offset:184
	v_cmpx_lt_u32_e32 22, v0
	s_cbranch_execz .LBB34_175
; %bb.174:
	scratch_load_b64 v[74:75], off, off offset:176
	v_mov_b32_e32 v2, v1
	scratch_store_b64 off, v[1:2], off offset:176
	s_waitcnt vmcnt(0)
	ds_store_b64 v3, v[74:75]
.LBB34_175:
	s_or_b32 exec_lo, exec_lo, s0
	s_waitcnt lgkmcnt(0)
	s_waitcnt_vscnt null, 0x0
	s_barrier
	buffer_gl0_inv
	s_clause 0x4
	scratch_load_b128 v[74:77], off, off offset:176
	scratch_load_b128 v[78:81], off, off offset:192
	scratch_load_b128 v[82:85], off, off offset:208
	scratch_load_b128 v[86:89], off, off offset:224
	scratch_load_b128 v[90:93], off, off offset:240
	ds_load_2addr_b64 v[94:97], v1 offset0:59 offset1:60
	ds_load_2addr_b64 v[98:101], v1 offset0:61 offset1:62
	scratch_load_b128 v[102:105], off, off offset:256
	s_mov_b32 s0, exec_lo
	s_waitcnt vmcnt(5) lgkmcnt(1)
	v_fma_f64 v[76:77], v[76:77], v[94:95], 0
	scratch_load_b64 v[94:95], off, off offset:272
	s_waitcnt vmcnt(5)
	v_fma_f64 v[76:77], v[78:79], v[96:97], v[76:77]
	s_waitcnt lgkmcnt(0)
	s_delay_alu instid0(VALU_DEP_1) | instskip(SKIP_1) | instid1(VALU_DEP_1)
	v_fma_f64 v[76:77], v[80:81], v[98:99], v[76:77]
	s_waitcnt vmcnt(4)
	v_fma_f64 v[96:97], v[82:83], v[100:101], v[76:77]
	ds_load_2addr_b64 v[76:79], v1 offset0:63 offset1:64
	ds_load_2addr_b64 v[80:83], v1 offset0:65 offset1:66
	s_waitcnt lgkmcnt(1)
	v_fma_f64 v[76:77], v[84:85], v[76:77], v[96:97]
	s_waitcnt vmcnt(3)
	s_delay_alu instid0(VALU_DEP_1) | instskip(SKIP_1) | instid1(VALU_DEP_1)
	v_fma_f64 v[76:77], v[86:87], v[78:79], v[76:77]
	s_waitcnt lgkmcnt(0)
	v_fma_f64 v[76:77], v[88:89], v[80:81], v[76:77]
	s_waitcnt vmcnt(2)
	s_delay_alu instid0(VALU_DEP_1)
	v_fma_f64 v[84:85], v[90:91], v[82:83], v[76:77]
	ds_load_2addr_b64 v[76:79], v1 offset0:67 offset1:68
	ds_load_2addr_b64 v[80:83], v1 offset0:69 offset1:70
	s_waitcnt lgkmcnt(1)
	v_fma_f64 v[1:2], v[92:93], v[76:77], v[84:85]
	s_waitcnt vmcnt(1)
	s_delay_alu instid0(VALU_DEP_1) | instskip(SKIP_1) | instid1(VALU_DEP_1)
	v_fma_f64 v[1:2], v[102:103], v[78:79], v[1:2]
	s_waitcnt lgkmcnt(0)
	v_fma_f64 v[1:2], v[104:105], v[80:81], v[1:2]
	s_waitcnt vmcnt(0)
	s_delay_alu instid0(VALU_DEP_1) | instskip(NEXT) | instid1(VALU_DEP_1)
	v_fma_f64 v[1:2], v[94:95], v[82:83], v[1:2]
	v_add_f64 v[1:2], v[74:75], -v[1:2]
	scratch_store_b64 off, v[1:2], off offset:176
	v_cmpx_lt_u32_e32 21, v0
	s_cbranch_execz .LBB34_177
; %bb.176:
	scratch_load_b64 v[1:2], off, off offset:168
	v_mov_b32_e32 v74, 0
	s_delay_alu instid0(VALU_DEP_1)
	v_mov_b32_e32 v75, v74
	scratch_store_b64 off, v[74:75], off offset:168
	s_waitcnt vmcnt(0)
	ds_store_b64 v3, v[1:2]
.LBB34_177:
	s_or_b32 exec_lo, exec_lo, s0
	s_waitcnt lgkmcnt(0)
	s_waitcnt_vscnt null, 0x0
	s_barrier
	buffer_gl0_inv
	s_clause 0x4
	scratch_load_b128 v[74:77], off, off offset:168
	scratch_load_b128 v[78:81], off, off offset:184
	;; [unrolled: 1-line block ×5, first 2 shown]
	v_mov_b32_e32 v1, 0
	ds_load_b128 v[94:97], v1 offset:464
	ds_load_b128 v[98:101], v1 offset:480
	scratch_load_b128 v[102:105], off, off offset:248
	s_mov_b32 s0, exec_lo
	s_waitcnt vmcnt(5) lgkmcnt(1)
	v_fma_f64 v[76:77], v[76:77], v[94:95], 0
	s_waitcnt vmcnt(4)
	s_delay_alu instid0(VALU_DEP_1) | instskip(SKIP_1) | instid1(VALU_DEP_1)
	v_fma_f64 v[76:77], v[78:79], v[96:97], v[76:77]
	s_waitcnt lgkmcnt(0)
	v_fma_f64 v[80:81], v[80:81], v[98:99], v[76:77]
	scratch_load_b128 v[76:79], off, off offset:264
	s_waitcnt vmcnt(4)
	v_fma_f64 v[98:99], v[82:83], v[100:101], v[80:81]
	ds_load_b128 v[80:83], v1 offset:496
	ds_load_b128 v[94:97], v1 offset:512
	s_waitcnt lgkmcnt(1)
	v_fma_f64 v[80:81], v[84:85], v[80:81], v[98:99]
	s_waitcnt vmcnt(3)
	s_delay_alu instid0(VALU_DEP_1) | instskip(SKIP_1) | instid1(VALU_DEP_1)
	v_fma_f64 v[80:81], v[86:87], v[82:83], v[80:81]
	s_waitcnt lgkmcnt(0)
	v_fma_f64 v[80:81], v[88:89], v[94:95], v[80:81]
	s_waitcnt vmcnt(2)
	s_delay_alu instid0(VALU_DEP_1)
	v_fma_f64 v[88:89], v[90:91], v[96:97], v[80:81]
	ds_load_b128 v[80:83], v1 offset:528
	ds_load_b128 v[84:87], v1 offset:544
	s_waitcnt lgkmcnt(1)
	v_fma_f64 v[80:81], v[92:93], v[80:81], v[88:89]
	s_waitcnt vmcnt(1)
	s_delay_alu instid0(VALU_DEP_1) | instskip(SKIP_1) | instid1(VALU_DEP_1)
	v_fma_f64 v[80:81], v[102:103], v[82:83], v[80:81]
	s_waitcnt lgkmcnt(0)
	v_fma_f64 v[80:81], v[104:105], v[84:85], v[80:81]
	s_waitcnt vmcnt(0)
	s_delay_alu instid0(VALU_DEP_1) | instskip(SKIP_3) | instid1(VALU_DEP_1)
	v_fma_f64 v[76:77], v[76:77], v[86:87], v[80:81]
	ds_load_b64 v[80:81], v1 offset:560
	s_waitcnt lgkmcnt(0)
	v_fma_f64 v[76:77], v[78:79], v[80:81], v[76:77]
	v_add_f64 v[74:75], v[74:75], -v[76:77]
	scratch_store_b64 off, v[74:75], off offset:168
	v_cmpx_lt_u32_e32 20, v0
	s_cbranch_execz .LBB34_179
; %bb.178:
	scratch_load_b64 v[74:75], off, off offset:160
	v_mov_b32_e32 v2, v1
	scratch_store_b64 off, v[1:2], off offset:160
	s_waitcnt vmcnt(0)
	ds_store_b64 v3, v[74:75]
.LBB34_179:
	s_or_b32 exec_lo, exec_lo, s0
	s_waitcnt lgkmcnt(0)
	s_waitcnt_vscnt null, 0x0
	s_barrier
	buffer_gl0_inv
	s_clause 0x4
	scratch_load_b128 v[74:77], off, off offset:160
	scratch_load_b128 v[78:81], off, off offset:176
	;; [unrolled: 1-line block ×5, first 2 shown]
	ds_load_2addr_b64 v[94:97], v1 offset0:57 offset1:58
	ds_load_2addr_b64 v[98:101], v1 offset0:59 offset1:60
	scratch_load_b128 v[102:105], off, off offset:240
	s_mov_b32 s0, exec_lo
	s_waitcnt vmcnt(5) lgkmcnt(1)
	v_fma_f64 v[76:77], v[76:77], v[94:95], 0
	s_waitcnt vmcnt(4)
	s_delay_alu instid0(VALU_DEP_1) | instskip(SKIP_1) | instid1(VALU_DEP_1)
	v_fma_f64 v[76:77], v[78:79], v[96:97], v[76:77]
	s_waitcnt lgkmcnt(0)
	v_fma_f64 v[80:81], v[80:81], v[98:99], v[76:77]
	scratch_load_b128 v[76:79], off, off offset:256
	s_waitcnt vmcnt(4)
	v_fma_f64 v[98:99], v[82:83], v[100:101], v[80:81]
	ds_load_2addr_b64 v[80:83], v1 offset0:61 offset1:62
	ds_load_2addr_b64 v[94:97], v1 offset0:63 offset1:64
	s_waitcnt lgkmcnt(1)
	v_fma_f64 v[80:81], v[84:85], v[80:81], v[98:99]
	scratch_load_b64 v[98:99], off, off offset:272
	s_waitcnt vmcnt(4)
	v_fma_f64 v[80:81], v[86:87], v[82:83], v[80:81]
	s_waitcnt lgkmcnt(0)
	s_delay_alu instid0(VALU_DEP_1) | instskip(SKIP_1) | instid1(VALU_DEP_1)
	v_fma_f64 v[80:81], v[88:89], v[94:95], v[80:81]
	s_waitcnt vmcnt(3)
	v_fma_f64 v[88:89], v[90:91], v[96:97], v[80:81]
	ds_load_2addr_b64 v[80:83], v1 offset0:65 offset1:66
	ds_load_2addr_b64 v[84:87], v1 offset0:67 offset1:68
	s_waitcnt lgkmcnt(1)
	v_fma_f64 v[80:81], v[92:93], v[80:81], v[88:89]
	s_waitcnt vmcnt(2)
	s_delay_alu instid0(VALU_DEP_1) | instskip(SKIP_1) | instid1(VALU_DEP_1)
	v_fma_f64 v[80:81], v[102:103], v[82:83], v[80:81]
	s_waitcnt lgkmcnt(0)
	v_fma_f64 v[80:81], v[104:105], v[84:85], v[80:81]
	s_waitcnt vmcnt(1)
	s_delay_alu instid0(VALU_DEP_1) | instskip(SKIP_4) | instid1(VALU_DEP_1)
	v_fma_f64 v[76:77], v[76:77], v[86:87], v[80:81]
	ds_load_2addr_b64 v[80:83], v1 offset0:69 offset1:70
	s_waitcnt lgkmcnt(0)
	v_fma_f64 v[1:2], v[78:79], v[80:81], v[76:77]
	s_waitcnt vmcnt(0)
	v_fma_f64 v[1:2], v[98:99], v[82:83], v[1:2]
	s_delay_alu instid0(VALU_DEP_1)
	v_add_f64 v[1:2], v[74:75], -v[1:2]
	scratch_store_b64 off, v[1:2], off offset:160
	v_cmpx_lt_u32_e32 19, v0
	s_cbranch_execz .LBB34_181
; %bb.180:
	scratch_load_b64 v[1:2], off, off offset:152
	v_mov_b32_e32 v74, 0
	s_delay_alu instid0(VALU_DEP_1)
	v_mov_b32_e32 v75, v74
	scratch_store_b64 off, v[74:75], off offset:152
	s_waitcnt vmcnt(0)
	ds_store_b64 v3, v[1:2]
.LBB34_181:
	s_or_b32 exec_lo, exec_lo, s0
	s_waitcnt lgkmcnt(0)
	s_waitcnt_vscnt null, 0x0
	s_barrier
	buffer_gl0_inv
	s_clause 0x4
	scratch_load_b128 v[74:77], off, off offset:152
	scratch_load_b128 v[78:81], off, off offset:168
	;; [unrolled: 1-line block ×5, first 2 shown]
	v_mov_b32_e32 v1, 0
	ds_load_b128 v[94:97], v1 offset:448
	ds_load_b128 v[98:101], v1 offset:464
	scratch_load_b128 v[102:105], off, off offset:232
	s_mov_b32 s0, exec_lo
	s_waitcnt vmcnt(5) lgkmcnt(1)
	v_fma_f64 v[76:77], v[76:77], v[94:95], 0
	s_waitcnt vmcnt(4)
	s_delay_alu instid0(VALU_DEP_1) | instskip(SKIP_1) | instid1(VALU_DEP_1)
	v_fma_f64 v[76:77], v[78:79], v[96:97], v[76:77]
	s_waitcnt lgkmcnt(0)
	v_fma_f64 v[80:81], v[80:81], v[98:99], v[76:77]
	scratch_load_b128 v[76:79], off, off offset:248
	s_waitcnt vmcnt(4)
	v_fma_f64 v[98:99], v[82:83], v[100:101], v[80:81]
	ds_load_b128 v[80:83], v1 offset:480
	ds_load_b128 v[94:97], v1 offset:496
	s_waitcnt lgkmcnt(1)
	v_fma_f64 v[80:81], v[84:85], v[80:81], v[98:99]
	scratch_load_b128 v[98:101], off, off offset:264
	s_waitcnt vmcnt(4)
	v_fma_f64 v[80:81], v[86:87], v[82:83], v[80:81]
	s_waitcnt lgkmcnt(0)
	s_delay_alu instid0(VALU_DEP_1) | instskip(SKIP_1) | instid1(VALU_DEP_1)
	v_fma_f64 v[80:81], v[88:89], v[94:95], v[80:81]
	s_waitcnt vmcnt(3)
	v_fma_f64 v[88:89], v[90:91], v[96:97], v[80:81]
	ds_load_b128 v[80:83], v1 offset:512
	ds_load_b128 v[84:87], v1 offset:528
	s_waitcnt lgkmcnt(1)
	v_fma_f64 v[80:81], v[92:93], v[80:81], v[88:89]
	s_waitcnt vmcnt(2)
	s_delay_alu instid0(VALU_DEP_1) | instskip(SKIP_1) | instid1(VALU_DEP_1)
	v_fma_f64 v[80:81], v[102:103], v[82:83], v[80:81]
	s_waitcnt lgkmcnt(0)
	v_fma_f64 v[80:81], v[104:105], v[84:85], v[80:81]
	s_waitcnt vmcnt(1)
	s_delay_alu instid0(VALU_DEP_1)
	v_fma_f64 v[76:77], v[76:77], v[86:87], v[80:81]
	ds_load_b128 v[80:83], v1 offset:544
	ds_load_b64 v[84:85], v1 offset:560
	s_waitcnt lgkmcnt(1)
	v_fma_f64 v[76:77], v[78:79], v[80:81], v[76:77]
	s_waitcnt vmcnt(0)
	s_delay_alu instid0(VALU_DEP_1) | instskip(SKIP_1) | instid1(VALU_DEP_1)
	v_fma_f64 v[76:77], v[98:99], v[82:83], v[76:77]
	s_waitcnt lgkmcnt(0)
	v_fma_f64 v[76:77], v[100:101], v[84:85], v[76:77]
	s_delay_alu instid0(VALU_DEP_1)
	v_add_f64 v[74:75], v[74:75], -v[76:77]
	scratch_store_b64 off, v[74:75], off offset:152
	v_cmpx_lt_u32_e32 18, v0
	s_cbranch_execz .LBB34_183
; %bb.182:
	scratch_load_b64 v[74:75], off, off offset:144
	v_mov_b32_e32 v2, v1
	scratch_store_b64 off, v[1:2], off offset:144
	s_waitcnt vmcnt(0)
	ds_store_b64 v3, v[74:75]
.LBB34_183:
	s_or_b32 exec_lo, exec_lo, s0
	s_waitcnt lgkmcnt(0)
	s_waitcnt_vscnt null, 0x0
	s_barrier
	buffer_gl0_inv
	s_clause 0x4
	scratch_load_b128 v[74:77], off, off offset:144
	scratch_load_b128 v[78:81], off, off offset:160
	;; [unrolled: 1-line block ×5, first 2 shown]
	ds_load_2addr_b64 v[94:97], v1 offset0:55 offset1:56
	ds_load_2addr_b64 v[98:101], v1 offset0:57 offset1:58
	scratch_load_b128 v[102:105], off, off offset:224
	s_mov_b32 s0, exec_lo
	s_waitcnt vmcnt(5) lgkmcnt(1)
	v_fma_f64 v[76:77], v[76:77], v[94:95], 0
	s_waitcnt vmcnt(4)
	s_delay_alu instid0(VALU_DEP_1) | instskip(SKIP_1) | instid1(VALU_DEP_1)
	v_fma_f64 v[76:77], v[78:79], v[96:97], v[76:77]
	s_waitcnt lgkmcnt(0)
	v_fma_f64 v[80:81], v[80:81], v[98:99], v[76:77]
	scratch_load_b128 v[76:79], off, off offset:240
	s_waitcnt vmcnt(4)
	v_fma_f64 v[98:99], v[82:83], v[100:101], v[80:81]
	ds_load_2addr_b64 v[80:83], v1 offset0:59 offset1:60
	ds_load_2addr_b64 v[94:97], v1 offset0:61 offset1:62
	s_waitcnt lgkmcnt(1)
	v_fma_f64 v[80:81], v[84:85], v[80:81], v[98:99]
	scratch_load_b128 v[98:101], off, off offset:256
	s_waitcnt vmcnt(4)
	v_fma_f64 v[80:81], v[86:87], v[82:83], v[80:81]
	s_waitcnt lgkmcnt(0)
	s_delay_alu instid0(VALU_DEP_1)
	v_fma_f64 v[80:81], v[88:89], v[94:95], v[80:81]
	scratch_load_b64 v[88:89], off, off offset:272
	s_waitcnt vmcnt(4)
	v_fma_f64 v[90:91], v[90:91], v[96:97], v[80:81]
	ds_load_2addr_b64 v[80:83], v1 offset0:63 offset1:64
	ds_load_2addr_b64 v[84:87], v1 offset0:65 offset1:66
	s_waitcnt lgkmcnt(1)
	v_fma_f64 v[80:81], v[92:93], v[80:81], v[90:91]
	s_waitcnt vmcnt(3)
	s_delay_alu instid0(VALU_DEP_1) | instskip(SKIP_1) | instid1(VALU_DEP_1)
	v_fma_f64 v[80:81], v[102:103], v[82:83], v[80:81]
	s_waitcnt lgkmcnt(0)
	v_fma_f64 v[80:81], v[104:105], v[84:85], v[80:81]
	s_waitcnt vmcnt(2)
	s_delay_alu instid0(VALU_DEP_1)
	v_fma_f64 v[76:77], v[76:77], v[86:87], v[80:81]
	ds_load_2addr_b64 v[80:83], v1 offset0:67 offset1:68
	ds_load_2addr_b64 v[84:87], v1 offset0:69 offset1:70
	s_waitcnt lgkmcnt(1)
	v_fma_f64 v[1:2], v[78:79], v[80:81], v[76:77]
	s_waitcnt vmcnt(1)
	s_delay_alu instid0(VALU_DEP_1) | instskip(SKIP_1) | instid1(VALU_DEP_1)
	v_fma_f64 v[1:2], v[98:99], v[82:83], v[1:2]
	s_waitcnt lgkmcnt(0)
	v_fma_f64 v[1:2], v[100:101], v[84:85], v[1:2]
	s_waitcnt vmcnt(0)
	s_delay_alu instid0(VALU_DEP_1) | instskip(NEXT) | instid1(VALU_DEP_1)
	v_fma_f64 v[1:2], v[88:89], v[86:87], v[1:2]
	v_add_f64 v[1:2], v[74:75], -v[1:2]
	scratch_store_b64 off, v[1:2], off offset:144
	v_cmpx_lt_u32_e32 17, v0
	s_cbranch_execz .LBB34_185
; %bb.184:
	scratch_load_b64 v[1:2], off, off offset:136
	v_mov_b32_e32 v74, 0
	s_delay_alu instid0(VALU_DEP_1)
	v_mov_b32_e32 v75, v74
	scratch_store_b64 off, v[74:75], off offset:136
	s_waitcnt vmcnt(0)
	ds_store_b64 v3, v[1:2]
.LBB34_185:
	s_or_b32 exec_lo, exec_lo, s0
	s_waitcnt lgkmcnt(0)
	s_waitcnt_vscnt null, 0x0
	s_barrier
	buffer_gl0_inv
	s_clause 0x4
	scratch_load_b128 v[74:77], off, off offset:136
	scratch_load_b128 v[78:81], off, off offset:152
	;; [unrolled: 1-line block ×5, first 2 shown]
	v_mov_b32_e32 v1, 0
	ds_load_b128 v[94:97], v1 offset:432
	ds_load_b128 v[98:101], v1 offset:448
	scratch_load_b128 v[102:105], off, off offset:216
	s_mov_b32 s0, exec_lo
	s_waitcnt vmcnt(5) lgkmcnt(1)
	v_fma_f64 v[76:77], v[76:77], v[94:95], 0
	s_waitcnt vmcnt(4)
	s_delay_alu instid0(VALU_DEP_1) | instskip(SKIP_1) | instid1(VALU_DEP_1)
	v_fma_f64 v[76:77], v[78:79], v[96:97], v[76:77]
	s_waitcnt lgkmcnt(0)
	v_fma_f64 v[80:81], v[80:81], v[98:99], v[76:77]
	scratch_load_b128 v[76:79], off, off offset:232
	s_waitcnt vmcnt(4)
	v_fma_f64 v[98:99], v[82:83], v[100:101], v[80:81]
	ds_load_b128 v[80:83], v1 offset:464
	ds_load_b128 v[94:97], v1 offset:480
	s_waitcnt lgkmcnt(1)
	v_fma_f64 v[80:81], v[84:85], v[80:81], v[98:99]
	scratch_load_b128 v[98:101], off, off offset:248
	s_waitcnt vmcnt(4)
	v_fma_f64 v[80:81], v[86:87], v[82:83], v[80:81]
	s_waitcnt lgkmcnt(0)
	s_delay_alu instid0(VALU_DEP_1)
	v_fma_f64 v[84:85], v[88:89], v[94:95], v[80:81]
	scratch_load_b128 v[80:83], off, off offset:264
	s_waitcnt vmcnt(4)
	v_fma_f64 v[94:95], v[90:91], v[96:97], v[84:85]
	ds_load_b128 v[84:87], v1 offset:496
	ds_load_b128 v[88:91], v1 offset:512
	s_waitcnt lgkmcnt(1)
	v_fma_f64 v[84:85], v[92:93], v[84:85], v[94:95]
	s_waitcnt vmcnt(3)
	s_delay_alu instid0(VALU_DEP_1) | instskip(SKIP_1) | instid1(VALU_DEP_1)
	v_fma_f64 v[84:85], v[102:103], v[86:87], v[84:85]
	s_waitcnt lgkmcnt(0)
	v_fma_f64 v[84:85], v[104:105], v[88:89], v[84:85]
	s_waitcnt vmcnt(2)
	s_delay_alu instid0(VALU_DEP_1)
	v_fma_f64 v[76:77], v[76:77], v[90:91], v[84:85]
	ds_load_b128 v[84:87], v1 offset:528
	ds_load_b128 v[88:91], v1 offset:544
	s_waitcnt lgkmcnt(1)
	v_fma_f64 v[76:77], v[78:79], v[84:85], v[76:77]
	ds_load_b64 v[78:79], v1 offset:560
	s_waitcnt vmcnt(1)
	v_fma_f64 v[76:77], v[98:99], v[86:87], v[76:77]
	s_waitcnt lgkmcnt(1)
	s_delay_alu instid0(VALU_DEP_1) | instskip(SKIP_1) | instid1(VALU_DEP_1)
	v_fma_f64 v[76:77], v[100:101], v[88:89], v[76:77]
	s_waitcnt vmcnt(0)
	v_fma_f64 v[76:77], v[80:81], v[90:91], v[76:77]
	s_waitcnt lgkmcnt(0)
	s_delay_alu instid0(VALU_DEP_1) | instskip(NEXT) | instid1(VALU_DEP_1)
	v_fma_f64 v[76:77], v[82:83], v[78:79], v[76:77]
	v_add_f64 v[74:75], v[74:75], -v[76:77]
	scratch_store_b64 off, v[74:75], off offset:136
	v_cmpx_lt_u32_e32 16, v0
	s_cbranch_execz .LBB34_187
; %bb.186:
	scratch_load_b64 v[74:75], off, off offset:128
	v_mov_b32_e32 v2, v1
	scratch_store_b64 off, v[1:2], off offset:128
	s_waitcnt vmcnt(0)
	ds_store_b64 v3, v[74:75]
.LBB34_187:
	s_or_b32 exec_lo, exec_lo, s0
	s_waitcnt lgkmcnt(0)
	s_waitcnt_vscnt null, 0x0
	s_barrier
	buffer_gl0_inv
	s_clause 0x4
	scratch_load_b128 v[74:77], off, off offset:128
	scratch_load_b128 v[78:81], off, off offset:144
	;; [unrolled: 1-line block ×5, first 2 shown]
	ds_load_2addr_b64 v[94:97], v1 offset0:53 offset1:54
	ds_load_2addr_b64 v[98:101], v1 offset0:55 offset1:56
	scratch_load_b128 v[102:105], off, off offset:208
	s_mov_b32 s0, exec_lo
	s_waitcnt vmcnt(5) lgkmcnt(1)
	v_fma_f64 v[76:77], v[76:77], v[94:95], 0
	s_waitcnt vmcnt(4)
	s_delay_alu instid0(VALU_DEP_1) | instskip(SKIP_1) | instid1(VALU_DEP_1)
	v_fma_f64 v[76:77], v[78:79], v[96:97], v[76:77]
	s_waitcnt lgkmcnt(0)
	v_fma_f64 v[80:81], v[80:81], v[98:99], v[76:77]
	scratch_load_b128 v[76:79], off, off offset:224
	s_waitcnt vmcnt(4)
	v_fma_f64 v[98:99], v[82:83], v[100:101], v[80:81]
	ds_load_2addr_b64 v[80:83], v1 offset0:57 offset1:58
	ds_load_2addr_b64 v[94:97], v1 offset0:59 offset1:60
	s_waitcnt lgkmcnt(1)
	v_fma_f64 v[80:81], v[84:85], v[80:81], v[98:99]
	scratch_load_b128 v[98:101], off, off offset:240
	s_waitcnt vmcnt(4)
	v_fma_f64 v[80:81], v[86:87], v[82:83], v[80:81]
	s_waitcnt lgkmcnt(0)
	s_delay_alu instid0(VALU_DEP_1)
	v_fma_f64 v[84:85], v[88:89], v[94:95], v[80:81]
	scratch_load_b128 v[80:83], off, off offset:256
	s_waitcnt vmcnt(4)
	v_fma_f64 v[94:95], v[90:91], v[96:97], v[84:85]
	ds_load_2addr_b64 v[84:87], v1 offset0:61 offset1:62
	ds_load_2addr_b64 v[88:91], v1 offset0:63 offset1:64
	s_waitcnt lgkmcnt(1)
	v_fma_f64 v[84:85], v[92:93], v[84:85], v[94:95]
	scratch_load_b64 v[92:93], off, off offset:272
	s_waitcnt vmcnt(4)
	v_fma_f64 v[84:85], v[102:103], v[86:87], v[84:85]
	s_waitcnt lgkmcnt(0)
	s_delay_alu instid0(VALU_DEP_1) | instskip(SKIP_1) | instid1(VALU_DEP_1)
	v_fma_f64 v[84:85], v[104:105], v[88:89], v[84:85]
	s_waitcnt vmcnt(3)
	v_fma_f64 v[76:77], v[76:77], v[90:91], v[84:85]
	ds_load_2addr_b64 v[84:87], v1 offset0:65 offset1:66
	ds_load_2addr_b64 v[88:91], v1 offset0:67 offset1:68
	s_waitcnt lgkmcnt(1)
	v_fma_f64 v[76:77], v[78:79], v[84:85], v[76:77]
	s_waitcnt vmcnt(2)
	s_delay_alu instid0(VALU_DEP_1) | instskip(SKIP_1) | instid1(VALU_DEP_1)
	v_fma_f64 v[76:77], v[98:99], v[86:87], v[76:77]
	s_waitcnt lgkmcnt(0)
	v_fma_f64 v[76:77], v[100:101], v[88:89], v[76:77]
	s_waitcnt vmcnt(1)
	s_delay_alu instid0(VALU_DEP_1) | instskip(SKIP_4) | instid1(VALU_DEP_1)
	v_fma_f64 v[80:81], v[80:81], v[90:91], v[76:77]
	ds_load_2addr_b64 v[76:79], v1 offset0:69 offset1:70
	s_waitcnt lgkmcnt(0)
	v_fma_f64 v[1:2], v[82:83], v[76:77], v[80:81]
	s_waitcnt vmcnt(0)
	v_fma_f64 v[1:2], v[92:93], v[78:79], v[1:2]
	s_delay_alu instid0(VALU_DEP_1)
	v_add_f64 v[1:2], v[74:75], -v[1:2]
	scratch_store_b64 off, v[1:2], off offset:128
	v_cmpx_lt_u32_e32 15, v0
	s_cbranch_execz .LBB34_189
; %bb.188:
	scratch_load_b64 v[1:2], off, off offset:120
	v_mov_b32_e32 v74, 0
	s_delay_alu instid0(VALU_DEP_1)
	v_mov_b32_e32 v75, v74
	scratch_store_b64 off, v[74:75], off offset:120
	s_waitcnt vmcnt(0)
	ds_store_b64 v3, v[1:2]
.LBB34_189:
	s_or_b32 exec_lo, exec_lo, s0
	s_waitcnt lgkmcnt(0)
	s_waitcnt_vscnt null, 0x0
	s_barrier
	buffer_gl0_inv
	s_clause 0x4
	scratch_load_b128 v[74:77], off, off offset:120
	scratch_load_b128 v[78:81], off, off offset:136
	;; [unrolled: 1-line block ×5, first 2 shown]
	v_mov_b32_e32 v1, 0
	ds_load_b128 v[94:97], v1 offset:416
	ds_load_b128 v[98:101], v1 offset:432
	scratch_load_b128 v[102:105], off, off offset:200
	s_mov_b32 s0, exec_lo
	s_waitcnt vmcnt(5) lgkmcnt(1)
	v_fma_f64 v[76:77], v[76:77], v[94:95], 0
	s_waitcnt vmcnt(4)
	s_delay_alu instid0(VALU_DEP_1) | instskip(SKIP_1) | instid1(VALU_DEP_1)
	v_fma_f64 v[76:77], v[78:79], v[96:97], v[76:77]
	s_waitcnt lgkmcnt(0)
	v_fma_f64 v[80:81], v[80:81], v[98:99], v[76:77]
	scratch_load_b128 v[76:79], off, off offset:216
	s_waitcnt vmcnt(4)
	v_fma_f64 v[98:99], v[82:83], v[100:101], v[80:81]
	ds_load_b128 v[80:83], v1 offset:448
	ds_load_b128 v[94:97], v1 offset:464
	s_waitcnt lgkmcnt(1)
	v_fma_f64 v[80:81], v[84:85], v[80:81], v[98:99]
	scratch_load_b128 v[98:101], off, off offset:232
	s_waitcnt vmcnt(4)
	v_fma_f64 v[80:81], v[86:87], v[82:83], v[80:81]
	s_waitcnt lgkmcnt(0)
	s_delay_alu instid0(VALU_DEP_1)
	v_fma_f64 v[84:85], v[88:89], v[94:95], v[80:81]
	scratch_load_b128 v[80:83], off, off offset:248
	s_waitcnt vmcnt(4)
	v_fma_f64 v[94:95], v[90:91], v[96:97], v[84:85]
	ds_load_b128 v[84:87], v1 offset:480
	ds_load_b128 v[88:91], v1 offset:496
	s_waitcnt lgkmcnt(1)
	v_fma_f64 v[84:85], v[92:93], v[84:85], v[94:95]
	scratch_load_b128 v[92:95], off, off offset:264
	s_waitcnt vmcnt(4)
	v_fma_f64 v[84:85], v[102:103], v[86:87], v[84:85]
	s_waitcnt lgkmcnt(0)
	s_delay_alu instid0(VALU_DEP_1) | instskip(SKIP_1) | instid1(VALU_DEP_1)
	v_fma_f64 v[84:85], v[104:105], v[88:89], v[84:85]
	s_waitcnt vmcnt(3)
	v_fma_f64 v[76:77], v[76:77], v[90:91], v[84:85]
	ds_load_b128 v[84:87], v1 offset:512
	ds_load_b128 v[88:91], v1 offset:528
	s_waitcnt lgkmcnt(1)
	v_fma_f64 v[76:77], v[78:79], v[84:85], v[76:77]
	s_waitcnt vmcnt(2)
	s_delay_alu instid0(VALU_DEP_1) | instskip(SKIP_1) | instid1(VALU_DEP_1)
	v_fma_f64 v[76:77], v[98:99], v[86:87], v[76:77]
	s_waitcnt lgkmcnt(0)
	v_fma_f64 v[76:77], v[100:101], v[88:89], v[76:77]
	s_waitcnt vmcnt(1)
	s_delay_alu instid0(VALU_DEP_1)
	v_fma_f64 v[80:81], v[80:81], v[90:91], v[76:77]
	ds_load_b128 v[76:79], v1 offset:544
	ds_load_b64 v[84:85], v1 offset:560
	s_waitcnt lgkmcnt(1)
	v_fma_f64 v[76:77], v[82:83], v[76:77], v[80:81]
	s_waitcnt vmcnt(0)
	s_delay_alu instid0(VALU_DEP_1) | instskip(SKIP_1) | instid1(VALU_DEP_1)
	v_fma_f64 v[76:77], v[92:93], v[78:79], v[76:77]
	s_waitcnt lgkmcnt(0)
	v_fma_f64 v[76:77], v[94:95], v[84:85], v[76:77]
	s_delay_alu instid0(VALU_DEP_1)
	v_add_f64 v[74:75], v[74:75], -v[76:77]
	scratch_store_b64 off, v[74:75], off offset:120
	v_cmpx_lt_u32_e32 14, v0
	s_cbranch_execz .LBB34_191
; %bb.190:
	scratch_load_b64 v[74:75], off, off offset:112
	v_mov_b32_e32 v2, v1
	scratch_store_b64 off, v[1:2], off offset:112
	s_waitcnt vmcnt(0)
	ds_store_b64 v3, v[74:75]
.LBB34_191:
	s_or_b32 exec_lo, exec_lo, s0
	s_waitcnt lgkmcnt(0)
	s_waitcnt_vscnt null, 0x0
	s_barrier
	buffer_gl0_inv
	s_clause 0x4
	scratch_load_b128 v[74:77], off, off offset:112
	scratch_load_b128 v[78:81], off, off offset:128
	;; [unrolled: 1-line block ×5, first 2 shown]
	ds_load_2addr_b64 v[94:97], v1 offset0:51 offset1:52
	ds_load_2addr_b64 v[98:101], v1 offset0:53 offset1:54
	scratch_load_b128 v[102:105], off, off offset:192
	s_mov_b32 s0, exec_lo
	s_waitcnt vmcnt(5) lgkmcnt(1)
	v_fma_f64 v[76:77], v[76:77], v[94:95], 0
	s_waitcnt vmcnt(4)
	s_delay_alu instid0(VALU_DEP_1) | instskip(SKIP_1) | instid1(VALU_DEP_1)
	v_fma_f64 v[76:77], v[78:79], v[96:97], v[76:77]
	s_waitcnt lgkmcnt(0)
	v_fma_f64 v[80:81], v[80:81], v[98:99], v[76:77]
	scratch_load_b128 v[76:79], off, off offset:208
	s_waitcnt vmcnt(4)
	v_fma_f64 v[98:99], v[82:83], v[100:101], v[80:81]
	ds_load_2addr_b64 v[80:83], v1 offset0:55 offset1:56
	ds_load_2addr_b64 v[94:97], v1 offset0:57 offset1:58
	s_waitcnt lgkmcnt(1)
	v_fma_f64 v[80:81], v[84:85], v[80:81], v[98:99]
	scratch_load_b128 v[98:101], off, off offset:224
	s_waitcnt vmcnt(4)
	v_fma_f64 v[80:81], v[86:87], v[82:83], v[80:81]
	s_waitcnt lgkmcnt(0)
	s_delay_alu instid0(VALU_DEP_1)
	v_fma_f64 v[84:85], v[88:89], v[94:95], v[80:81]
	scratch_load_b128 v[80:83], off, off offset:240
	s_waitcnt vmcnt(4)
	v_fma_f64 v[94:95], v[90:91], v[96:97], v[84:85]
	ds_load_2addr_b64 v[84:87], v1 offset0:59 offset1:60
	ds_load_2addr_b64 v[88:91], v1 offset0:61 offset1:62
	scratch_load_b64 v[96:97], off, off offset:272
	s_waitcnt lgkmcnt(1)
	v_fma_f64 v[84:85], v[92:93], v[84:85], v[94:95]
	scratch_load_b128 v[92:95], off, off offset:256
	s_waitcnt vmcnt(5)
	v_fma_f64 v[84:85], v[102:103], v[86:87], v[84:85]
	s_waitcnt lgkmcnt(0)
	s_delay_alu instid0(VALU_DEP_1) | instskip(SKIP_1) | instid1(VALU_DEP_1)
	v_fma_f64 v[84:85], v[104:105], v[88:89], v[84:85]
	s_waitcnt vmcnt(4)
	v_fma_f64 v[76:77], v[76:77], v[90:91], v[84:85]
	ds_load_2addr_b64 v[84:87], v1 offset0:63 offset1:64
	ds_load_2addr_b64 v[88:91], v1 offset0:65 offset1:66
	s_waitcnt lgkmcnt(1)
	v_fma_f64 v[76:77], v[78:79], v[84:85], v[76:77]
	s_waitcnt vmcnt(3)
	s_delay_alu instid0(VALU_DEP_1) | instskip(SKIP_1) | instid1(VALU_DEP_1)
	v_fma_f64 v[76:77], v[98:99], v[86:87], v[76:77]
	s_waitcnt lgkmcnt(0)
	v_fma_f64 v[76:77], v[100:101], v[88:89], v[76:77]
	s_waitcnt vmcnt(2)
	s_delay_alu instid0(VALU_DEP_1)
	v_fma_f64 v[80:81], v[80:81], v[90:91], v[76:77]
	ds_load_2addr_b64 v[76:79], v1 offset0:67 offset1:68
	ds_load_2addr_b64 v[84:87], v1 offset0:69 offset1:70
	s_waitcnt lgkmcnt(1)
	v_fma_f64 v[1:2], v[82:83], v[76:77], v[80:81]
	s_waitcnt vmcnt(0)
	s_delay_alu instid0(VALU_DEP_1) | instskip(SKIP_1) | instid1(VALU_DEP_1)
	v_fma_f64 v[1:2], v[92:93], v[78:79], v[1:2]
	s_waitcnt lgkmcnt(0)
	v_fma_f64 v[1:2], v[94:95], v[84:85], v[1:2]
	s_delay_alu instid0(VALU_DEP_1) | instskip(NEXT) | instid1(VALU_DEP_1)
	v_fma_f64 v[1:2], v[96:97], v[86:87], v[1:2]
	v_add_f64 v[1:2], v[74:75], -v[1:2]
	scratch_store_b64 off, v[1:2], off offset:112
	v_cmpx_lt_u32_e32 13, v0
	s_cbranch_execz .LBB34_193
; %bb.192:
	scratch_load_b64 v[1:2], off, off offset:104
	v_mov_b32_e32 v74, 0
	s_delay_alu instid0(VALU_DEP_1)
	v_mov_b32_e32 v75, v74
	scratch_store_b64 off, v[74:75], off offset:104
	s_waitcnt vmcnt(0)
	ds_store_b64 v3, v[1:2]
.LBB34_193:
	s_or_b32 exec_lo, exec_lo, s0
	s_waitcnt lgkmcnt(0)
	s_waitcnt_vscnt null, 0x0
	s_barrier
	buffer_gl0_inv
	s_clause 0x4
	scratch_load_b128 v[74:77], off, off offset:104
	scratch_load_b128 v[78:81], off, off offset:120
	scratch_load_b128 v[82:85], off, off offset:136
	scratch_load_b128 v[86:89], off, off offset:152
	scratch_load_b128 v[90:93], off, off offset:168
	v_mov_b32_e32 v1, 0
	ds_load_b128 v[94:97], v1 offset:400
	ds_load_b128 v[98:101], v1 offset:416
	scratch_load_b128 v[102:105], off, off offset:184
	s_mov_b32 s0, exec_lo
	s_waitcnt vmcnt(5) lgkmcnt(1)
	v_fma_f64 v[76:77], v[76:77], v[94:95], 0
	s_waitcnt vmcnt(4)
	s_delay_alu instid0(VALU_DEP_1) | instskip(SKIP_1) | instid1(VALU_DEP_1)
	v_fma_f64 v[76:77], v[78:79], v[96:97], v[76:77]
	s_waitcnt lgkmcnt(0)
	v_fma_f64 v[80:81], v[80:81], v[98:99], v[76:77]
	scratch_load_b128 v[76:79], off, off offset:200
	s_waitcnt vmcnt(4)
	v_fma_f64 v[98:99], v[82:83], v[100:101], v[80:81]
	ds_load_b128 v[80:83], v1 offset:432
	ds_load_b128 v[94:97], v1 offset:448
	s_waitcnt lgkmcnt(1)
	v_fma_f64 v[80:81], v[84:85], v[80:81], v[98:99]
	scratch_load_b128 v[98:101], off, off offset:216
	s_waitcnt vmcnt(4)
	v_fma_f64 v[80:81], v[86:87], v[82:83], v[80:81]
	s_waitcnt lgkmcnt(0)
	s_delay_alu instid0(VALU_DEP_1)
	v_fma_f64 v[84:85], v[88:89], v[94:95], v[80:81]
	scratch_load_b128 v[80:83], off, off offset:232
	s_waitcnt vmcnt(4)
	v_fma_f64 v[94:95], v[90:91], v[96:97], v[84:85]
	ds_load_b128 v[84:87], v1 offset:464
	ds_load_b128 v[88:91], v1 offset:480
	s_waitcnt lgkmcnt(1)
	v_fma_f64 v[84:85], v[92:93], v[84:85], v[94:95]
	scratch_load_b128 v[92:95], off, off offset:248
	s_waitcnt vmcnt(4)
	v_fma_f64 v[84:85], v[102:103], v[86:87], v[84:85]
	s_waitcnt lgkmcnt(0)
	s_delay_alu instid0(VALU_DEP_1)
	v_fma_f64 v[88:89], v[104:105], v[88:89], v[84:85]
	scratch_load_b128 v[84:87], off, off offset:264
	s_waitcnt vmcnt(4)
	v_fma_f64 v[76:77], v[76:77], v[90:91], v[88:89]
	ds_load_b128 v[88:91], v1 offset:496
	ds_load_b128 v[102:105], v1 offset:512
	s_waitcnt lgkmcnt(1)
	v_fma_f64 v[76:77], v[78:79], v[88:89], v[76:77]
	s_waitcnt vmcnt(3)
	s_delay_alu instid0(VALU_DEP_1) | instskip(SKIP_1) | instid1(VALU_DEP_1)
	v_fma_f64 v[76:77], v[98:99], v[90:91], v[76:77]
	s_waitcnt lgkmcnt(0)
	v_fma_f64 v[76:77], v[100:101], v[102:103], v[76:77]
	s_waitcnt vmcnt(2)
	s_delay_alu instid0(VALU_DEP_1)
	v_fma_f64 v[80:81], v[80:81], v[104:105], v[76:77]
	ds_load_b128 v[76:79], v1 offset:528
	ds_load_b128 v[88:91], v1 offset:544
	s_waitcnt lgkmcnt(1)
	v_fma_f64 v[76:77], v[82:83], v[76:77], v[80:81]
	s_waitcnt vmcnt(1)
	s_delay_alu instid0(VALU_DEP_1) | instskip(SKIP_4) | instid1(VALU_DEP_1)
	v_fma_f64 v[76:77], v[92:93], v[78:79], v[76:77]
	ds_load_b64 v[78:79], v1 offset:560
	s_waitcnt lgkmcnt(1)
	v_fma_f64 v[76:77], v[94:95], v[88:89], v[76:77]
	s_waitcnt vmcnt(0)
	v_fma_f64 v[76:77], v[84:85], v[90:91], v[76:77]
	s_waitcnt lgkmcnt(0)
	s_delay_alu instid0(VALU_DEP_1) | instskip(NEXT) | instid1(VALU_DEP_1)
	v_fma_f64 v[76:77], v[86:87], v[78:79], v[76:77]
	v_add_f64 v[74:75], v[74:75], -v[76:77]
	scratch_store_b64 off, v[74:75], off offset:104
	v_cmpx_lt_u32_e32 12, v0
	s_cbranch_execz .LBB34_195
; %bb.194:
	scratch_load_b64 v[74:75], off, off offset:96
	v_mov_b32_e32 v2, v1
	scratch_store_b64 off, v[1:2], off offset:96
	s_waitcnt vmcnt(0)
	ds_store_b64 v3, v[74:75]
.LBB34_195:
	s_or_b32 exec_lo, exec_lo, s0
	s_waitcnt lgkmcnt(0)
	s_waitcnt_vscnt null, 0x0
	s_barrier
	buffer_gl0_inv
	s_clause 0x4
	scratch_load_b128 v[74:77], off, off offset:96
	scratch_load_b128 v[78:81], off, off offset:112
	;; [unrolled: 1-line block ×5, first 2 shown]
	ds_load_2addr_b64 v[94:97], v1 offset0:49 offset1:50
	ds_load_2addr_b64 v[98:101], v1 offset0:51 offset1:52
	scratch_load_b128 v[102:105], off, off offset:176
	s_mov_b32 s0, exec_lo
	s_waitcnt vmcnt(5) lgkmcnt(1)
	v_fma_f64 v[76:77], v[76:77], v[94:95], 0
	s_waitcnt vmcnt(4)
	s_delay_alu instid0(VALU_DEP_1) | instskip(SKIP_1) | instid1(VALU_DEP_1)
	v_fma_f64 v[76:77], v[78:79], v[96:97], v[76:77]
	s_waitcnt lgkmcnt(0)
	v_fma_f64 v[80:81], v[80:81], v[98:99], v[76:77]
	scratch_load_b128 v[76:79], off, off offset:192
	s_waitcnt vmcnt(4)
	v_fma_f64 v[98:99], v[82:83], v[100:101], v[80:81]
	ds_load_2addr_b64 v[80:83], v1 offset0:53 offset1:54
	ds_load_2addr_b64 v[94:97], v1 offset0:55 offset1:56
	s_waitcnt lgkmcnt(1)
	v_fma_f64 v[80:81], v[84:85], v[80:81], v[98:99]
	scratch_load_b128 v[98:101], off, off offset:208
	s_waitcnt vmcnt(4)
	v_fma_f64 v[80:81], v[86:87], v[82:83], v[80:81]
	s_waitcnt lgkmcnt(0)
	s_delay_alu instid0(VALU_DEP_1)
	v_fma_f64 v[84:85], v[88:89], v[94:95], v[80:81]
	scratch_load_b128 v[80:83], off, off offset:224
	s_waitcnt vmcnt(4)
	v_fma_f64 v[94:95], v[90:91], v[96:97], v[84:85]
	ds_load_2addr_b64 v[84:87], v1 offset0:57 offset1:58
	ds_load_2addr_b64 v[88:91], v1 offset0:59 offset1:60
	s_waitcnt lgkmcnt(1)
	v_fma_f64 v[84:85], v[92:93], v[84:85], v[94:95]
	scratch_load_b128 v[92:95], off, off offset:240
	s_waitcnt vmcnt(4)
	v_fma_f64 v[84:85], v[102:103], v[86:87], v[84:85]
	s_waitcnt lgkmcnt(0)
	s_delay_alu instid0(VALU_DEP_1)
	v_fma_f64 v[88:89], v[104:105], v[88:89], v[84:85]
	scratch_load_b128 v[84:87], off, off offset:256
	s_waitcnt vmcnt(4)
	v_fma_f64 v[76:77], v[76:77], v[90:91], v[88:89]
	ds_load_2addr_b64 v[88:91], v1 offset0:61 offset1:62
	ds_load_2addr_b64 v[102:105], v1 offset0:63 offset1:64
	scratch_load_b64 v[96:97], off, off offset:272
	s_waitcnt lgkmcnt(1)
	v_fma_f64 v[76:77], v[78:79], v[88:89], v[76:77]
	s_waitcnt vmcnt(4)
	s_delay_alu instid0(VALU_DEP_1) | instskip(SKIP_1) | instid1(VALU_DEP_1)
	v_fma_f64 v[76:77], v[98:99], v[90:91], v[76:77]
	s_waitcnt lgkmcnt(0)
	v_fma_f64 v[76:77], v[100:101], v[102:103], v[76:77]
	s_waitcnt vmcnt(3)
	s_delay_alu instid0(VALU_DEP_1)
	v_fma_f64 v[80:81], v[80:81], v[104:105], v[76:77]
	ds_load_2addr_b64 v[76:79], v1 offset0:65 offset1:66
	ds_load_2addr_b64 v[88:91], v1 offset0:67 offset1:68
	s_waitcnt lgkmcnt(1)
	v_fma_f64 v[76:77], v[82:83], v[76:77], v[80:81]
	s_waitcnt vmcnt(2)
	s_delay_alu instid0(VALU_DEP_1) | instskip(SKIP_1) | instid1(VALU_DEP_1)
	v_fma_f64 v[76:77], v[92:93], v[78:79], v[76:77]
	s_waitcnt lgkmcnt(0)
	v_fma_f64 v[76:77], v[94:95], v[88:89], v[76:77]
	s_waitcnt vmcnt(1)
	s_delay_alu instid0(VALU_DEP_1) | instskip(SKIP_4) | instid1(VALU_DEP_1)
	v_fma_f64 v[80:81], v[84:85], v[90:91], v[76:77]
	ds_load_2addr_b64 v[76:79], v1 offset0:69 offset1:70
	s_waitcnt lgkmcnt(0)
	v_fma_f64 v[1:2], v[86:87], v[76:77], v[80:81]
	s_waitcnt vmcnt(0)
	v_fma_f64 v[1:2], v[96:97], v[78:79], v[1:2]
	s_delay_alu instid0(VALU_DEP_1)
	v_add_f64 v[1:2], v[74:75], -v[1:2]
	scratch_store_b64 off, v[1:2], off offset:96
	v_cmpx_lt_u32_e32 11, v0
	s_cbranch_execz .LBB34_197
; %bb.196:
	scratch_load_b64 v[1:2], off, off offset:88
	v_mov_b32_e32 v74, 0
	s_delay_alu instid0(VALU_DEP_1)
	v_mov_b32_e32 v75, v74
	scratch_store_b64 off, v[74:75], off offset:88
	s_waitcnt vmcnt(0)
	ds_store_b64 v3, v[1:2]
.LBB34_197:
	s_or_b32 exec_lo, exec_lo, s0
	s_waitcnt lgkmcnt(0)
	s_waitcnt_vscnt null, 0x0
	s_barrier
	buffer_gl0_inv
	s_clause 0x4
	scratch_load_b128 v[74:77], off, off offset:88
	scratch_load_b128 v[78:81], off, off offset:104
	;; [unrolled: 1-line block ×5, first 2 shown]
	v_mov_b32_e32 v1, 0
	ds_load_b128 v[94:97], v1 offset:384
	ds_load_b128 v[98:101], v1 offset:400
	scratch_load_b128 v[102:105], off, off offset:168
	s_mov_b32 s0, exec_lo
	s_waitcnt vmcnt(5) lgkmcnt(1)
	v_fma_f64 v[76:77], v[76:77], v[94:95], 0
	s_waitcnt vmcnt(4)
	s_delay_alu instid0(VALU_DEP_1) | instskip(SKIP_1) | instid1(VALU_DEP_1)
	v_fma_f64 v[76:77], v[78:79], v[96:97], v[76:77]
	s_waitcnt lgkmcnt(0)
	v_fma_f64 v[80:81], v[80:81], v[98:99], v[76:77]
	scratch_load_b128 v[76:79], off, off offset:184
	s_waitcnt vmcnt(4)
	v_fma_f64 v[98:99], v[82:83], v[100:101], v[80:81]
	ds_load_b128 v[80:83], v1 offset:416
	ds_load_b128 v[94:97], v1 offset:432
	s_waitcnt lgkmcnt(1)
	v_fma_f64 v[80:81], v[84:85], v[80:81], v[98:99]
	scratch_load_b128 v[98:101], off, off offset:200
	s_waitcnt vmcnt(4)
	v_fma_f64 v[80:81], v[86:87], v[82:83], v[80:81]
	s_waitcnt lgkmcnt(0)
	s_delay_alu instid0(VALU_DEP_1)
	v_fma_f64 v[84:85], v[88:89], v[94:95], v[80:81]
	scratch_load_b128 v[80:83], off, off offset:216
	s_waitcnt vmcnt(4)
	v_fma_f64 v[94:95], v[90:91], v[96:97], v[84:85]
	ds_load_b128 v[84:87], v1 offset:448
	ds_load_b128 v[88:91], v1 offset:464
	s_waitcnt lgkmcnt(1)
	v_fma_f64 v[84:85], v[92:93], v[84:85], v[94:95]
	scratch_load_b128 v[92:95], off, off offset:232
	s_waitcnt vmcnt(4)
	v_fma_f64 v[84:85], v[102:103], v[86:87], v[84:85]
	s_waitcnt lgkmcnt(0)
	s_delay_alu instid0(VALU_DEP_1)
	v_fma_f64 v[88:89], v[104:105], v[88:89], v[84:85]
	scratch_load_b128 v[84:87], off, off offset:248
	s_waitcnt vmcnt(4)
	v_fma_f64 v[76:77], v[76:77], v[90:91], v[88:89]
	ds_load_b128 v[88:91], v1 offset:480
	ds_load_b128 v[102:105], v1 offset:496
	s_waitcnt lgkmcnt(1)
	v_fma_f64 v[88:89], v[78:79], v[88:89], v[76:77]
	scratch_load_b128 v[76:79], off, off offset:264
	s_waitcnt vmcnt(4)
	v_fma_f64 v[88:89], v[98:99], v[90:91], v[88:89]
	s_waitcnt lgkmcnt(0)
	s_delay_alu instid0(VALU_DEP_1) | instskip(SKIP_1) | instid1(VALU_DEP_1)
	v_fma_f64 v[88:89], v[100:101], v[102:103], v[88:89]
	s_waitcnt vmcnt(3)
	v_fma_f64 v[80:81], v[80:81], v[104:105], v[88:89]
	ds_load_b128 v[88:91], v1 offset:512
	ds_load_b128 v[96:99], v1 offset:528
	s_waitcnt lgkmcnt(1)
	v_fma_f64 v[80:81], v[82:83], v[88:89], v[80:81]
	s_waitcnt vmcnt(2)
	s_delay_alu instid0(VALU_DEP_1) | instskip(SKIP_1) | instid1(VALU_DEP_1)
	v_fma_f64 v[80:81], v[92:93], v[90:91], v[80:81]
	s_waitcnt lgkmcnt(0)
	v_fma_f64 v[80:81], v[94:95], v[96:97], v[80:81]
	s_waitcnt vmcnt(1)
	s_delay_alu instid0(VALU_DEP_1)
	v_fma_f64 v[84:85], v[84:85], v[98:99], v[80:81]
	ds_load_b128 v[80:83], v1 offset:544
	ds_load_b64 v[88:89], v1 offset:560
	s_waitcnt lgkmcnt(1)
	v_fma_f64 v[80:81], v[86:87], v[80:81], v[84:85]
	s_waitcnt vmcnt(0)
	s_delay_alu instid0(VALU_DEP_1) | instskip(SKIP_1) | instid1(VALU_DEP_1)
	v_fma_f64 v[76:77], v[76:77], v[82:83], v[80:81]
	s_waitcnt lgkmcnt(0)
	v_fma_f64 v[76:77], v[78:79], v[88:89], v[76:77]
	s_delay_alu instid0(VALU_DEP_1)
	v_add_f64 v[74:75], v[74:75], -v[76:77]
	scratch_store_b64 off, v[74:75], off offset:88
	v_cmpx_lt_u32_e32 10, v0
	s_cbranch_execz .LBB34_199
; %bb.198:
	scratch_load_b64 v[74:75], off, off offset:80
	v_mov_b32_e32 v2, v1
	scratch_store_b64 off, v[1:2], off offset:80
	s_waitcnt vmcnt(0)
	ds_store_b64 v3, v[74:75]
.LBB34_199:
	s_or_b32 exec_lo, exec_lo, s0
	s_waitcnt lgkmcnt(0)
	s_waitcnt_vscnt null, 0x0
	s_barrier
	buffer_gl0_inv
	s_clause 0x4
	scratch_load_b128 v[74:77], off, off offset:80
	scratch_load_b128 v[78:81], off, off offset:96
	;; [unrolled: 1-line block ×5, first 2 shown]
	ds_load_2addr_b64 v[94:97], v1 offset0:47 offset1:48
	ds_load_2addr_b64 v[98:101], v1 offset0:49 offset1:50
	scratch_load_b128 v[102:105], off, off offset:160
	s_mov_b32 s0, exec_lo
	s_waitcnt vmcnt(5) lgkmcnt(1)
	v_fma_f64 v[76:77], v[76:77], v[94:95], 0
	s_waitcnt vmcnt(4)
	s_delay_alu instid0(VALU_DEP_1) | instskip(SKIP_1) | instid1(VALU_DEP_1)
	v_fma_f64 v[76:77], v[78:79], v[96:97], v[76:77]
	s_waitcnt lgkmcnt(0)
	v_fma_f64 v[80:81], v[80:81], v[98:99], v[76:77]
	scratch_load_b128 v[76:79], off, off offset:176
	s_waitcnt vmcnt(4)
	v_fma_f64 v[98:99], v[82:83], v[100:101], v[80:81]
	ds_load_2addr_b64 v[80:83], v1 offset0:51 offset1:52
	ds_load_2addr_b64 v[94:97], v1 offset0:53 offset1:54
	s_waitcnt lgkmcnt(1)
	v_fma_f64 v[80:81], v[84:85], v[80:81], v[98:99]
	scratch_load_b128 v[98:101], off, off offset:192
	s_waitcnt vmcnt(4)
	v_fma_f64 v[80:81], v[86:87], v[82:83], v[80:81]
	s_waitcnt lgkmcnt(0)
	s_delay_alu instid0(VALU_DEP_1)
	v_fma_f64 v[84:85], v[88:89], v[94:95], v[80:81]
	scratch_load_b128 v[80:83], off, off offset:208
	s_waitcnt vmcnt(4)
	v_fma_f64 v[94:95], v[90:91], v[96:97], v[84:85]
	ds_load_2addr_b64 v[84:87], v1 offset0:55 offset1:56
	ds_load_2addr_b64 v[88:91], v1 offset0:57 offset1:58
	s_waitcnt lgkmcnt(1)
	v_fma_f64 v[84:85], v[92:93], v[84:85], v[94:95]
	scratch_load_b128 v[92:95], off, off offset:224
	s_waitcnt vmcnt(4)
	v_fma_f64 v[84:85], v[102:103], v[86:87], v[84:85]
	s_waitcnt lgkmcnt(0)
	s_delay_alu instid0(VALU_DEP_1)
	;; [unrolled: 13-line block ×3, first 2 shown]
	v_fma_f64 v[88:89], v[100:101], v[102:103], v[88:89]
	scratch_load_b64 v[100:101], off, off offset:272
	s_waitcnt vmcnt(4)
	v_fma_f64 v[80:81], v[80:81], v[104:105], v[88:89]
	ds_load_2addr_b64 v[88:91], v1 offset0:63 offset1:64
	ds_load_2addr_b64 v[96:99], v1 offset0:65 offset1:66
	s_waitcnt lgkmcnt(1)
	v_fma_f64 v[80:81], v[82:83], v[88:89], v[80:81]
	s_waitcnt vmcnt(3)
	s_delay_alu instid0(VALU_DEP_1) | instskip(SKIP_1) | instid1(VALU_DEP_1)
	v_fma_f64 v[80:81], v[92:93], v[90:91], v[80:81]
	s_waitcnt lgkmcnt(0)
	v_fma_f64 v[80:81], v[94:95], v[96:97], v[80:81]
	s_waitcnt vmcnt(2)
	s_delay_alu instid0(VALU_DEP_1)
	v_fma_f64 v[84:85], v[84:85], v[98:99], v[80:81]
	ds_load_2addr_b64 v[80:83], v1 offset0:67 offset1:68
	ds_load_2addr_b64 v[88:91], v1 offset0:69 offset1:70
	s_waitcnt lgkmcnt(1)
	v_fma_f64 v[1:2], v[86:87], v[80:81], v[84:85]
	s_waitcnt vmcnt(1)
	s_delay_alu instid0(VALU_DEP_1) | instskip(SKIP_1) | instid1(VALU_DEP_1)
	v_fma_f64 v[1:2], v[76:77], v[82:83], v[1:2]
	s_waitcnt lgkmcnt(0)
	v_fma_f64 v[1:2], v[78:79], v[88:89], v[1:2]
	s_waitcnt vmcnt(0)
	s_delay_alu instid0(VALU_DEP_1) | instskip(NEXT) | instid1(VALU_DEP_1)
	v_fma_f64 v[1:2], v[100:101], v[90:91], v[1:2]
	v_add_f64 v[1:2], v[74:75], -v[1:2]
	scratch_store_b64 off, v[1:2], off offset:80
	v_cmpx_lt_u32_e32 9, v0
	s_cbranch_execz .LBB34_201
; %bb.200:
	scratch_load_b64 v[1:2], off, off offset:72
	v_mov_b32_e32 v74, 0
	s_delay_alu instid0(VALU_DEP_1)
	v_mov_b32_e32 v75, v74
	scratch_store_b64 off, v[74:75], off offset:72
	s_waitcnt vmcnt(0)
	ds_store_b64 v3, v[1:2]
.LBB34_201:
	s_or_b32 exec_lo, exec_lo, s0
	s_waitcnt lgkmcnt(0)
	s_waitcnt_vscnt null, 0x0
	s_barrier
	buffer_gl0_inv
	s_clause 0x4
	scratch_load_b128 v[74:77], off, off offset:72
	scratch_load_b128 v[78:81], off, off offset:88
	;; [unrolled: 1-line block ×5, first 2 shown]
	v_mov_b32_e32 v1, 0
	ds_load_b128 v[94:97], v1 offset:368
	ds_load_b128 v[98:101], v1 offset:384
	scratch_load_b128 v[102:105], off, off offset:152
	s_mov_b32 s0, exec_lo
	s_waitcnt vmcnt(5) lgkmcnt(1)
	v_fma_f64 v[76:77], v[76:77], v[94:95], 0
	s_waitcnt vmcnt(4)
	s_delay_alu instid0(VALU_DEP_1) | instskip(SKIP_1) | instid1(VALU_DEP_1)
	v_fma_f64 v[76:77], v[78:79], v[96:97], v[76:77]
	s_waitcnt lgkmcnt(0)
	v_fma_f64 v[80:81], v[80:81], v[98:99], v[76:77]
	scratch_load_b128 v[76:79], off, off offset:168
	s_waitcnt vmcnt(4)
	v_fma_f64 v[98:99], v[82:83], v[100:101], v[80:81]
	ds_load_b128 v[80:83], v1 offset:400
	ds_load_b128 v[94:97], v1 offset:416
	s_waitcnt lgkmcnt(1)
	v_fma_f64 v[80:81], v[84:85], v[80:81], v[98:99]
	scratch_load_b128 v[98:101], off, off offset:184
	s_waitcnt vmcnt(4)
	v_fma_f64 v[80:81], v[86:87], v[82:83], v[80:81]
	s_waitcnt lgkmcnt(0)
	s_delay_alu instid0(VALU_DEP_1)
	v_fma_f64 v[84:85], v[88:89], v[94:95], v[80:81]
	scratch_load_b128 v[80:83], off, off offset:200
	s_waitcnt vmcnt(4)
	v_fma_f64 v[94:95], v[90:91], v[96:97], v[84:85]
	ds_load_b128 v[84:87], v1 offset:432
	ds_load_b128 v[88:91], v1 offset:448
	s_waitcnt lgkmcnt(1)
	v_fma_f64 v[84:85], v[92:93], v[84:85], v[94:95]
	scratch_load_b128 v[92:95], off, off offset:216
	s_waitcnt vmcnt(4)
	v_fma_f64 v[84:85], v[102:103], v[86:87], v[84:85]
	s_waitcnt lgkmcnt(0)
	s_delay_alu instid0(VALU_DEP_1)
	;; [unrolled: 13-line block ×3, first 2 shown]
	v_fma_f64 v[96:97], v[100:101], v[102:103], v[88:89]
	scratch_load_b128 v[88:91], off, off offset:264
	s_waitcnt vmcnt(4)
	v_fma_f64 v[80:81], v[80:81], v[104:105], v[96:97]
	ds_load_b128 v[96:99], v1 offset:496
	ds_load_b128 v[100:103], v1 offset:512
	s_waitcnt lgkmcnt(1)
	v_fma_f64 v[80:81], v[82:83], v[96:97], v[80:81]
	s_waitcnt vmcnt(3)
	s_delay_alu instid0(VALU_DEP_1) | instskip(SKIP_1) | instid1(VALU_DEP_1)
	v_fma_f64 v[80:81], v[92:93], v[98:99], v[80:81]
	s_waitcnt lgkmcnt(0)
	v_fma_f64 v[80:81], v[94:95], v[100:101], v[80:81]
	s_waitcnt vmcnt(2)
	s_delay_alu instid0(VALU_DEP_1)
	v_fma_f64 v[84:85], v[84:85], v[102:103], v[80:81]
	ds_load_b128 v[80:83], v1 offset:528
	ds_load_b128 v[92:95], v1 offset:544
	s_waitcnt lgkmcnt(1)
	v_fma_f64 v[80:81], v[86:87], v[80:81], v[84:85]
	s_waitcnt vmcnt(1)
	s_delay_alu instid0(VALU_DEP_1) | instskip(SKIP_1) | instid1(VALU_DEP_1)
	v_fma_f64 v[76:77], v[76:77], v[82:83], v[80:81]
	s_waitcnt lgkmcnt(0)
	v_fma_f64 v[76:77], v[78:79], v[92:93], v[76:77]
	ds_load_b64 v[78:79], v1 offset:560
	s_waitcnt vmcnt(0)
	v_fma_f64 v[76:77], v[88:89], v[94:95], v[76:77]
	s_waitcnt lgkmcnt(0)
	s_delay_alu instid0(VALU_DEP_1) | instskip(NEXT) | instid1(VALU_DEP_1)
	v_fma_f64 v[76:77], v[90:91], v[78:79], v[76:77]
	v_add_f64 v[74:75], v[74:75], -v[76:77]
	scratch_store_b64 off, v[74:75], off offset:72
	v_cmpx_lt_u32_e32 8, v0
	s_cbranch_execz .LBB34_203
; %bb.202:
	scratch_load_b64 v[74:75], off, off offset:64
	v_mov_b32_e32 v2, v1
	scratch_store_b64 off, v[1:2], off offset:64
	s_waitcnt vmcnt(0)
	ds_store_b64 v3, v[74:75]
.LBB34_203:
	s_or_b32 exec_lo, exec_lo, s0
	s_waitcnt lgkmcnt(0)
	s_waitcnt_vscnt null, 0x0
	s_barrier
	buffer_gl0_inv
	s_clause 0x4
	scratch_load_b128 v[74:77], off, off offset:64
	scratch_load_b128 v[78:81], off, off offset:80
	;; [unrolled: 1-line block ×5, first 2 shown]
	ds_load_2addr_b64 v[94:97], v1 offset0:45 offset1:46
	ds_load_2addr_b64 v[98:101], v1 offset0:47 offset1:48
	scratch_load_b128 v[102:105], off, off offset:144
	s_mov_b32 s0, exec_lo
	s_waitcnt vmcnt(5) lgkmcnt(1)
	v_fma_f64 v[76:77], v[76:77], v[94:95], 0
	s_waitcnt vmcnt(4)
	s_delay_alu instid0(VALU_DEP_1) | instskip(SKIP_1) | instid1(VALU_DEP_1)
	v_fma_f64 v[76:77], v[78:79], v[96:97], v[76:77]
	s_waitcnt lgkmcnt(0)
	v_fma_f64 v[80:81], v[80:81], v[98:99], v[76:77]
	scratch_load_b128 v[76:79], off, off offset:160
	s_waitcnt vmcnt(4)
	v_fma_f64 v[98:99], v[82:83], v[100:101], v[80:81]
	ds_load_2addr_b64 v[80:83], v1 offset0:49 offset1:50
	ds_load_2addr_b64 v[94:97], v1 offset0:51 offset1:52
	s_waitcnt lgkmcnt(1)
	v_fma_f64 v[80:81], v[84:85], v[80:81], v[98:99]
	scratch_load_b128 v[98:101], off, off offset:176
	s_waitcnt vmcnt(4)
	v_fma_f64 v[80:81], v[86:87], v[82:83], v[80:81]
	s_waitcnt lgkmcnt(0)
	s_delay_alu instid0(VALU_DEP_1)
	v_fma_f64 v[84:85], v[88:89], v[94:95], v[80:81]
	scratch_load_b128 v[80:83], off, off offset:192
	s_waitcnt vmcnt(4)
	v_fma_f64 v[94:95], v[90:91], v[96:97], v[84:85]
	ds_load_2addr_b64 v[84:87], v1 offset0:53 offset1:54
	ds_load_2addr_b64 v[88:91], v1 offset0:55 offset1:56
	s_waitcnt lgkmcnt(1)
	v_fma_f64 v[84:85], v[92:93], v[84:85], v[94:95]
	scratch_load_b128 v[92:95], off, off offset:208
	s_waitcnt vmcnt(4)
	v_fma_f64 v[84:85], v[102:103], v[86:87], v[84:85]
	s_waitcnt lgkmcnt(0)
	s_delay_alu instid0(VALU_DEP_1)
	;; [unrolled: 13-line block ×3, first 2 shown]
	v_fma_f64 v[96:97], v[100:101], v[102:103], v[88:89]
	scratch_load_b128 v[88:91], off, off offset:256
	s_waitcnt vmcnt(4)
	v_fma_f64 v[80:81], v[80:81], v[104:105], v[96:97]
	ds_load_2addr_b64 v[96:99], v1 offset0:61 offset1:62
	ds_load_2addr_b64 v[100:103], v1 offset0:63 offset1:64
	s_waitcnt lgkmcnt(1)
	v_fma_f64 v[80:81], v[82:83], v[96:97], v[80:81]
	scratch_load_b64 v[96:97], off, off offset:272
	s_waitcnt vmcnt(4)
	v_fma_f64 v[80:81], v[92:93], v[98:99], v[80:81]
	s_waitcnt lgkmcnt(0)
	s_delay_alu instid0(VALU_DEP_1) | instskip(SKIP_1) | instid1(VALU_DEP_1)
	v_fma_f64 v[80:81], v[94:95], v[100:101], v[80:81]
	s_waitcnt vmcnt(3)
	v_fma_f64 v[84:85], v[84:85], v[102:103], v[80:81]
	ds_load_2addr_b64 v[80:83], v1 offset0:65 offset1:66
	ds_load_2addr_b64 v[92:95], v1 offset0:67 offset1:68
	s_waitcnt lgkmcnt(1)
	v_fma_f64 v[80:81], v[86:87], v[80:81], v[84:85]
	s_waitcnt vmcnt(2)
	s_delay_alu instid0(VALU_DEP_1) | instskip(SKIP_1) | instid1(VALU_DEP_1)
	v_fma_f64 v[76:77], v[76:77], v[82:83], v[80:81]
	s_waitcnt lgkmcnt(0)
	v_fma_f64 v[76:77], v[78:79], v[92:93], v[76:77]
	s_waitcnt vmcnt(1)
	s_delay_alu instid0(VALU_DEP_1) | instskip(SKIP_4) | instid1(VALU_DEP_1)
	v_fma_f64 v[80:81], v[88:89], v[94:95], v[76:77]
	ds_load_2addr_b64 v[76:79], v1 offset0:69 offset1:70
	s_waitcnt lgkmcnt(0)
	v_fma_f64 v[1:2], v[90:91], v[76:77], v[80:81]
	s_waitcnt vmcnt(0)
	v_fma_f64 v[1:2], v[96:97], v[78:79], v[1:2]
	s_delay_alu instid0(VALU_DEP_1)
	v_add_f64 v[1:2], v[74:75], -v[1:2]
	scratch_store_b64 off, v[1:2], off offset:64
	v_cmpx_lt_u32_e32 7, v0
	s_cbranch_execz .LBB34_205
; %bb.204:
	scratch_load_b64 v[1:2], off, off offset:56
	v_mov_b32_e32 v74, 0
	s_delay_alu instid0(VALU_DEP_1)
	v_mov_b32_e32 v75, v74
	scratch_store_b64 off, v[74:75], off offset:56
	s_waitcnt vmcnt(0)
	ds_store_b64 v3, v[1:2]
.LBB34_205:
	s_or_b32 exec_lo, exec_lo, s0
	s_waitcnt lgkmcnt(0)
	s_waitcnt_vscnt null, 0x0
	s_barrier
	buffer_gl0_inv
	s_clause 0x4
	scratch_load_b128 v[74:77], off, off offset:56
	scratch_load_b128 v[78:81], off, off offset:72
	;; [unrolled: 1-line block ×5, first 2 shown]
	v_mov_b32_e32 v1, 0
	ds_load_b128 v[94:97], v1 offset:352
	ds_load_b128 v[98:101], v1 offset:368
	scratch_load_b128 v[102:105], off, off offset:136
	s_mov_b32 s0, exec_lo
	s_waitcnt vmcnt(5) lgkmcnt(1)
	v_fma_f64 v[76:77], v[76:77], v[94:95], 0
	s_waitcnt vmcnt(4)
	s_delay_alu instid0(VALU_DEP_1) | instskip(SKIP_1) | instid1(VALU_DEP_1)
	v_fma_f64 v[76:77], v[78:79], v[96:97], v[76:77]
	s_waitcnt lgkmcnt(0)
	v_fma_f64 v[80:81], v[80:81], v[98:99], v[76:77]
	scratch_load_b128 v[76:79], off, off offset:152
	s_waitcnt vmcnt(4)
	v_fma_f64 v[98:99], v[82:83], v[100:101], v[80:81]
	ds_load_b128 v[80:83], v1 offset:384
	ds_load_b128 v[94:97], v1 offset:400
	s_waitcnt lgkmcnt(1)
	v_fma_f64 v[80:81], v[84:85], v[80:81], v[98:99]
	scratch_load_b128 v[98:101], off, off offset:168
	s_waitcnt vmcnt(4)
	v_fma_f64 v[80:81], v[86:87], v[82:83], v[80:81]
	s_waitcnt lgkmcnt(0)
	s_delay_alu instid0(VALU_DEP_1)
	v_fma_f64 v[84:85], v[88:89], v[94:95], v[80:81]
	scratch_load_b128 v[80:83], off, off offset:184
	s_waitcnt vmcnt(4)
	v_fma_f64 v[94:95], v[90:91], v[96:97], v[84:85]
	ds_load_b128 v[84:87], v1 offset:416
	ds_load_b128 v[88:91], v1 offset:432
	s_waitcnt lgkmcnt(1)
	v_fma_f64 v[84:85], v[92:93], v[84:85], v[94:95]
	scratch_load_b128 v[92:95], off, off offset:200
	s_waitcnt vmcnt(4)
	v_fma_f64 v[84:85], v[102:103], v[86:87], v[84:85]
	s_waitcnt lgkmcnt(0)
	s_delay_alu instid0(VALU_DEP_1)
	;; [unrolled: 13-line block ×3, first 2 shown]
	v_fma_f64 v[96:97], v[100:101], v[102:103], v[88:89]
	scratch_load_b128 v[88:91], off, off offset:248
	s_waitcnt vmcnt(4)
	v_fma_f64 v[80:81], v[80:81], v[104:105], v[96:97]
	ds_load_b128 v[96:99], v1 offset:480
	ds_load_b128 v[100:103], v1 offset:496
	s_waitcnt lgkmcnt(1)
	v_fma_f64 v[96:97], v[82:83], v[96:97], v[80:81]
	scratch_load_b128 v[80:83], off, off offset:264
	s_waitcnt vmcnt(4)
	v_fma_f64 v[92:93], v[92:93], v[98:99], v[96:97]
	s_waitcnt lgkmcnt(0)
	s_delay_alu instid0(VALU_DEP_1) | instskip(SKIP_1) | instid1(VALU_DEP_1)
	v_fma_f64 v[92:93], v[94:95], v[100:101], v[92:93]
	s_waitcnt vmcnt(3)
	v_fma_f64 v[84:85], v[84:85], v[102:103], v[92:93]
	ds_load_b128 v[92:95], v1 offset:512
	ds_load_b128 v[96:99], v1 offset:528
	s_waitcnt lgkmcnt(1)
	v_fma_f64 v[84:85], v[86:87], v[92:93], v[84:85]
	s_waitcnt vmcnt(2)
	s_delay_alu instid0(VALU_DEP_1) | instskip(SKIP_1) | instid1(VALU_DEP_1)
	v_fma_f64 v[76:77], v[76:77], v[94:95], v[84:85]
	s_waitcnt lgkmcnt(0)
	v_fma_f64 v[76:77], v[78:79], v[96:97], v[76:77]
	s_waitcnt vmcnt(1)
	s_delay_alu instid0(VALU_DEP_1)
	v_fma_f64 v[84:85], v[88:89], v[98:99], v[76:77]
	ds_load_b128 v[76:79], v1 offset:544
	ds_load_b64 v[86:87], v1 offset:560
	s_waitcnt lgkmcnt(1)
	v_fma_f64 v[76:77], v[90:91], v[76:77], v[84:85]
	s_waitcnt vmcnt(0)
	s_delay_alu instid0(VALU_DEP_1) | instskip(SKIP_1) | instid1(VALU_DEP_1)
	v_fma_f64 v[76:77], v[80:81], v[78:79], v[76:77]
	s_waitcnt lgkmcnt(0)
	v_fma_f64 v[76:77], v[82:83], v[86:87], v[76:77]
	s_delay_alu instid0(VALU_DEP_1)
	v_add_f64 v[74:75], v[74:75], -v[76:77]
	scratch_store_b64 off, v[74:75], off offset:56
	v_cmpx_lt_u32_e32 6, v0
	s_cbranch_execz .LBB34_207
; %bb.206:
	scratch_load_b64 v[74:75], off, off offset:48
	v_mov_b32_e32 v2, v1
	scratch_store_b64 off, v[1:2], off offset:48
	s_waitcnt vmcnt(0)
	ds_store_b64 v3, v[74:75]
.LBB34_207:
	s_or_b32 exec_lo, exec_lo, s0
	s_waitcnt lgkmcnt(0)
	s_waitcnt_vscnt null, 0x0
	s_barrier
	buffer_gl0_inv
	s_clause 0x4
	scratch_load_b128 v[74:77], off, off offset:48
	scratch_load_b128 v[78:81], off, off offset:64
	scratch_load_b128 v[82:85], off, off offset:80
	scratch_load_b128 v[86:89], off, off offset:96
	scratch_load_b128 v[90:93], off, off offset:112
	ds_load_2addr_b64 v[94:97], v1 offset0:43 offset1:44
	ds_load_2addr_b64 v[98:101], v1 offset0:45 offset1:46
	scratch_load_b128 v[102:105], off, off offset:128
	s_mov_b32 s0, exec_lo
	s_waitcnt vmcnt(5) lgkmcnt(1)
	v_fma_f64 v[76:77], v[76:77], v[94:95], 0
	s_waitcnt vmcnt(4)
	s_delay_alu instid0(VALU_DEP_1) | instskip(SKIP_1) | instid1(VALU_DEP_1)
	v_fma_f64 v[76:77], v[78:79], v[96:97], v[76:77]
	s_waitcnt lgkmcnt(0)
	v_fma_f64 v[80:81], v[80:81], v[98:99], v[76:77]
	scratch_load_b128 v[76:79], off, off offset:144
	s_waitcnt vmcnt(4)
	v_fma_f64 v[98:99], v[82:83], v[100:101], v[80:81]
	ds_load_2addr_b64 v[80:83], v1 offset0:47 offset1:48
	ds_load_2addr_b64 v[94:97], v1 offset0:49 offset1:50
	s_waitcnt lgkmcnt(1)
	v_fma_f64 v[80:81], v[84:85], v[80:81], v[98:99]
	scratch_load_b128 v[98:101], off, off offset:160
	s_waitcnt vmcnt(4)
	v_fma_f64 v[80:81], v[86:87], v[82:83], v[80:81]
	s_waitcnt lgkmcnt(0)
	s_delay_alu instid0(VALU_DEP_1)
	v_fma_f64 v[84:85], v[88:89], v[94:95], v[80:81]
	scratch_load_b128 v[80:83], off, off offset:176
	s_waitcnt vmcnt(4)
	v_fma_f64 v[94:95], v[90:91], v[96:97], v[84:85]
	ds_load_2addr_b64 v[84:87], v1 offset0:51 offset1:52
	ds_load_2addr_b64 v[88:91], v1 offset0:53 offset1:54
	s_waitcnt lgkmcnt(1)
	v_fma_f64 v[84:85], v[92:93], v[84:85], v[94:95]
	scratch_load_b128 v[92:95], off, off offset:192
	s_waitcnt vmcnt(4)
	v_fma_f64 v[84:85], v[102:103], v[86:87], v[84:85]
	s_waitcnt lgkmcnt(0)
	s_delay_alu instid0(VALU_DEP_1)
	;; [unrolled: 13-line block ×4, first 2 shown]
	v_fma_f64 v[92:93], v[94:95], v[100:101], v[92:93]
	scratch_load_b64 v[100:101], off, off offset:272
	s_waitcnt vmcnt(4)
	v_fma_f64 v[84:85], v[84:85], v[102:103], v[92:93]
	ds_load_2addr_b64 v[92:95], v1 offset0:63 offset1:64
	ds_load_2addr_b64 v[96:99], v1 offset0:65 offset1:66
	s_waitcnt lgkmcnt(1)
	v_fma_f64 v[84:85], v[86:87], v[92:93], v[84:85]
	s_waitcnt vmcnt(3)
	s_delay_alu instid0(VALU_DEP_1) | instskip(SKIP_1) | instid1(VALU_DEP_1)
	v_fma_f64 v[76:77], v[76:77], v[94:95], v[84:85]
	s_waitcnt lgkmcnt(0)
	v_fma_f64 v[76:77], v[78:79], v[96:97], v[76:77]
	s_waitcnt vmcnt(2)
	s_delay_alu instid0(VALU_DEP_1)
	v_fma_f64 v[88:89], v[88:89], v[98:99], v[76:77]
	ds_load_2addr_b64 v[76:79], v1 offset0:67 offset1:68
	ds_load_2addr_b64 v[84:87], v1 offset0:69 offset1:70
	s_waitcnt lgkmcnt(1)
	v_fma_f64 v[1:2], v[90:91], v[76:77], v[88:89]
	s_waitcnt vmcnt(1)
	s_delay_alu instid0(VALU_DEP_1) | instskip(SKIP_1) | instid1(VALU_DEP_1)
	v_fma_f64 v[1:2], v[80:81], v[78:79], v[1:2]
	s_waitcnt lgkmcnt(0)
	v_fma_f64 v[1:2], v[82:83], v[84:85], v[1:2]
	s_waitcnt vmcnt(0)
	s_delay_alu instid0(VALU_DEP_1) | instskip(NEXT) | instid1(VALU_DEP_1)
	v_fma_f64 v[1:2], v[100:101], v[86:87], v[1:2]
	v_add_f64 v[1:2], v[74:75], -v[1:2]
	scratch_store_b64 off, v[1:2], off offset:48
	v_cmpx_lt_u32_e32 5, v0
	s_cbranch_execz .LBB34_209
; %bb.208:
	scratch_load_b64 v[1:2], off, off offset:40
	v_mov_b32_e32 v74, 0
	s_delay_alu instid0(VALU_DEP_1)
	v_mov_b32_e32 v75, v74
	scratch_store_b64 off, v[74:75], off offset:40
	s_waitcnt vmcnt(0)
	ds_store_b64 v3, v[1:2]
.LBB34_209:
	s_or_b32 exec_lo, exec_lo, s0
	s_waitcnt lgkmcnt(0)
	s_waitcnt_vscnt null, 0x0
	s_barrier
	buffer_gl0_inv
	s_clause 0x4
	scratch_load_b128 v[74:77], off, off offset:40
	scratch_load_b128 v[78:81], off, off offset:56
	;; [unrolled: 1-line block ×5, first 2 shown]
	v_mov_b32_e32 v1, 0
	ds_load_b128 v[94:97], v1 offset:336
	ds_load_b128 v[98:101], v1 offset:352
	scratch_load_b128 v[102:105], off, off offset:120
	s_mov_b32 s0, exec_lo
	s_waitcnt vmcnt(5) lgkmcnt(1)
	v_fma_f64 v[76:77], v[76:77], v[94:95], 0
	s_waitcnt vmcnt(4)
	s_delay_alu instid0(VALU_DEP_1) | instskip(SKIP_1) | instid1(VALU_DEP_1)
	v_fma_f64 v[76:77], v[78:79], v[96:97], v[76:77]
	s_waitcnt lgkmcnt(0)
	v_fma_f64 v[80:81], v[80:81], v[98:99], v[76:77]
	scratch_load_b128 v[76:79], off, off offset:136
	s_waitcnt vmcnt(4)
	v_fma_f64 v[98:99], v[82:83], v[100:101], v[80:81]
	ds_load_b128 v[80:83], v1 offset:368
	ds_load_b128 v[94:97], v1 offset:384
	s_waitcnt lgkmcnt(1)
	v_fma_f64 v[80:81], v[84:85], v[80:81], v[98:99]
	scratch_load_b128 v[98:101], off, off offset:152
	s_waitcnt vmcnt(4)
	v_fma_f64 v[80:81], v[86:87], v[82:83], v[80:81]
	s_waitcnt lgkmcnt(0)
	s_delay_alu instid0(VALU_DEP_1)
	v_fma_f64 v[84:85], v[88:89], v[94:95], v[80:81]
	scratch_load_b128 v[80:83], off, off offset:168
	s_waitcnt vmcnt(4)
	v_fma_f64 v[94:95], v[90:91], v[96:97], v[84:85]
	ds_load_b128 v[84:87], v1 offset:400
	ds_load_b128 v[88:91], v1 offset:416
	s_waitcnt lgkmcnt(1)
	v_fma_f64 v[84:85], v[92:93], v[84:85], v[94:95]
	scratch_load_b128 v[92:95], off, off offset:184
	s_waitcnt vmcnt(4)
	v_fma_f64 v[84:85], v[102:103], v[86:87], v[84:85]
	s_waitcnt lgkmcnt(0)
	s_delay_alu instid0(VALU_DEP_1)
	;; [unrolled: 13-line block ×4, first 2 shown]
	v_fma_f64 v[96:97], v[94:95], v[100:101], v[92:93]
	scratch_load_b128 v[92:95], off, off offset:264
	s_waitcnt vmcnt(4)
	v_fma_f64 v[84:85], v[84:85], v[102:103], v[96:97]
	ds_load_b128 v[96:99], v1 offset:496
	ds_load_b128 v[100:103], v1 offset:512
	s_waitcnt lgkmcnt(1)
	v_fma_f64 v[84:85], v[86:87], v[96:97], v[84:85]
	s_waitcnt vmcnt(3)
	s_delay_alu instid0(VALU_DEP_1) | instskip(SKIP_1) | instid1(VALU_DEP_1)
	v_fma_f64 v[76:77], v[76:77], v[98:99], v[84:85]
	s_waitcnt lgkmcnt(0)
	v_fma_f64 v[76:77], v[78:79], v[100:101], v[76:77]
	s_waitcnt vmcnt(2)
	s_delay_alu instid0(VALU_DEP_1)
	v_fma_f64 v[88:89], v[88:89], v[102:103], v[76:77]
	ds_load_b128 v[76:79], v1 offset:528
	ds_load_b128 v[84:87], v1 offset:544
	s_waitcnt lgkmcnt(1)
	v_fma_f64 v[76:77], v[90:91], v[76:77], v[88:89]
	s_waitcnt vmcnt(1)
	s_delay_alu instid0(VALU_DEP_1) | instskip(SKIP_4) | instid1(VALU_DEP_1)
	v_fma_f64 v[76:77], v[80:81], v[78:79], v[76:77]
	ds_load_b64 v[78:79], v1 offset:560
	s_waitcnt lgkmcnt(1)
	v_fma_f64 v[76:77], v[82:83], v[84:85], v[76:77]
	s_waitcnt vmcnt(0)
	v_fma_f64 v[76:77], v[92:93], v[86:87], v[76:77]
	s_waitcnt lgkmcnt(0)
	s_delay_alu instid0(VALU_DEP_1) | instskip(NEXT) | instid1(VALU_DEP_1)
	v_fma_f64 v[76:77], v[94:95], v[78:79], v[76:77]
	v_add_f64 v[74:75], v[74:75], -v[76:77]
	scratch_store_b64 off, v[74:75], off offset:40
	v_cmpx_lt_u32_e32 4, v0
	s_cbranch_execz .LBB34_211
; %bb.210:
	scratch_load_b64 v[74:75], off, off offset:32
	v_mov_b32_e32 v2, v1
	scratch_store_b64 off, v[1:2], off offset:32
	s_waitcnt vmcnt(0)
	ds_store_b64 v3, v[74:75]
.LBB34_211:
	s_or_b32 exec_lo, exec_lo, s0
	s_waitcnt lgkmcnt(0)
	s_waitcnt_vscnt null, 0x0
	s_barrier
	buffer_gl0_inv
	s_clause 0x4
	scratch_load_b128 v[74:77], off, off offset:32
	scratch_load_b128 v[78:81], off, off offset:48
	;; [unrolled: 1-line block ×5, first 2 shown]
	ds_load_2addr_b64 v[94:97], v1 offset0:41 offset1:42
	ds_load_2addr_b64 v[98:101], v1 offset0:43 offset1:44
	scratch_load_b128 v[102:105], off, off offset:112
	s_mov_b32 s0, exec_lo
	s_waitcnt vmcnt(5) lgkmcnt(1)
	v_fma_f64 v[76:77], v[76:77], v[94:95], 0
	s_waitcnt vmcnt(4)
	s_delay_alu instid0(VALU_DEP_1) | instskip(SKIP_1) | instid1(VALU_DEP_1)
	v_fma_f64 v[76:77], v[78:79], v[96:97], v[76:77]
	s_waitcnt lgkmcnt(0)
	v_fma_f64 v[80:81], v[80:81], v[98:99], v[76:77]
	scratch_load_b128 v[76:79], off, off offset:128
	s_waitcnt vmcnt(4)
	v_fma_f64 v[98:99], v[82:83], v[100:101], v[80:81]
	ds_load_2addr_b64 v[80:83], v1 offset0:45 offset1:46
	ds_load_2addr_b64 v[94:97], v1 offset0:47 offset1:48
	s_waitcnt lgkmcnt(1)
	v_fma_f64 v[80:81], v[84:85], v[80:81], v[98:99]
	scratch_load_b128 v[98:101], off, off offset:144
	s_waitcnt vmcnt(4)
	v_fma_f64 v[80:81], v[86:87], v[82:83], v[80:81]
	s_waitcnt lgkmcnt(0)
	s_delay_alu instid0(VALU_DEP_1)
	v_fma_f64 v[84:85], v[88:89], v[94:95], v[80:81]
	scratch_load_b128 v[80:83], off, off offset:160
	s_waitcnt vmcnt(4)
	v_fma_f64 v[94:95], v[90:91], v[96:97], v[84:85]
	ds_load_2addr_b64 v[84:87], v1 offset0:49 offset1:50
	ds_load_2addr_b64 v[88:91], v1 offset0:51 offset1:52
	s_waitcnt lgkmcnt(1)
	v_fma_f64 v[84:85], v[92:93], v[84:85], v[94:95]
	scratch_load_b128 v[92:95], off, off offset:176
	s_waitcnt vmcnt(4)
	v_fma_f64 v[84:85], v[102:103], v[86:87], v[84:85]
	s_waitcnt lgkmcnt(0)
	s_delay_alu instid0(VALU_DEP_1)
	v_fma_f64 v[88:89], v[104:105], v[88:89], v[84:85]
	scratch_load_b128 v[84:87], off, off offset:192
	s_waitcnt vmcnt(4)
	v_fma_f64 v[76:77], v[76:77], v[90:91], v[88:89]
	ds_load_2addr_b64 v[88:91], v1 offset0:53 offset1:54
	ds_load_2addr_b64 v[102:105], v1 offset0:55 offset1:56
	s_waitcnt lgkmcnt(1)
	v_fma_f64 v[88:89], v[78:79], v[88:89], v[76:77]
	scratch_load_b128 v[76:79], off, off offset:208
	s_waitcnt vmcnt(4)
	v_fma_f64 v[88:89], v[98:99], v[90:91], v[88:89]
	s_waitcnt lgkmcnt(0)
	s_delay_alu instid0(VALU_DEP_1)
	v_fma_f64 v[96:97], v[100:101], v[102:103], v[88:89]
	scratch_load_b128 v[88:91], off, off offset:224
	s_waitcnt vmcnt(4)
	v_fma_f64 v[80:81], v[80:81], v[104:105], v[96:97]
	ds_load_2addr_b64 v[96:99], v1 offset0:57 offset1:58
	ds_load_2addr_b64 v[100:103], v1 offset0:59 offset1:60
	s_waitcnt lgkmcnt(1)
	v_fma_f64 v[96:97], v[82:83], v[96:97], v[80:81]
	scratch_load_b128 v[80:83], off, off offset:240
	s_waitcnt vmcnt(4)
	v_fma_f64 v[92:93], v[92:93], v[98:99], v[96:97]
	s_waitcnt lgkmcnt(0)
	s_delay_alu instid0(VALU_DEP_1)
	v_fma_f64 v[96:97], v[94:95], v[100:101], v[92:93]
	scratch_load_b128 v[92:95], off, off offset:256
	s_waitcnt vmcnt(4)
	v_fma_f64 v[84:85], v[84:85], v[102:103], v[96:97]
	ds_load_2addr_b64 v[96:99], v1 offset0:61 offset1:62
	ds_load_2addr_b64 v[100:103], v1 offset0:63 offset1:64
	s_waitcnt lgkmcnt(1)
	v_fma_f64 v[84:85], v[86:87], v[96:97], v[84:85]
	scratch_load_b64 v[96:97], off, off offset:272
	s_waitcnt vmcnt(4)
	v_fma_f64 v[76:77], v[76:77], v[98:99], v[84:85]
	s_waitcnt lgkmcnt(0)
	s_delay_alu instid0(VALU_DEP_1) | instskip(SKIP_1) | instid1(VALU_DEP_1)
	v_fma_f64 v[76:77], v[78:79], v[100:101], v[76:77]
	s_waitcnt vmcnt(3)
	v_fma_f64 v[88:89], v[88:89], v[102:103], v[76:77]
	ds_load_2addr_b64 v[76:79], v1 offset0:65 offset1:66
	ds_load_2addr_b64 v[84:87], v1 offset0:67 offset1:68
	s_waitcnt lgkmcnt(1)
	v_fma_f64 v[76:77], v[90:91], v[76:77], v[88:89]
	s_waitcnt vmcnt(2)
	s_delay_alu instid0(VALU_DEP_1) | instskip(SKIP_1) | instid1(VALU_DEP_1)
	v_fma_f64 v[76:77], v[80:81], v[78:79], v[76:77]
	s_waitcnt lgkmcnt(0)
	v_fma_f64 v[76:77], v[82:83], v[84:85], v[76:77]
	s_waitcnt vmcnt(1)
	s_delay_alu instid0(VALU_DEP_1) | instskip(SKIP_4) | instid1(VALU_DEP_1)
	v_fma_f64 v[80:81], v[92:93], v[86:87], v[76:77]
	ds_load_2addr_b64 v[76:79], v1 offset0:69 offset1:70
	s_waitcnt lgkmcnt(0)
	v_fma_f64 v[1:2], v[94:95], v[76:77], v[80:81]
	s_waitcnt vmcnt(0)
	v_fma_f64 v[1:2], v[96:97], v[78:79], v[1:2]
	s_delay_alu instid0(VALU_DEP_1)
	v_add_f64 v[1:2], v[74:75], -v[1:2]
	scratch_store_b64 off, v[1:2], off offset:32
	v_cmpx_lt_u32_e32 3, v0
	s_cbranch_execz .LBB34_213
; %bb.212:
	scratch_load_b64 v[1:2], off, off offset:24
	v_mov_b32_e32 v74, 0
	s_delay_alu instid0(VALU_DEP_1)
	v_mov_b32_e32 v75, v74
	scratch_store_b64 off, v[74:75], off offset:24
	s_waitcnt vmcnt(0)
	ds_store_b64 v3, v[1:2]
.LBB34_213:
	s_or_b32 exec_lo, exec_lo, s0
	s_waitcnt lgkmcnt(0)
	s_waitcnt_vscnt null, 0x0
	s_barrier
	buffer_gl0_inv
	s_clause 0x4
	scratch_load_b128 v[74:77], off, off offset:24
	scratch_load_b128 v[78:81], off, off offset:40
	;; [unrolled: 1-line block ×5, first 2 shown]
	v_mov_b32_e32 v1, 0
	ds_load_b128 v[94:97], v1 offset:320
	ds_load_b128 v[98:101], v1 offset:336
	scratch_load_b128 v[102:105], off, off offset:104
	s_mov_b32 s0, exec_lo
	s_waitcnt vmcnt(5) lgkmcnt(1)
	v_fma_f64 v[76:77], v[76:77], v[94:95], 0
	s_waitcnt vmcnt(4)
	s_delay_alu instid0(VALU_DEP_1) | instskip(SKIP_1) | instid1(VALU_DEP_1)
	v_fma_f64 v[76:77], v[78:79], v[96:97], v[76:77]
	s_waitcnt lgkmcnt(0)
	v_fma_f64 v[80:81], v[80:81], v[98:99], v[76:77]
	scratch_load_b128 v[76:79], off, off offset:120
	s_waitcnt vmcnt(4)
	v_fma_f64 v[98:99], v[82:83], v[100:101], v[80:81]
	ds_load_b128 v[80:83], v1 offset:352
	ds_load_b128 v[94:97], v1 offset:368
	s_waitcnt lgkmcnt(1)
	v_fma_f64 v[80:81], v[84:85], v[80:81], v[98:99]
	scratch_load_b128 v[98:101], off, off offset:136
	s_waitcnt vmcnt(4)
	v_fma_f64 v[80:81], v[86:87], v[82:83], v[80:81]
	s_waitcnt lgkmcnt(0)
	s_delay_alu instid0(VALU_DEP_1)
	v_fma_f64 v[84:85], v[88:89], v[94:95], v[80:81]
	scratch_load_b128 v[80:83], off, off offset:152
	s_waitcnt vmcnt(4)
	v_fma_f64 v[94:95], v[90:91], v[96:97], v[84:85]
	ds_load_b128 v[84:87], v1 offset:384
	ds_load_b128 v[88:91], v1 offset:400
	s_waitcnt lgkmcnt(1)
	v_fma_f64 v[84:85], v[92:93], v[84:85], v[94:95]
	scratch_load_b128 v[92:95], off, off offset:168
	s_waitcnt vmcnt(4)
	v_fma_f64 v[84:85], v[102:103], v[86:87], v[84:85]
	s_waitcnt lgkmcnt(0)
	s_delay_alu instid0(VALU_DEP_1)
	;; [unrolled: 13-line block ×4, first 2 shown]
	v_fma_f64 v[96:97], v[94:95], v[100:101], v[92:93]
	scratch_load_b128 v[92:95], off, off offset:248
	s_waitcnt vmcnt(4)
	v_fma_f64 v[84:85], v[84:85], v[102:103], v[96:97]
	ds_load_b128 v[96:99], v1 offset:480
	ds_load_b128 v[100:103], v1 offset:496
	s_waitcnt lgkmcnt(1)
	v_fma_f64 v[96:97], v[86:87], v[96:97], v[84:85]
	scratch_load_b128 v[84:87], off, off offset:264
	s_waitcnt vmcnt(4)
	v_fma_f64 v[76:77], v[76:77], v[98:99], v[96:97]
	s_waitcnt lgkmcnt(0)
	s_delay_alu instid0(VALU_DEP_1) | instskip(SKIP_1) | instid1(VALU_DEP_1)
	v_fma_f64 v[76:77], v[78:79], v[100:101], v[76:77]
	s_waitcnt vmcnt(3)
	v_fma_f64 v[88:89], v[88:89], v[102:103], v[76:77]
	ds_load_b128 v[76:79], v1 offset:512
	ds_load_b128 v[96:99], v1 offset:528
	s_waitcnt lgkmcnt(1)
	v_fma_f64 v[76:77], v[90:91], v[76:77], v[88:89]
	s_waitcnt vmcnt(2)
	s_delay_alu instid0(VALU_DEP_1) | instskip(SKIP_1) | instid1(VALU_DEP_1)
	v_fma_f64 v[76:77], v[80:81], v[78:79], v[76:77]
	s_waitcnt lgkmcnt(0)
	v_fma_f64 v[76:77], v[82:83], v[96:97], v[76:77]
	s_waitcnt vmcnt(1)
	s_delay_alu instid0(VALU_DEP_1)
	v_fma_f64 v[80:81], v[92:93], v[98:99], v[76:77]
	ds_load_b128 v[76:79], v1 offset:544
	ds_load_b64 v[82:83], v1 offset:560
	s_waitcnt lgkmcnt(1)
	v_fma_f64 v[76:77], v[94:95], v[76:77], v[80:81]
	s_waitcnt vmcnt(0)
	s_delay_alu instid0(VALU_DEP_1) | instskip(SKIP_1) | instid1(VALU_DEP_1)
	v_fma_f64 v[76:77], v[84:85], v[78:79], v[76:77]
	s_waitcnt lgkmcnt(0)
	v_fma_f64 v[76:77], v[86:87], v[82:83], v[76:77]
	s_delay_alu instid0(VALU_DEP_1)
	v_add_f64 v[74:75], v[74:75], -v[76:77]
	scratch_store_b64 off, v[74:75], off offset:24
	v_cmpx_lt_u32_e32 2, v0
	s_cbranch_execz .LBB34_215
; %bb.214:
	scratch_load_b64 v[74:75], off, off offset:16
	v_mov_b32_e32 v2, v1
	scratch_store_b64 off, v[1:2], off offset:16
	s_waitcnt vmcnt(0)
	ds_store_b64 v3, v[74:75]
.LBB34_215:
	s_or_b32 exec_lo, exec_lo, s0
	s_waitcnt lgkmcnt(0)
	s_waitcnt_vscnt null, 0x0
	s_barrier
	buffer_gl0_inv
	s_clause 0x4
	scratch_load_b128 v[74:77], off, off offset:16
	scratch_load_b128 v[78:81], off, off offset:32
	;; [unrolled: 1-line block ×5, first 2 shown]
	ds_load_2addr_b64 v[94:97], v1 offset0:39 offset1:40
	ds_load_2addr_b64 v[98:101], v1 offset0:41 offset1:42
	scratch_load_b128 v[102:105], off, off offset:96
	s_mov_b32 s0, exec_lo
	s_waitcnt vmcnt(5) lgkmcnt(1)
	v_fma_f64 v[76:77], v[76:77], v[94:95], 0
	s_waitcnt vmcnt(4)
	s_delay_alu instid0(VALU_DEP_1) | instskip(SKIP_1) | instid1(VALU_DEP_1)
	v_fma_f64 v[76:77], v[78:79], v[96:97], v[76:77]
	s_waitcnt lgkmcnt(0)
	v_fma_f64 v[80:81], v[80:81], v[98:99], v[76:77]
	scratch_load_b128 v[76:79], off, off offset:112
	s_waitcnt vmcnt(4)
	v_fma_f64 v[98:99], v[82:83], v[100:101], v[80:81]
	ds_load_2addr_b64 v[80:83], v1 offset0:43 offset1:44
	ds_load_2addr_b64 v[94:97], v1 offset0:45 offset1:46
	s_waitcnt lgkmcnt(1)
	v_fma_f64 v[80:81], v[84:85], v[80:81], v[98:99]
	scratch_load_b128 v[98:101], off, off offset:128
	s_waitcnt vmcnt(4)
	v_fma_f64 v[80:81], v[86:87], v[82:83], v[80:81]
	s_waitcnt lgkmcnt(0)
	s_delay_alu instid0(VALU_DEP_1)
	v_fma_f64 v[84:85], v[88:89], v[94:95], v[80:81]
	scratch_load_b128 v[80:83], off, off offset:144
	s_waitcnt vmcnt(4)
	v_fma_f64 v[94:95], v[90:91], v[96:97], v[84:85]
	ds_load_2addr_b64 v[84:87], v1 offset0:47 offset1:48
	ds_load_2addr_b64 v[88:91], v1 offset0:49 offset1:50
	s_waitcnt lgkmcnt(1)
	v_fma_f64 v[84:85], v[92:93], v[84:85], v[94:95]
	scratch_load_b128 v[92:95], off, off offset:160
	s_waitcnt vmcnt(4)
	v_fma_f64 v[84:85], v[102:103], v[86:87], v[84:85]
	s_waitcnt lgkmcnt(0)
	s_delay_alu instid0(VALU_DEP_1)
	;; [unrolled: 13-line block ×5, first 2 shown]
	v_fma_f64 v[76:77], v[78:79], v[100:101], v[76:77]
	scratch_load_b64 v[100:101], off, off offset:272
	s_waitcnt vmcnt(4)
	v_fma_f64 v[88:89], v[88:89], v[102:103], v[76:77]
	ds_load_2addr_b64 v[76:79], v1 offset0:63 offset1:64
	ds_load_2addr_b64 v[96:99], v1 offset0:65 offset1:66
	s_waitcnt lgkmcnt(1)
	v_fma_f64 v[76:77], v[90:91], v[76:77], v[88:89]
	s_waitcnt vmcnt(3)
	s_delay_alu instid0(VALU_DEP_1) | instskip(SKIP_1) | instid1(VALU_DEP_1)
	v_fma_f64 v[76:77], v[80:81], v[78:79], v[76:77]
	s_waitcnt lgkmcnt(0)
	v_fma_f64 v[76:77], v[82:83], v[96:97], v[76:77]
	s_waitcnt vmcnt(2)
	s_delay_alu instid0(VALU_DEP_1)
	v_fma_f64 v[88:89], v[92:93], v[98:99], v[76:77]
	ds_load_2addr_b64 v[76:79], v1 offset0:67 offset1:68
	ds_load_2addr_b64 v[80:83], v1 offset0:69 offset1:70
	s_waitcnt lgkmcnt(1)
	v_fma_f64 v[1:2], v[94:95], v[76:77], v[88:89]
	s_waitcnt vmcnt(1)
	s_delay_alu instid0(VALU_DEP_1) | instskip(SKIP_1) | instid1(VALU_DEP_1)
	v_fma_f64 v[1:2], v[84:85], v[78:79], v[1:2]
	s_waitcnt lgkmcnt(0)
	v_fma_f64 v[1:2], v[86:87], v[80:81], v[1:2]
	s_waitcnt vmcnt(0)
	s_delay_alu instid0(VALU_DEP_1) | instskip(NEXT) | instid1(VALU_DEP_1)
	v_fma_f64 v[1:2], v[100:101], v[82:83], v[1:2]
	v_add_f64 v[1:2], v[74:75], -v[1:2]
	scratch_store_b64 off, v[1:2], off offset:16
	v_cmpx_lt_u32_e32 1, v0
	s_cbranch_execz .LBB34_217
; %bb.216:
	scratch_load_b64 v[1:2], off, off offset:8
	v_mov_b32_e32 v74, 0
	s_delay_alu instid0(VALU_DEP_1)
	v_mov_b32_e32 v75, v74
	scratch_store_b64 off, v[74:75], off offset:8
	s_waitcnt vmcnt(0)
	ds_store_b64 v3, v[1:2]
.LBB34_217:
	s_or_b32 exec_lo, exec_lo, s0
	s_waitcnt lgkmcnt(0)
	s_waitcnt_vscnt null, 0x0
	s_barrier
	buffer_gl0_inv
	s_clause 0x4
	scratch_load_b128 v[75:78], off, off offset:8
	scratch_load_b128 v[79:82], off, off offset:24
	;; [unrolled: 1-line block ×5, first 2 shown]
	v_mov_b32_e32 v74, 0
	ds_load_b128 v[95:98], v74 offset:304
	ds_load_b128 v[99:102], v74 offset:320
	scratch_load_b128 v[103:106], off, off offset:88
	s_mov_b32 s0, exec_lo
	s_waitcnt vmcnt(5) lgkmcnt(1)
	v_fma_f64 v[1:2], v[77:78], v[95:96], 0
	s_waitcnt vmcnt(4)
	s_delay_alu instid0(VALU_DEP_1) | instskip(SKIP_4) | instid1(VALU_DEP_1)
	v_fma_f64 v[1:2], v[79:80], v[97:98], v[1:2]
	scratch_load_b128 v[77:80], off, off offset:104
	s_waitcnt lgkmcnt(0)
	v_fma_f64 v[1:2], v[81:82], v[99:100], v[1:2]
	s_waitcnt vmcnt(4)
	v_fma_f64 v[1:2], v[83:84], v[101:102], v[1:2]
	ds_load_b128 v[81:84], v74 offset:336
	ds_load_b128 v[95:98], v74 offset:352
	scratch_load_b128 v[99:102], off, off offset:120
	s_waitcnt lgkmcnt(1)
	v_fma_f64 v[1:2], v[85:86], v[81:82], v[1:2]
	s_waitcnt vmcnt(4)
	s_delay_alu instid0(VALU_DEP_1) | instskip(SKIP_4) | instid1(VALU_DEP_1)
	v_fma_f64 v[1:2], v[87:88], v[83:84], v[1:2]
	scratch_load_b128 v[81:84], off, off offset:136
	s_waitcnt lgkmcnt(0)
	v_fma_f64 v[1:2], v[89:90], v[95:96], v[1:2]
	s_waitcnt vmcnt(4)
	v_fma_f64 v[1:2], v[91:92], v[97:98], v[1:2]
	ds_load_b128 v[85:88], v74 offset:368
	ds_load_b128 v[89:92], v74 offset:384
	s_waitcnt lgkmcnt(1)
	v_fma_f64 v[1:2], v[93:94], v[85:86], v[1:2]
	scratch_load_b128 v[93:96], off, off offset:152
	s_waitcnt vmcnt(4)
	v_fma_f64 v[1:2], v[103:104], v[87:88], v[1:2]
	scratch_load_b128 v[85:88], off, off offset:168
	s_waitcnt lgkmcnt(0)
	v_fma_f64 v[1:2], v[105:106], v[89:90], v[1:2]
	s_waitcnt vmcnt(4)
	s_delay_alu instid0(VALU_DEP_1)
	v_fma_f64 v[1:2], v[77:78], v[91:92], v[1:2]
	ds_load_b128 v[89:92], v74 offset:400
	ds_load_b128 v[103:106], v74 offset:416
	s_waitcnt lgkmcnt(1)
	v_fma_f64 v[1:2], v[79:80], v[89:90], v[1:2]
	scratch_load_b128 v[77:80], off, off offset:184
	s_waitcnt vmcnt(4)
	v_fma_f64 v[1:2], v[99:100], v[91:92], v[1:2]
	scratch_load_b128 v[89:92], off, off offset:200
	s_waitcnt lgkmcnt(0)
	v_fma_f64 v[1:2], v[101:102], v[103:104], v[1:2]
	ds_load_b128 v[97:100], v74 offset:432
	ds_load_b128 v[101:104], v74 offset:448
	s_waitcnt vmcnt(4)
	v_fma_f64 v[1:2], v[81:82], v[105:106], v[1:2]
	s_waitcnt lgkmcnt(1)
	s_delay_alu instid0(VALU_DEP_1) | instskip(SKIP_4) | instid1(VALU_DEP_1)
	v_fma_f64 v[1:2], v[83:84], v[97:98], v[1:2]
	scratch_load_b128 v[81:84], off, off offset:216
	s_waitcnt vmcnt(4)
	v_fma_f64 v[1:2], v[93:94], v[99:100], v[1:2]
	s_waitcnt lgkmcnt(0)
	v_fma_f64 v[1:2], v[95:96], v[101:102], v[1:2]
	scratch_load_b128 v[93:96], off, off offset:232
	s_waitcnt vmcnt(4)
	v_fma_f64 v[1:2], v[85:86], v[103:104], v[1:2]
	ds_load_b128 v[97:100], v74 offset:464
	ds_load_b128 v[101:104], v74 offset:480
	s_waitcnt lgkmcnt(1)
	v_fma_f64 v[1:2], v[87:88], v[97:98], v[1:2]
	scratch_load_b128 v[85:88], off, off offset:248
	s_waitcnt vmcnt(4)
	v_fma_f64 v[1:2], v[77:78], v[99:100], v[1:2]
	s_waitcnt lgkmcnt(0)
	s_delay_alu instid0(VALU_DEP_1)
	v_fma_f64 v[1:2], v[79:80], v[101:102], v[1:2]
	scratch_load_b128 v[77:80], off, off offset:264
	s_waitcnt vmcnt(4)
	v_fma_f64 v[1:2], v[89:90], v[103:104], v[1:2]
	ds_load_b128 v[97:100], v74 offset:496
	ds_load_b128 v[101:104], v74 offset:512
	s_waitcnt lgkmcnt(1)
	v_fma_f64 v[1:2], v[91:92], v[97:98], v[1:2]
	s_waitcnt vmcnt(3)
	s_delay_alu instid0(VALU_DEP_1) | instskip(SKIP_1) | instid1(VALU_DEP_1)
	v_fma_f64 v[1:2], v[81:82], v[99:100], v[1:2]
	s_waitcnt lgkmcnt(0)
	v_fma_f64 v[1:2], v[83:84], v[101:102], v[1:2]
	ds_load_b128 v[81:84], v74 offset:528
	ds_load_b128 v[89:92], v74 offset:544
	s_waitcnt vmcnt(2)
	v_fma_f64 v[1:2], v[93:94], v[103:104], v[1:2]
	s_waitcnt lgkmcnt(1)
	s_delay_alu instid0(VALU_DEP_1) | instskip(SKIP_1) | instid1(VALU_DEP_1)
	v_fma_f64 v[1:2], v[95:96], v[81:82], v[1:2]
	s_waitcnt vmcnt(1)
	v_fma_f64 v[1:2], v[85:86], v[83:84], v[1:2]
	s_waitcnt lgkmcnt(0)
	s_delay_alu instid0(VALU_DEP_1) | instskip(SKIP_1) | instid1(VALU_DEP_1)
	v_fma_f64 v[1:2], v[87:88], v[89:90], v[1:2]
	s_waitcnt vmcnt(0)
	v_fma_f64 v[1:2], v[77:78], v[91:92], v[1:2]
	ds_load_b64 v[77:78], v74 offset:560
	s_waitcnt lgkmcnt(0)
	v_fma_f64 v[1:2], v[79:80], v[77:78], v[1:2]
	s_delay_alu instid0(VALU_DEP_1)
	v_add_f64 v[1:2], v[75:76], -v[1:2]
	scratch_store_b64 off, v[1:2], off offset:8
	v_cmpx_ne_u32_e32 0, v0
	s_cbranch_execz .LBB34_219
; %bb.218:
	scratch_load_b64 v[0:1], off, off
	v_mov_b32_e32 v75, v74
	scratch_store_b64 off, v[74:75], off
	s_waitcnt vmcnt(0)
	ds_store_b64 v3, v[0:1]
.LBB34_219:
	s_or_b32 exec_lo, exec_lo, s0
	s_waitcnt lgkmcnt(0)
	s_waitcnt_vscnt null, 0x0
	s_barrier
	buffer_gl0_inv
	s_clause 0x4
	scratch_load_b128 v[75:78], off, off
	scratch_load_b128 v[0:3], off, off offset:16
	scratch_load_b128 v[79:82], off, off offset:32
	;; [unrolled: 1-line block ×4, first 2 shown]
	ds_load_2addr_b64 v[91:94], v74 offset0:37 offset1:38
	ds_load_2addr_b64 v[95:98], v74 offset0:39 offset1:40
	scratch_load_b128 v[99:102], off, off offset:80
	s_and_b32 vcc_lo, exec_lo, s16
	s_waitcnt vmcnt(5) lgkmcnt(1)
	v_fma_f64 v[77:78], v[77:78], v[91:92], 0
	s_waitcnt vmcnt(4)
	s_delay_alu instid0(VALU_DEP_1) | instskip(SKIP_1) | instid1(VALU_DEP_1)
	v_fma_f64 v[0:1], v[0:1], v[93:94], v[77:78]
	s_waitcnt lgkmcnt(0)
	v_fma_f64 v[77:78], v[2:3], v[95:96], v[0:1]
	scratch_load_b128 v[0:3], off, off offset:96
	s_waitcnt vmcnt(4)
	v_fma_f64 v[95:96], v[79:80], v[97:98], v[77:78]
	ds_load_2addr_b64 v[77:80], v74 offset0:41 offset1:42
	ds_load_2addr_b64 v[91:94], v74 offset0:43 offset1:44
	s_waitcnt lgkmcnt(1)
	v_fma_f64 v[77:78], v[81:82], v[77:78], v[95:96]
	scratch_load_b128 v[95:98], off, off offset:112
	s_waitcnt vmcnt(4)
	v_fma_f64 v[77:78], v[83:84], v[79:80], v[77:78]
	s_waitcnt lgkmcnt(0)
	s_delay_alu instid0(VALU_DEP_1)
	v_fma_f64 v[81:82], v[85:86], v[91:92], v[77:78]
	scratch_load_b128 v[77:80], off, off offset:128
	s_waitcnt vmcnt(4)
	v_fma_f64 v[91:92], v[87:88], v[93:94], v[81:82]
	ds_load_2addr_b64 v[81:84], v74 offset0:45 offset1:46
	ds_load_2addr_b64 v[85:88], v74 offset0:47 offset1:48
	s_waitcnt lgkmcnt(1)
	v_fma_f64 v[81:82], v[89:90], v[81:82], v[91:92]
	scratch_load_b128 v[89:92], off, off offset:144
	s_waitcnt vmcnt(4)
	v_fma_f64 v[81:82], v[99:100], v[83:84], v[81:82]
	s_waitcnt lgkmcnt(0)
	s_delay_alu instid0(VALU_DEP_1)
	;; [unrolled: 13-line block ×5, first 2 shown]
	v_fma_f64 v[93:94], v[2:3], v[97:98], v[0:1]
	scratch_load_b128 v[0:3], off, off offset:256
	s_waitcnt vmcnt(4)
	v_fma_f64 v[85:86], v[85:86], v[99:100], v[93:94]
	ds_load_2addr_b64 v[93:96], v74 offset0:61 offset1:62
	ds_load_2addr_b64 v[97:100], v74 offset0:63 offset1:64
	s_waitcnt lgkmcnt(1)
	v_fma_f64 v[85:86], v[87:88], v[93:94], v[85:86]
	scratch_load_b64 v[93:94], off, off offset:272
	s_waitcnt vmcnt(4)
	v_fma_f64 v[77:78], v[77:78], v[95:96], v[85:86]
	s_waitcnt lgkmcnt(0)
	s_delay_alu instid0(VALU_DEP_1) | instskip(SKIP_1) | instid1(VALU_DEP_1)
	v_fma_f64 v[77:78], v[79:80], v[97:98], v[77:78]
	s_waitcnt vmcnt(3)
	v_fma_f64 v[89:90], v[89:90], v[99:100], v[77:78]
	ds_load_2addr_b64 v[77:80], v74 offset0:65 offset1:66
	ds_load_2addr_b64 v[85:88], v74 offset0:67 offset1:68
	s_waitcnt lgkmcnt(1)
	v_fma_f64 v[77:78], v[91:92], v[77:78], v[89:90]
	s_waitcnt vmcnt(2)
	s_delay_alu instid0(VALU_DEP_1) | instskip(SKIP_1) | instid1(VALU_DEP_1)
	v_fma_f64 v[77:78], v[81:82], v[79:80], v[77:78]
	s_waitcnt lgkmcnt(0)
	v_fma_f64 v[77:78], v[83:84], v[85:86], v[77:78]
	s_waitcnt vmcnt(1)
	s_delay_alu instid0(VALU_DEP_1) | instskip(SKIP_4) | instid1(VALU_DEP_1)
	v_fma_f64 v[0:1], v[0:1], v[87:88], v[77:78]
	ds_load_2addr_b64 v[77:80], v74 offset0:69 offset1:70
	s_waitcnt lgkmcnt(0)
	v_fma_f64 v[0:1], v[2:3], v[77:78], v[0:1]
	s_waitcnt vmcnt(0)
	v_fma_f64 v[0:1], v[93:94], v[79:80], v[0:1]
	s_delay_alu instid0(VALU_DEP_1)
	v_add_f64 v[0:1], v[75:76], -v[0:1]
	scratch_store_b64 off, v[0:1], off
	s_cbranch_vccz .LBB34_289
; %bb.220:
	v_dual_mov_b32 v0, s12 :: v_dual_mov_b32 v1, s13
	s_mov_b32 s0, exec_lo
	flat_load_b32 v0, v[0:1] offset:132
	s_waitcnt vmcnt(0) lgkmcnt(0)
	v_cmpx_ne_u32_e32 34, v0
	s_cbranch_execz .LBB34_222
; %bb.221:
	v_lshl_add_u32 v74, v0, 3, 0
	scratch_load_b64 v[0:1], v74, off offset:-8
	s_waitcnt vmcnt(0)
	scratch_store_b64 off, v[0:1], off offset:264
	scratch_store_b64 v74, v[2:3], off offset:-8
.LBB34_222:
	s_or_b32 exec_lo, exec_lo, s0
	v_dual_mov_b32 v0, s12 :: v_dual_mov_b32 v1, s13
	s_mov_b32 s0, exec_lo
	flat_load_b32 v0, v[0:1] offset:128
	s_waitcnt vmcnt(0) lgkmcnt(0)
	v_cmpx_ne_u32_e32 33, v0
	s_cbranch_execz .LBB34_224
; %bb.223:
	v_lshl_add_u32 v74, v0, 3, 0
	scratch_load_b64 v[0:1], v74, off offset:-8
	scratch_load_b64 v[2:3], off, off offset:256
	s_waitcnt vmcnt(1)
	scratch_store_b64 off, v[0:1], off offset:256
	s_waitcnt vmcnt(0)
	scratch_store_b64 v74, v[2:3], off offset:-8
.LBB34_224:
	s_or_b32 exec_lo, exec_lo, s0
	v_dual_mov_b32 v0, s12 :: v_dual_mov_b32 v1, s13
	s_mov_b32 s0, exec_lo
	flat_load_b32 v0, v[0:1] offset:124
	s_waitcnt vmcnt(0) lgkmcnt(0)
	v_cmpx_ne_u32_e32 32, v0
	s_cbranch_execz .LBB34_226
; %bb.225:
	v_lshl_add_u32 v74, v0, 3, 0
	scratch_load_b64 v[0:1], v74, off offset:-8
	scratch_load_b64 v[2:3], off, off offset:248
	s_waitcnt vmcnt(1)
	scratch_store_b64 off, v[0:1], off offset:248
	s_waitcnt vmcnt(0)
	scratch_store_b64 v74, v[2:3], off offset:-8
.LBB34_226:
	;; [unrolled: 16-line block ×32, first 2 shown]
	s_or_b32 exec_lo, exec_lo, s0
	v_dual_mov_b32 v0, s12 :: v_dual_mov_b32 v1, s13
	s_mov_b32 s0, exec_lo
	flat_load_b32 v2, v[0:1]
	scratch_load_b64 v[0:1], off, off
	s_waitcnt vmcnt(1) lgkmcnt(0)
	v_cmpx_ne_u32_e32 1, v2
	s_cbranch_execz .LBB34_288
; %bb.287:
	v_lshl_add_u32 v74, v2, 3, 0
	scratch_load_b64 v[2:3], v74, off offset:-8
	s_waitcnt vmcnt(0)
	scratch_store_b64 off, v[2:3], off
	scratch_store_b64 v74, v[0:1], off offset:-8
	scratch_load_b64 v[0:1], off, off
.LBB34_288:
	s_or_b32 exec_lo, exec_lo, s0
.LBB34_289:
	s_clause 0x9
	scratch_load_b128 v[74:77], off, off offset:8
	scratch_load_b128 v[78:81], off, off offset:24
	;; [unrolled: 1-line block ×10, first 2 shown]
	s_waitcnt vmcnt(10)
	global_store_b64 v[6:7], v[0:1], off
	s_clause 0x1
	scratch_load_b128 v[0:3], off, off offset:168
	scratch_load_b128 v[114:117], off, off offset:184
	s_waitcnt vmcnt(11)
	s_clause 0x1
	global_store_b64 v[4:5], v[74:75], off
	global_store_b64 v[10:11], v[76:77], off
	s_clause 0x1
	scratch_load_b128 v[4:7], off, off offset:200
	scratch_load_b128 v[74:77], off, off offset:216
	s_waitcnt vmcnt(12)
	s_clause 0x1
	global_store_b64 v[8:9], v[78:79], off
	;; [unrolled: 7-line block ×3, first 2 shown]
	global_store_b64 v[20:21], v[84:85], off
	scratch_load_b128 v[12:15], off, off offset:264
	s_waitcnt vmcnt(13)
	s_clause 0x1
	global_store_b64 v[16:17], v[86:87], off
	global_store_b64 v[18:19], v[88:89], off
	s_waitcnt vmcnt(12)
	s_clause 0x1
	global_store_b64 v[22:23], v[90:91], off
	global_store_b64 v[24:25], v[92:93], off
	;; [unrolled: 4-line block ×14, first 2 shown]
	s_endpgm
	.section	.rodata,"a",@progbits
	.p2align	6, 0x0
	.amdhsa_kernel _ZN9rocsolver6v33100L18getri_kernel_smallILi35EdPdEEvT1_iilPiilS4_bb
		.amdhsa_group_segment_fixed_size 568
		.amdhsa_private_segment_fixed_size 288
		.amdhsa_kernarg_size 60
		.amdhsa_user_sgpr_count 15
		.amdhsa_user_sgpr_dispatch_ptr 0
		.amdhsa_user_sgpr_queue_ptr 0
		.amdhsa_user_sgpr_kernarg_segment_ptr 1
		.amdhsa_user_sgpr_dispatch_id 0
		.amdhsa_user_sgpr_private_segment_size 0
		.amdhsa_wavefront_size32 1
		.amdhsa_uses_dynamic_stack 0
		.amdhsa_enable_private_segment 1
		.amdhsa_system_sgpr_workgroup_id_x 1
		.amdhsa_system_sgpr_workgroup_id_y 0
		.amdhsa_system_sgpr_workgroup_id_z 0
		.amdhsa_system_sgpr_workgroup_info 0
		.amdhsa_system_vgpr_workitem_id 0
		.amdhsa_next_free_vgpr 120
		.amdhsa_next_free_sgpr 18
		.amdhsa_reserve_vcc 1
		.amdhsa_float_round_mode_32 0
		.amdhsa_float_round_mode_16_64 0
		.amdhsa_float_denorm_mode_32 3
		.amdhsa_float_denorm_mode_16_64 3
		.amdhsa_dx10_clamp 1
		.amdhsa_ieee_mode 1
		.amdhsa_fp16_overflow 0
		.amdhsa_workgroup_processor_mode 1
		.amdhsa_memory_ordered 1
		.amdhsa_forward_progress 0
		.amdhsa_shared_vgpr_count 0
		.amdhsa_exception_fp_ieee_invalid_op 0
		.amdhsa_exception_fp_denorm_src 0
		.amdhsa_exception_fp_ieee_div_zero 0
		.amdhsa_exception_fp_ieee_overflow 0
		.amdhsa_exception_fp_ieee_underflow 0
		.amdhsa_exception_fp_ieee_inexact 0
		.amdhsa_exception_int_div_zero 0
	.end_amdhsa_kernel
	.section	.text._ZN9rocsolver6v33100L18getri_kernel_smallILi35EdPdEEvT1_iilPiilS4_bb,"axG",@progbits,_ZN9rocsolver6v33100L18getri_kernel_smallILi35EdPdEEvT1_iilPiilS4_bb,comdat
.Lfunc_end34:
	.size	_ZN9rocsolver6v33100L18getri_kernel_smallILi35EdPdEEvT1_iilPiilS4_bb, .Lfunc_end34-_ZN9rocsolver6v33100L18getri_kernel_smallILi35EdPdEEvT1_iilPiilS4_bb
                                        ; -- End function
	.section	.AMDGPU.csdata,"",@progbits
; Kernel info:
; codeLenInByte = 28340
; NumSgprs: 20
; NumVgprs: 120
; ScratchSize: 288
; MemoryBound: 0
; FloatMode: 240
; IeeeMode: 1
; LDSByteSize: 568 bytes/workgroup (compile time only)
; SGPRBlocks: 2
; VGPRBlocks: 14
; NumSGPRsForWavesPerEU: 20
; NumVGPRsForWavesPerEU: 120
; Occupancy: 12
; WaveLimiterHint : 1
; COMPUTE_PGM_RSRC2:SCRATCH_EN: 1
; COMPUTE_PGM_RSRC2:USER_SGPR: 15
; COMPUTE_PGM_RSRC2:TRAP_HANDLER: 0
; COMPUTE_PGM_RSRC2:TGID_X_EN: 1
; COMPUTE_PGM_RSRC2:TGID_Y_EN: 0
; COMPUTE_PGM_RSRC2:TGID_Z_EN: 0
; COMPUTE_PGM_RSRC2:TIDIG_COMP_CNT: 0
	.section	.text._ZN9rocsolver6v33100L18getri_kernel_smallILi36EdPdEEvT1_iilPiilS4_bb,"axG",@progbits,_ZN9rocsolver6v33100L18getri_kernel_smallILi36EdPdEEvT1_iilPiilS4_bb,comdat
	.globl	_ZN9rocsolver6v33100L18getri_kernel_smallILi36EdPdEEvT1_iilPiilS4_bb ; -- Begin function _ZN9rocsolver6v33100L18getri_kernel_smallILi36EdPdEEvT1_iilPiilS4_bb
	.p2align	8
	.type	_ZN9rocsolver6v33100L18getri_kernel_smallILi36EdPdEEvT1_iilPiilS4_bb,@function
_ZN9rocsolver6v33100L18getri_kernel_smallILi36EdPdEEvT1_iilPiilS4_bb: ; @_ZN9rocsolver6v33100L18getri_kernel_smallILi36EdPdEEvT1_iilPiilS4_bb
; %bb.0:
	s_mov_b32 s2, exec_lo
	v_cmpx_gt_u32_e32 36, v0
	s_cbranch_execz .LBB35_154
; %bb.1:
	s_clause 0x2
	s_load_b32 s17, s[0:1], 0x38
	s_load_b128 s[8:11], s[0:1], 0x10
	s_load_b128 s[4:7], s[0:1], 0x28
	s_mov_b32 s14, s15
                                        ; implicit-def: $sgpr12_sgpr13
	s_waitcnt lgkmcnt(0)
	s_bitcmp1_b32 s17, 8
	s_cselect_b32 s16, -1, 0
	s_bfe_u32 s2, s17, 0x10008
	s_ashr_i32 s15, s15, 31
	s_cmp_eq_u32 s2, 0
	s_cbranch_scc1 .LBB35_3
; %bb.2:
	s_load_b32 s2, s[0:1], 0x20
	s_mul_i32 s3, s14, s5
	s_mul_hi_u32 s5, s14, s4
	s_mul_i32 s12, s15, s4
	s_add_i32 s3, s5, s3
	s_mul_i32 s4, s14, s4
	s_add_i32 s5, s3, s12
	s_delay_alu instid0(SALU_CYCLE_1)
	s_lshl_b64 s[4:5], s[4:5], 2
	s_waitcnt lgkmcnt(0)
	s_ashr_i32 s3, s2, 31
	s_add_u32 s4, s10, s4
	s_addc_u32 s5, s11, s5
	s_lshl_b64 s[2:3], s[2:3], 2
	s_delay_alu instid0(SALU_CYCLE_1)
	s_add_u32 s12, s4, s2
	s_addc_u32 s13, s5, s3
.LBB35_3:
	s_load_b128 s[0:3], s[0:1], 0x0
	s_mul_i32 s4, s14, s9
	s_mul_hi_u32 s5, s14, s8
	s_mul_i32 s9, s15, s8
	s_add_i32 s5, s5, s4
	s_mul_i32 s4, s14, s8
	s_add_i32 s5, s5, s9
	v_lshlrev_b32_e32 v77, 3, v0
	s_lshl_b64 s[4:5], s[4:5], 3
	s_waitcnt lgkmcnt(0)
	v_add3_u32 v3, s3, s3, v0
	s_ashr_i32 s9, s2, 31
	s_mov_b32 s8, s2
	s_add_u32 s2, s0, s4
	s_addc_u32 s5, s1, s5
	v_add_nc_u32_e32 v9, s3, v3
	s_lshl_b64 s[0:1], s[8:9], 3
	v_ashrrev_i32_e32 v4, 31, v3
	s_add_u32 s0, s2, s0
	s_addc_u32 s1, s5, s1
	v_add_nc_u32_e32 v11, s3, v9
	v_add_co_u32 v5, s2, s0, v77
	v_ashrrev_i32_e32 v10, 31, v9
	s_mov_b32 s4, s3
	s_delay_alu instid0(VALU_DEP_3) | instskip(SKIP_3) | instid1(VALU_DEP_3)
	v_add_nc_u32_e32 v13, s3, v11
	s_ashr_i32 s5, s3, 31
	v_add_co_ci_u32_e64 v6, null, s1, 0, s2
	v_lshlrev_b64 v[3:4], 3, v[3:4]
	v_add_nc_u32_e32 v17, s3, v13
	s_lshl_b64 s[4:5], s[4:5], 3
	v_ashrrev_i32_e32 v12, 31, v11
	v_add_co_u32 v7, vcc_lo, v5, s4
	s_delay_alu instid0(VALU_DEP_3) | instskip(SKIP_3) | instid1(VALU_DEP_4)
	v_add_nc_u32_e32 v21, s3, v17
	v_lshlrev_b64 v[15:16], 3, v[9:10]
	v_ashrrev_i32_e32 v14, 31, v13
	v_add_co_ci_u32_e32 v8, vcc_lo, s5, v6, vcc_lo
	v_add_nc_u32_e32 v23, s3, v21
	v_add_co_u32 v9, vcc_lo, s0, v3
	v_lshlrev_b64 v[19:20], 3, v[11:12]
	v_add_co_ci_u32_e32 v10, vcc_lo, s1, v4, vcc_lo
	s_delay_alu instid0(VALU_DEP_4) | instskip(SKIP_3) | instid1(VALU_DEP_4)
	v_add_nc_u32_e32 v25, s3, v23
	v_add_co_u32 v11, vcc_lo, s0, v15
	v_lshlrev_b64 v[13:14], 3, v[13:14]
	v_ashrrev_i32_e32 v18, 31, v17
	v_add_nc_u32_e32 v27, s3, v25
	v_add_co_ci_u32_e32 v12, vcc_lo, s1, v16, vcc_lo
	v_add_co_u32 v15, vcc_lo, s0, v19
	v_ashrrev_i32_e32 v22, 31, v21
	s_delay_alu instid0(VALU_DEP_4)
	v_add_nc_u32_e32 v29, s3, v27
	v_add_co_ci_u32_e32 v16, vcc_lo, s1, v20, vcc_lo
	v_lshlrev_b64 v[17:18], 3, v[17:18]
	v_add_co_u32 v19, vcc_lo, s0, v13
	s_clause 0x3
	global_load_b64 v[1:2], v77, s[0:1]
	global_load_b64 v[3:4], v[7:8], off
	global_load_b64 v[51:52], v[9:10], off
	global_load_b64 v[53:54], v[11:12], off
	v_ashrrev_i32_e32 v24, 31, v23
	v_add_co_ci_u32_e32 v20, vcc_lo, s1, v14, vcc_lo
	v_lshlrev_b64 v[13:14], 3, v[21:22]
	v_ashrrev_i32_e32 v26, 31, v25
	v_ashrrev_i32_e32 v28, 31, v27
	;; [unrolled: 1-line block ×3, first 2 shown]
	v_add_co_u32 v17, vcc_lo, s0, v17
	v_lshlrev_b64 v[21:22], 3, v[23:24]
	v_add_co_ci_u32_e32 v18, vcc_lo, s1, v18, vcc_lo
	v_add_co_u32 v13, vcc_lo, s0, v13
	v_lshlrev_b64 v[23:24], 3, v[25:26]
	v_lshlrev_b64 v[25:26], 3, v[27:28]
	;; [unrolled: 1-line block ×3, first 2 shown]
	v_add_nc_u32_e32 v29, s3, v29
	v_add_co_ci_u32_e32 v14, vcc_lo, s1, v14, vcc_lo
	v_add_co_u32 v21, vcc_lo, s0, v21
	s_clause 0x3
	global_load_b64 v[57:58], v[15:16], off
	global_load_b64 v[59:60], v[19:20], off
	global_load_b64 v[61:62], v[17:18], off
	global_load_b64 v[63:64], v[13:14], off
	v_add_nc_u32_e32 v31, s3, v29
	v_add_co_ci_u32_e32 v22, vcc_lo, s1, v22, vcc_lo
	v_add_co_u32 v23, vcc_lo, s0, v23
	v_add_co_ci_u32_e32 v24, vcc_lo, s1, v24, vcc_lo
	v_add_co_u32 v25, vcc_lo, s0, v25
	v_add_nc_u32_e32 v33, s3, v31
	v_ashrrev_i32_e32 v30, 31, v29
	v_add_co_ci_u32_e32 v26, vcc_lo, s1, v26, vcc_lo
	v_add_co_u32 v27, vcc_lo, s0, v27
	v_ashrrev_i32_e32 v32, 31, v31
	v_add_co_ci_u32_e32 v28, vcc_lo, s1, v28, vcc_lo
	v_add_nc_u32_e32 v37, s3, v33
	v_lshlrev_b64 v[29:30], 3, v[29:30]
	s_clause 0x3
	global_load_b64 v[65:66], v[21:22], off
	global_load_b64 v[67:68], v[23:24], off
	;; [unrolled: 1-line block ×4, first 2 shown]
	v_ashrrev_i32_e32 v34, 31, v33
	v_lshlrev_b64 v[31:32], 3, v[31:32]
	v_ashrrev_i32_e32 v38, 31, v37
	s_bitcmp0_b32 s17, 0
	v_add_co_u32 v29, vcc_lo, s0, v29
	v_lshlrev_b64 v[33:34], 3, v[33:34]
	v_add_co_ci_u32_e32 v30, vcc_lo, s1, v30, vcc_lo
	v_add_co_u32 v31, vcc_lo, s0, v31
	v_lshlrev_b64 v[35:36], 3, v[37:38]
	v_add_co_ci_u32_e32 v32, vcc_lo, s1, v32, vcc_lo
	v_add_co_u32 v33, vcc_lo, s0, v33
	v_add_co_ci_u32_e32 v34, vcc_lo, s1, v34, vcc_lo
	s_delay_alu instid0(VALU_DEP_4)
	v_add_co_u32 v35, vcc_lo, s0, v35
	v_add_co_ci_u32_e32 v36, vcc_lo, s1, v36, vcc_lo
	s_clause 0x3
	global_load_b64 v[78:79], v[29:30], off
	global_load_b64 v[80:81], v[31:32], off
	;; [unrolled: 1-line block ×4, first 2 shown]
	v_add_nc_u32_e32 v37, s3, v37
	s_delay_alu instid0(VALU_DEP_1) | instskip(SKIP_1) | instid1(VALU_DEP_2)
	v_add_nc_u32_e32 v39, s3, v37
	v_ashrrev_i32_e32 v38, 31, v37
	v_add_nc_u32_e32 v41, s3, v39
	v_ashrrev_i32_e32 v40, 31, v39
	s_delay_alu instid0(VALU_DEP_3) | instskip(NEXT) | instid1(VALU_DEP_3)
	v_lshlrev_b64 v[37:38], 3, v[37:38]
	v_add_nc_u32_e32 v43, s3, v41
	v_ashrrev_i32_e32 v42, 31, v41
	s_delay_alu instid0(VALU_DEP_4) | instskip(NEXT) | instid1(VALU_DEP_4)
	v_lshlrev_b64 v[39:40], 3, v[39:40]
	v_add_co_u32 v37, vcc_lo, s0, v37
	s_delay_alu instid0(VALU_DEP_4) | instskip(SKIP_3) | instid1(VALU_DEP_4)
	v_add_nc_u32_e32 v45, s3, v43
	v_ashrrev_i32_e32 v44, 31, v43
	v_lshlrev_b64 v[41:42], 3, v[41:42]
	v_add_co_ci_u32_e32 v38, vcc_lo, s1, v38, vcc_lo
	v_add_nc_u32_e32 v47, s3, v45
	v_ashrrev_i32_e32 v46, 31, v45
	v_add_co_u32 v39, vcc_lo, s0, v39
	v_lshlrev_b64 v[43:44], 3, v[43:44]
	s_delay_alu instid0(VALU_DEP_4) | instskip(SKIP_2) | instid1(VALU_DEP_3)
	v_add_nc_u32_e32 v49, s3, v47
	v_add_co_ci_u32_e32 v40, vcc_lo, s1, v40, vcc_lo
	v_add_co_u32 v41, vcc_lo, s0, v41
	v_add_nc_u32_e32 v55, s3, v49
	v_lshlrev_b64 v[45:46], 3, v[45:46]
	v_ashrrev_i32_e32 v48, 31, v47
	v_add_co_ci_u32_e32 v42, vcc_lo, s1, v42, vcc_lo
	s_delay_alu instid0(VALU_DEP_4) | instskip(SKIP_2) | instid1(VALU_DEP_3)
	v_add_nc_u32_e32 v73, s3, v55
	v_add_co_u32 v43, vcc_lo, s0, v43
	v_add_co_ci_u32_e32 v44, vcc_lo, s1, v44, vcc_lo
	v_add_nc_u32_e32 v75, s3, v73
	v_lshlrev_b64 v[91:92], 3, v[47:48]
	v_add_co_u32 v47, vcc_lo, s0, v45
	v_ashrrev_i32_e32 v50, 31, v49
	s_delay_alu instid0(VALU_DEP_4) | instskip(SKIP_2) | instid1(VALU_DEP_4)
	v_add_nc_u32_e32 v90, s3, v75
	v_add_co_ci_u32_e32 v48, vcc_lo, s1, v46, vcc_lo
	v_ashrrev_i32_e32 v56, 31, v55
	v_lshlrev_b64 v[96:97], 3, v[49:50]
	s_delay_alu instid0(VALU_DEP_4)
	v_add_nc_u32_e32 v104, s3, v90
	v_ashrrev_i32_e32 v74, 31, v73
	global_load_b64 v[86:87], v[37:38], off
	v_ashrrev_i32_e32 v76, 31, v75
	v_add_nc_u32_e32 v106, s3, v104
	v_ashrrev_i32_e32 v105, 31, v104
	s_delay_alu instid0(VALU_DEP_2) | instskip(SKIP_1) | instid1(VALU_DEP_2)
	v_add_nc_u32_e32 v108, s3, v106
	v_ashrrev_i32_e32 v107, 31, v106
	v_add_nc_u32_e32 v110, s3, v108
	v_ashrrev_i32_e32 v109, 31, v108
	s_delay_alu instid0(VALU_DEP_2) | instskip(SKIP_1) | instid1(VALU_DEP_2)
	v_add_nc_u32_e32 v112, s3, v110
	;; [unrolled: 5-line block ×4, first 2 shown]
	v_ashrrev_i32_e32 v119, 31, v118
	v_ashrrev_i32_e32 v89, 31, v88
	s_delay_alu instid0(VALU_DEP_1) | instskip(NEXT) | instid1(VALU_DEP_1)
	v_lshlrev_b64 v[88:89], 3, v[88:89]
	v_add_co_u32 v45, vcc_lo, s0, v88
	s_delay_alu instid0(VALU_DEP_2)
	v_add_co_ci_u32_e32 v46, vcc_lo, s1, v89, vcc_lo
	v_add_co_u32 v49, vcc_lo, s0, v91
	v_add_co_ci_u32_e32 v50, vcc_lo, s1, v92, vcc_lo
	global_load_b64 v[92:93], v[45:46], off
	v_ashrrev_i32_e32 v91, 31, v90
	s_waitcnt vmcnt(16)
	scratch_store_b128 off, v[1:4], off
	s_waitcnt vmcnt(14)
	scratch_store_b128 off, v[51:54], off offset:16
	v_lshlrev_b64 v[53:54], 3, v[55:56]
	v_add_co_u32 v51, vcc_lo, s0, v96
	v_lshlrev_b64 v[55:56], 3, v[73:74]
	v_add_co_ci_u32_e32 v52, vcc_lo, s1, v97, vcc_lo
	s_delay_alu instid0(VALU_DEP_4)
	v_add_co_u32 v53, vcc_lo, s0, v53
	v_lshlrev_b64 v[73:74], 3, v[75:76]
	v_add_co_ci_u32_e32 v54, vcc_lo, s1, v54, vcc_lo
	v_add_co_u32 v55, vcc_lo, s0, v55
	v_lshlrev_b64 v[75:76], 3, v[90:91]
	v_add_co_ci_u32_e32 v56, vcc_lo, s1, v56, vcc_lo
	s_clause 0x3
	global_load_b64 v[88:89], v[39:40], off
	global_load_b64 v[1:2], v[41:42], off
	;; [unrolled: 1-line block ×4, first 2 shown]
	s_waitcnt vmcnt(16)
	scratch_store_b128 off, v[57:60], off offset:32
	s_waitcnt vmcnt(14)
	scratch_store_b128 off, v[61:64], off offset:48
	v_add_co_u32 v57, vcc_lo, s0, v73
	v_lshlrev_b64 v[61:62], 3, v[104:105]
	v_add_co_ci_u32_e32 v58, vcc_lo, s1, v74, vcc_lo
	v_add_co_u32 v59, vcc_lo, s0, v75
	v_lshlrev_b64 v[63:64], 3, v[106:107]
	v_add_co_ci_u32_e32 v60, vcc_lo, s1, v76, vcc_lo
	;; [unrolled: 3-line block ×4, first 2 shown]
	s_clause 0x3
	global_load_b64 v[96:97], v[49:50], off
	global_load_b64 v[98:99], v[51:52], off
	;; [unrolled: 1-line block ×4, first 2 shown]
	s_waitcnt vmcnt(16)
	scratch_store_b128 off, v[65:68], off offset:64
	s_waitcnt vmcnt(14)
	scratch_store_b128 off, v[69:72], off offset:80
	v_add_co_u32 v65, vcc_lo, s0, v73
	v_lshlrev_b64 v[69:70], 3, v[112:113]
	v_add_co_ci_u32_e32 v66, vcc_lo, s1, v74, vcc_lo
	v_add_co_u32 v67, vcc_lo, s0, v75
	v_lshlrev_b64 v[71:72], 3, v[114:115]
	v_add_co_ci_u32_e32 v68, vcc_lo, s1, v76, vcc_lo
	;; [unrolled: 3-line block ×4, first 2 shown]
	v_add_co_u32 v73, vcc_lo, s0, v73
	v_add_co_ci_u32_e32 v74, vcc_lo, s1, v74, vcc_lo
	s_delay_alu instid0(VALU_DEP_4)
	v_add_co_u32 v75, vcc_lo, s0, v75
	v_add_co_ci_u32_e32 v76, vcc_lo, s1, v76, vcc_lo
	s_clause 0x3
	global_load_b64 v[104:105], v[57:58], off
	global_load_b64 v[106:107], v[59:60], off
	;; [unrolled: 1-line block ×4, first 2 shown]
	s_waitcnt vmcnt(16)
	scratch_store_b128 off, v[78:81], off offset:96
	s_clause 0x2
	global_load_b64 v[112:113], v[65:66], off
	global_load_b64 v[78:79], v[67:68], off
	;; [unrolled: 1-line block ×3, first 2 shown]
	s_waitcnt vmcnt(17)
	scratch_store_b128 off, v[82:85], off offset:112
	s_clause 0x2
	global_load_b64 v[82:83], v[71:72], off
	global_load_b64 v[84:85], v[73:74], off
	;; [unrolled: 1-line block ×3, first 2 shown]
	s_mov_b32 s1, -1
	s_waitcnt vmcnt(17)
	scratch_store_b128 off, v[86:89], off offset:128
	s_waitcnt vmcnt(15)
	scratch_store_b128 off, v[1:4], off offset:144
	;; [unrolled: 2-line block ×10, first 2 shown]
	s_cbranch_scc1 .LBB35_152
; %bb.4:
	v_cmp_eq_u32_e64 s0, 0, v0
	s_delay_alu instid0(VALU_DEP_1)
	s_and_saveexec_b32 s1, s0
	s_cbranch_execz .LBB35_6
; %bb.5:
	v_mov_b32_e32 v1, 0
	ds_store_b32 v1, v1 offset:576
.LBB35_6:
	s_or_b32 exec_lo, exec_lo, s1
	s_waitcnt lgkmcnt(0)
	s_waitcnt_vscnt null, 0x0
	s_barrier
	buffer_gl0_inv
	scratch_load_b64 v[1:2], v77, off
	s_mov_b32 s2, exec_lo
	s_waitcnt vmcnt(0)
	v_cmpx_eq_f64_e32 0, v[1:2]
	s_cbranch_execz .LBB35_10
; %bb.7:
	v_mov_b32_e32 v1, 0
	s_mov_b32 s3, 0
	ds_load_b32 v2, v1 offset:576
	s_waitcnt lgkmcnt(0)
	v_readfirstlane_b32 s1, v2
	v_add_nc_u32_e32 v2, 1, v0
	s_delay_alu instid0(VALU_DEP_2) | instskip(NEXT) | instid1(VALU_DEP_1)
	s_cmp_eq_u32 s1, 0
	v_cmp_gt_i32_e32 vcc_lo, s1, v2
	s_cselect_b32 s4, -1, 0
	s_delay_alu instid0(SALU_CYCLE_1) | instskip(NEXT) | instid1(SALU_CYCLE_1)
	s_or_b32 s4, s4, vcc_lo
	s_and_b32 exec_lo, exec_lo, s4
	s_cbranch_execz .LBB35_10
; %bb.8:
	v_mov_b32_e32 v3, s1
.LBB35_9:                               ; =>This Inner Loop Header: Depth=1
	ds_cmpstore_rtn_b32 v3, v1, v2, v3 offset:576
	s_waitcnt lgkmcnt(0)
	v_cmp_ne_u32_e32 vcc_lo, 0, v3
	v_cmp_le_i32_e64 s1, v3, v2
	s_delay_alu instid0(VALU_DEP_1) | instskip(NEXT) | instid1(SALU_CYCLE_1)
	s_and_b32 s1, vcc_lo, s1
	s_and_b32 s1, exec_lo, s1
	s_delay_alu instid0(SALU_CYCLE_1) | instskip(NEXT) | instid1(SALU_CYCLE_1)
	s_or_b32 s3, s1, s3
	s_and_not1_b32 exec_lo, exec_lo, s3
	s_cbranch_execnz .LBB35_9
.LBB35_10:
	s_or_b32 exec_lo, exec_lo, s2
	v_mov_b32_e32 v1, 0
	s_barrier
	buffer_gl0_inv
	ds_load_b32 v2, v1 offset:576
	s_and_saveexec_b32 s1, s0
	s_cbranch_execz .LBB35_12
; %bb.11:
	s_lshl_b64 s[2:3], s[14:15], 2
	s_delay_alu instid0(SALU_CYCLE_1)
	s_add_u32 s2, s6, s2
	s_addc_u32 s3, s7, s3
	s_waitcnt lgkmcnt(0)
	global_store_b32 v1, v2, s[2:3]
.LBB35_12:
	s_or_b32 exec_lo, exec_lo, s1
	s_waitcnt lgkmcnt(0)
	v_cmp_ne_u32_e32 vcc_lo, 0, v2
	s_mov_b32 s1, 0
	s_cbranch_vccnz .LBB35_152
; %bb.13:
	v_add_nc_u32_e32 v3, 0, v77
	v_add_nc_u32_e32 v4, 0x120, v77
	scratch_load_b64 v[1:2], v3, off
	s_waitcnt vmcnt(0)
	v_div_scale_f64 v[78:79], null, v[1:2], v[1:2], 1.0
	v_div_scale_f64 v[84:85], vcc_lo, 1.0, v[1:2], 1.0
	s_delay_alu instid0(VALU_DEP_2) | instskip(SKIP_2) | instid1(VALU_DEP_1)
	v_rcp_f64_e32 v[80:81], v[78:79]
	s_waitcnt_depctr 0xfff
	v_fma_f64 v[82:83], -v[78:79], v[80:81], 1.0
	v_fma_f64 v[80:81], v[80:81], v[82:83], v[80:81]
	s_delay_alu instid0(VALU_DEP_1) | instskip(NEXT) | instid1(VALU_DEP_1)
	v_fma_f64 v[82:83], -v[78:79], v[80:81], 1.0
	v_fma_f64 v[80:81], v[80:81], v[82:83], v[80:81]
	s_delay_alu instid0(VALU_DEP_1) | instskip(NEXT) | instid1(VALU_DEP_1)
	v_mul_f64 v[82:83], v[84:85], v[80:81]
	v_fma_f64 v[78:79], -v[78:79], v[82:83], v[84:85]
	s_delay_alu instid0(VALU_DEP_1) | instskip(NEXT) | instid1(VALU_DEP_1)
	v_div_fmas_f64 v[78:79], v[78:79], v[80:81], v[82:83]
	v_div_fixup_f64 v[1:2], v[78:79], v[1:2], 1.0
	scratch_store_b64 v3, v[1:2], off
	scratch_load_b64 v[78:79], off, off offset:8
	v_xor_b32_e32 v2, 0x80000000, v2
	s_waitcnt vmcnt(0)
	ds_store_2addr_b64 v77, v[1:2], v[78:79] offset1:36
	s_waitcnt lgkmcnt(0)
	s_waitcnt_vscnt null, 0x0
	s_barrier
	buffer_gl0_inv
	s_and_saveexec_b32 s1, s0
	s_cbranch_execz .LBB35_15
; %bb.14:
	scratch_load_b64 v[1:2], v3, off
	ds_load_b64 v[78:79], v4
	s_waitcnt vmcnt(0) lgkmcnt(0)
	v_fma_f64 v[1:2], v[1:2], v[78:79], 0
	v_mov_b32_e32 v78, 0
	ds_load_b64 v[78:79], v78 offset:8
	s_waitcnt lgkmcnt(0)
	v_mul_f64 v[1:2], v[1:2], v[78:79]
	scratch_store_b64 off, v[1:2], off offset:8
.LBB35_15:
	s_or_b32 exec_lo, exec_lo, s1
	s_waitcnt_vscnt null, 0x0
	s_barrier
	buffer_gl0_inv
	scratch_load_b64 v[1:2], off, off offset:16
	s_mov_b32 s1, exec_lo
	s_waitcnt vmcnt(0)
	ds_store_b64 v4, v[1:2]
	s_waitcnt lgkmcnt(0)
	s_barrier
	buffer_gl0_inv
	v_cmpx_gt_u32_e32 2, v0
	s_cbranch_execz .LBB35_19
; %bb.16:
	scratch_load_b64 v[1:2], v3, off
	ds_load_b64 v[78:79], v4
	s_waitcnt vmcnt(0) lgkmcnt(0)
	v_fma_f64 v[1:2], v[1:2], v[78:79], 0
	s_and_saveexec_b32 s2, s0
	s_cbranch_execz .LBB35_18
; %bb.17:
	scratch_load_b64 v[78:79], off, off offset:8
	v_mov_b32_e32 v80, 0
	ds_load_b64 v[80:81], v80 offset:296
	s_waitcnt vmcnt(0) lgkmcnt(0)
	v_fma_f64 v[1:2], v[78:79], v[80:81], v[1:2]
.LBB35_18:
	s_or_b32 exec_lo, exec_lo, s2
	v_mov_b32_e32 v78, 0
	ds_load_b64 v[78:79], v78 offset:16
	s_waitcnt lgkmcnt(0)
	v_mul_f64 v[1:2], v[1:2], v[78:79]
	scratch_store_b64 off, v[1:2], off offset:16
.LBB35_19:
	s_or_b32 exec_lo, exec_lo, s1
	s_waitcnt_vscnt null, 0x0
	s_barrier
	buffer_gl0_inv
	scratch_load_b64 v[1:2], off, off offset:24
	v_add_nc_u32_e32 v78, -1, v0
	s_mov_b32 s0, exec_lo
	s_waitcnt vmcnt(0)
	ds_store_b64 v4, v[1:2]
	s_waitcnt lgkmcnt(0)
	s_barrier
	buffer_gl0_inv
	v_cmpx_gt_u32_e32 3, v0
	s_cbranch_execz .LBB35_23
; %bb.20:
	v_dual_mov_b32 v1, 0 :: v_dual_add_nc_u32 v80, 0x120, v77
	v_dual_mov_b32 v2, 0 :: v_dual_add_nc_u32 v79, -1, v0
	v_add_nc_u32_e32 v81, 0, v77
	s_mov_b32 s1, 0
.LBB35_21:                              ; =>This Inner Loop Header: Depth=1
	scratch_load_b64 v[82:83], v81, off
	ds_load_b64 v[84:85], v80
	v_add_nc_u32_e32 v79, 1, v79
	v_add_nc_u32_e32 v80, 8, v80
	v_add_nc_u32_e32 v81, 8, v81
	s_delay_alu instid0(VALU_DEP_3)
	v_cmp_lt_u32_e32 vcc_lo, 1, v79
	s_or_b32 s1, vcc_lo, s1
	s_waitcnt vmcnt(0) lgkmcnt(0)
	v_fma_f64 v[1:2], v[82:83], v[84:85], v[1:2]
	s_and_not1_b32 exec_lo, exec_lo, s1
	s_cbranch_execnz .LBB35_21
; %bb.22:
	s_or_b32 exec_lo, exec_lo, s1
	v_mov_b32_e32 v79, 0
	ds_load_b64 v[79:80], v79 offset:24
	s_waitcnt lgkmcnt(0)
	v_mul_f64 v[1:2], v[1:2], v[79:80]
	scratch_store_b64 off, v[1:2], off offset:24
.LBB35_23:
	s_or_b32 exec_lo, exec_lo, s0
	s_waitcnt_vscnt null, 0x0
	s_barrier
	buffer_gl0_inv
	scratch_load_b64 v[1:2], off, off offset:32
	s_mov_b32 s0, exec_lo
	s_waitcnt vmcnt(0)
	ds_store_b64 v4, v[1:2]
	s_waitcnt lgkmcnt(0)
	s_barrier
	buffer_gl0_inv
	v_cmpx_gt_u32_e32 4, v0
	s_cbranch_execz .LBB35_27
; %bb.24:
	v_dual_mov_b32 v1, 0 :: v_dual_add_nc_u32 v80, 0x120, v77
	v_dual_mov_b32 v2, 0 :: v_dual_add_nc_u32 v79, -1, v0
	v_add_nc_u32_e32 v81, 0, v77
	s_mov_b32 s1, 0
.LBB35_25:                              ; =>This Inner Loop Header: Depth=1
	scratch_load_b64 v[82:83], v81, off
	ds_load_b64 v[84:85], v80
	v_add_nc_u32_e32 v79, 1, v79
	v_add_nc_u32_e32 v80, 8, v80
	v_add_nc_u32_e32 v81, 8, v81
	s_delay_alu instid0(VALU_DEP_3)
	v_cmp_lt_u32_e32 vcc_lo, 2, v79
	s_or_b32 s1, vcc_lo, s1
	s_waitcnt vmcnt(0) lgkmcnt(0)
	v_fma_f64 v[1:2], v[82:83], v[84:85], v[1:2]
	s_and_not1_b32 exec_lo, exec_lo, s1
	s_cbranch_execnz .LBB35_25
; %bb.26:
	s_or_b32 exec_lo, exec_lo, s1
	v_mov_b32_e32 v79, 0
	ds_load_b64 v[79:80], v79 offset:32
	s_waitcnt lgkmcnt(0)
	v_mul_f64 v[1:2], v[1:2], v[79:80]
	scratch_store_b64 off, v[1:2], off offset:32
.LBB35_27:
	s_or_b32 exec_lo, exec_lo, s0
	s_waitcnt_vscnt null, 0x0
	s_barrier
	buffer_gl0_inv
	scratch_load_b64 v[1:2], off, off offset:40
	;; [unrolled: 39-line block ×20, first 2 shown]
	s_mov_b32 s0, exec_lo
	s_waitcnt vmcnt(0)
	ds_store_b64 v4, v[1:2]
	s_waitcnt lgkmcnt(0)
	s_barrier
	buffer_gl0_inv
	v_cmpx_gt_u32_e32 23, v0
	s_cbranch_execz .LBB35_103
; %bb.100:
	v_dual_mov_b32 v1, 0 :: v_dual_add_nc_u32 v80, 0x120, v77
	v_dual_mov_b32 v2, 0 :: v_dual_add_nc_u32 v79, -1, v0
	v_add_nc_u32_e32 v81, 0, v77
	s_mov_b32 s1, 0
.LBB35_101:                             ; =>This Inner Loop Header: Depth=1
	scratch_load_b64 v[82:83], v81, off
	ds_load_b64 v[84:85], v80
	v_add_nc_u32_e32 v79, 1, v79
	v_add_nc_u32_e32 v80, 8, v80
	v_add_nc_u32_e32 v81, 8, v81
	s_delay_alu instid0(VALU_DEP_3)
	v_cmp_lt_u32_e32 vcc_lo, 21, v79
	s_or_b32 s1, vcc_lo, s1
	s_waitcnt vmcnt(0) lgkmcnt(0)
	v_fma_f64 v[1:2], v[82:83], v[84:85], v[1:2]
	s_and_not1_b32 exec_lo, exec_lo, s1
	s_cbranch_execnz .LBB35_101
; %bb.102:
	s_or_b32 exec_lo, exec_lo, s1
	v_mov_b32_e32 v79, 0
	ds_load_b64 v[79:80], v79 offset:184
	s_waitcnt lgkmcnt(0)
	v_mul_f64 v[1:2], v[1:2], v[79:80]
	scratch_store_b64 off, v[1:2], off offset:184
.LBB35_103:
	s_or_b32 exec_lo, exec_lo, s0
	s_waitcnt_vscnt null, 0x0
	s_barrier
	buffer_gl0_inv
	scratch_load_b64 v[1:2], off, off offset:192
	s_mov_b32 s0, exec_lo
	s_waitcnt vmcnt(0)
	ds_store_b64 v4, v[1:2]
	s_waitcnt lgkmcnt(0)
	s_barrier
	buffer_gl0_inv
	v_cmpx_gt_u32_e32 24, v0
	s_cbranch_execz .LBB35_107
; %bb.104:
	v_dual_mov_b32 v1, 0 :: v_dual_add_nc_u32 v80, 0x120, v77
	v_dual_mov_b32 v2, 0 :: v_dual_add_nc_u32 v79, -1, v0
	v_add_nc_u32_e32 v81, 0, v77
	s_mov_b32 s1, 0
.LBB35_105:                             ; =>This Inner Loop Header: Depth=1
	scratch_load_b64 v[82:83], v81, off
	ds_load_b64 v[84:85], v80
	v_add_nc_u32_e32 v79, 1, v79
	v_add_nc_u32_e32 v80, 8, v80
	v_add_nc_u32_e32 v81, 8, v81
	s_delay_alu instid0(VALU_DEP_3)
	v_cmp_lt_u32_e32 vcc_lo, 22, v79
	s_or_b32 s1, vcc_lo, s1
	s_waitcnt vmcnt(0) lgkmcnt(0)
	v_fma_f64 v[1:2], v[82:83], v[84:85], v[1:2]
	s_and_not1_b32 exec_lo, exec_lo, s1
	s_cbranch_execnz .LBB35_105
; %bb.106:
	s_or_b32 exec_lo, exec_lo, s1
	v_mov_b32_e32 v79, 0
	ds_load_b64 v[79:80], v79 offset:192
	s_waitcnt lgkmcnt(0)
	v_mul_f64 v[1:2], v[1:2], v[79:80]
	scratch_store_b64 off, v[1:2], off offset:192
.LBB35_107:
	s_or_b32 exec_lo, exec_lo, s0
	s_waitcnt_vscnt null, 0x0
	s_barrier
	buffer_gl0_inv
	scratch_load_b64 v[1:2], off, off offset:200
	;; [unrolled: 39-line block ×12, first 2 shown]
	s_mov_b32 s0, exec_lo
	s_waitcnt vmcnt(0)
	ds_store_b64 v4, v[1:2]
	s_waitcnt lgkmcnt(0)
	s_barrier
	buffer_gl0_inv
	v_cmpx_ne_u32_e32 35, v0
	s_cbranch_execz .LBB35_151
; %bb.148:
	v_mov_b32_e32 v1, 0
	v_mov_b32_e32 v2, 0
	s_mov_b32 s1, 0
.LBB35_149:                             ; =>This Inner Loop Header: Depth=1
	scratch_load_b64 v[79:80], v3, off
	ds_load_b64 v[81:82], v4
	v_add_nc_u32_e32 v78, 1, v78
	v_add_nc_u32_e32 v4, 8, v4
	;; [unrolled: 1-line block ×3, first 2 shown]
	s_delay_alu instid0(VALU_DEP_3)
	v_cmp_lt_u32_e32 vcc_lo, 33, v78
	s_or_b32 s1, vcc_lo, s1
	s_waitcnt vmcnt(0) lgkmcnt(0)
	v_fma_f64 v[1:2], v[79:80], v[81:82], v[1:2]
	s_and_not1_b32 exec_lo, exec_lo, s1
	s_cbranch_execnz .LBB35_149
; %bb.150:
	s_or_b32 exec_lo, exec_lo, s1
	v_mov_b32_e32 v3, 0
	ds_load_b64 v[3:4], v3 offset:280
	s_waitcnt lgkmcnt(0)
	v_mul_f64 v[1:2], v[1:2], v[3:4]
	scratch_store_b64 off, v[1:2], off offset:280
.LBB35_151:
	s_or_b32 exec_lo, exec_lo, s0
	s_mov_b32 s1, -1
	s_waitcnt_vscnt null, 0x0
	s_barrier
	buffer_gl0_inv
.LBB35_152:
	s_and_b32 vcc_lo, exec_lo, s1
	s_cbranch_vccz .LBB35_154
; %bb.153:
	s_lshl_b64 s[0:1], s[14:15], 2
	v_mov_b32_e32 v1, 0
	s_add_u32 s0, s6, s0
	s_addc_u32 s1, s7, s1
	global_load_b32 v1, v1, s[0:1]
	s_waitcnt vmcnt(0)
	v_cmp_ne_u32_e32 vcc_lo, 0, v1
	s_cbranch_vccz .LBB35_155
.LBB35_154:
	s_endpgm
.LBB35_155:
	v_lshl_add_u32 v3, v0, 3, 0x120
	s_mov_b32 s0, exec_lo
	v_cmpx_eq_u32_e32 35, v0
	s_cbranch_execz .LBB35_157
; %bb.156:
	scratch_load_b64 v[1:2], off, off offset:272
	v_mov_b32_e32 v77, 0
	s_delay_alu instid0(VALU_DEP_1)
	v_mov_b32_e32 v78, v77
	scratch_store_b64 off, v[77:78], off offset:272
	s_waitcnt vmcnt(0)
	ds_store_b64 v3, v[1:2]
.LBB35_157:
	s_or_b32 exec_lo, exec_lo, s0
	s_waitcnt lgkmcnt(0)
	s_waitcnt_vscnt null, 0x0
	s_barrier
	buffer_gl0_inv
	scratch_load_b128 v[77:80], off, off offset:272
	v_mov_b32_e32 v1, 0
	s_mov_b32 s0, exec_lo
	ds_load_b64 v[81:82], v1 offset:568
	s_waitcnt vmcnt(0) lgkmcnt(0)
	v_fma_f64 v[79:80], v[79:80], v[81:82], 0
	s_delay_alu instid0(VALU_DEP_1)
	v_add_f64 v[77:78], v[77:78], -v[79:80]
	scratch_store_b64 off, v[77:78], off offset:272
	v_cmpx_lt_u32_e32 33, v0
	s_cbranch_execz .LBB35_159
; %bb.158:
	scratch_load_b64 v[77:78], off, off offset:264
	v_mov_b32_e32 v2, v1
	scratch_store_b64 off, v[1:2], off offset:264
	s_waitcnt vmcnt(0)
	ds_store_b64 v3, v[77:78]
.LBB35_159:
	s_or_b32 exec_lo, exec_lo, s0
	s_waitcnt lgkmcnt(0)
	s_waitcnt_vscnt null, 0x0
	s_barrier
	buffer_gl0_inv
	s_clause 0x1
	scratch_load_b128 v[77:80], off, off offset:264
	scratch_load_b64 v[85:86], off, off offset:280
	ds_load_b128 v[81:84], v1 offset:560
	s_mov_b32 s0, exec_lo
	s_waitcnt vmcnt(1) lgkmcnt(0)
	v_fma_f64 v[1:2], v[79:80], v[81:82], 0
	s_waitcnt vmcnt(0)
	s_delay_alu instid0(VALU_DEP_1) | instskip(NEXT) | instid1(VALU_DEP_1)
	v_fma_f64 v[1:2], v[85:86], v[83:84], v[1:2]
	v_add_f64 v[1:2], v[77:78], -v[1:2]
	scratch_store_b64 off, v[1:2], off offset:264
	v_cmpx_lt_u32_e32 32, v0
	s_cbranch_execz .LBB35_161
; %bb.160:
	scratch_load_b64 v[1:2], off, off offset:256
	v_mov_b32_e32 v77, 0
	s_delay_alu instid0(VALU_DEP_1)
	v_mov_b32_e32 v78, v77
	scratch_store_b64 off, v[77:78], off offset:256
	s_waitcnt vmcnt(0)
	ds_store_b64 v3, v[1:2]
.LBB35_161:
	s_or_b32 exec_lo, exec_lo, s0
	s_waitcnt lgkmcnt(0)
	s_waitcnt_vscnt null, 0x0
	s_barrier
	buffer_gl0_inv
	s_clause 0x1
	scratch_load_b128 v[77:80], off, off offset:256
	scratch_load_b128 v[81:84], off, off offset:272
	v_mov_b32_e32 v1, 0
	ds_load_2addr_b64 v[85:88], v1 offset0:69 offset1:70
	ds_load_b64 v[89:90], v1 offset:568
	s_mov_b32 s0, exec_lo
	s_waitcnt vmcnt(1) lgkmcnt(1)
	v_fma_f64 v[79:80], v[79:80], v[85:86], 0
	s_waitcnt vmcnt(0)
	s_delay_alu instid0(VALU_DEP_1) | instskip(SKIP_1) | instid1(VALU_DEP_1)
	v_fma_f64 v[79:80], v[81:82], v[87:88], v[79:80]
	s_waitcnt lgkmcnt(0)
	v_fma_f64 v[79:80], v[83:84], v[89:90], v[79:80]
	s_delay_alu instid0(VALU_DEP_1)
	v_add_f64 v[77:78], v[77:78], -v[79:80]
	scratch_store_b64 off, v[77:78], off offset:256
	v_cmpx_lt_u32_e32 31, v0
	s_cbranch_execz .LBB35_163
; %bb.162:
	scratch_load_b64 v[77:78], off, off offset:248
	v_mov_b32_e32 v2, v1
	scratch_store_b64 off, v[1:2], off offset:248
	s_waitcnt vmcnt(0)
	ds_store_b64 v3, v[77:78]
.LBB35_163:
	s_or_b32 exec_lo, exec_lo, s0
	s_waitcnt lgkmcnt(0)
	s_waitcnt_vscnt null, 0x0
	s_barrier
	buffer_gl0_inv
	s_clause 0x2
	scratch_load_b128 v[77:80], off, off offset:248
	scratch_load_b128 v[81:84], off, off offset:264
	scratch_load_b64 v[93:94], off, off offset:280
	ds_load_b128 v[85:88], v1 offset:544
	ds_load_b128 v[89:92], v1 offset:560
	s_mov_b32 s0, exec_lo
	s_waitcnt vmcnt(2) lgkmcnt(1)
	v_fma_f64 v[1:2], v[79:80], v[85:86], 0
	s_waitcnt vmcnt(1)
	s_delay_alu instid0(VALU_DEP_1) | instskip(SKIP_1) | instid1(VALU_DEP_1)
	v_fma_f64 v[1:2], v[81:82], v[87:88], v[1:2]
	s_waitcnt lgkmcnt(0)
	v_fma_f64 v[1:2], v[83:84], v[89:90], v[1:2]
	s_waitcnt vmcnt(0)
	s_delay_alu instid0(VALU_DEP_1) | instskip(NEXT) | instid1(VALU_DEP_1)
	v_fma_f64 v[1:2], v[93:94], v[91:92], v[1:2]
	v_add_f64 v[1:2], v[77:78], -v[1:2]
	scratch_store_b64 off, v[1:2], off offset:248
	v_cmpx_lt_u32_e32 30, v0
	s_cbranch_execz .LBB35_165
; %bb.164:
	scratch_load_b64 v[1:2], off, off offset:240
	v_mov_b32_e32 v77, 0
	s_delay_alu instid0(VALU_DEP_1)
	v_mov_b32_e32 v78, v77
	scratch_store_b64 off, v[77:78], off offset:240
	s_waitcnt vmcnt(0)
	ds_store_b64 v3, v[1:2]
.LBB35_165:
	s_or_b32 exec_lo, exec_lo, s0
	s_waitcnt lgkmcnt(0)
	s_waitcnt_vscnt null, 0x0
	s_barrier
	buffer_gl0_inv
	s_clause 0x2
	scratch_load_b128 v[77:80], off, off offset:240
	scratch_load_b128 v[81:84], off, off offset:256
	scratch_load_b128 v[85:88], off, off offset:272
	v_mov_b32_e32 v1, 0
	s_mov_b32 s0, exec_lo
	ds_load_2addr_b64 v[89:92], v1 offset0:67 offset1:68
	s_waitcnt vmcnt(2) lgkmcnt(0)
	v_fma_f64 v[79:80], v[79:80], v[89:90], 0
	s_waitcnt vmcnt(1)
	s_delay_alu instid0(VALU_DEP_1) | instskip(SKIP_4) | instid1(VALU_DEP_1)
	v_fma_f64 v[89:90], v[81:82], v[91:92], v[79:80]
	ds_load_2addr_b64 v[79:82], v1 offset0:69 offset1:70
	s_waitcnt lgkmcnt(0)
	v_fma_f64 v[79:80], v[83:84], v[79:80], v[89:90]
	s_waitcnt vmcnt(0)
	v_fma_f64 v[79:80], v[85:86], v[81:82], v[79:80]
	ds_load_b64 v[81:82], v1 offset:568
	s_waitcnt lgkmcnt(0)
	v_fma_f64 v[79:80], v[87:88], v[81:82], v[79:80]
	s_delay_alu instid0(VALU_DEP_1)
	v_add_f64 v[77:78], v[77:78], -v[79:80]
	scratch_store_b64 off, v[77:78], off offset:240
	v_cmpx_lt_u32_e32 29, v0
	s_cbranch_execz .LBB35_167
; %bb.166:
	scratch_load_b64 v[77:78], off, off offset:232
	v_mov_b32_e32 v2, v1
	scratch_store_b64 off, v[1:2], off offset:232
	s_waitcnt vmcnt(0)
	ds_store_b64 v3, v[77:78]
.LBB35_167:
	s_or_b32 exec_lo, exec_lo, s0
	s_waitcnt lgkmcnt(0)
	s_waitcnt_vscnt null, 0x0
	s_barrier
	buffer_gl0_inv
	s_clause 0x3
	scratch_load_b128 v[77:80], off, off offset:232
	scratch_load_b128 v[81:84], off, off offset:248
	;; [unrolled: 1-line block ×3, first 2 shown]
	scratch_load_b64 v[93:94], off, off offset:280
	ds_load_b128 v[89:92], v1 offset:528
	s_mov_b32 s0, exec_lo
	s_waitcnt vmcnt(3) lgkmcnt(0)
	v_fma_f64 v[79:80], v[79:80], v[89:90], 0
	s_waitcnt vmcnt(2)
	s_delay_alu instid0(VALU_DEP_1) | instskip(SKIP_4) | instid1(VALU_DEP_1)
	v_fma_f64 v[89:90], v[81:82], v[91:92], v[79:80]
	ds_load_b128 v[79:82], v1 offset:544
	s_waitcnt lgkmcnt(0)
	v_fma_f64 v[79:80], v[83:84], v[79:80], v[89:90]
	s_waitcnt vmcnt(1)
	v_fma_f64 v[83:84], v[85:86], v[81:82], v[79:80]
	ds_load_b128 v[79:82], v1 offset:560
	s_waitcnt lgkmcnt(0)
	v_fma_f64 v[1:2], v[87:88], v[79:80], v[83:84]
	s_waitcnt vmcnt(0)
	s_delay_alu instid0(VALU_DEP_1) | instskip(NEXT) | instid1(VALU_DEP_1)
	v_fma_f64 v[1:2], v[93:94], v[81:82], v[1:2]
	v_add_f64 v[1:2], v[77:78], -v[1:2]
	scratch_store_b64 off, v[1:2], off offset:232
	v_cmpx_lt_u32_e32 28, v0
	s_cbranch_execz .LBB35_169
; %bb.168:
	scratch_load_b64 v[1:2], off, off offset:224
	v_mov_b32_e32 v77, 0
	s_delay_alu instid0(VALU_DEP_1)
	v_mov_b32_e32 v78, v77
	scratch_store_b64 off, v[77:78], off offset:224
	s_waitcnt vmcnt(0)
	ds_store_b64 v3, v[1:2]
.LBB35_169:
	s_or_b32 exec_lo, exec_lo, s0
	s_waitcnt lgkmcnt(0)
	s_waitcnt_vscnt null, 0x0
	s_barrier
	buffer_gl0_inv
	s_clause 0x3
	scratch_load_b128 v[77:80], off, off offset:224
	scratch_load_b128 v[81:84], off, off offset:240
	;; [unrolled: 1-line block ×4, first 2 shown]
	v_mov_b32_e32 v1, 0
	s_mov_b32 s0, exec_lo
	ds_load_2addr_b64 v[93:96], v1 offset0:65 offset1:66
	s_waitcnt vmcnt(3) lgkmcnt(0)
	v_fma_f64 v[79:80], v[79:80], v[93:94], 0
	s_waitcnt vmcnt(2)
	s_delay_alu instid0(VALU_DEP_1) | instskip(SKIP_4) | instid1(VALU_DEP_1)
	v_fma_f64 v[93:94], v[81:82], v[95:96], v[79:80]
	ds_load_2addr_b64 v[79:82], v1 offset0:67 offset1:68
	s_waitcnt lgkmcnt(0)
	v_fma_f64 v[79:80], v[83:84], v[79:80], v[93:94]
	s_waitcnt vmcnt(1)
	v_fma_f64 v[83:84], v[85:86], v[81:82], v[79:80]
	ds_load_2addr_b64 v[79:82], v1 offset0:69 offset1:70
	s_waitcnt lgkmcnt(0)
	v_fma_f64 v[79:80], v[87:88], v[79:80], v[83:84]
	s_waitcnt vmcnt(0)
	s_delay_alu instid0(VALU_DEP_1) | instskip(SKIP_3) | instid1(VALU_DEP_1)
	v_fma_f64 v[79:80], v[89:90], v[81:82], v[79:80]
	ds_load_b64 v[81:82], v1 offset:568
	s_waitcnt lgkmcnt(0)
	v_fma_f64 v[79:80], v[91:92], v[81:82], v[79:80]
	v_add_f64 v[77:78], v[77:78], -v[79:80]
	scratch_store_b64 off, v[77:78], off offset:224
	v_cmpx_lt_u32_e32 27, v0
	s_cbranch_execz .LBB35_171
; %bb.170:
	scratch_load_b64 v[77:78], off, off offset:216
	v_mov_b32_e32 v2, v1
	scratch_store_b64 off, v[1:2], off offset:216
	s_waitcnt vmcnt(0)
	ds_store_b64 v3, v[77:78]
.LBB35_171:
	s_or_b32 exec_lo, exec_lo, s0
	s_waitcnt lgkmcnt(0)
	s_waitcnt_vscnt null, 0x0
	s_barrier
	buffer_gl0_inv
	s_clause 0x4
	scratch_load_b128 v[77:80], off, off offset:216
	scratch_load_b128 v[81:84], off, off offset:232
	;; [unrolled: 1-line block ×4, first 2 shown]
	scratch_load_b64 v[101:102], off, off offset:280
	ds_load_b128 v[93:96], v1 offset:512
	ds_load_b128 v[97:100], v1 offset:528
	s_mov_b32 s0, exec_lo
	s_waitcnt vmcnt(4) lgkmcnt(1)
	v_fma_f64 v[79:80], v[79:80], v[93:94], 0
	s_waitcnt vmcnt(3)
	s_delay_alu instid0(VALU_DEP_1) | instskip(SKIP_1) | instid1(VALU_DEP_1)
	v_fma_f64 v[79:80], v[81:82], v[95:96], v[79:80]
	s_waitcnt lgkmcnt(0)
	v_fma_f64 v[79:80], v[83:84], v[97:98], v[79:80]
	s_waitcnt vmcnt(2)
	s_delay_alu instid0(VALU_DEP_1)
	v_fma_f64 v[93:94], v[85:86], v[99:100], v[79:80]
	ds_load_b128 v[79:82], v1 offset:544
	ds_load_b128 v[83:86], v1 offset:560
	s_waitcnt lgkmcnt(1)
	v_fma_f64 v[1:2], v[87:88], v[79:80], v[93:94]
	s_waitcnt vmcnt(1)
	s_delay_alu instid0(VALU_DEP_1) | instskip(SKIP_1) | instid1(VALU_DEP_1)
	v_fma_f64 v[1:2], v[89:90], v[81:82], v[1:2]
	s_waitcnt lgkmcnt(0)
	v_fma_f64 v[1:2], v[91:92], v[83:84], v[1:2]
	s_waitcnt vmcnt(0)
	s_delay_alu instid0(VALU_DEP_1) | instskip(NEXT) | instid1(VALU_DEP_1)
	v_fma_f64 v[1:2], v[101:102], v[85:86], v[1:2]
	v_add_f64 v[1:2], v[77:78], -v[1:2]
	scratch_store_b64 off, v[1:2], off offset:216
	v_cmpx_lt_u32_e32 26, v0
	s_cbranch_execz .LBB35_173
; %bb.172:
	scratch_load_b64 v[1:2], off, off offset:208
	v_mov_b32_e32 v77, 0
	s_delay_alu instid0(VALU_DEP_1)
	v_mov_b32_e32 v78, v77
	scratch_store_b64 off, v[77:78], off offset:208
	s_waitcnt vmcnt(0)
	ds_store_b64 v3, v[1:2]
.LBB35_173:
	s_or_b32 exec_lo, exec_lo, s0
	s_waitcnt lgkmcnt(0)
	s_waitcnt_vscnt null, 0x0
	s_barrier
	buffer_gl0_inv
	s_clause 0x4
	scratch_load_b128 v[77:80], off, off offset:208
	scratch_load_b128 v[81:84], off, off offset:224
	scratch_load_b128 v[85:88], off, off offset:240
	scratch_load_b128 v[89:92], off, off offset:256
	scratch_load_b128 v[93:96], off, off offset:272
	v_mov_b32_e32 v1, 0
	ds_load_2addr_b64 v[97:100], v1 offset0:63 offset1:64
	ds_load_2addr_b64 v[101:104], v1 offset0:65 offset1:66
	s_mov_b32 s0, exec_lo
	s_waitcnt vmcnt(4) lgkmcnt(1)
	v_fma_f64 v[79:80], v[79:80], v[97:98], 0
	s_waitcnt vmcnt(3)
	s_delay_alu instid0(VALU_DEP_1) | instskip(SKIP_1) | instid1(VALU_DEP_1)
	v_fma_f64 v[79:80], v[81:82], v[99:100], v[79:80]
	s_waitcnt lgkmcnt(0)
	v_fma_f64 v[79:80], v[83:84], v[101:102], v[79:80]
	s_waitcnt vmcnt(2)
	s_delay_alu instid0(VALU_DEP_1)
	v_fma_f64 v[97:98], v[85:86], v[103:104], v[79:80]
	ds_load_2addr_b64 v[79:82], v1 offset0:67 offset1:68
	ds_load_2addr_b64 v[83:86], v1 offset0:69 offset1:70
	s_waitcnt lgkmcnt(1)
	v_fma_f64 v[79:80], v[87:88], v[79:80], v[97:98]
	s_waitcnt vmcnt(1)
	s_delay_alu instid0(VALU_DEP_1) | instskip(SKIP_4) | instid1(VALU_DEP_1)
	v_fma_f64 v[79:80], v[89:90], v[81:82], v[79:80]
	ds_load_b64 v[81:82], v1 offset:568
	s_waitcnt lgkmcnt(1)
	v_fma_f64 v[79:80], v[91:92], v[83:84], v[79:80]
	s_waitcnt vmcnt(0)
	v_fma_f64 v[79:80], v[93:94], v[85:86], v[79:80]
	s_waitcnt lgkmcnt(0)
	s_delay_alu instid0(VALU_DEP_1) | instskip(NEXT) | instid1(VALU_DEP_1)
	v_fma_f64 v[79:80], v[95:96], v[81:82], v[79:80]
	v_add_f64 v[77:78], v[77:78], -v[79:80]
	scratch_store_b64 off, v[77:78], off offset:208
	v_cmpx_lt_u32_e32 25, v0
	s_cbranch_execz .LBB35_175
; %bb.174:
	scratch_load_b64 v[77:78], off, off offset:200
	v_mov_b32_e32 v2, v1
	scratch_store_b64 off, v[1:2], off offset:200
	s_waitcnt vmcnt(0)
	ds_store_b64 v3, v[77:78]
.LBB35_175:
	s_or_b32 exec_lo, exec_lo, s0
	s_waitcnt lgkmcnt(0)
	s_waitcnt_vscnt null, 0x0
	s_barrier
	buffer_gl0_inv
	s_clause 0x4
	scratch_load_b128 v[77:80], off, off offset:200
	scratch_load_b128 v[81:84], off, off offset:216
	;; [unrolled: 1-line block ×5, first 2 shown]
	ds_load_b128 v[97:100], v1 offset:496
	ds_load_b128 v[101:104], v1 offset:512
	s_mov_b32 s0, exec_lo
	s_waitcnt vmcnt(4) lgkmcnt(1)
	v_fma_f64 v[79:80], v[79:80], v[97:98], 0
	scratch_load_b64 v[97:98], off, off offset:280
	s_waitcnt vmcnt(4)
	v_fma_f64 v[79:80], v[81:82], v[99:100], v[79:80]
	s_waitcnt lgkmcnt(0)
	s_delay_alu instid0(VALU_DEP_1) | instskip(SKIP_1) | instid1(VALU_DEP_1)
	v_fma_f64 v[79:80], v[83:84], v[101:102], v[79:80]
	s_waitcnt vmcnt(3)
	v_fma_f64 v[99:100], v[85:86], v[103:104], v[79:80]
	ds_load_b128 v[79:82], v1 offset:528
	ds_load_b128 v[83:86], v1 offset:544
	s_waitcnt lgkmcnt(1)
	v_fma_f64 v[79:80], v[87:88], v[79:80], v[99:100]
	s_waitcnt vmcnt(2)
	s_delay_alu instid0(VALU_DEP_1) | instskip(SKIP_1) | instid1(VALU_DEP_1)
	v_fma_f64 v[79:80], v[89:90], v[81:82], v[79:80]
	s_waitcnt lgkmcnt(0)
	v_fma_f64 v[79:80], v[91:92], v[83:84], v[79:80]
	s_waitcnt vmcnt(1)
	s_delay_alu instid0(VALU_DEP_1) | instskip(SKIP_4) | instid1(VALU_DEP_1)
	v_fma_f64 v[83:84], v[93:94], v[85:86], v[79:80]
	ds_load_b128 v[79:82], v1 offset:560
	s_waitcnt lgkmcnt(0)
	v_fma_f64 v[1:2], v[95:96], v[79:80], v[83:84]
	s_waitcnt vmcnt(0)
	v_fma_f64 v[1:2], v[97:98], v[81:82], v[1:2]
	s_delay_alu instid0(VALU_DEP_1)
	v_add_f64 v[1:2], v[77:78], -v[1:2]
	scratch_store_b64 off, v[1:2], off offset:200
	v_cmpx_lt_u32_e32 24, v0
	s_cbranch_execz .LBB35_177
; %bb.176:
	scratch_load_b64 v[1:2], off, off offset:192
	v_mov_b32_e32 v77, 0
	s_delay_alu instid0(VALU_DEP_1)
	v_mov_b32_e32 v78, v77
	scratch_store_b64 off, v[77:78], off offset:192
	s_waitcnt vmcnt(0)
	ds_store_b64 v3, v[1:2]
.LBB35_177:
	s_or_b32 exec_lo, exec_lo, s0
	s_waitcnt lgkmcnt(0)
	s_waitcnt_vscnt null, 0x0
	s_barrier
	buffer_gl0_inv
	s_clause 0x4
	scratch_load_b128 v[77:80], off, off offset:192
	scratch_load_b128 v[81:84], off, off offset:208
	;; [unrolled: 1-line block ×5, first 2 shown]
	v_mov_b32_e32 v1, 0
	ds_load_2addr_b64 v[97:100], v1 offset0:61 offset1:62
	ds_load_2addr_b64 v[101:104], v1 offset0:63 offset1:64
	scratch_load_b128 v[105:108], off, off offset:272
	s_mov_b32 s0, exec_lo
	s_waitcnt vmcnt(5) lgkmcnt(1)
	v_fma_f64 v[79:80], v[79:80], v[97:98], 0
	s_waitcnt vmcnt(4)
	s_delay_alu instid0(VALU_DEP_1) | instskip(SKIP_1) | instid1(VALU_DEP_1)
	v_fma_f64 v[79:80], v[81:82], v[99:100], v[79:80]
	s_waitcnt lgkmcnt(0)
	v_fma_f64 v[79:80], v[83:84], v[101:102], v[79:80]
	s_waitcnt vmcnt(3)
	s_delay_alu instid0(VALU_DEP_1)
	v_fma_f64 v[97:98], v[85:86], v[103:104], v[79:80]
	ds_load_2addr_b64 v[79:82], v1 offset0:65 offset1:66
	ds_load_2addr_b64 v[83:86], v1 offset0:67 offset1:68
	s_waitcnt lgkmcnt(1)
	v_fma_f64 v[79:80], v[87:88], v[79:80], v[97:98]
	s_waitcnt vmcnt(2)
	s_delay_alu instid0(VALU_DEP_1) | instskip(SKIP_1) | instid1(VALU_DEP_1)
	v_fma_f64 v[79:80], v[89:90], v[81:82], v[79:80]
	s_waitcnt lgkmcnt(0)
	v_fma_f64 v[79:80], v[91:92], v[83:84], v[79:80]
	s_waitcnt vmcnt(1)
	s_delay_alu instid0(VALU_DEP_1)
	v_fma_f64 v[83:84], v[93:94], v[85:86], v[79:80]
	ds_load_2addr_b64 v[79:82], v1 offset0:69 offset1:70
	ds_load_b64 v[85:86], v1 offset:568
	s_waitcnt lgkmcnt(1)
	v_fma_f64 v[79:80], v[95:96], v[79:80], v[83:84]
	s_waitcnt vmcnt(0)
	s_delay_alu instid0(VALU_DEP_1) | instskip(SKIP_1) | instid1(VALU_DEP_1)
	v_fma_f64 v[79:80], v[105:106], v[81:82], v[79:80]
	s_waitcnt lgkmcnt(0)
	v_fma_f64 v[79:80], v[107:108], v[85:86], v[79:80]
	s_delay_alu instid0(VALU_DEP_1)
	v_add_f64 v[77:78], v[77:78], -v[79:80]
	scratch_store_b64 off, v[77:78], off offset:192
	v_cmpx_lt_u32_e32 23, v0
	s_cbranch_execz .LBB35_179
; %bb.178:
	scratch_load_b64 v[77:78], off, off offset:184
	v_mov_b32_e32 v2, v1
	scratch_store_b64 off, v[1:2], off offset:184
	s_waitcnt vmcnt(0)
	ds_store_b64 v3, v[77:78]
.LBB35_179:
	s_or_b32 exec_lo, exec_lo, s0
	s_waitcnt lgkmcnt(0)
	s_waitcnt_vscnt null, 0x0
	s_barrier
	buffer_gl0_inv
	s_clause 0x4
	scratch_load_b128 v[77:80], off, off offset:184
	scratch_load_b128 v[81:84], off, off offset:200
	;; [unrolled: 1-line block ×5, first 2 shown]
	ds_load_b128 v[97:100], v1 offset:480
	ds_load_b128 v[101:104], v1 offset:496
	scratch_load_b128 v[105:108], off, off offset:264
	s_mov_b32 s0, exec_lo
	s_waitcnt vmcnt(5) lgkmcnt(1)
	v_fma_f64 v[79:80], v[79:80], v[97:98], 0
	scratch_load_b64 v[97:98], off, off offset:280
	s_waitcnt vmcnt(5)
	v_fma_f64 v[79:80], v[81:82], v[99:100], v[79:80]
	s_waitcnt lgkmcnt(0)
	s_delay_alu instid0(VALU_DEP_1) | instskip(SKIP_1) | instid1(VALU_DEP_1)
	v_fma_f64 v[79:80], v[83:84], v[101:102], v[79:80]
	s_waitcnt vmcnt(4)
	v_fma_f64 v[99:100], v[85:86], v[103:104], v[79:80]
	ds_load_b128 v[79:82], v1 offset:512
	ds_load_b128 v[83:86], v1 offset:528
	s_waitcnt lgkmcnt(1)
	v_fma_f64 v[79:80], v[87:88], v[79:80], v[99:100]
	s_waitcnt vmcnt(3)
	s_delay_alu instid0(VALU_DEP_1) | instskip(SKIP_1) | instid1(VALU_DEP_1)
	v_fma_f64 v[79:80], v[89:90], v[81:82], v[79:80]
	s_waitcnt lgkmcnt(0)
	v_fma_f64 v[79:80], v[91:92], v[83:84], v[79:80]
	s_waitcnt vmcnt(2)
	s_delay_alu instid0(VALU_DEP_1)
	v_fma_f64 v[87:88], v[93:94], v[85:86], v[79:80]
	ds_load_b128 v[79:82], v1 offset:544
	ds_load_b128 v[83:86], v1 offset:560
	s_waitcnt lgkmcnt(1)
	v_fma_f64 v[1:2], v[95:96], v[79:80], v[87:88]
	s_waitcnt vmcnt(1)
	s_delay_alu instid0(VALU_DEP_1) | instskip(SKIP_1) | instid1(VALU_DEP_1)
	v_fma_f64 v[1:2], v[105:106], v[81:82], v[1:2]
	s_waitcnt lgkmcnt(0)
	v_fma_f64 v[1:2], v[107:108], v[83:84], v[1:2]
	s_waitcnt vmcnt(0)
	s_delay_alu instid0(VALU_DEP_1) | instskip(NEXT) | instid1(VALU_DEP_1)
	v_fma_f64 v[1:2], v[97:98], v[85:86], v[1:2]
	v_add_f64 v[1:2], v[77:78], -v[1:2]
	scratch_store_b64 off, v[1:2], off offset:184
	v_cmpx_lt_u32_e32 22, v0
	s_cbranch_execz .LBB35_181
; %bb.180:
	scratch_load_b64 v[1:2], off, off offset:176
	v_mov_b32_e32 v77, 0
	s_delay_alu instid0(VALU_DEP_1)
	v_mov_b32_e32 v78, v77
	scratch_store_b64 off, v[77:78], off offset:176
	s_waitcnt vmcnt(0)
	ds_store_b64 v3, v[1:2]
.LBB35_181:
	s_or_b32 exec_lo, exec_lo, s0
	s_waitcnt lgkmcnt(0)
	s_waitcnt_vscnt null, 0x0
	s_barrier
	buffer_gl0_inv
	s_clause 0x4
	scratch_load_b128 v[77:80], off, off offset:176
	scratch_load_b128 v[81:84], off, off offset:192
	;; [unrolled: 1-line block ×5, first 2 shown]
	v_mov_b32_e32 v1, 0
	ds_load_2addr_b64 v[97:100], v1 offset0:59 offset1:60
	ds_load_2addr_b64 v[101:104], v1 offset0:61 offset1:62
	scratch_load_b128 v[105:108], off, off offset:256
	s_mov_b32 s0, exec_lo
	s_waitcnt vmcnt(5) lgkmcnt(1)
	v_fma_f64 v[79:80], v[79:80], v[97:98], 0
	s_waitcnt vmcnt(4)
	s_delay_alu instid0(VALU_DEP_1) | instskip(SKIP_1) | instid1(VALU_DEP_1)
	v_fma_f64 v[79:80], v[81:82], v[99:100], v[79:80]
	s_waitcnt lgkmcnt(0)
	v_fma_f64 v[83:84], v[83:84], v[101:102], v[79:80]
	scratch_load_b128 v[79:82], off, off offset:272
	s_waitcnt vmcnt(4)
	v_fma_f64 v[101:102], v[85:86], v[103:104], v[83:84]
	ds_load_2addr_b64 v[83:86], v1 offset0:63 offset1:64
	ds_load_2addr_b64 v[97:100], v1 offset0:65 offset1:66
	s_waitcnt lgkmcnt(1)
	v_fma_f64 v[83:84], v[87:88], v[83:84], v[101:102]
	s_waitcnt vmcnt(3)
	s_delay_alu instid0(VALU_DEP_1) | instskip(SKIP_1) | instid1(VALU_DEP_1)
	v_fma_f64 v[83:84], v[89:90], v[85:86], v[83:84]
	s_waitcnt lgkmcnt(0)
	v_fma_f64 v[83:84], v[91:92], v[97:98], v[83:84]
	s_waitcnt vmcnt(2)
	s_delay_alu instid0(VALU_DEP_1)
	v_fma_f64 v[91:92], v[93:94], v[99:100], v[83:84]
	ds_load_2addr_b64 v[83:86], v1 offset0:67 offset1:68
	ds_load_2addr_b64 v[87:90], v1 offset0:69 offset1:70
	s_waitcnt lgkmcnt(1)
	v_fma_f64 v[83:84], v[95:96], v[83:84], v[91:92]
	s_waitcnt vmcnt(1)
	s_delay_alu instid0(VALU_DEP_1) | instskip(SKIP_1) | instid1(VALU_DEP_1)
	v_fma_f64 v[83:84], v[105:106], v[85:86], v[83:84]
	s_waitcnt lgkmcnt(0)
	v_fma_f64 v[83:84], v[107:108], v[87:88], v[83:84]
	s_waitcnt vmcnt(0)
	s_delay_alu instid0(VALU_DEP_1) | instskip(SKIP_3) | instid1(VALU_DEP_1)
	v_fma_f64 v[79:80], v[79:80], v[89:90], v[83:84]
	ds_load_b64 v[83:84], v1 offset:568
	s_waitcnt lgkmcnt(0)
	v_fma_f64 v[79:80], v[81:82], v[83:84], v[79:80]
	v_add_f64 v[77:78], v[77:78], -v[79:80]
	scratch_store_b64 off, v[77:78], off offset:176
	v_cmpx_lt_u32_e32 21, v0
	s_cbranch_execz .LBB35_183
; %bb.182:
	scratch_load_b64 v[77:78], off, off offset:168
	v_mov_b32_e32 v2, v1
	scratch_store_b64 off, v[1:2], off offset:168
	s_waitcnt vmcnt(0)
	ds_store_b64 v3, v[77:78]
.LBB35_183:
	s_or_b32 exec_lo, exec_lo, s0
	s_waitcnt lgkmcnt(0)
	s_waitcnt_vscnt null, 0x0
	s_barrier
	buffer_gl0_inv
	s_clause 0x4
	scratch_load_b128 v[77:80], off, off offset:168
	scratch_load_b128 v[81:84], off, off offset:184
	;; [unrolled: 1-line block ×5, first 2 shown]
	ds_load_b128 v[97:100], v1 offset:464
	ds_load_b128 v[101:104], v1 offset:480
	scratch_load_b128 v[105:108], off, off offset:248
	s_mov_b32 s0, exec_lo
	s_waitcnt vmcnt(5) lgkmcnt(1)
	v_fma_f64 v[79:80], v[79:80], v[97:98], 0
	s_waitcnt vmcnt(4)
	s_delay_alu instid0(VALU_DEP_1) | instskip(SKIP_1) | instid1(VALU_DEP_1)
	v_fma_f64 v[79:80], v[81:82], v[99:100], v[79:80]
	s_waitcnt lgkmcnt(0)
	v_fma_f64 v[83:84], v[83:84], v[101:102], v[79:80]
	scratch_load_b128 v[79:82], off, off offset:264
	s_waitcnt vmcnt(4)
	v_fma_f64 v[101:102], v[85:86], v[103:104], v[83:84]
	ds_load_b128 v[83:86], v1 offset:496
	ds_load_b128 v[97:100], v1 offset:512
	s_waitcnt lgkmcnt(1)
	v_fma_f64 v[83:84], v[87:88], v[83:84], v[101:102]
	scratch_load_b64 v[101:102], off, off offset:280
	s_waitcnt vmcnt(4)
	v_fma_f64 v[83:84], v[89:90], v[85:86], v[83:84]
	s_waitcnt lgkmcnt(0)
	s_delay_alu instid0(VALU_DEP_1) | instskip(SKIP_1) | instid1(VALU_DEP_1)
	v_fma_f64 v[83:84], v[91:92], v[97:98], v[83:84]
	s_waitcnt vmcnt(3)
	v_fma_f64 v[91:92], v[93:94], v[99:100], v[83:84]
	ds_load_b128 v[83:86], v1 offset:528
	ds_load_b128 v[87:90], v1 offset:544
	s_waitcnt lgkmcnt(1)
	v_fma_f64 v[83:84], v[95:96], v[83:84], v[91:92]
	s_waitcnt vmcnt(2)
	s_delay_alu instid0(VALU_DEP_1) | instskip(SKIP_1) | instid1(VALU_DEP_1)
	v_fma_f64 v[83:84], v[105:106], v[85:86], v[83:84]
	s_waitcnt lgkmcnt(0)
	v_fma_f64 v[83:84], v[107:108], v[87:88], v[83:84]
	s_waitcnt vmcnt(1)
	s_delay_alu instid0(VALU_DEP_1) | instskip(SKIP_4) | instid1(VALU_DEP_1)
	v_fma_f64 v[79:80], v[79:80], v[89:90], v[83:84]
	ds_load_b128 v[83:86], v1 offset:560
	s_waitcnt lgkmcnt(0)
	v_fma_f64 v[1:2], v[81:82], v[83:84], v[79:80]
	s_waitcnt vmcnt(0)
	v_fma_f64 v[1:2], v[101:102], v[85:86], v[1:2]
	s_delay_alu instid0(VALU_DEP_1)
	v_add_f64 v[1:2], v[77:78], -v[1:2]
	scratch_store_b64 off, v[1:2], off offset:168
	v_cmpx_lt_u32_e32 20, v0
	s_cbranch_execz .LBB35_185
; %bb.184:
	scratch_load_b64 v[1:2], off, off offset:160
	v_mov_b32_e32 v77, 0
	s_delay_alu instid0(VALU_DEP_1)
	v_mov_b32_e32 v78, v77
	scratch_store_b64 off, v[77:78], off offset:160
	s_waitcnt vmcnt(0)
	ds_store_b64 v3, v[1:2]
.LBB35_185:
	s_or_b32 exec_lo, exec_lo, s0
	s_waitcnt lgkmcnt(0)
	s_waitcnt_vscnt null, 0x0
	s_barrier
	buffer_gl0_inv
	s_clause 0x4
	scratch_load_b128 v[77:80], off, off offset:160
	scratch_load_b128 v[81:84], off, off offset:176
	;; [unrolled: 1-line block ×5, first 2 shown]
	v_mov_b32_e32 v1, 0
	ds_load_2addr_b64 v[97:100], v1 offset0:57 offset1:58
	ds_load_2addr_b64 v[101:104], v1 offset0:59 offset1:60
	scratch_load_b128 v[105:108], off, off offset:240
	s_mov_b32 s0, exec_lo
	s_waitcnt vmcnt(5) lgkmcnt(1)
	v_fma_f64 v[79:80], v[79:80], v[97:98], 0
	s_waitcnt vmcnt(4)
	s_delay_alu instid0(VALU_DEP_1) | instskip(SKIP_1) | instid1(VALU_DEP_1)
	v_fma_f64 v[79:80], v[81:82], v[99:100], v[79:80]
	s_waitcnt lgkmcnt(0)
	v_fma_f64 v[83:84], v[83:84], v[101:102], v[79:80]
	scratch_load_b128 v[79:82], off, off offset:256
	s_waitcnt vmcnt(4)
	v_fma_f64 v[101:102], v[85:86], v[103:104], v[83:84]
	ds_load_2addr_b64 v[83:86], v1 offset0:61 offset1:62
	ds_load_2addr_b64 v[97:100], v1 offset0:63 offset1:64
	s_waitcnt lgkmcnt(1)
	v_fma_f64 v[83:84], v[87:88], v[83:84], v[101:102]
	scratch_load_b128 v[101:104], off, off offset:272
	s_waitcnt vmcnt(4)
	v_fma_f64 v[83:84], v[89:90], v[85:86], v[83:84]
	s_waitcnt lgkmcnt(0)
	s_delay_alu instid0(VALU_DEP_1) | instskip(SKIP_1) | instid1(VALU_DEP_1)
	v_fma_f64 v[83:84], v[91:92], v[97:98], v[83:84]
	s_waitcnt vmcnt(3)
	v_fma_f64 v[91:92], v[93:94], v[99:100], v[83:84]
	ds_load_2addr_b64 v[83:86], v1 offset0:65 offset1:66
	ds_load_2addr_b64 v[87:90], v1 offset0:67 offset1:68
	s_waitcnt lgkmcnt(1)
	v_fma_f64 v[83:84], v[95:96], v[83:84], v[91:92]
	s_waitcnt vmcnt(2)
	s_delay_alu instid0(VALU_DEP_1) | instskip(SKIP_1) | instid1(VALU_DEP_1)
	v_fma_f64 v[83:84], v[105:106], v[85:86], v[83:84]
	s_waitcnt lgkmcnt(0)
	v_fma_f64 v[83:84], v[107:108], v[87:88], v[83:84]
	s_waitcnt vmcnt(1)
	s_delay_alu instid0(VALU_DEP_1)
	v_fma_f64 v[79:80], v[79:80], v[89:90], v[83:84]
	ds_load_2addr_b64 v[83:86], v1 offset0:69 offset1:70
	ds_load_b64 v[87:88], v1 offset:568
	s_waitcnt lgkmcnt(1)
	v_fma_f64 v[79:80], v[81:82], v[83:84], v[79:80]
	s_waitcnt vmcnt(0)
	s_delay_alu instid0(VALU_DEP_1) | instskip(SKIP_1) | instid1(VALU_DEP_1)
	v_fma_f64 v[79:80], v[101:102], v[85:86], v[79:80]
	s_waitcnt lgkmcnt(0)
	v_fma_f64 v[79:80], v[103:104], v[87:88], v[79:80]
	s_delay_alu instid0(VALU_DEP_1)
	v_add_f64 v[77:78], v[77:78], -v[79:80]
	scratch_store_b64 off, v[77:78], off offset:160
	v_cmpx_lt_u32_e32 19, v0
	s_cbranch_execz .LBB35_187
; %bb.186:
	scratch_load_b64 v[77:78], off, off offset:152
	v_mov_b32_e32 v2, v1
	scratch_store_b64 off, v[1:2], off offset:152
	s_waitcnt vmcnt(0)
	ds_store_b64 v3, v[77:78]
.LBB35_187:
	s_or_b32 exec_lo, exec_lo, s0
	s_waitcnt lgkmcnt(0)
	s_waitcnt_vscnt null, 0x0
	s_barrier
	buffer_gl0_inv
	s_clause 0x4
	scratch_load_b128 v[77:80], off, off offset:152
	scratch_load_b128 v[81:84], off, off offset:168
	;; [unrolled: 1-line block ×5, first 2 shown]
	ds_load_b128 v[97:100], v1 offset:448
	ds_load_b128 v[101:104], v1 offset:464
	scratch_load_b128 v[105:108], off, off offset:232
	s_mov_b32 s0, exec_lo
	s_waitcnt vmcnt(5) lgkmcnt(1)
	v_fma_f64 v[79:80], v[79:80], v[97:98], 0
	s_waitcnt vmcnt(4)
	s_delay_alu instid0(VALU_DEP_1) | instskip(SKIP_1) | instid1(VALU_DEP_1)
	v_fma_f64 v[79:80], v[81:82], v[99:100], v[79:80]
	s_waitcnt lgkmcnt(0)
	v_fma_f64 v[83:84], v[83:84], v[101:102], v[79:80]
	scratch_load_b128 v[79:82], off, off offset:248
	s_waitcnt vmcnt(4)
	v_fma_f64 v[101:102], v[85:86], v[103:104], v[83:84]
	ds_load_b128 v[83:86], v1 offset:480
	ds_load_b128 v[97:100], v1 offset:496
	s_waitcnt lgkmcnt(1)
	v_fma_f64 v[83:84], v[87:88], v[83:84], v[101:102]
	scratch_load_b128 v[101:104], off, off offset:264
	s_waitcnt vmcnt(4)
	v_fma_f64 v[83:84], v[89:90], v[85:86], v[83:84]
	s_waitcnt lgkmcnt(0)
	s_delay_alu instid0(VALU_DEP_1)
	v_fma_f64 v[83:84], v[91:92], v[97:98], v[83:84]
	scratch_load_b64 v[91:92], off, off offset:280
	s_waitcnt vmcnt(4)
	v_fma_f64 v[93:94], v[93:94], v[99:100], v[83:84]
	ds_load_b128 v[83:86], v1 offset:512
	ds_load_b128 v[87:90], v1 offset:528
	s_waitcnt lgkmcnt(1)
	v_fma_f64 v[83:84], v[95:96], v[83:84], v[93:94]
	s_waitcnt vmcnt(3)
	s_delay_alu instid0(VALU_DEP_1) | instskip(SKIP_1) | instid1(VALU_DEP_1)
	v_fma_f64 v[83:84], v[105:106], v[85:86], v[83:84]
	s_waitcnt lgkmcnt(0)
	v_fma_f64 v[83:84], v[107:108], v[87:88], v[83:84]
	s_waitcnt vmcnt(2)
	s_delay_alu instid0(VALU_DEP_1)
	v_fma_f64 v[79:80], v[79:80], v[89:90], v[83:84]
	ds_load_b128 v[83:86], v1 offset:544
	ds_load_b128 v[87:90], v1 offset:560
	s_waitcnt lgkmcnt(1)
	v_fma_f64 v[1:2], v[81:82], v[83:84], v[79:80]
	s_waitcnt vmcnt(1)
	s_delay_alu instid0(VALU_DEP_1) | instskip(SKIP_1) | instid1(VALU_DEP_1)
	v_fma_f64 v[1:2], v[101:102], v[85:86], v[1:2]
	s_waitcnt lgkmcnt(0)
	v_fma_f64 v[1:2], v[103:104], v[87:88], v[1:2]
	s_waitcnt vmcnt(0)
	s_delay_alu instid0(VALU_DEP_1) | instskip(NEXT) | instid1(VALU_DEP_1)
	v_fma_f64 v[1:2], v[91:92], v[89:90], v[1:2]
	v_add_f64 v[1:2], v[77:78], -v[1:2]
	scratch_store_b64 off, v[1:2], off offset:152
	v_cmpx_lt_u32_e32 18, v0
	s_cbranch_execz .LBB35_189
; %bb.188:
	scratch_load_b64 v[1:2], off, off offset:144
	v_mov_b32_e32 v77, 0
	s_delay_alu instid0(VALU_DEP_1)
	v_mov_b32_e32 v78, v77
	scratch_store_b64 off, v[77:78], off offset:144
	s_waitcnt vmcnt(0)
	ds_store_b64 v3, v[1:2]
.LBB35_189:
	s_or_b32 exec_lo, exec_lo, s0
	s_waitcnt lgkmcnt(0)
	s_waitcnt_vscnt null, 0x0
	s_barrier
	buffer_gl0_inv
	s_clause 0x4
	scratch_load_b128 v[77:80], off, off offset:144
	scratch_load_b128 v[81:84], off, off offset:160
	scratch_load_b128 v[85:88], off, off offset:176
	scratch_load_b128 v[89:92], off, off offset:192
	scratch_load_b128 v[93:96], off, off offset:208
	v_mov_b32_e32 v1, 0
	ds_load_2addr_b64 v[97:100], v1 offset0:55 offset1:56
	ds_load_2addr_b64 v[101:104], v1 offset0:57 offset1:58
	scratch_load_b128 v[105:108], off, off offset:224
	s_mov_b32 s0, exec_lo
	s_waitcnt vmcnt(5) lgkmcnt(1)
	v_fma_f64 v[79:80], v[79:80], v[97:98], 0
	s_waitcnt vmcnt(4)
	s_delay_alu instid0(VALU_DEP_1) | instskip(SKIP_1) | instid1(VALU_DEP_1)
	v_fma_f64 v[79:80], v[81:82], v[99:100], v[79:80]
	s_waitcnt lgkmcnt(0)
	v_fma_f64 v[83:84], v[83:84], v[101:102], v[79:80]
	scratch_load_b128 v[79:82], off, off offset:240
	s_waitcnt vmcnt(4)
	v_fma_f64 v[101:102], v[85:86], v[103:104], v[83:84]
	ds_load_2addr_b64 v[83:86], v1 offset0:59 offset1:60
	ds_load_2addr_b64 v[97:100], v1 offset0:61 offset1:62
	s_waitcnt lgkmcnt(1)
	v_fma_f64 v[83:84], v[87:88], v[83:84], v[101:102]
	scratch_load_b128 v[101:104], off, off offset:256
	s_waitcnt vmcnt(4)
	v_fma_f64 v[83:84], v[89:90], v[85:86], v[83:84]
	s_waitcnt lgkmcnt(0)
	s_delay_alu instid0(VALU_DEP_1)
	v_fma_f64 v[87:88], v[91:92], v[97:98], v[83:84]
	scratch_load_b128 v[83:86], off, off offset:272
	s_waitcnt vmcnt(4)
	v_fma_f64 v[97:98], v[93:94], v[99:100], v[87:88]
	ds_load_2addr_b64 v[87:90], v1 offset0:63 offset1:64
	ds_load_2addr_b64 v[91:94], v1 offset0:65 offset1:66
	s_waitcnt lgkmcnt(1)
	v_fma_f64 v[87:88], v[95:96], v[87:88], v[97:98]
	s_waitcnt vmcnt(3)
	s_delay_alu instid0(VALU_DEP_1) | instskip(SKIP_1) | instid1(VALU_DEP_1)
	v_fma_f64 v[87:88], v[105:106], v[89:90], v[87:88]
	s_waitcnt lgkmcnt(0)
	v_fma_f64 v[87:88], v[107:108], v[91:92], v[87:88]
	s_waitcnt vmcnt(2)
	s_delay_alu instid0(VALU_DEP_1)
	v_fma_f64 v[79:80], v[79:80], v[93:94], v[87:88]
	ds_load_2addr_b64 v[87:90], v1 offset0:67 offset1:68
	ds_load_2addr_b64 v[91:94], v1 offset0:69 offset1:70
	s_waitcnt lgkmcnt(1)
	v_fma_f64 v[79:80], v[81:82], v[87:88], v[79:80]
	ds_load_b64 v[81:82], v1 offset:568
	s_waitcnt vmcnt(1)
	v_fma_f64 v[79:80], v[101:102], v[89:90], v[79:80]
	s_waitcnt lgkmcnt(1)
	s_delay_alu instid0(VALU_DEP_1) | instskip(SKIP_1) | instid1(VALU_DEP_1)
	v_fma_f64 v[79:80], v[103:104], v[91:92], v[79:80]
	s_waitcnt vmcnt(0)
	v_fma_f64 v[79:80], v[83:84], v[93:94], v[79:80]
	s_waitcnt lgkmcnt(0)
	s_delay_alu instid0(VALU_DEP_1) | instskip(NEXT) | instid1(VALU_DEP_1)
	v_fma_f64 v[79:80], v[85:86], v[81:82], v[79:80]
	v_add_f64 v[77:78], v[77:78], -v[79:80]
	scratch_store_b64 off, v[77:78], off offset:144
	v_cmpx_lt_u32_e32 17, v0
	s_cbranch_execz .LBB35_191
; %bb.190:
	scratch_load_b64 v[77:78], off, off offset:136
	v_mov_b32_e32 v2, v1
	scratch_store_b64 off, v[1:2], off offset:136
	s_waitcnt vmcnt(0)
	ds_store_b64 v3, v[77:78]
.LBB35_191:
	s_or_b32 exec_lo, exec_lo, s0
	s_waitcnt lgkmcnt(0)
	s_waitcnt_vscnt null, 0x0
	s_barrier
	buffer_gl0_inv
	s_clause 0x4
	scratch_load_b128 v[77:80], off, off offset:136
	scratch_load_b128 v[81:84], off, off offset:152
	;; [unrolled: 1-line block ×5, first 2 shown]
	ds_load_b128 v[97:100], v1 offset:432
	ds_load_b128 v[101:104], v1 offset:448
	scratch_load_b128 v[105:108], off, off offset:216
	s_mov_b32 s0, exec_lo
	s_waitcnt vmcnt(5) lgkmcnt(1)
	v_fma_f64 v[79:80], v[79:80], v[97:98], 0
	s_waitcnt vmcnt(4)
	s_delay_alu instid0(VALU_DEP_1) | instskip(SKIP_1) | instid1(VALU_DEP_1)
	v_fma_f64 v[79:80], v[81:82], v[99:100], v[79:80]
	s_waitcnt lgkmcnt(0)
	v_fma_f64 v[83:84], v[83:84], v[101:102], v[79:80]
	scratch_load_b128 v[79:82], off, off offset:232
	s_waitcnt vmcnt(4)
	v_fma_f64 v[101:102], v[85:86], v[103:104], v[83:84]
	ds_load_b128 v[83:86], v1 offset:464
	ds_load_b128 v[97:100], v1 offset:480
	s_waitcnt lgkmcnt(1)
	v_fma_f64 v[83:84], v[87:88], v[83:84], v[101:102]
	scratch_load_b128 v[101:104], off, off offset:248
	s_waitcnt vmcnt(4)
	v_fma_f64 v[83:84], v[89:90], v[85:86], v[83:84]
	s_waitcnt lgkmcnt(0)
	s_delay_alu instid0(VALU_DEP_1)
	v_fma_f64 v[87:88], v[91:92], v[97:98], v[83:84]
	scratch_load_b128 v[83:86], off, off offset:264
	s_waitcnt vmcnt(4)
	v_fma_f64 v[97:98], v[93:94], v[99:100], v[87:88]
	ds_load_b128 v[87:90], v1 offset:496
	ds_load_b128 v[91:94], v1 offset:512
	s_waitcnt lgkmcnt(1)
	v_fma_f64 v[87:88], v[95:96], v[87:88], v[97:98]
	scratch_load_b64 v[95:96], off, off offset:280
	s_waitcnt vmcnt(4)
	v_fma_f64 v[87:88], v[105:106], v[89:90], v[87:88]
	s_waitcnt lgkmcnt(0)
	s_delay_alu instid0(VALU_DEP_1) | instskip(SKIP_1) | instid1(VALU_DEP_1)
	v_fma_f64 v[87:88], v[107:108], v[91:92], v[87:88]
	s_waitcnt vmcnt(3)
	v_fma_f64 v[79:80], v[79:80], v[93:94], v[87:88]
	ds_load_b128 v[87:90], v1 offset:528
	ds_load_b128 v[91:94], v1 offset:544
	s_waitcnt lgkmcnt(1)
	v_fma_f64 v[79:80], v[81:82], v[87:88], v[79:80]
	s_waitcnt vmcnt(2)
	s_delay_alu instid0(VALU_DEP_1) | instskip(SKIP_1) | instid1(VALU_DEP_1)
	v_fma_f64 v[79:80], v[101:102], v[89:90], v[79:80]
	s_waitcnt lgkmcnt(0)
	v_fma_f64 v[79:80], v[103:104], v[91:92], v[79:80]
	s_waitcnt vmcnt(1)
	s_delay_alu instid0(VALU_DEP_1) | instskip(SKIP_4) | instid1(VALU_DEP_1)
	v_fma_f64 v[83:84], v[83:84], v[93:94], v[79:80]
	ds_load_b128 v[79:82], v1 offset:560
	s_waitcnt lgkmcnt(0)
	v_fma_f64 v[1:2], v[85:86], v[79:80], v[83:84]
	s_waitcnt vmcnt(0)
	v_fma_f64 v[1:2], v[95:96], v[81:82], v[1:2]
	s_delay_alu instid0(VALU_DEP_1)
	v_add_f64 v[1:2], v[77:78], -v[1:2]
	scratch_store_b64 off, v[1:2], off offset:136
	v_cmpx_lt_u32_e32 16, v0
	s_cbranch_execz .LBB35_193
; %bb.192:
	scratch_load_b64 v[1:2], off, off offset:128
	v_mov_b32_e32 v77, 0
	s_delay_alu instid0(VALU_DEP_1)
	v_mov_b32_e32 v78, v77
	scratch_store_b64 off, v[77:78], off offset:128
	s_waitcnt vmcnt(0)
	ds_store_b64 v3, v[1:2]
.LBB35_193:
	s_or_b32 exec_lo, exec_lo, s0
	s_waitcnt lgkmcnt(0)
	s_waitcnt_vscnt null, 0x0
	s_barrier
	buffer_gl0_inv
	s_clause 0x4
	scratch_load_b128 v[77:80], off, off offset:128
	scratch_load_b128 v[81:84], off, off offset:144
	;; [unrolled: 1-line block ×5, first 2 shown]
	v_mov_b32_e32 v1, 0
	ds_load_2addr_b64 v[97:100], v1 offset0:53 offset1:54
	ds_load_2addr_b64 v[101:104], v1 offset0:55 offset1:56
	scratch_load_b128 v[105:108], off, off offset:208
	s_mov_b32 s0, exec_lo
	s_waitcnt vmcnt(5) lgkmcnt(1)
	v_fma_f64 v[79:80], v[79:80], v[97:98], 0
	s_waitcnt vmcnt(4)
	s_delay_alu instid0(VALU_DEP_1) | instskip(SKIP_1) | instid1(VALU_DEP_1)
	v_fma_f64 v[79:80], v[81:82], v[99:100], v[79:80]
	s_waitcnt lgkmcnt(0)
	v_fma_f64 v[83:84], v[83:84], v[101:102], v[79:80]
	scratch_load_b128 v[79:82], off, off offset:224
	s_waitcnt vmcnt(4)
	v_fma_f64 v[101:102], v[85:86], v[103:104], v[83:84]
	ds_load_2addr_b64 v[83:86], v1 offset0:57 offset1:58
	ds_load_2addr_b64 v[97:100], v1 offset0:59 offset1:60
	s_waitcnt lgkmcnt(1)
	v_fma_f64 v[83:84], v[87:88], v[83:84], v[101:102]
	scratch_load_b128 v[101:104], off, off offset:240
	s_waitcnt vmcnt(4)
	v_fma_f64 v[83:84], v[89:90], v[85:86], v[83:84]
	s_waitcnt lgkmcnt(0)
	s_delay_alu instid0(VALU_DEP_1)
	v_fma_f64 v[87:88], v[91:92], v[97:98], v[83:84]
	scratch_load_b128 v[83:86], off, off offset:256
	s_waitcnt vmcnt(4)
	v_fma_f64 v[97:98], v[93:94], v[99:100], v[87:88]
	ds_load_2addr_b64 v[87:90], v1 offset0:61 offset1:62
	ds_load_2addr_b64 v[91:94], v1 offset0:63 offset1:64
	s_waitcnt lgkmcnt(1)
	v_fma_f64 v[87:88], v[95:96], v[87:88], v[97:98]
	scratch_load_b128 v[95:98], off, off offset:272
	s_waitcnt vmcnt(4)
	v_fma_f64 v[87:88], v[105:106], v[89:90], v[87:88]
	s_waitcnt lgkmcnt(0)
	s_delay_alu instid0(VALU_DEP_1) | instskip(SKIP_1) | instid1(VALU_DEP_1)
	v_fma_f64 v[87:88], v[107:108], v[91:92], v[87:88]
	s_waitcnt vmcnt(3)
	v_fma_f64 v[79:80], v[79:80], v[93:94], v[87:88]
	ds_load_2addr_b64 v[87:90], v1 offset0:65 offset1:66
	ds_load_2addr_b64 v[91:94], v1 offset0:67 offset1:68
	s_waitcnt lgkmcnt(1)
	v_fma_f64 v[79:80], v[81:82], v[87:88], v[79:80]
	s_waitcnt vmcnt(2)
	s_delay_alu instid0(VALU_DEP_1) | instskip(SKIP_1) | instid1(VALU_DEP_1)
	v_fma_f64 v[79:80], v[101:102], v[89:90], v[79:80]
	s_waitcnt lgkmcnt(0)
	v_fma_f64 v[79:80], v[103:104], v[91:92], v[79:80]
	s_waitcnt vmcnt(1)
	s_delay_alu instid0(VALU_DEP_1)
	v_fma_f64 v[83:84], v[83:84], v[93:94], v[79:80]
	ds_load_2addr_b64 v[79:82], v1 offset0:69 offset1:70
	ds_load_b64 v[87:88], v1 offset:568
	s_waitcnt lgkmcnt(1)
	v_fma_f64 v[79:80], v[85:86], v[79:80], v[83:84]
	s_waitcnt vmcnt(0)
	s_delay_alu instid0(VALU_DEP_1) | instskip(SKIP_1) | instid1(VALU_DEP_1)
	v_fma_f64 v[79:80], v[95:96], v[81:82], v[79:80]
	s_waitcnt lgkmcnt(0)
	v_fma_f64 v[79:80], v[97:98], v[87:88], v[79:80]
	s_delay_alu instid0(VALU_DEP_1)
	v_add_f64 v[77:78], v[77:78], -v[79:80]
	scratch_store_b64 off, v[77:78], off offset:128
	v_cmpx_lt_u32_e32 15, v0
	s_cbranch_execz .LBB35_195
; %bb.194:
	scratch_load_b64 v[77:78], off, off offset:120
	v_mov_b32_e32 v2, v1
	scratch_store_b64 off, v[1:2], off offset:120
	s_waitcnt vmcnt(0)
	ds_store_b64 v3, v[77:78]
.LBB35_195:
	s_or_b32 exec_lo, exec_lo, s0
	s_waitcnt lgkmcnt(0)
	s_waitcnt_vscnt null, 0x0
	s_barrier
	buffer_gl0_inv
	s_clause 0x4
	scratch_load_b128 v[77:80], off, off offset:120
	scratch_load_b128 v[81:84], off, off offset:136
	;; [unrolled: 1-line block ×5, first 2 shown]
	ds_load_b128 v[97:100], v1 offset:416
	ds_load_b128 v[101:104], v1 offset:432
	scratch_load_b128 v[105:108], off, off offset:200
	s_mov_b32 s0, exec_lo
	s_waitcnt vmcnt(5) lgkmcnt(1)
	v_fma_f64 v[79:80], v[79:80], v[97:98], 0
	s_waitcnt vmcnt(4)
	s_delay_alu instid0(VALU_DEP_1) | instskip(SKIP_1) | instid1(VALU_DEP_1)
	v_fma_f64 v[79:80], v[81:82], v[99:100], v[79:80]
	s_waitcnt lgkmcnt(0)
	v_fma_f64 v[83:84], v[83:84], v[101:102], v[79:80]
	scratch_load_b128 v[79:82], off, off offset:216
	s_waitcnt vmcnt(4)
	v_fma_f64 v[101:102], v[85:86], v[103:104], v[83:84]
	ds_load_b128 v[83:86], v1 offset:448
	ds_load_b128 v[97:100], v1 offset:464
	s_waitcnt lgkmcnt(1)
	v_fma_f64 v[83:84], v[87:88], v[83:84], v[101:102]
	scratch_load_b128 v[101:104], off, off offset:232
	s_waitcnt vmcnt(4)
	v_fma_f64 v[83:84], v[89:90], v[85:86], v[83:84]
	s_waitcnt lgkmcnt(0)
	s_delay_alu instid0(VALU_DEP_1)
	v_fma_f64 v[87:88], v[91:92], v[97:98], v[83:84]
	scratch_load_b128 v[83:86], off, off offset:248
	s_waitcnt vmcnt(4)
	v_fma_f64 v[97:98], v[93:94], v[99:100], v[87:88]
	ds_load_b128 v[87:90], v1 offset:480
	ds_load_b128 v[91:94], v1 offset:496
	scratch_load_b64 v[99:100], off, off offset:280
	s_waitcnt lgkmcnt(1)
	v_fma_f64 v[87:88], v[95:96], v[87:88], v[97:98]
	scratch_load_b128 v[95:98], off, off offset:264
	s_waitcnt vmcnt(5)
	v_fma_f64 v[87:88], v[105:106], v[89:90], v[87:88]
	s_waitcnt lgkmcnt(0)
	s_delay_alu instid0(VALU_DEP_1) | instskip(SKIP_1) | instid1(VALU_DEP_1)
	v_fma_f64 v[87:88], v[107:108], v[91:92], v[87:88]
	s_waitcnt vmcnt(4)
	v_fma_f64 v[79:80], v[79:80], v[93:94], v[87:88]
	ds_load_b128 v[87:90], v1 offset:512
	ds_load_b128 v[91:94], v1 offset:528
	s_waitcnt lgkmcnt(1)
	v_fma_f64 v[79:80], v[81:82], v[87:88], v[79:80]
	s_waitcnt vmcnt(3)
	s_delay_alu instid0(VALU_DEP_1) | instskip(SKIP_1) | instid1(VALU_DEP_1)
	v_fma_f64 v[79:80], v[101:102], v[89:90], v[79:80]
	s_waitcnt lgkmcnt(0)
	v_fma_f64 v[79:80], v[103:104], v[91:92], v[79:80]
	s_waitcnt vmcnt(2)
	s_delay_alu instid0(VALU_DEP_1)
	v_fma_f64 v[83:84], v[83:84], v[93:94], v[79:80]
	ds_load_b128 v[79:82], v1 offset:544
	ds_load_b128 v[87:90], v1 offset:560
	s_waitcnt lgkmcnt(1)
	v_fma_f64 v[1:2], v[85:86], v[79:80], v[83:84]
	s_waitcnt vmcnt(0)
	s_delay_alu instid0(VALU_DEP_1) | instskip(SKIP_1) | instid1(VALU_DEP_1)
	v_fma_f64 v[1:2], v[95:96], v[81:82], v[1:2]
	s_waitcnt lgkmcnt(0)
	v_fma_f64 v[1:2], v[97:98], v[87:88], v[1:2]
	s_delay_alu instid0(VALU_DEP_1) | instskip(NEXT) | instid1(VALU_DEP_1)
	v_fma_f64 v[1:2], v[99:100], v[89:90], v[1:2]
	v_add_f64 v[1:2], v[77:78], -v[1:2]
	scratch_store_b64 off, v[1:2], off offset:120
	v_cmpx_lt_u32_e32 14, v0
	s_cbranch_execz .LBB35_197
; %bb.196:
	scratch_load_b64 v[1:2], off, off offset:112
	v_mov_b32_e32 v77, 0
	s_delay_alu instid0(VALU_DEP_1)
	v_mov_b32_e32 v78, v77
	scratch_store_b64 off, v[77:78], off offset:112
	s_waitcnt vmcnt(0)
	ds_store_b64 v3, v[1:2]
.LBB35_197:
	s_or_b32 exec_lo, exec_lo, s0
	s_waitcnt lgkmcnt(0)
	s_waitcnt_vscnt null, 0x0
	s_barrier
	buffer_gl0_inv
	s_clause 0x4
	scratch_load_b128 v[77:80], off, off offset:112
	scratch_load_b128 v[81:84], off, off offset:128
	;; [unrolled: 1-line block ×5, first 2 shown]
	v_mov_b32_e32 v1, 0
	ds_load_2addr_b64 v[97:100], v1 offset0:51 offset1:52
	ds_load_2addr_b64 v[101:104], v1 offset0:53 offset1:54
	scratch_load_b128 v[105:108], off, off offset:192
	s_mov_b32 s0, exec_lo
	s_waitcnt vmcnt(5) lgkmcnt(1)
	v_fma_f64 v[79:80], v[79:80], v[97:98], 0
	s_waitcnt vmcnt(4)
	s_delay_alu instid0(VALU_DEP_1) | instskip(SKIP_1) | instid1(VALU_DEP_1)
	v_fma_f64 v[79:80], v[81:82], v[99:100], v[79:80]
	s_waitcnt lgkmcnt(0)
	v_fma_f64 v[83:84], v[83:84], v[101:102], v[79:80]
	scratch_load_b128 v[79:82], off, off offset:208
	s_waitcnt vmcnt(4)
	v_fma_f64 v[101:102], v[85:86], v[103:104], v[83:84]
	ds_load_2addr_b64 v[83:86], v1 offset0:55 offset1:56
	ds_load_2addr_b64 v[97:100], v1 offset0:57 offset1:58
	s_waitcnt lgkmcnt(1)
	v_fma_f64 v[83:84], v[87:88], v[83:84], v[101:102]
	scratch_load_b128 v[101:104], off, off offset:224
	s_waitcnt vmcnt(4)
	v_fma_f64 v[83:84], v[89:90], v[85:86], v[83:84]
	s_waitcnt lgkmcnt(0)
	s_delay_alu instid0(VALU_DEP_1)
	v_fma_f64 v[87:88], v[91:92], v[97:98], v[83:84]
	scratch_load_b128 v[83:86], off, off offset:240
	s_waitcnt vmcnt(4)
	v_fma_f64 v[97:98], v[93:94], v[99:100], v[87:88]
	ds_load_2addr_b64 v[87:90], v1 offset0:59 offset1:60
	ds_load_2addr_b64 v[91:94], v1 offset0:61 offset1:62
	s_waitcnt lgkmcnt(1)
	v_fma_f64 v[87:88], v[95:96], v[87:88], v[97:98]
	scratch_load_b128 v[95:98], off, off offset:256
	s_waitcnt vmcnt(4)
	v_fma_f64 v[87:88], v[105:106], v[89:90], v[87:88]
	s_waitcnt lgkmcnt(0)
	s_delay_alu instid0(VALU_DEP_1)
	v_fma_f64 v[91:92], v[107:108], v[91:92], v[87:88]
	scratch_load_b128 v[87:90], off, off offset:272
	s_waitcnt vmcnt(4)
	v_fma_f64 v[79:80], v[79:80], v[93:94], v[91:92]
	ds_load_2addr_b64 v[91:94], v1 offset0:63 offset1:64
	ds_load_2addr_b64 v[105:108], v1 offset0:65 offset1:66
	s_waitcnt lgkmcnt(1)
	v_fma_f64 v[79:80], v[81:82], v[91:92], v[79:80]
	s_waitcnt vmcnt(3)
	s_delay_alu instid0(VALU_DEP_1) | instskip(SKIP_1) | instid1(VALU_DEP_1)
	v_fma_f64 v[79:80], v[101:102], v[93:94], v[79:80]
	s_waitcnt lgkmcnt(0)
	v_fma_f64 v[79:80], v[103:104], v[105:106], v[79:80]
	s_waitcnt vmcnt(2)
	s_delay_alu instid0(VALU_DEP_1)
	v_fma_f64 v[83:84], v[83:84], v[107:108], v[79:80]
	ds_load_2addr_b64 v[79:82], v1 offset0:67 offset1:68
	ds_load_2addr_b64 v[91:94], v1 offset0:69 offset1:70
	s_waitcnt lgkmcnt(1)
	v_fma_f64 v[79:80], v[85:86], v[79:80], v[83:84]
	s_waitcnt vmcnt(1)
	s_delay_alu instid0(VALU_DEP_1) | instskip(SKIP_4) | instid1(VALU_DEP_1)
	v_fma_f64 v[79:80], v[95:96], v[81:82], v[79:80]
	ds_load_b64 v[81:82], v1 offset:568
	s_waitcnt lgkmcnt(1)
	v_fma_f64 v[79:80], v[97:98], v[91:92], v[79:80]
	s_waitcnt vmcnt(0)
	v_fma_f64 v[79:80], v[87:88], v[93:94], v[79:80]
	s_waitcnt lgkmcnt(0)
	s_delay_alu instid0(VALU_DEP_1) | instskip(NEXT) | instid1(VALU_DEP_1)
	v_fma_f64 v[79:80], v[89:90], v[81:82], v[79:80]
	v_add_f64 v[77:78], v[77:78], -v[79:80]
	scratch_store_b64 off, v[77:78], off offset:112
	v_cmpx_lt_u32_e32 13, v0
	s_cbranch_execz .LBB35_199
; %bb.198:
	scratch_load_b64 v[77:78], off, off offset:104
	v_mov_b32_e32 v2, v1
	scratch_store_b64 off, v[1:2], off offset:104
	s_waitcnt vmcnt(0)
	ds_store_b64 v3, v[77:78]
.LBB35_199:
	s_or_b32 exec_lo, exec_lo, s0
	s_waitcnt lgkmcnt(0)
	s_waitcnt_vscnt null, 0x0
	s_barrier
	buffer_gl0_inv
	s_clause 0x4
	scratch_load_b128 v[77:80], off, off offset:104
	scratch_load_b128 v[81:84], off, off offset:120
	;; [unrolled: 1-line block ×5, first 2 shown]
	ds_load_b128 v[97:100], v1 offset:400
	ds_load_b128 v[101:104], v1 offset:416
	scratch_load_b128 v[105:108], off, off offset:184
	s_mov_b32 s0, exec_lo
	s_waitcnt vmcnt(5) lgkmcnt(1)
	v_fma_f64 v[79:80], v[79:80], v[97:98], 0
	s_waitcnt vmcnt(4)
	s_delay_alu instid0(VALU_DEP_1) | instskip(SKIP_1) | instid1(VALU_DEP_1)
	v_fma_f64 v[79:80], v[81:82], v[99:100], v[79:80]
	s_waitcnt lgkmcnt(0)
	v_fma_f64 v[83:84], v[83:84], v[101:102], v[79:80]
	scratch_load_b128 v[79:82], off, off offset:200
	s_waitcnt vmcnt(4)
	v_fma_f64 v[101:102], v[85:86], v[103:104], v[83:84]
	ds_load_b128 v[83:86], v1 offset:432
	ds_load_b128 v[97:100], v1 offset:448
	s_waitcnt lgkmcnt(1)
	v_fma_f64 v[83:84], v[87:88], v[83:84], v[101:102]
	scratch_load_b128 v[101:104], off, off offset:216
	s_waitcnt vmcnt(4)
	v_fma_f64 v[83:84], v[89:90], v[85:86], v[83:84]
	s_waitcnt lgkmcnt(0)
	s_delay_alu instid0(VALU_DEP_1)
	v_fma_f64 v[87:88], v[91:92], v[97:98], v[83:84]
	scratch_load_b128 v[83:86], off, off offset:232
	s_waitcnt vmcnt(4)
	v_fma_f64 v[97:98], v[93:94], v[99:100], v[87:88]
	ds_load_b128 v[87:90], v1 offset:464
	ds_load_b128 v[91:94], v1 offset:480
	s_waitcnt lgkmcnt(1)
	v_fma_f64 v[87:88], v[95:96], v[87:88], v[97:98]
	scratch_load_b128 v[95:98], off, off offset:248
	s_waitcnt vmcnt(4)
	v_fma_f64 v[87:88], v[105:106], v[89:90], v[87:88]
	s_waitcnt lgkmcnt(0)
	s_delay_alu instid0(VALU_DEP_1)
	v_fma_f64 v[91:92], v[107:108], v[91:92], v[87:88]
	scratch_load_b128 v[87:90], off, off offset:264
	s_waitcnt vmcnt(4)
	v_fma_f64 v[79:80], v[79:80], v[93:94], v[91:92]
	ds_load_b128 v[91:94], v1 offset:496
	ds_load_b128 v[105:108], v1 offset:512
	scratch_load_b64 v[99:100], off, off offset:280
	s_waitcnt lgkmcnt(1)
	v_fma_f64 v[79:80], v[81:82], v[91:92], v[79:80]
	s_waitcnt vmcnt(4)
	s_delay_alu instid0(VALU_DEP_1) | instskip(SKIP_1) | instid1(VALU_DEP_1)
	v_fma_f64 v[79:80], v[101:102], v[93:94], v[79:80]
	s_waitcnt lgkmcnt(0)
	v_fma_f64 v[79:80], v[103:104], v[105:106], v[79:80]
	s_waitcnt vmcnt(3)
	s_delay_alu instid0(VALU_DEP_1)
	v_fma_f64 v[83:84], v[83:84], v[107:108], v[79:80]
	ds_load_b128 v[79:82], v1 offset:528
	ds_load_b128 v[91:94], v1 offset:544
	s_waitcnt lgkmcnt(1)
	v_fma_f64 v[79:80], v[85:86], v[79:80], v[83:84]
	s_waitcnt vmcnt(2)
	s_delay_alu instid0(VALU_DEP_1) | instskip(SKIP_1) | instid1(VALU_DEP_1)
	v_fma_f64 v[79:80], v[95:96], v[81:82], v[79:80]
	s_waitcnt lgkmcnt(0)
	v_fma_f64 v[79:80], v[97:98], v[91:92], v[79:80]
	s_waitcnt vmcnt(1)
	s_delay_alu instid0(VALU_DEP_1) | instskip(SKIP_4) | instid1(VALU_DEP_1)
	v_fma_f64 v[83:84], v[87:88], v[93:94], v[79:80]
	ds_load_b128 v[79:82], v1 offset:560
	s_waitcnt lgkmcnt(0)
	v_fma_f64 v[1:2], v[89:90], v[79:80], v[83:84]
	s_waitcnt vmcnt(0)
	v_fma_f64 v[1:2], v[99:100], v[81:82], v[1:2]
	s_delay_alu instid0(VALU_DEP_1)
	v_add_f64 v[1:2], v[77:78], -v[1:2]
	scratch_store_b64 off, v[1:2], off offset:104
	v_cmpx_lt_u32_e32 12, v0
	s_cbranch_execz .LBB35_201
; %bb.200:
	scratch_load_b64 v[1:2], off, off offset:96
	v_mov_b32_e32 v77, 0
	s_delay_alu instid0(VALU_DEP_1)
	v_mov_b32_e32 v78, v77
	scratch_store_b64 off, v[77:78], off offset:96
	s_waitcnt vmcnt(0)
	ds_store_b64 v3, v[1:2]
.LBB35_201:
	s_or_b32 exec_lo, exec_lo, s0
	s_waitcnt lgkmcnt(0)
	s_waitcnt_vscnt null, 0x0
	s_barrier
	buffer_gl0_inv
	s_clause 0x4
	scratch_load_b128 v[77:80], off, off offset:96
	scratch_load_b128 v[81:84], off, off offset:112
	;; [unrolled: 1-line block ×5, first 2 shown]
	v_mov_b32_e32 v1, 0
	ds_load_2addr_b64 v[97:100], v1 offset0:49 offset1:50
	ds_load_2addr_b64 v[101:104], v1 offset0:51 offset1:52
	scratch_load_b128 v[105:108], off, off offset:176
	s_mov_b32 s0, exec_lo
	s_waitcnt vmcnt(5) lgkmcnt(1)
	v_fma_f64 v[79:80], v[79:80], v[97:98], 0
	s_waitcnt vmcnt(4)
	s_delay_alu instid0(VALU_DEP_1) | instskip(SKIP_1) | instid1(VALU_DEP_1)
	v_fma_f64 v[79:80], v[81:82], v[99:100], v[79:80]
	s_waitcnt lgkmcnt(0)
	v_fma_f64 v[83:84], v[83:84], v[101:102], v[79:80]
	scratch_load_b128 v[79:82], off, off offset:192
	s_waitcnt vmcnt(4)
	v_fma_f64 v[101:102], v[85:86], v[103:104], v[83:84]
	ds_load_2addr_b64 v[83:86], v1 offset0:53 offset1:54
	ds_load_2addr_b64 v[97:100], v1 offset0:55 offset1:56
	s_waitcnt lgkmcnt(1)
	v_fma_f64 v[83:84], v[87:88], v[83:84], v[101:102]
	scratch_load_b128 v[101:104], off, off offset:208
	s_waitcnt vmcnt(4)
	v_fma_f64 v[83:84], v[89:90], v[85:86], v[83:84]
	s_waitcnt lgkmcnt(0)
	s_delay_alu instid0(VALU_DEP_1)
	v_fma_f64 v[87:88], v[91:92], v[97:98], v[83:84]
	scratch_load_b128 v[83:86], off, off offset:224
	s_waitcnt vmcnt(4)
	v_fma_f64 v[97:98], v[93:94], v[99:100], v[87:88]
	ds_load_2addr_b64 v[87:90], v1 offset0:57 offset1:58
	ds_load_2addr_b64 v[91:94], v1 offset0:59 offset1:60
	s_waitcnt lgkmcnt(1)
	v_fma_f64 v[87:88], v[95:96], v[87:88], v[97:98]
	scratch_load_b128 v[95:98], off, off offset:240
	s_waitcnt vmcnt(4)
	v_fma_f64 v[87:88], v[105:106], v[89:90], v[87:88]
	s_waitcnt lgkmcnt(0)
	s_delay_alu instid0(VALU_DEP_1)
	v_fma_f64 v[91:92], v[107:108], v[91:92], v[87:88]
	scratch_load_b128 v[87:90], off, off offset:256
	s_waitcnt vmcnt(4)
	v_fma_f64 v[79:80], v[79:80], v[93:94], v[91:92]
	ds_load_2addr_b64 v[91:94], v1 offset0:61 offset1:62
	ds_load_2addr_b64 v[105:108], v1 offset0:63 offset1:64
	s_waitcnt lgkmcnt(1)
	v_fma_f64 v[91:92], v[81:82], v[91:92], v[79:80]
	scratch_load_b128 v[79:82], off, off offset:272
	s_waitcnt vmcnt(4)
	v_fma_f64 v[91:92], v[101:102], v[93:94], v[91:92]
	s_waitcnt lgkmcnt(0)
	s_delay_alu instid0(VALU_DEP_1) | instskip(SKIP_1) | instid1(VALU_DEP_1)
	v_fma_f64 v[91:92], v[103:104], v[105:106], v[91:92]
	s_waitcnt vmcnt(3)
	v_fma_f64 v[83:84], v[83:84], v[107:108], v[91:92]
	ds_load_2addr_b64 v[91:94], v1 offset0:65 offset1:66
	ds_load_2addr_b64 v[99:102], v1 offset0:67 offset1:68
	s_waitcnt lgkmcnt(1)
	v_fma_f64 v[83:84], v[85:86], v[91:92], v[83:84]
	s_waitcnt vmcnt(2)
	s_delay_alu instid0(VALU_DEP_1) | instskip(SKIP_1) | instid1(VALU_DEP_1)
	v_fma_f64 v[83:84], v[95:96], v[93:94], v[83:84]
	s_waitcnt lgkmcnt(0)
	v_fma_f64 v[83:84], v[97:98], v[99:100], v[83:84]
	s_waitcnt vmcnt(1)
	s_delay_alu instid0(VALU_DEP_1)
	v_fma_f64 v[87:88], v[87:88], v[101:102], v[83:84]
	ds_load_2addr_b64 v[83:86], v1 offset0:69 offset1:70
	ds_load_b64 v[91:92], v1 offset:568
	s_waitcnt lgkmcnt(1)
	v_fma_f64 v[83:84], v[89:90], v[83:84], v[87:88]
	s_waitcnt vmcnt(0)
	s_delay_alu instid0(VALU_DEP_1) | instskip(SKIP_1) | instid1(VALU_DEP_1)
	v_fma_f64 v[79:80], v[79:80], v[85:86], v[83:84]
	s_waitcnt lgkmcnt(0)
	v_fma_f64 v[79:80], v[81:82], v[91:92], v[79:80]
	s_delay_alu instid0(VALU_DEP_1)
	v_add_f64 v[77:78], v[77:78], -v[79:80]
	scratch_store_b64 off, v[77:78], off offset:96
	v_cmpx_lt_u32_e32 11, v0
	s_cbranch_execz .LBB35_203
; %bb.202:
	scratch_load_b64 v[77:78], off, off offset:88
	v_mov_b32_e32 v2, v1
	scratch_store_b64 off, v[1:2], off offset:88
	s_waitcnt vmcnt(0)
	ds_store_b64 v3, v[77:78]
.LBB35_203:
	s_or_b32 exec_lo, exec_lo, s0
	s_waitcnt lgkmcnt(0)
	s_waitcnt_vscnt null, 0x0
	s_barrier
	buffer_gl0_inv
	s_clause 0x4
	scratch_load_b128 v[77:80], off, off offset:88
	scratch_load_b128 v[81:84], off, off offset:104
	;; [unrolled: 1-line block ×5, first 2 shown]
	ds_load_b128 v[97:100], v1 offset:384
	ds_load_b128 v[101:104], v1 offset:400
	scratch_load_b128 v[105:108], off, off offset:168
	s_mov_b32 s0, exec_lo
	s_waitcnt vmcnt(5) lgkmcnt(1)
	v_fma_f64 v[79:80], v[79:80], v[97:98], 0
	s_waitcnt vmcnt(4)
	s_delay_alu instid0(VALU_DEP_1) | instskip(SKIP_1) | instid1(VALU_DEP_1)
	v_fma_f64 v[79:80], v[81:82], v[99:100], v[79:80]
	s_waitcnt lgkmcnt(0)
	v_fma_f64 v[83:84], v[83:84], v[101:102], v[79:80]
	scratch_load_b128 v[79:82], off, off offset:184
	s_waitcnt vmcnt(4)
	v_fma_f64 v[101:102], v[85:86], v[103:104], v[83:84]
	ds_load_b128 v[83:86], v1 offset:416
	ds_load_b128 v[97:100], v1 offset:432
	s_waitcnt lgkmcnt(1)
	v_fma_f64 v[83:84], v[87:88], v[83:84], v[101:102]
	scratch_load_b128 v[101:104], off, off offset:200
	s_waitcnt vmcnt(4)
	v_fma_f64 v[83:84], v[89:90], v[85:86], v[83:84]
	s_waitcnt lgkmcnt(0)
	s_delay_alu instid0(VALU_DEP_1)
	v_fma_f64 v[87:88], v[91:92], v[97:98], v[83:84]
	scratch_load_b128 v[83:86], off, off offset:216
	s_waitcnt vmcnt(4)
	v_fma_f64 v[97:98], v[93:94], v[99:100], v[87:88]
	ds_load_b128 v[87:90], v1 offset:448
	ds_load_b128 v[91:94], v1 offset:464
	s_waitcnt lgkmcnt(1)
	v_fma_f64 v[87:88], v[95:96], v[87:88], v[97:98]
	scratch_load_b128 v[95:98], off, off offset:232
	s_waitcnt vmcnt(4)
	v_fma_f64 v[87:88], v[105:106], v[89:90], v[87:88]
	s_waitcnt lgkmcnt(0)
	s_delay_alu instid0(VALU_DEP_1)
	;; [unrolled: 13-line block ×3, first 2 shown]
	v_fma_f64 v[91:92], v[103:104], v[105:106], v[91:92]
	scratch_load_b64 v[103:104], off, off offset:280
	s_waitcnt vmcnt(4)
	v_fma_f64 v[83:84], v[83:84], v[107:108], v[91:92]
	ds_load_b128 v[91:94], v1 offset:512
	ds_load_b128 v[99:102], v1 offset:528
	s_waitcnt lgkmcnt(1)
	v_fma_f64 v[83:84], v[85:86], v[91:92], v[83:84]
	s_waitcnt vmcnt(3)
	s_delay_alu instid0(VALU_DEP_1) | instskip(SKIP_1) | instid1(VALU_DEP_1)
	v_fma_f64 v[83:84], v[95:96], v[93:94], v[83:84]
	s_waitcnt lgkmcnt(0)
	v_fma_f64 v[83:84], v[97:98], v[99:100], v[83:84]
	s_waitcnt vmcnt(2)
	s_delay_alu instid0(VALU_DEP_1)
	v_fma_f64 v[87:88], v[87:88], v[101:102], v[83:84]
	ds_load_b128 v[83:86], v1 offset:544
	ds_load_b128 v[91:94], v1 offset:560
	s_waitcnt lgkmcnt(1)
	v_fma_f64 v[1:2], v[89:90], v[83:84], v[87:88]
	s_waitcnt vmcnt(1)
	s_delay_alu instid0(VALU_DEP_1) | instskip(SKIP_1) | instid1(VALU_DEP_1)
	v_fma_f64 v[1:2], v[79:80], v[85:86], v[1:2]
	s_waitcnt lgkmcnt(0)
	v_fma_f64 v[1:2], v[81:82], v[91:92], v[1:2]
	s_waitcnt vmcnt(0)
	s_delay_alu instid0(VALU_DEP_1) | instskip(NEXT) | instid1(VALU_DEP_1)
	v_fma_f64 v[1:2], v[103:104], v[93:94], v[1:2]
	v_add_f64 v[1:2], v[77:78], -v[1:2]
	scratch_store_b64 off, v[1:2], off offset:88
	v_cmpx_lt_u32_e32 10, v0
	s_cbranch_execz .LBB35_205
; %bb.204:
	scratch_load_b64 v[1:2], off, off offset:80
	v_mov_b32_e32 v77, 0
	s_delay_alu instid0(VALU_DEP_1)
	v_mov_b32_e32 v78, v77
	scratch_store_b64 off, v[77:78], off offset:80
	s_waitcnt vmcnt(0)
	ds_store_b64 v3, v[1:2]
.LBB35_205:
	s_or_b32 exec_lo, exec_lo, s0
	s_waitcnt lgkmcnt(0)
	s_waitcnt_vscnt null, 0x0
	s_barrier
	buffer_gl0_inv
	s_clause 0x4
	scratch_load_b128 v[77:80], off, off offset:80
	scratch_load_b128 v[81:84], off, off offset:96
	;; [unrolled: 1-line block ×5, first 2 shown]
	v_mov_b32_e32 v1, 0
	ds_load_2addr_b64 v[97:100], v1 offset0:47 offset1:48
	ds_load_2addr_b64 v[101:104], v1 offset0:49 offset1:50
	scratch_load_b128 v[105:108], off, off offset:160
	s_mov_b32 s0, exec_lo
	s_waitcnt vmcnt(5) lgkmcnt(1)
	v_fma_f64 v[79:80], v[79:80], v[97:98], 0
	s_waitcnt vmcnt(4)
	s_delay_alu instid0(VALU_DEP_1) | instskip(SKIP_1) | instid1(VALU_DEP_1)
	v_fma_f64 v[79:80], v[81:82], v[99:100], v[79:80]
	s_waitcnt lgkmcnt(0)
	v_fma_f64 v[83:84], v[83:84], v[101:102], v[79:80]
	scratch_load_b128 v[79:82], off, off offset:176
	s_waitcnt vmcnt(4)
	v_fma_f64 v[101:102], v[85:86], v[103:104], v[83:84]
	ds_load_2addr_b64 v[83:86], v1 offset0:51 offset1:52
	ds_load_2addr_b64 v[97:100], v1 offset0:53 offset1:54
	s_waitcnt lgkmcnt(1)
	v_fma_f64 v[83:84], v[87:88], v[83:84], v[101:102]
	scratch_load_b128 v[101:104], off, off offset:192
	s_waitcnt vmcnt(4)
	v_fma_f64 v[83:84], v[89:90], v[85:86], v[83:84]
	s_waitcnt lgkmcnt(0)
	s_delay_alu instid0(VALU_DEP_1)
	v_fma_f64 v[87:88], v[91:92], v[97:98], v[83:84]
	scratch_load_b128 v[83:86], off, off offset:208
	s_waitcnt vmcnt(4)
	v_fma_f64 v[97:98], v[93:94], v[99:100], v[87:88]
	ds_load_2addr_b64 v[87:90], v1 offset0:55 offset1:56
	ds_load_2addr_b64 v[91:94], v1 offset0:57 offset1:58
	s_waitcnt lgkmcnt(1)
	v_fma_f64 v[87:88], v[95:96], v[87:88], v[97:98]
	scratch_load_b128 v[95:98], off, off offset:224
	s_waitcnt vmcnt(4)
	v_fma_f64 v[87:88], v[105:106], v[89:90], v[87:88]
	s_waitcnt lgkmcnt(0)
	s_delay_alu instid0(VALU_DEP_1)
	;; [unrolled: 13-line block ×3, first 2 shown]
	v_fma_f64 v[99:100], v[103:104], v[105:106], v[91:92]
	scratch_load_b128 v[91:94], off, off offset:272
	s_waitcnt vmcnt(4)
	v_fma_f64 v[83:84], v[83:84], v[107:108], v[99:100]
	ds_load_2addr_b64 v[99:102], v1 offset0:63 offset1:64
	ds_load_2addr_b64 v[103:106], v1 offset0:65 offset1:66
	s_waitcnt lgkmcnt(1)
	v_fma_f64 v[83:84], v[85:86], v[99:100], v[83:84]
	s_waitcnt vmcnt(3)
	s_delay_alu instid0(VALU_DEP_1) | instskip(SKIP_1) | instid1(VALU_DEP_1)
	v_fma_f64 v[83:84], v[95:96], v[101:102], v[83:84]
	s_waitcnt lgkmcnt(0)
	v_fma_f64 v[83:84], v[97:98], v[103:104], v[83:84]
	s_waitcnt vmcnt(2)
	s_delay_alu instid0(VALU_DEP_1)
	v_fma_f64 v[87:88], v[87:88], v[105:106], v[83:84]
	ds_load_2addr_b64 v[83:86], v1 offset0:67 offset1:68
	ds_load_2addr_b64 v[95:98], v1 offset0:69 offset1:70
	s_waitcnt lgkmcnt(1)
	v_fma_f64 v[83:84], v[89:90], v[83:84], v[87:88]
	s_waitcnt vmcnt(1)
	s_delay_alu instid0(VALU_DEP_1) | instskip(SKIP_1) | instid1(VALU_DEP_1)
	v_fma_f64 v[79:80], v[79:80], v[85:86], v[83:84]
	s_waitcnt lgkmcnt(0)
	v_fma_f64 v[79:80], v[81:82], v[95:96], v[79:80]
	ds_load_b64 v[81:82], v1 offset:568
	s_waitcnt vmcnt(0)
	v_fma_f64 v[79:80], v[91:92], v[97:98], v[79:80]
	s_waitcnt lgkmcnt(0)
	s_delay_alu instid0(VALU_DEP_1) | instskip(NEXT) | instid1(VALU_DEP_1)
	v_fma_f64 v[79:80], v[93:94], v[81:82], v[79:80]
	v_add_f64 v[77:78], v[77:78], -v[79:80]
	scratch_store_b64 off, v[77:78], off offset:80
	v_cmpx_lt_u32_e32 9, v0
	s_cbranch_execz .LBB35_207
; %bb.206:
	scratch_load_b64 v[77:78], off, off offset:72
	v_mov_b32_e32 v2, v1
	scratch_store_b64 off, v[1:2], off offset:72
	s_waitcnt vmcnt(0)
	ds_store_b64 v3, v[77:78]
.LBB35_207:
	s_or_b32 exec_lo, exec_lo, s0
	s_waitcnt lgkmcnt(0)
	s_waitcnt_vscnt null, 0x0
	s_barrier
	buffer_gl0_inv
	s_clause 0x4
	scratch_load_b128 v[77:80], off, off offset:72
	scratch_load_b128 v[81:84], off, off offset:88
	;; [unrolled: 1-line block ×5, first 2 shown]
	ds_load_b128 v[97:100], v1 offset:368
	ds_load_b128 v[101:104], v1 offset:384
	scratch_load_b128 v[105:108], off, off offset:152
	s_mov_b32 s0, exec_lo
	s_waitcnt vmcnt(5) lgkmcnt(1)
	v_fma_f64 v[79:80], v[79:80], v[97:98], 0
	s_waitcnt vmcnt(4)
	s_delay_alu instid0(VALU_DEP_1) | instskip(SKIP_1) | instid1(VALU_DEP_1)
	v_fma_f64 v[79:80], v[81:82], v[99:100], v[79:80]
	s_waitcnt lgkmcnt(0)
	v_fma_f64 v[83:84], v[83:84], v[101:102], v[79:80]
	scratch_load_b128 v[79:82], off, off offset:168
	s_waitcnt vmcnt(4)
	v_fma_f64 v[101:102], v[85:86], v[103:104], v[83:84]
	ds_load_b128 v[83:86], v1 offset:400
	ds_load_b128 v[97:100], v1 offset:416
	s_waitcnt lgkmcnt(1)
	v_fma_f64 v[83:84], v[87:88], v[83:84], v[101:102]
	scratch_load_b128 v[101:104], off, off offset:184
	s_waitcnt vmcnt(4)
	v_fma_f64 v[83:84], v[89:90], v[85:86], v[83:84]
	s_waitcnt lgkmcnt(0)
	s_delay_alu instid0(VALU_DEP_1)
	v_fma_f64 v[87:88], v[91:92], v[97:98], v[83:84]
	scratch_load_b128 v[83:86], off, off offset:200
	s_waitcnt vmcnt(4)
	v_fma_f64 v[97:98], v[93:94], v[99:100], v[87:88]
	ds_load_b128 v[87:90], v1 offset:432
	ds_load_b128 v[91:94], v1 offset:448
	s_waitcnt lgkmcnt(1)
	v_fma_f64 v[87:88], v[95:96], v[87:88], v[97:98]
	scratch_load_b128 v[95:98], off, off offset:216
	s_waitcnt vmcnt(4)
	v_fma_f64 v[87:88], v[105:106], v[89:90], v[87:88]
	s_waitcnt lgkmcnt(0)
	s_delay_alu instid0(VALU_DEP_1)
	;; [unrolled: 13-line block ×3, first 2 shown]
	v_fma_f64 v[99:100], v[103:104], v[105:106], v[91:92]
	scratch_load_b128 v[91:94], off, off offset:264
	s_waitcnt vmcnt(4)
	v_fma_f64 v[83:84], v[83:84], v[107:108], v[99:100]
	ds_load_b128 v[99:102], v1 offset:496
	ds_load_b128 v[103:106], v1 offset:512
	s_waitcnt lgkmcnt(1)
	v_fma_f64 v[83:84], v[85:86], v[99:100], v[83:84]
	scratch_load_b64 v[99:100], off, off offset:280
	s_waitcnt vmcnt(4)
	v_fma_f64 v[83:84], v[95:96], v[101:102], v[83:84]
	s_waitcnt lgkmcnt(0)
	s_delay_alu instid0(VALU_DEP_1) | instskip(SKIP_1) | instid1(VALU_DEP_1)
	v_fma_f64 v[83:84], v[97:98], v[103:104], v[83:84]
	s_waitcnt vmcnt(3)
	v_fma_f64 v[87:88], v[87:88], v[105:106], v[83:84]
	ds_load_b128 v[83:86], v1 offset:528
	ds_load_b128 v[95:98], v1 offset:544
	s_waitcnt lgkmcnt(1)
	v_fma_f64 v[83:84], v[89:90], v[83:84], v[87:88]
	s_waitcnt vmcnt(2)
	s_delay_alu instid0(VALU_DEP_1) | instskip(SKIP_1) | instid1(VALU_DEP_1)
	v_fma_f64 v[79:80], v[79:80], v[85:86], v[83:84]
	s_waitcnt lgkmcnt(0)
	v_fma_f64 v[79:80], v[81:82], v[95:96], v[79:80]
	s_waitcnt vmcnt(1)
	s_delay_alu instid0(VALU_DEP_1) | instskip(SKIP_4) | instid1(VALU_DEP_1)
	v_fma_f64 v[83:84], v[91:92], v[97:98], v[79:80]
	ds_load_b128 v[79:82], v1 offset:560
	s_waitcnt lgkmcnt(0)
	v_fma_f64 v[1:2], v[93:94], v[79:80], v[83:84]
	s_waitcnt vmcnt(0)
	v_fma_f64 v[1:2], v[99:100], v[81:82], v[1:2]
	s_delay_alu instid0(VALU_DEP_1)
	v_add_f64 v[1:2], v[77:78], -v[1:2]
	scratch_store_b64 off, v[1:2], off offset:72
	v_cmpx_lt_u32_e32 8, v0
	s_cbranch_execz .LBB35_209
; %bb.208:
	scratch_load_b64 v[1:2], off, off offset:64
	v_mov_b32_e32 v77, 0
	s_delay_alu instid0(VALU_DEP_1)
	v_mov_b32_e32 v78, v77
	scratch_store_b64 off, v[77:78], off offset:64
	s_waitcnt vmcnt(0)
	ds_store_b64 v3, v[1:2]
.LBB35_209:
	s_or_b32 exec_lo, exec_lo, s0
	s_waitcnt lgkmcnt(0)
	s_waitcnt_vscnt null, 0x0
	s_barrier
	buffer_gl0_inv
	s_clause 0x4
	scratch_load_b128 v[77:80], off, off offset:64
	scratch_load_b128 v[81:84], off, off offset:80
	;; [unrolled: 1-line block ×5, first 2 shown]
	v_mov_b32_e32 v1, 0
	ds_load_2addr_b64 v[97:100], v1 offset0:45 offset1:46
	ds_load_2addr_b64 v[101:104], v1 offset0:47 offset1:48
	scratch_load_b128 v[105:108], off, off offset:144
	s_mov_b32 s0, exec_lo
	s_waitcnt vmcnt(5) lgkmcnt(1)
	v_fma_f64 v[79:80], v[79:80], v[97:98], 0
	s_waitcnt vmcnt(4)
	s_delay_alu instid0(VALU_DEP_1) | instskip(SKIP_1) | instid1(VALU_DEP_1)
	v_fma_f64 v[79:80], v[81:82], v[99:100], v[79:80]
	s_waitcnt lgkmcnt(0)
	v_fma_f64 v[83:84], v[83:84], v[101:102], v[79:80]
	scratch_load_b128 v[79:82], off, off offset:160
	s_waitcnt vmcnt(4)
	v_fma_f64 v[101:102], v[85:86], v[103:104], v[83:84]
	ds_load_2addr_b64 v[83:86], v1 offset0:49 offset1:50
	ds_load_2addr_b64 v[97:100], v1 offset0:51 offset1:52
	s_waitcnt lgkmcnt(1)
	v_fma_f64 v[83:84], v[87:88], v[83:84], v[101:102]
	scratch_load_b128 v[101:104], off, off offset:176
	s_waitcnt vmcnt(4)
	v_fma_f64 v[83:84], v[89:90], v[85:86], v[83:84]
	s_waitcnt lgkmcnt(0)
	s_delay_alu instid0(VALU_DEP_1)
	v_fma_f64 v[87:88], v[91:92], v[97:98], v[83:84]
	scratch_load_b128 v[83:86], off, off offset:192
	s_waitcnt vmcnt(4)
	v_fma_f64 v[97:98], v[93:94], v[99:100], v[87:88]
	ds_load_2addr_b64 v[87:90], v1 offset0:53 offset1:54
	ds_load_2addr_b64 v[91:94], v1 offset0:55 offset1:56
	s_waitcnt lgkmcnt(1)
	v_fma_f64 v[87:88], v[95:96], v[87:88], v[97:98]
	scratch_load_b128 v[95:98], off, off offset:208
	s_waitcnt vmcnt(4)
	v_fma_f64 v[87:88], v[105:106], v[89:90], v[87:88]
	s_waitcnt lgkmcnt(0)
	s_delay_alu instid0(VALU_DEP_1)
	;; [unrolled: 13-line block ×3, first 2 shown]
	v_fma_f64 v[99:100], v[103:104], v[105:106], v[91:92]
	scratch_load_b128 v[91:94], off, off offset:256
	s_waitcnt vmcnt(4)
	v_fma_f64 v[83:84], v[83:84], v[107:108], v[99:100]
	ds_load_2addr_b64 v[99:102], v1 offset0:61 offset1:62
	ds_load_2addr_b64 v[103:106], v1 offset0:63 offset1:64
	s_waitcnt lgkmcnt(1)
	v_fma_f64 v[99:100], v[85:86], v[99:100], v[83:84]
	scratch_load_b128 v[83:86], off, off offset:272
	s_waitcnt vmcnt(4)
	v_fma_f64 v[95:96], v[95:96], v[101:102], v[99:100]
	s_waitcnt lgkmcnt(0)
	s_delay_alu instid0(VALU_DEP_1) | instskip(SKIP_1) | instid1(VALU_DEP_1)
	v_fma_f64 v[95:96], v[97:98], v[103:104], v[95:96]
	s_waitcnt vmcnt(3)
	v_fma_f64 v[87:88], v[87:88], v[105:106], v[95:96]
	ds_load_2addr_b64 v[95:98], v1 offset0:65 offset1:66
	ds_load_2addr_b64 v[99:102], v1 offset0:67 offset1:68
	s_waitcnt lgkmcnt(1)
	v_fma_f64 v[87:88], v[89:90], v[95:96], v[87:88]
	s_waitcnt vmcnt(2)
	s_delay_alu instid0(VALU_DEP_1) | instskip(SKIP_1) | instid1(VALU_DEP_1)
	v_fma_f64 v[79:80], v[79:80], v[97:98], v[87:88]
	s_waitcnt lgkmcnt(0)
	v_fma_f64 v[79:80], v[81:82], v[99:100], v[79:80]
	s_waitcnt vmcnt(1)
	s_delay_alu instid0(VALU_DEP_1)
	v_fma_f64 v[87:88], v[91:92], v[101:102], v[79:80]
	ds_load_2addr_b64 v[79:82], v1 offset0:69 offset1:70
	ds_load_b64 v[89:90], v1 offset:568
	s_waitcnt lgkmcnt(1)
	v_fma_f64 v[79:80], v[93:94], v[79:80], v[87:88]
	s_waitcnt vmcnt(0)
	s_delay_alu instid0(VALU_DEP_1) | instskip(SKIP_1) | instid1(VALU_DEP_1)
	v_fma_f64 v[79:80], v[83:84], v[81:82], v[79:80]
	s_waitcnt lgkmcnt(0)
	v_fma_f64 v[79:80], v[85:86], v[89:90], v[79:80]
	s_delay_alu instid0(VALU_DEP_1)
	v_add_f64 v[77:78], v[77:78], -v[79:80]
	scratch_store_b64 off, v[77:78], off offset:64
	v_cmpx_lt_u32_e32 7, v0
	s_cbranch_execz .LBB35_211
; %bb.210:
	scratch_load_b64 v[77:78], off, off offset:56
	v_mov_b32_e32 v2, v1
	scratch_store_b64 off, v[1:2], off offset:56
	s_waitcnt vmcnt(0)
	ds_store_b64 v3, v[77:78]
.LBB35_211:
	s_or_b32 exec_lo, exec_lo, s0
	s_waitcnt lgkmcnt(0)
	s_waitcnt_vscnt null, 0x0
	s_barrier
	buffer_gl0_inv
	s_clause 0x4
	scratch_load_b128 v[77:80], off, off offset:56
	scratch_load_b128 v[81:84], off, off offset:72
	;; [unrolled: 1-line block ×5, first 2 shown]
	ds_load_b128 v[97:100], v1 offset:352
	ds_load_b128 v[101:104], v1 offset:368
	scratch_load_b128 v[105:108], off, off offset:136
	s_mov_b32 s0, exec_lo
	s_waitcnt vmcnt(5) lgkmcnt(1)
	v_fma_f64 v[79:80], v[79:80], v[97:98], 0
	s_waitcnt vmcnt(4)
	s_delay_alu instid0(VALU_DEP_1) | instskip(SKIP_1) | instid1(VALU_DEP_1)
	v_fma_f64 v[79:80], v[81:82], v[99:100], v[79:80]
	s_waitcnt lgkmcnt(0)
	v_fma_f64 v[83:84], v[83:84], v[101:102], v[79:80]
	scratch_load_b128 v[79:82], off, off offset:152
	s_waitcnt vmcnt(4)
	v_fma_f64 v[101:102], v[85:86], v[103:104], v[83:84]
	ds_load_b128 v[83:86], v1 offset:384
	ds_load_b128 v[97:100], v1 offset:400
	s_waitcnt lgkmcnt(1)
	v_fma_f64 v[83:84], v[87:88], v[83:84], v[101:102]
	scratch_load_b128 v[101:104], off, off offset:168
	s_waitcnt vmcnt(4)
	v_fma_f64 v[83:84], v[89:90], v[85:86], v[83:84]
	s_waitcnt lgkmcnt(0)
	s_delay_alu instid0(VALU_DEP_1)
	v_fma_f64 v[87:88], v[91:92], v[97:98], v[83:84]
	scratch_load_b128 v[83:86], off, off offset:184
	s_waitcnt vmcnt(4)
	v_fma_f64 v[97:98], v[93:94], v[99:100], v[87:88]
	ds_load_b128 v[87:90], v1 offset:416
	ds_load_b128 v[91:94], v1 offset:432
	s_waitcnt lgkmcnt(1)
	v_fma_f64 v[87:88], v[95:96], v[87:88], v[97:98]
	scratch_load_b128 v[95:98], off, off offset:200
	s_waitcnt vmcnt(4)
	v_fma_f64 v[87:88], v[105:106], v[89:90], v[87:88]
	s_waitcnt lgkmcnt(0)
	s_delay_alu instid0(VALU_DEP_1)
	;; [unrolled: 13-line block ×4, first 2 shown]
	v_fma_f64 v[95:96], v[97:98], v[103:104], v[95:96]
	scratch_load_b64 v[103:104], off, off offset:280
	s_waitcnt vmcnt(4)
	v_fma_f64 v[87:88], v[87:88], v[105:106], v[95:96]
	ds_load_b128 v[95:98], v1 offset:512
	ds_load_b128 v[99:102], v1 offset:528
	s_waitcnt lgkmcnt(1)
	v_fma_f64 v[87:88], v[89:90], v[95:96], v[87:88]
	s_waitcnt vmcnt(3)
	s_delay_alu instid0(VALU_DEP_1) | instskip(SKIP_1) | instid1(VALU_DEP_1)
	v_fma_f64 v[79:80], v[79:80], v[97:98], v[87:88]
	s_waitcnt lgkmcnt(0)
	v_fma_f64 v[79:80], v[81:82], v[99:100], v[79:80]
	s_waitcnt vmcnt(2)
	s_delay_alu instid0(VALU_DEP_1)
	v_fma_f64 v[91:92], v[91:92], v[101:102], v[79:80]
	ds_load_b128 v[79:82], v1 offset:544
	ds_load_b128 v[87:90], v1 offset:560
	s_waitcnt lgkmcnt(1)
	v_fma_f64 v[1:2], v[93:94], v[79:80], v[91:92]
	s_waitcnt vmcnt(1)
	s_delay_alu instid0(VALU_DEP_1) | instskip(SKIP_1) | instid1(VALU_DEP_1)
	v_fma_f64 v[1:2], v[83:84], v[81:82], v[1:2]
	s_waitcnt lgkmcnt(0)
	v_fma_f64 v[1:2], v[85:86], v[87:88], v[1:2]
	s_waitcnt vmcnt(0)
	s_delay_alu instid0(VALU_DEP_1) | instskip(NEXT) | instid1(VALU_DEP_1)
	v_fma_f64 v[1:2], v[103:104], v[89:90], v[1:2]
	v_add_f64 v[1:2], v[77:78], -v[1:2]
	scratch_store_b64 off, v[1:2], off offset:56
	v_cmpx_lt_u32_e32 6, v0
	s_cbranch_execz .LBB35_213
; %bb.212:
	scratch_load_b64 v[1:2], off, off offset:48
	v_mov_b32_e32 v77, 0
	s_delay_alu instid0(VALU_DEP_1)
	v_mov_b32_e32 v78, v77
	scratch_store_b64 off, v[77:78], off offset:48
	s_waitcnt vmcnt(0)
	ds_store_b64 v3, v[1:2]
.LBB35_213:
	s_or_b32 exec_lo, exec_lo, s0
	s_waitcnt lgkmcnt(0)
	s_waitcnt_vscnt null, 0x0
	s_barrier
	buffer_gl0_inv
	s_clause 0x4
	scratch_load_b128 v[77:80], off, off offset:48
	scratch_load_b128 v[81:84], off, off offset:64
	;; [unrolled: 1-line block ×5, first 2 shown]
	v_mov_b32_e32 v1, 0
	ds_load_2addr_b64 v[97:100], v1 offset0:43 offset1:44
	ds_load_2addr_b64 v[101:104], v1 offset0:45 offset1:46
	scratch_load_b128 v[105:108], off, off offset:128
	s_mov_b32 s0, exec_lo
	s_waitcnt vmcnt(5) lgkmcnt(1)
	v_fma_f64 v[79:80], v[79:80], v[97:98], 0
	s_waitcnt vmcnt(4)
	s_delay_alu instid0(VALU_DEP_1) | instskip(SKIP_1) | instid1(VALU_DEP_1)
	v_fma_f64 v[79:80], v[81:82], v[99:100], v[79:80]
	s_waitcnt lgkmcnt(0)
	v_fma_f64 v[83:84], v[83:84], v[101:102], v[79:80]
	scratch_load_b128 v[79:82], off, off offset:144
	s_waitcnt vmcnt(4)
	v_fma_f64 v[101:102], v[85:86], v[103:104], v[83:84]
	ds_load_2addr_b64 v[83:86], v1 offset0:47 offset1:48
	ds_load_2addr_b64 v[97:100], v1 offset0:49 offset1:50
	s_waitcnt lgkmcnt(1)
	v_fma_f64 v[83:84], v[87:88], v[83:84], v[101:102]
	scratch_load_b128 v[101:104], off, off offset:160
	s_waitcnt vmcnt(4)
	v_fma_f64 v[83:84], v[89:90], v[85:86], v[83:84]
	s_waitcnt lgkmcnt(0)
	s_delay_alu instid0(VALU_DEP_1)
	v_fma_f64 v[87:88], v[91:92], v[97:98], v[83:84]
	scratch_load_b128 v[83:86], off, off offset:176
	s_waitcnt vmcnt(4)
	v_fma_f64 v[97:98], v[93:94], v[99:100], v[87:88]
	ds_load_2addr_b64 v[87:90], v1 offset0:51 offset1:52
	ds_load_2addr_b64 v[91:94], v1 offset0:53 offset1:54
	s_waitcnt lgkmcnt(1)
	v_fma_f64 v[87:88], v[95:96], v[87:88], v[97:98]
	scratch_load_b128 v[95:98], off, off offset:192
	s_waitcnt vmcnt(4)
	v_fma_f64 v[87:88], v[105:106], v[89:90], v[87:88]
	s_waitcnt lgkmcnt(0)
	s_delay_alu instid0(VALU_DEP_1)
	;; [unrolled: 13-line block ×4, first 2 shown]
	v_fma_f64 v[99:100], v[97:98], v[103:104], v[95:96]
	scratch_load_b128 v[95:98], off, off offset:272
	s_waitcnt vmcnt(4)
	v_fma_f64 v[87:88], v[87:88], v[105:106], v[99:100]
	ds_load_2addr_b64 v[99:102], v1 offset0:63 offset1:64
	ds_load_2addr_b64 v[103:106], v1 offset0:65 offset1:66
	s_waitcnt lgkmcnt(1)
	v_fma_f64 v[87:88], v[89:90], v[99:100], v[87:88]
	s_waitcnt vmcnt(3)
	s_delay_alu instid0(VALU_DEP_1) | instskip(SKIP_1) | instid1(VALU_DEP_1)
	v_fma_f64 v[79:80], v[79:80], v[101:102], v[87:88]
	s_waitcnt lgkmcnt(0)
	v_fma_f64 v[79:80], v[81:82], v[103:104], v[79:80]
	s_waitcnt vmcnt(2)
	s_delay_alu instid0(VALU_DEP_1)
	v_fma_f64 v[91:92], v[91:92], v[105:106], v[79:80]
	ds_load_2addr_b64 v[79:82], v1 offset0:67 offset1:68
	ds_load_2addr_b64 v[87:90], v1 offset0:69 offset1:70
	s_waitcnt lgkmcnt(1)
	v_fma_f64 v[79:80], v[93:94], v[79:80], v[91:92]
	s_waitcnt vmcnt(1)
	s_delay_alu instid0(VALU_DEP_1) | instskip(SKIP_4) | instid1(VALU_DEP_1)
	v_fma_f64 v[79:80], v[83:84], v[81:82], v[79:80]
	ds_load_b64 v[81:82], v1 offset:568
	s_waitcnt lgkmcnt(1)
	v_fma_f64 v[79:80], v[85:86], v[87:88], v[79:80]
	s_waitcnt vmcnt(0)
	v_fma_f64 v[79:80], v[95:96], v[89:90], v[79:80]
	s_waitcnt lgkmcnt(0)
	s_delay_alu instid0(VALU_DEP_1) | instskip(NEXT) | instid1(VALU_DEP_1)
	v_fma_f64 v[79:80], v[97:98], v[81:82], v[79:80]
	v_add_f64 v[77:78], v[77:78], -v[79:80]
	scratch_store_b64 off, v[77:78], off offset:48
	v_cmpx_lt_u32_e32 5, v0
	s_cbranch_execz .LBB35_215
; %bb.214:
	scratch_load_b64 v[77:78], off, off offset:40
	v_mov_b32_e32 v2, v1
	scratch_store_b64 off, v[1:2], off offset:40
	s_waitcnt vmcnt(0)
	ds_store_b64 v3, v[77:78]
.LBB35_215:
	s_or_b32 exec_lo, exec_lo, s0
	s_waitcnt lgkmcnt(0)
	s_waitcnt_vscnt null, 0x0
	s_barrier
	buffer_gl0_inv
	s_clause 0x4
	scratch_load_b128 v[77:80], off, off offset:40
	scratch_load_b128 v[81:84], off, off offset:56
	;; [unrolled: 1-line block ×5, first 2 shown]
	ds_load_b128 v[97:100], v1 offset:336
	ds_load_b128 v[101:104], v1 offset:352
	scratch_load_b128 v[105:108], off, off offset:120
	s_mov_b32 s0, exec_lo
	s_waitcnt vmcnt(5) lgkmcnt(1)
	v_fma_f64 v[79:80], v[79:80], v[97:98], 0
	s_waitcnt vmcnt(4)
	s_delay_alu instid0(VALU_DEP_1) | instskip(SKIP_1) | instid1(VALU_DEP_1)
	v_fma_f64 v[79:80], v[81:82], v[99:100], v[79:80]
	s_waitcnt lgkmcnt(0)
	v_fma_f64 v[83:84], v[83:84], v[101:102], v[79:80]
	scratch_load_b128 v[79:82], off, off offset:136
	s_waitcnt vmcnt(4)
	v_fma_f64 v[101:102], v[85:86], v[103:104], v[83:84]
	ds_load_b128 v[83:86], v1 offset:368
	ds_load_b128 v[97:100], v1 offset:384
	s_waitcnt lgkmcnt(1)
	v_fma_f64 v[83:84], v[87:88], v[83:84], v[101:102]
	scratch_load_b128 v[101:104], off, off offset:152
	s_waitcnt vmcnt(4)
	v_fma_f64 v[83:84], v[89:90], v[85:86], v[83:84]
	s_waitcnt lgkmcnt(0)
	s_delay_alu instid0(VALU_DEP_1)
	v_fma_f64 v[87:88], v[91:92], v[97:98], v[83:84]
	scratch_load_b128 v[83:86], off, off offset:168
	s_waitcnt vmcnt(4)
	v_fma_f64 v[97:98], v[93:94], v[99:100], v[87:88]
	ds_load_b128 v[87:90], v1 offset:400
	ds_load_b128 v[91:94], v1 offset:416
	s_waitcnt lgkmcnt(1)
	v_fma_f64 v[87:88], v[95:96], v[87:88], v[97:98]
	scratch_load_b128 v[95:98], off, off offset:184
	s_waitcnt vmcnt(4)
	v_fma_f64 v[87:88], v[105:106], v[89:90], v[87:88]
	s_waitcnt lgkmcnt(0)
	s_delay_alu instid0(VALU_DEP_1)
	v_fma_f64 v[91:92], v[107:108], v[91:92], v[87:88]
	scratch_load_b128 v[87:90], off, off offset:200
	s_waitcnt vmcnt(4)
	v_fma_f64 v[79:80], v[79:80], v[93:94], v[91:92]
	ds_load_b128 v[91:94], v1 offset:432
	ds_load_b128 v[105:108], v1 offset:448
	s_waitcnt lgkmcnt(1)
	v_fma_f64 v[91:92], v[81:82], v[91:92], v[79:80]
	scratch_load_b128 v[79:82], off, off offset:216
	s_waitcnt vmcnt(4)
	v_fma_f64 v[91:92], v[101:102], v[93:94], v[91:92]
	s_waitcnt lgkmcnt(0)
	s_delay_alu instid0(VALU_DEP_1)
	v_fma_f64 v[99:100], v[103:104], v[105:106], v[91:92]
	scratch_load_b128 v[91:94], off, off offset:232
	s_waitcnt vmcnt(4)
	v_fma_f64 v[83:84], v[83:84], v[107:108], v[99:100]
	ds_load_b128 v[99:102], v1 offset:464
	ds_load_b128 v[103:106], v1 offset:480
	s_waitcnt lgkmcnt(1)
	v_fma_f64 v[99:100], v[85:86], v[99:100], v[83:84]
	scratch_load_b128 v[83:86], off, off offset:248
	s_waitcnt vmcnt(4)
	v_fma_f64 v[95:96], v[95:96], v[101:102], v[99:100]
	s_waitcnt lgkmcnt(0)
	s_delay_alu instid0(VALU_DEP_1)
	v_fma_f64 v[99:100], v[97:98], v[103:104], v[95:96]
	scratch_load_b128 v[95:98], off, off offset:264
	s_waitcnt vmcnt(4)
	v_fma_f64 v[87:88], v[87:88], v[105:106], v[99:100]
	ds_load_b128 v[99:102], v1 offset:496
	ds_load_b128 v[103:106], v1 offset:512
	s_waitcnt lgkmcnt(1)
	v_fma_f64 v[87:88], v[89:90], v[99:100], v[87:88]
	scratch_load_b64 v[99:100], off, off offset:280
	s_waitcnt vmcnt(4)
	v_fma_f64 v[79:80], v[79:80], v[101:102], v[87:88]
	s_waitcnt lgkmcnt(0)
	s_delay_alu instid0(VALU_DEP_1) | instskip(SKIP_1) | instid1(VALU_DEP_1)
	v_fma_f64 v[79:80], v[81:82], v[103:104], v[79:80]
	s_waitcnt vmcnt(3)
	v_fma_f64 v[91:92], v[91:92], v[105:106], v[79:80]
	ds_load_b128 v[79:82], v1 offset:528
	ds_load_b128 v[87:90], v1 offset:544
	s_waitcnt lgkmcnt(1)
	v_fma_f64 v[79:80], v[93:94], v[79:80], v[91:92]
	s_waitcnt vmcnt(2)
	s_delay_alu instid0(VALU_DEP_1) | instskip(SKIP_1) | instid1(VALU_DEP_1)
	v_fma_f64 v[79:80], v[83:84], v[81:82], v[79:80]
	s_waitcnt lgkmcnt(0)
	v_fma_f64 v[79:80], v[85:86], v[87:88], v[79:80]
	s_waitcnt vmcnt(1)
	s_delay_alu instid0(VALU_DEP_1) | instskip(SKIP_4) | instid1(VALU_DEP_1)
	v_fma_f64 v[83:84], v[95:96], v[89:90], v[79:80]
	ds_load_b128 v[79:82], v1 offset:560
	s_waitcnt lgkmcnt(0)
	v_fma_f64 v[1:2], v[97:98], v[79:80], v[83:84]
	s_waitcnt vmcnt(0)
	v_fma_f64 v[1:2], v[99:100], v[81:82], v[1:2]
	s_delay_alu instid0(VALU_DEP_1)
	v_add_f64 v[1:2], v[77:78], -v[1:2]
	scratch_store_b64 off, v[1:2], off offset:40
	v_cmpx_lt_u32_e32 4, v0
	s_cbranch_execz .LBB35_217
; %bb.216:
	scratch_load_b64 v[1:2], off, off offset:32
	v_mov_b32_e32 v77, 0
	s_delay_alu instid0(VALU_DEP_1)
	v_mov_b32_e32 v78, v77
	scratch_store_b64 off, v[77:78], off offset:32
	s_waitcnt vmcnt(0)
	ds_store_b64 v3, v[1:2]
.LBB35_217:
	s_or_b32 exec_lo, exec_lo, s0
	s_waitcnt lgkmcnt(0)
	s_waitcnt_vscnt null, 0x0
	s_barrier
	buffer_gl0_inv
	s_clause 0x4
	scratch_load_b128 v[77:80], off, off offset:32
	scratch_load_b128 v[81:84], off, off offset:48
	;; [unrolled: 1-line block ×5, first 2 shown]
	v_mov_b32_e32 v1, 0
	ds_load_2addr_b64 v[97:100], v1 offset0:41 offset1:42
	ds_load_2addr_b64 v[101:104], v1 offset0:43 offset1:44
	scratch_load_b128 v[105:108], off, off offset:112
	s_mov_b32 s0, exec_lo
	s_waitcnt vmcnt(5) lgkmcnt(1)
	v_fma_f64 v[79:80], v[79:80], v[97:98], 0
	s_waitcnt vmcnt(4)
	s_delay_alu instid0(VALU_DEP_1) | instskip(SKIP_1) | instid1(VALU_DEP_1)
	v_fma_f64 v[79:80], v[81:82], v[99:100], v[79:80]
	s_waitcnt lgkmcnt(0)
	v_fma_f64 v[83:84], v[83:84], v[101:102], v[79:80]
	scratch_load_b128 v[79:82], off, off offset:128
	s_waitcnt vmcnt(4)
	v_fma_f64 v[101:102], v[85:86], v[103:104], v[83:84]
	ds_load_2addr_b64 v[83:86], v1 offset0:45 offset1:46
	ds_load_2addr_b64 v[97:100], v1 offset0:47 offset1:48
	s_waitcnt lgkmcnt(1)
	v_fma_f64 v[83:84], v[87:88], v[83:84], v[101:102]
	scratch_load_b128 v[101:104], off, off offset:144
	s_waitcnt vmcnt(4)
	v_fma_f64 v[83:84], v[89:90], v[85:86], v[83:84]
	s_waitcnt lgkmcnt(0)
	s_delay_alu instid0(VALU_DEP_1)
	v_fma_f64 v[87:88], v[91:92], v[97:98], v[83:84]
	scratch_load_b128 v[83:86], off, off offset:160
	s_waitcnt vmcnt(4)
	v_fma_f64 v[97:98], v[93:94], v[99:100], v[87:88]
	ds_load_2addr_b64 v[87:90], v1 offset0:49 offset1:50
	ds_load_2addr_b64 v[91:94], v1 offset0:51 offset1:52
	s_waitcnt lgkmcnt(1)
	v_fma_f64 v[87:88], v[95:96], v[87:88], v[97:98]
	scratch_load_b128 v[95:98], off, off offset:176
	s_waitcnt vmcnt(4)
	v_fma_f64 v[87:88], v[105:106], v[89:90], v[87:88]
	s_waitcnt lgkmcnt(0)
	s_delay_alu instid0(VALU_DEP_1)
	;; [unrolled: 13-line block ×4, first 2 shown]
	v_fma_f64 v[99:100], v[97:98], v[103:104], v[95:96]
	scratch_load_b128 v[95:98], off, off offset:256
	s_waitcnt vmcnt(4)
	v_fma_f64 v[87:88], v[87:88], v[105:106], v[99:100]
	ds_load_2addr_b64 v[99:102], v1 offset0:61 offset1:62
	ds_load_2addr_b64 v[103:106], v1 offset0:63 offset1:64
	s_waitcnt lgkmcnt(1)
	v_fma_f64 v[99:100], v[89:90], v[99:100], v[87:88]
	scratch_load_b128 v[87:90], off, off offset:272
	s_waitcnt vmcnt(4)
	v_fma_f64 v[79:80], v[79:80], v[101:102], v[99:100]
	s_waitcnt lgkmcnt(0)
	s_delay_alu instid0(VALU_DEP_1) | instskip(SKIP_1) | instid1(VALU_DEP_1)
	v_fma_f64 v[79:80], v[81:82], v[103:104], v[79:80]
	s_waitcnt vmcnt(3)
	v_fma_f64 v[91:92], v[91:92], v[105:106], v[79:80]
	ds_load_2addr_b64 v[79:82], v1 offset0:65 offset1:66
	ds_load_2addr_b64 v[99:102], v1 offset0:67 offset1:68
	s_waitcnt lgkmcnt(1)
	v_fma_f64 v[79:80], v[93:94], v[79:80], v[91:92]
	s_waitcnt vmcnt(2)
	s_delay_alu instid0(VALU_DEP_1) | instskip(SKIP_1) | instid1(VALU_DEP_1)
	v_fma_f64 v[79:80], v[83:84], v[81:82], v[79:80]
	s_waitcnt lgkmcnt(0)
	v_fma_f64 v[79:80], v[85:86], v[99:100], v[79:80]
	s_waitcnt vmcnt(1)
	s_delay_alu instid0(VALU_DEP_1)
	v_fma_f64 v[83:84], v[95:96], v[101:102], v[79:80]
	ds_load_2addr_b64 v[79:82], v1 offset0:69 offset1:70
	ds_load_b64 v[85:86], v1 offset:568
	s_waitcnt lgkmcnt(1)
	v_fma_f64 v[79:80], v[97:98], v[79:80], v[83:84]
	s_waitcnt vmcnt(0)
	s_delay_alu instid0(VALU_DEP_1) | instskip(SKIP_1) | instid1(VALU_DEP_1)
	v_fma_f64 v[79:80], v[87:88], v[81:82], v[79:80]
	s_waitcnt lgkmcnt(0)
	v_fma_f64 v[79:80], v[89:90], v[85:86], v[79:80]
	s_delay_alu instid0(VALU_DEP_1)
	v_add_f64 v[77:78], v[77:78], -v[79:80]
	scratch_store_b64 off, v[77:78], off offset:32
	v_cmpx_lt_u32_e32 3, v0
	s_cbranch_execz .LBB35_219
; %bb.218:
	scratch_load_b64 v[77:78], off, off offset:24
	v_mov_b32_e32 v2, v1
	scratch_store_b64 off, v[1:2], off offset:24
	s_waitcnt vmcnt(0)
	ds_store_b64 v3, v[77:78]
.LBB35_219:
	s_or_b32 exec_lo, exec_lo, s0
	s_waitcnt lgkmcnt(0)
	s_waitcnt_vscnt null, 0x0
	s_barrier
	buffer_gl0_inv
	s_clause 0x4
	scratch_load_b128 v[77:80], off, off offset:24
	scratch_load_b128 v[81:84], off, off offset:40
	;; [unrolled: 1-line block ×5, first 2 shown]
	ds_load_b128 v[97:100], v1 offset:320
	ds_load_b128 v[101:104], v1 offset:336
	scratch_load_b128 v[105:108], off, off offset:104
	s_mov_b32 s0, exec_lo
	s_waitcnt vmcnt(5) lgkmcnt(1)
	v_fma_f64 v[79:80], v[79:80], v[97:98], 0
	s_waitcnt vmcnt(4)
	s_delay_alu instid0(VALU_DEP_1) | instskip(SKIP_1) | instid1(VALU_DEP_1)
	v_fma_f64 v[79:80], v[81:82], v[99:100], v[79:80]
	s_waitcnt lgkmcnt(0)
	v_fma_f64 v[83:84], v[83:84], v[101:102], v[79:80]
	scratch_load_b128 v[79:82], off, off offset:120
	s_waitcnt vmcnt(4)
	v_fma_f64 v[101:102], v[85:86], v[103:104], v[83:84]
	ds_load_b128 v[83:86], v1 offset:352
	ds_load_b128 v[97:100], v1 offset:368
	s_waitcnt lgkmcnt(1)
	v_fma_f64 v[83:84], v[87:88], v[83:84], v[101:102]
	scratch_load_b128 v[101:104], off, off offset:136
	s_waitcnt vmcnt(4)
	v_fma_f64 v[83:84], v[89:90], v[85:86], v[83:84]
	s_waitcnt lgkmcnt(0)
	s_delay_alu instid0(VALU_DEP_1)
	v_fma_f64 v[87:88], v[91:92], v[97:98], v[83:84]
	scratch_load_b128 v[83:86], off, off offset:152
	s_waitcnt vmcnt(4)
	v_fma_f64 v[97:98], v[93:94], v[99:100], v[87:88]
	ds_load_b128 v[87:90], v1 offset:384
	ds_load_b128 v[91:94], v1 offset:400
	s_waitcnt lgkmcnt(1)
	v_fma_f64 v[87:88], v[95:96], v[87:88], v[97:98]
	scratch_load_b128 v[95:98], off, off offset:168
	s_waitcnt vmcnt(4)
	v_fma_f64 v[87:88], v[105:106], v[89:90], v[87:88]
	s_waitcnt lgkmcnt(0)
	s_delay_alu instid0(VALU_DEP_1)
	;; [unrolled: 13-line block ×5, first 2 shown]
	v_fma_f64 v[79:80], v[81:82], v[103:104], v[79:80]
	scratch_load_b64 v[103:104], off, off offset:280
	s_waitcnt vmcnt(4)
	v_fma_f64 v[91:92], v[91:92], v[105:106], v[79:80]
	ds_load_b128 v[79:82], v1 offset:512
	ds_load_b128 v[99:102], v1 offset:528
	s_waitcnt lgkmcnt(1)
	v_fma_f64 v[79:80], v[93:94], v[79:80], v[91:92]
	s_waitcnt vmcnt(3)
	s_delay_alu instid0(VALU_DEP_1) | instskip(SKIP_1) | instid1(VALU_DEP_1)
	v_fma_f64 v[79:80], v[83:84], v[81:82], v[79:80]
	s_waitcnt lgkmcnt(0)
	v_fma_f64 v[79:80], v[85:86], v[99:100], v[79:80]
	s_waitcnt vmcnt(2)
	s_delay_alu instid0(VALU_DEP_1)
	v_fma_f64 v[91:92], v[95:96], v[101:102], v[79:80]
	ds_load_b128 v[79:82], v1 offset:544
	ds_load_b128 v[83:86], v1 offset:560
	s_waitcnt lgkmcnt(1)
	v_fma_f64 v[1:2], v[97:98], v[79:80], v[91:92]
	s_waitcnt vmcnt(1)
	s_delay_alu instid0(VALU_DEP_1) | instskip(SKIP_1) | instid1(VALU_DEP_1)
	v_fma_f64 v[1:2], v[87:88], v[81:82], v[1:2]
	s_waitcnt lgkmcnt(0)
	v_fma_f64 v[1:2], v[89:90], v[83:84], v[1:2]
	s_waitcnt vmcnt(0)
	s_delay_alu instid0(VALU_DEP_1) | instskip(NEXT) | instid1(VALU_DEP_1)
	v_fma_f64 v[1:2], v[103:104], v[85:86], v[1:2]
	v_add_f64 v[1:2], v[77:78], -v[1:2]
	scratch_store_b64 off, v[1:2], off offset:24
	v_cmpx_lt_u32_e32 2, v0
	s_cbranch_execz .LBB35_221
; %bb.220:
	scratch_load_b64 v[1:2], off, off offset:16
	v_mov_b32_e32 v77, 0
	s_delay_alu instid0(VALU_DEP_1)
	v_mov_b32_e32 v78, v77
	scratch_store_b64 off, v[77:78], off offset:16
	s_waitcnt vmcnt(0)
	ds_store_b64 v3, v[1:2]
.LBB35_221:
	s_or_b32 exec_lo, exec_lo, s0
	s_waitcnt lgkmcnt(0)
	s_waitcnt_vscnt null, 0x0
	s_barrier
	buffer_gl0_inv
	s_clause 0x4
	scratch_load_b128 v[77:80], off, off offset:16
	scratch_load_b128 v[81:84], off, off offset:32
	;; [unrolled: 1-line block ×5, first 2 shown]
	v_mov_b32_e32 v1, 0
	ds_load_2addr_b64 v[97:100], v1 offset0:39 offset1:40
	ds_load_2addr_b64 v[101:104], v1 offset0:41 offset1:42
	scratch_load_b128 v[105:108], off, off offset:96
	s_mov_b32 s0, exec_lo
	s_waitcnt vmcnt(5) lgkmcnt(1)
	v_fma_f64 v[79:80], v[79:80], v[97:98], 0
	s_waitcnt vmcnt(4)
	s_delay_alu instid0(VALU_DEP_1) | instskip(SKIP_1) | instid1(VALU_DEP_1)
	v_fma_f64 v[79:80], v[81:82], v[99:100], v[79:80]
	s_waitcnt lgkmcnt(0)
	v_fma_f64 v[83:84], v[83:84], v[101:102], v[79:80]
	scratch_load_b128 v[79:82], off, off offset:112
	s_waitcnt vmcnt(4)
	v_fma_f64 v[101:102], v[85:86], v[103:104], v[83:84]
	ds_load_2addr_b64 v[83:86], v1 offset0:43 offset1:44
	ds_load_2addr_b64 v[97:100], v1 offset0:45 offset1:46
	s_waitcnt lgkmcnt(1)
	v_fma_f64 v[83:84], v[87:88], v[83:84], v[101:102]
	scratch_load_b128 v[101:104], off, off offset:128
	s_waitcnt vmcnt(4)
	v_fma_f64 v[83:84], v[89:90], v[85:86], v[83:84]
	s_waitcnt lgkmcnt(0)
	s_delay_alu instid0(VALU_DEP_1)
	v_fma_f64 v[87:88], v[91:92], v[97:98], v[83:84]
	scratch_load_b128 v[83:86], off, off offset:144
	s_waitcnt vmcnt(4)
	v_fma_f64 v[97:98], v[93:94], v[99:100], v[87:88]
	ds_load_2addr_b64 v[87:90], v1 offset0:47 offset1:48
	ds_load_2addr_b64 v[91:94], v1 offset0:49 offset1:50
	s_waitcnt lgkmcnt(1)
	v_fma_f64 v[87:88], v[95:96], v[87:88], v[97:98]
	scratch_load_b128 v[95:98], off, off offset:160
	s_waitcnt vmcnt(4)
	v_fma_f64 v[87:88], v[105:106], v[89:90], v[87:88]
	s_waitcnt lgkmcnt(0)
	s_delay_alu instid0(VALU_DEP_1)
	;; [unrolled: 13-line block ×5, first 2 shown]
	v_fma_f64 v[99:100], v[81:82], v[103:104], v[79:80]
	scratch_load_b128 v[79:82], off, off offset:272
	s_waitcnt vmcnt(4)
	v_fma_f64 v[91:92], v[91:92], v[105:106], v[99:100]
	ds_load_2addr_b64 v[99:102], v1 offset0:63 offset1:64
	ds_load_2addr_b64 v[103:106], v1 offset0:65 offset1:66
	s_waitcnt lgkmcnt(1)
	v_fma_f64 v[91:92], v[93:94], v[99:100], v[91:92]
	s_waitcnt vmcnt(3)
	s_delay_alu instid0(VALU_DEP_1) | instskip(SKIP_1) | instid1(VALU_DEP_1)
	v_fma_f64 v[83:84], v[83:84], v[101:102], v[91:92]
	s_waitcnt lgkmcnt(0)
	v_fma_f64 v[83:84], v[85:86], v[103:104], v[83:84]
	s_waitcnt vmcnt(2)
	s_delay_alu instid0(VALU_DEP_1)
	v_fma_f64 v[95:96], v[95:96], v[105:106], v[83:84]
	ds_load_2addr_b64 v[83:86], v1 offset0:67 offset1:68
	ds_load_2addr_b64 v[91:94], v1 offset0:69 offset1:70
	s_waitcnt lgkmcnt(1)
	v_fma_f64 v[83:84], v[97:98], v[83:84], v[95:96]
	s_waitcnt vmcnt(1)
	s_delay_alu instid0(VALU_DEP_1) | instskip(SKIP_1) | instid1(VALU_DEP_1)
	v_fma_f64 v[83:84], v[87:88], v[85:86], v[83:84]
	s_waitcnt lgkmcnt(0)
	v_fma_f64 v[83:84], v[89:90], v[91:92], v[83:84]
	s_waitcnt vmcnt(0)
	s_delay_alu instid0(VALU_DEP_1) | instskip(SKIP_3) | instid1(VALU_DEP_1)
	v_fma_f64 v[79:80], v[79:80], v[93:94], v[83:84]
	ds_load_b64 v[83:84], v1 offset:568
	s_waitcnt lgkmcnt(0)
	v_fma_f64 v[79:80], v[81:82], v[83:84], v[79:80]
	v_add_f64 v[77:78], v[77:78], -v[79:80]
	scratch_store_b64 off, v[77:78], off offset:16
	v_cmpx_lt_u32_e32 1, v0
	s_cbranch_execz .LBB35_223
; %bb.222:
	scratch_load_b64 v[77:78], off, off offset:8
	v_mov_b32_e32 v2, v1
	scratch_store_b64 off, v[1:2], off offset:8
	s_waitcnt vmcnt(0)
	ds_store_b64 v3, v[77:78]
.LBB35_223:
	s_or_b32 exec_lo, exec_lo, s0
	s_waitcnt lgkmcnt(0)
	s_waitcnt_vscnt null, 0x0
	s_barrier
	buffer_gl0_inv
	s_clause 0x4
	scratch_load_b128 v[77:80], off, off offset:8
	scratch_load_b128 v[81:84], off, off offset:24
	;; [unrolled: 1-line block ×5, first 2 shown]
	ds_load_b128 v[97:100], v1 offset:304
	ds_load_b128 v[101:104], v1 offset:320
	scratch_load_b128 v[105:108], off, off offset:88
	s_mov_b32 s0, exec_lo
	s_waitcnt vmcnt(5) lgkmcnt(1)
	v_fma_f64 v[79:80], v[79:80], v[97:98], 0
	s_waitcnt vmcnt(4)
	s_delay_alu instid0(VALU_DEP_1) | instskip(SKIP_1) | instid1(VALU_DEP_1)
	v_fma_f64 v[79:80], v[81:82], v[99:100], v[79:80]
	s_waitcnt lgkmcnt(0)
	v_fma_f64 v[83:84], v[83:84], v[101:102], v[79:80]
	scratch_load_b128 v[79:82], off, off offset:104
	s_waitcnt vmcnt(4)
	v_fma_f64 v[101:102], v[85:86], v[103:104], v[83:84]
	ds_load_b128 v[83:86], v1 offset:336
	ds_load_b128 v[97:100], v1 offset:352
	s_waitcnt lgkmcnt(1)
	v_fma_f64 v[83:84], v[87:88], v[83:84], v[101:102]
	scratch_load_b128 v[101:104], off, off offset:120
	s_waitcnt vmcnt(4)
	v_fma_f64 v[83:84], v[89:90], v[85:86], v[83:84]
	s_waitcnt lgkmcnt(0)
	s_delay_alu instid0(VALU_DEP_1)
	v_fma_f64 v[87:88], v[91:92], v[97:98], v[83:84]
	scratch_load_b128 v[83:86], off, off offset:136
	s_waitcnt vmcnt(4)
	v_fma_f64 v[97:98], v[93:94], v[99:100], v[87:88]
	ds_load_b128 v[87:90], v1 offset:368
	ds_load_b128 v[91:94], v1 offset:384
	s_waitcnt lgkmcnt(1)
	v_fma_f64 v[87:88], v[95:96], v[87:88], v[97:98]
	scratch_load_b128 v[95:98], off, off offset:152
	s_waitcnt vmcnt(4)
	v_fma_f64 v[87:88], v[105:106], v[89:90], v[87:88]
	s_waitcnt lgkmcnt(0)
	s_delay_alu instid0(VALU_DEP_1)
	;; [unrolled: 13-line block ×5, first 2 shown]
	v_fma_f64 v[99:100], v[81:82], v[103:104], v[79:80]
	scratch_load_b128 v[79:82], off, off offset:264
	s_waitcnt vmcnt(4)
	v_fma_f64 v[91:92], v[91:92], v[105:106], v[99:100]
	ds_load_b128 v[99:102], v1 offset:496
	ds_load_b128 v[103:106], v1 offset:512
	s_waitcnt lgkmcnt(1)
	v_fma_f64 v[91:92], v[93:94], v[99:100], v[91:92]
	scratch_load_b64 v[99:100], off, off offset:280
	s_waitcnt vmcnt(4)
	v_fma_f64 v[83:84], v[83:84], v[101:102], v[91:92]
	s_waitcnt lgkmcnt(0)
	s_delay_alu instid0(VALU_DEP_1) | instskip(SKIP_1) | instid1(VALU_DEP_1)
	v_fma_f64 v[83:84], v[85:86], v[103:104], v[83:84]
	s_waitcnt vmcnt(3)
	v_fma_f64 v[95:96], v[95:96], v[105:106], v[83:84]
	ds_load_b128 v[83:86], v1 offset:528
	ds_load_b128 v[91:94], v1 offset:544
	s_waitcnt lgkmcnt(1)
	v_fma_f64 v[83:84], v[97:98], v[83:84], v[95:96]
	s_waitcnt vmcnt(2)
	s_delay_alu instid0(VALU_DEP_1) | instskip(SKIP_1) | instid1(VALU_DEP_1)
	v_fma_f64 v[83:84], v[87:88], v[85:86], v[83:84]
	s_waitcnt lgkmcnt(0)
	v_fma_f64 v[83:84], v[89:90], v[91:92], v[83:84]
	s_waitcnt vmcnt(1)
	s_delay_alu instid0(VALU_DEP_1) | instskip(SKIP_4) | instid1(VALU_DEP_1)
	v_fma_f64 v[79:80], v[79:80], v[93:94], v[83:84]
	ds_load_b128 v[83:86], v1 offset:560
	s_waitcnt lgkmcnt(0)
	v_fma_f64 v[1:2], v[81:82], v[83:84], v[79:80]
	s_waitcnt vmcnt(0)
	v_fma_f64 v[1:2], v[99:100], v[85:86], v[1:2]
	s_delay_alu instid0(VALU_DEP_1)
	v_add_f64 v[1:2], v[77:78], -v[1:2]
	scratch_store_b64 off, v[1:2], off offset:8
	v_cmpx_ne_u32_e32 0, v0
	s_cbranch_execz .LBB35_225
; %bb.224:
	scratch_load_b64 v[0:1], off, off
	v_mov_b32_e32 v77, 0
	s_delay_alu instid0(VALU_DEP_1)
	v_mov_b32_e32 v78, v77
	scratch_store_b64 off, v[77:78], off
	s_waitcnt vmcnt(0)
	ds_store_b64 v3, v[0:1]
.LBB35_225:
	s_or_b32 exec_lo, exec_lo, s0
	s_waitcnt lgkmcnt(0)
	s_waitcnt_vscnt null, 0x0
	s_barrier
	buffer_gl0_inv
	s_clause 0x4
	scratch_load_b128 v[77:80], off, off
	scratch_load_b128 v[0:3], off, off offset:16
	scratch_load_b128 v[81:84], off, off offset:32
	;; [unrolled: 1-line block ×4, first 2 shown]
	v_mov_b32_e32 v4, 0
	ds_load_2addr_b64 v[93:96], v4 offset0:37 offset1:38
	ds_load_2addr_b64 v[97:100], v4 offset0:39 offset1:40
	scratch_load_b128 v[101:104], off, off offset:80
	s_and_b32 vcc_lo, exec_lo, s16
	s_waitcnt vmcnt(5) lgkmcnt(1)
	v_fma_f64 v[79:80], v[79:80], v[93:94], 0
	s_waitcnt vmcnt(4)
	s_delay_alu instid0(VALU_DEP_1) | instskip(SKIP_1) | instid1(VALU_DEP_1)
	v_fma_f64 v[0:1], v[0:1], v[95:96], v[79:80]
	s_waitcnt lgkmcnt(0)
	v_fma_f64 v[79:80], v[2:3], v[97:98], v[0:1]
	scratch_load_b128 v[0:3], off, off offset:96
	s_waitcnt vmcnt(4)
	v_fma_f64 v[97:98], v[81:82], v[99:100], v[79:80]
	ds_load_2addr_b64 v[79:82], v4 offset0:41 offset1:42
	ds_load_2addr_b64 v[93:96], v4 offset0:43 offset1:44
	s_waitcnt lgkmcnt(1)
	v_fma_f64 v[79:80], v[83:84], v[79:80], v[97:98]
	scratch_load_b128 v[97:100], off, off offset:112
	s_waitcnt vmcnt(4)
	v_fma_f64 v[79:80], v[85:86], v[81:82], v[79:80]
	s_waitcnt lgkmcnt(0)
	s_delay_alu instid0(VALU_DEP_1)
	v_fma_f64 v[83:84], v[87:88], v[93:94], v[79:80]
	scratch_load_b128 v[79:82], off, off offset:128
	s_waitcnt vmcnt(4)
	v_fma_f64 v[93:94], v[89:90], v[95:96], v[83:84]
	ds_load_2addr_b64 v[83:86], v4 offset0:45 offset1:46
	ds_load_2addr_b64 v[87:90], v4 offset0:47 offset1:48
	s_waitcnt lgkmcnt(1)
	v_fma_f64 v[83:84], v[91:92], v[83:84], v[93:94]
	scratch_load_b128 v[91:94], off, off offset:144
	s_waitcnt vmcnt(4)
	v_fma_f64 v[83:84], v[101:102], v[85:86], v[83:84]
	s_waitcnt lgkmcnt(0)
	s_delay_alu instid0(VALU_DEP_1)
	v_fma_f64 v[87:88], v[103:104], v[87:88], v[83:84]
	scratch_load_b128 v[83:86], off, off offset:160
	s_waitcnt vmcnt(4)
	v_fma_f64 v[0:1], v[0:1], v[89:90], v[87:88]
	ds_load_2addr_b64 v[87:90], v4 offset0:49 offset1:50
	ds_load_2addr_b64 v[101:104], v4 offset0:51 offset1:52
	s_waitcnt lgkmcnt(1)
	v_fma_f64 v[87:88], v[2:3], v[87:88], v[0:1]
	scratch_load_b128 v[0:3], off, off offset:176
	s_waitcnt vmcnt(4)
	v_fma_f64 v[87:88], v[97:98], v[89:90], v[87:88]
	s_waitcnt lgkmcnt(0)
	s_delay_alu instid0(VALU_DEP_1)
	v_fma_f64 v[95:96], v[99:100], v[101:102], v[87:88]
	scratch_load_b128 v[87:90], off, off offset:192
	s_waitcnt vmcnt(4)
	v_fma_f64 v[79:80], v[79:80], v[103:104], v[95:96]
	ds_load_2addr_b64 v[95:98], v4 offset0:53 offset1:54
	ds_load_2addr_b64 v[99:102], v4 offset0:55 offset1:56
	s_waitcnt lgkmcnt(1)
	v_fma_f64 v[95:96], v[81:82], v[95:96], v[79:80]
	scratch_load_b128 v[79:82], off, off offset:208
	s_waitcnt vmcnt(4)
	v_fma_f64 v[91:92], v[91:92], v[97:98], v[95:96]
	s_waitcnt lgkmcnt(0)
	s_delay_alu instid0(VALU_DEP_1)
	v_fma_f64 v[95:96], v[93:94], v[99:100], v[91:92]
	scratch_load_b128 v[91:94], off, off offset:224
	s_waitcnt vmcnt(4)
	v_fma_f64 v[83:84], v[83:84], v[101:102], v[95:96]
	ds_load_2addr_b64 v[95:98], v4 offset0:57 offset1:58
	ds_load_2addr_b64 v[99:102], v4 offset0:59 offset1:60
	s_waitcnt lgkmcnt(1)
	v_fma_f64 v[95:96], v[85:86], v[95:96], v[83:84]
	scratch_load_b128 v[83:86], off, off offset:240
	s_waitcnt vmcnt(4)
	v_fma_f64 v[0:1], v[0:1], v[97:98], v[95:96]
	scratch_load_b128 v[95:98], off, off offset:256
	s_waitcnt lgkmcnt(0)
	v_fma_f64 v[0:1], v[2:3], v[99:100], v[0:1]
	s_waitcnt vmcnt(4)
	s_delay_alu instid0(VALU_DEP_1)
	v_fma_f64 v[0:1], v[87:88], v[101:102], v[0:1]
	ds_load_2addr_b64 v[99:102], v4 offset0:61 offset1:62
	ds_load_2addr_b64 v[103:106], v4 offset0:63 offset1:64
	s_waitcnt lgkmcnt(1)
	v_fma_f64 v[87:88], v[89:90], v[99:100], v[0:1]
	scratch_load_b128 v[0:3], off, off offset:272
	s_waitcnt vmcnt(4)
	v_fma_f64 v[79:80], v[79:80], v[101:102], v[87:88]
	s_waitcnt lgkmcnt(0)
	s_delay_alu instid0(VALU_DEP_1) | instskip(SKIP_1) | instid1(VALU_DEP_1)
	v_fma_f64 v[79:80], v[81:82], v[103:104], v[79:80]
	s_waitcnt vmcnt(3)
	v_fma_f64 v[91:92], v[91:92], v[105:106], v[79:80]
	ds_load_2addr_b64 v[79:82], v4 offset0:65 offset1:66
	ds_load_2addr_b64 v[87:90], v4 offset0:67 offset1:68
	s_waitcnt lgkmcnt(1)
	v_fma_f64 v[79:80], v[93:94], v[79:80], v[91:92]
	s_waitcnt vmcnt(2)
	s_delay_alu instid0(VALU_DEP_1) | instskip(SKIP_1) | instid1(VALU_DEP_1)
	v_fma_f64 v[79:80], v[83:84], v[81:82], v[79:80]
	s_waitcnt lgkmcnt(0)
	v_fma_f64 v[79:80], v[85:86], v[87:88], v[79:80]
	s_waitcnt vmcnt(1)
	s_delay_alu instid0(VALU_DEP_1)
	v_fma_f64 v[83:84], v[95:96], v[89:90], v[79:80]
	ds_load_2addr_b64 v[79:82], v4 offset0:69 offset1:70
	ds_load_b64 v[85:86], v4 offset:568
	s_waitcnt lgkmcnt(1)
	v_fma_f64 v[79:80], v[97:98], v[79:80], v[83:84]
	s_waitcnt vmcnt(0)
	s_delay_alu instid0(VALU_DEP_1) | instskip(SKIP_1) | instid1(VALU_DEP_1)
	v_fma_f64 v[79:80], v[0:1], v[81:82], v[79:80]
	s_waitcnt lgkmcnt(0)
	v_fma_f64 v[2:3], v[2:3], v[85:86], v[79:80]
	s_delay_alu instid0(VALU_DEP_1)
	v_add_f64 v[2:3], v[77:78], -v[2:3]
	scratch_store_b64 off, v[2:3], off
	s_cbranch_vccz .LBB35_297
; %bb.226:
	v_dual_mov_b32 v2, s12 :: v_dual_mov_b32 v3, s13
	s_mov_b32 s0, exec_lo
	flat_load_b32 v2, v[2:3] offset:136
	s_waitcnt vmcnt(0) lgkmcnt(0)
	v_cmpx_ne_u32_e32 35, v2
	s_cbranch_execz .LBB35_228
; %bb.227:
	v_lshl_add_u32 v4, v2, 3, 0
	scratch_load_b64 v[2:3], v4, off offset:-8
	s_waitcnt vmcnt(0)
	scratch_store_b64 off, v[2:3], off offset:272
	scratch_store_b64 v4, v[0:1], off offset:-8
.LBB35_228:
	s_or_b32 exec_lo, exec_lo, s0
	v_dual_mov_b32 v0, s12 :: v_dual_mov_b32 v1, s13
	s_mov_b32 s0, exec_lo
	flat_load_b32 v0, v[0:1] offset:132
	s_waitcnt vmcnt(0) lgkmcnt(0)
	v_cmpx_ne_u32_e32 34, v0
	s_cbranch_execz .LBB35_230
; %bb.229:
	v_lshl_add_u32 v4, v0, 3, 0
	scratch_load_b64 v[0:1], v4, off offset:-8
	scratch_load_b64 v[2:3], off, off offset:264
	s_waitcnt vmcnt(1)
	scratch_store_b64 off, v[0:1], off offset:264
	s_waitcnt vmcnt(0)
	scratch_store_b64 v4, v[2:3], off offset:-8
.LBB35_230:
	s_or_b32 exec_lo, exec_lo, s0
	v_dual_mov_b32 v0, s12 :: v_dual_mov_b32 v1, s13
	s_mov_b32 s0, exec_lo
	flat_load_b32 v0, v[0:1] offset:128
	s_waitcnt vmcnt(0) lgkmcnt(0)
	v_cmpx_ne_u32_e32 33, v0
	s_cbranch_execz .LBB35_232
; %bb.231:
	v_lshl_add_u32 v4, v0, 3, 0
	scratch_load_b64 v[0:1], v4, off offset:-8
	scratch_load_b64 v[2:3], off, off offset:256
	s_waitcnt vmcnt(1)
	scratch_store_b64 off, v[0:1], off offset:256
	s_waitcnt vmcnt(0)
	scratch_store_b64 v4, v[2:3], off offset:-8
.LBB35_232:
	s_or_b32 exec_lo, exec_lo, s0
	v_dual_mov_b32 v0, s12 :: v_dual_mov_b32 v1, s13
	s_mov_b32 s0, exec_lo
	flat_load_b32 v0, v[0:1] offset:124
	s_waitcnt vmcnt(0) lgkmcnt(0)
	v_cmpx_ne_u32_e32 32, v0
	s_cbranch_execz .LBB35_234
; %bb.233:
	v_lshl_add_u32 v4, v0, 3, 0
	scratch_load_b64 v[0:1], v4, off offset:-8
	scratch_load_b64 v[2:3], off, off offset:248
	s_waitcnt vmcnt(1)
	scratch_store_b64 off, v[0:1], off offset:248
	s_waitcnt vmcnt(0)
	scratch_store_b64 v4, v[2:3], off offset:-8
.LBB35_234:
	s_or_b32 exec_lo, exec_lo, s0
	v_dual_mov_b32 v0, s12 :: v_dual_mov_b32 v1, s13
	s_mov_b32 s0, exec_lo
	flat_load_b32 v0, v[0:1] offset:120
	s_waitcnt vmcnt(0) lgkmcnt(0)
	v_cmpx_ne_u32_e32 31, v0
	s_cbranch_execz .LBB35_236
; %bb.235:
	v_lshl_add_u32 v4, v0, 3, 0
	scratch_load_b64 v[0:1], v4, off offset:-8
	scratch_load_b64 v[2:3], off, off offset:240
	s_waitcnt vmcnt(1)
	scratch_store_b64 off, v[0:1], off offset:240
	s_waitcnt vmcnt(0)
	scratch_store_b64 v4, v[2:3], off offset:-8
.LBB35_236:
	s_or_b32 exec_lo, exec_lo, s0
	v_dual_mov_b32 v0, s12 :: v_dual_mov_b32 v1, s13
	s_mov_b32 s0, exec_lo
	flat_load_b32 v0, v[0:1] offset:116
	s_waitcnt vmcnt(0) lgkmcnt(0)
	v_cmpx_ne_u32_e32 30, v0
	s_cbranch_execz .LBB35_238
; %bb.237:
	v_lshl_add_u32 v4, v0, 3, 0
	scratch_load_b64 v[0:1], v4, off offset:-8
	scratch_load_b64 v[2:3], off, off offset:232
	s_waitcnt vmcnt(1)
	scratch_store_b64 off, v[0:1], off offset:232
	s_waitcnt vmcnt(0)
	scratch_store_b64 v4, v[2:3], off offset:-8
.LBB35_238:
	s_or_b32 exec_lo, exec_lo, s0
	v_dual_mov_b32 v0, s12 :: v_dual_mov_b32 v1, s13
	s_mov_b32 s0, exec_lo
	flat_load_b32 v0, v[0:1] offset:112
	s_waitcnt vmcnt(0) lgkmcnt(0)
	v_cmpx_ne_u32_e32 29, v0
	s_cbranch_execz .LBB35_240
; %bb.239:
	v_lshl_add_u32 v4, v0, 3, 0
	scratch_load_b64 v[0:1], v4, off offset:-8
	scratch_load_b64 v[2:3], off, off offset:224
	s_waitcnt vmcnt(1)
	scratch_store_b64 off, v[0:1], off offset:224
	s_waitcnt vmcnt(0)
	scratch_store_b64 v4, v[2:3], off offset:-8
.LBB35_240:
	s_or_b32 exec_lo, exec_lo, s0
	v_dual_mov_b32 v0, s12 :: v_dual_mov_b32 v1, s13
	s_mov_b32 s0, exec_lo
	flat_load_b32 v0, v[0:1] offset:108
	s_waitcnt vmcnt(0) lgkmcnt(0)
	v_cmpx_ne_u32_e32 28, v0
	s_cbranch_execz .LBB35_242
; %bb.241:
	v_lshl_add_u32 v4, v0, 3, 0
	scratch_load_b64 v[0:1], v4, off offset:-8
	scratch_load_b64 v[2:3], off, off offset:216
	s_waitcnt vmcnt(1)
	scratch_store_b64 off, v[0:1], off offset:216
	s_waitcnt vmcnt(0)
	scratch_store_b64 v4, v[2:3], off offset:-8
.LBB35_242:
	s_or_b32 exec_lo, exec_lo, s0
	v_dual_mov_b32 v0, s12 :: v_dual_mov_b32 v1, s13
	s_mov_b32 s0, exec_lo
	flat_load_b32 v0, v[0:1] offset:104
	s_waitcnt vmcnt(0) lgkmcnt(0)
	v_cmpx_ne_u32_e32 27, v0
	s_cbranch_execz .LBB35_244
; %bb.243:
	v_lshl_add_u32 v4, v0, 3, 0
	scratch_load_b64 v[0:1], v4, off offset:-8
	scratch_load_b64 v[2:3], off, off offset:208
	s_waitcnt vmcnt(1)
	scratch_store_b64 off, v[0:1], off offset:208
	s_waitcnt vmcnt(0)
	scratch_store_b64 v4, v[2:3], off offset:-8
.LBB35_244:
	s_or_b32 exec_lo, exec_lo, s0
	v_dual_mov_b32 v0, s12 :: v_dual_mov_b32 v1, s13
	s_mov_b32 s0, exec_lo
	flat_load_b32 v0, v[0:1] offset:100
	s_waitcnt vmcnt(0) lgkmcnt(0)
	v_cmpx_ne_u32_e32 26, v0
	s_cbranch_execz .LBB35_246
; %bb.245:
	v_lshl_add_u32 v4, v0, 3, 0
	scratch_load_b64 v[0:1], v4, off offset:-8
	scratch_load_b64 v[2:3], off, off offset:200
	s_waitcnt vmcnt(1)
	scratch_store_b64 off, v[0:1], off offset:200
	s_waitcnt vmcnt(0)
	scratch_store_b64 v4, v[2:3], off offset:-8
.LBB35_246:
	s_or_b32 exec_lo, exec_lo, s0
	v_dual_mov_b32 v0, s12 :: v_dual_mov_b32 v1, s13
	s_mov_b32 s0, exec_lo
	flat_load_b32 v0, v[0:1] offset:96
	s_waitcnt vmcnt(0) lgkmcnt(0)
	v_cmpx_ne_u32_e32 25, v0
	s_cbranch_execz .LBB35_248
; %bb.247:
	v_lshl_add_u32 v4, v0, 3, 0
	scratch_load_b64 v[0:1], v4, off offset:-8
	scratch_load_b64 v[2:3], off, off offset:192
	s_waitcnt vmcnt(1)
	scratch_store_b64 off, v[0:1], off offset:192
	s_waitcnt vmcnt(0)
	scratch_store_b64 v4, v[2:3], off offset:-8
.LBB35_248:
	s_or_b32 exec_lo, exec_lo, s0
	v_dual_mov_b32 v0, s12 :: v_dual_mov_b32 v1, s13
	s_mov_b32 s0, exec_lo
	flat_load_b32 v0, v[0:1] offset:92
	s_waitcnt vmcnt(0) lgkmcnt(0)
	v_cmpx_ne_u32_e32 24, v0
	s_cbranch_execz .LBB35_250
; %bb.249:
	v_lshl_add_u32 v4, v0, 3, 0
	scratch_load_b64 v[0:1], v4, off offset:-8
	scratch_load_b64 v[2:3], off, off offset:184
	s_waitcnt vmcnt(1)
	scratch_store_b64 off, v[0:1], off offset:184
	s_waitcnt vmcnt(0)
	scratch_store_b64 v4, v[2:3], off offset:-8
.LBB35_250:
	s_or_b32 exec_lo, exec_lo, s0
	v_dual_mov_b32 v0, s12 :: v_dual_mov_b32 v1, s13
	s_mov_b32 s0, exec_lo
	flat_load_b32 v0, v[0:1] offset:88
	s_waitcnt vmcnt(0) lgkmcnt(0)
	v_cmpx_ne_u32_e32 23, v0
	s_cbranch_execz .LBB35_252
; %bb.251:
	v_lshl_add_u32 v4, v0, 3, 0
	scratch_load_b64 v[0:1], v4, off offset:-8
	scratch_load_b64 v[2:3], off, off offset:176
	s_waitcnt vmcnt(1)
	scratch_store_b64 off, v[0:1], off offset:176
	s_waitcnt vmcnt(0)
	scratch_store_b64 v4, v[2:3], off offset:-8
.LBB35_252:
	s_or_b32 exec_lo, exec_lo, s0
	v_dual_mov_b32 v0, s12 :: v_dual_mov_b32 v1, s13
	s_mov_b32 s0, exec_lo
	flat_load_b32 v0, v[0:1] offset:84
	s_waitcnt vmcnt(0) lgkmcnt(0)
	v_cmpx_ne_u32_e32 22, v0
	s_cbranch_execz .LBB35_254
; %bb.253:
	v_lshl_add_u32 v4, v0, 3, 0
	scratch_load_b64 v[0:1], v4, off offset:-8
	scratch_load_b64 v[2:3], off, off offset:168
	s_waitcnt vmcnt(1)
	scratch_store_b64 off, v[0:1], off offset:168
	s_waitcnt vmcnt(0)
	scratch_store_b64 v4, v[2:3], off offset:-8
.LBB35_254:
	s_or_b32 exec_lo, exec_lo, s0
	v_dual_mov_b32 v0, s12 :: v_dual_mov_b32 v1, s13
	s_mov_b32 s0, exec_lo
	flat_load_b32 v0, v[0:1] offset:80
	s_waitcnt vmcnt(0) lgkmcnt(0)
	v_cmpx_ne_u32_e32 21, v0
	s_cbranch_execz .LBB35_256
; %bb.255:
	v_lshl_add_u32 v4, v0, 3, 0
	scratch_load_b64 v[0:1], v4, off offset:-8
	scratch_load_b64 v[2:3], off, off offset:160
	s_waitcnt vmcnt(1)
	scratch_store_b64 off, v[0:1], off offset:160
	s_waitcnt vmcnt(0)
	scratch_store_b64 v4, v[2:3], off offset:-8
.LBB35_256:
	s_or_b32 exec_lo, exec_lo, s0
	v_dual_mov_b32 v0, s12 :: v_dual_mov_b32 v1, s13
	s_mov_b32 s0, exec_lo
	flat_load_b32 v0, v[0:1] offset:76
	s_waitcnt vmcnt(0) lgkmcnt(0)
	v_cmpx_ne_u32_e32 20, v0
	s_cbranch_execz .LBB35_258
; %bb.257:
	v_lshl_add_u32 v4, v0, 3, 0
	scratch_load_b64 v[0:1], v4, off offset:-8
	scratch_load_b64 v[2:3], off, off offset:152
	s_waitcnt vmcnt(1)
	scratch_store_b64 off, v[0:1], off offset:152
	s_waitcnt vmcnt(0)
	scratch_store_b64 v4, v[2:3], off offset:-8
.LBB35_258:
	s_or_b32 exec_lo, exec_lo, s0
	v_dual_mov_b32 v0, s12 :: v_dual_mov_b32 v1, s13
	s_mov_b32 s0, exec_lo
	flat_load_b32 v0, v[0:1] offset:72
	s_waitcnt vmcnt(0) lgkmcnt(0)
	v_cmpx_ne_u32_e32 19, v0
	s_cbranch_execz .LBB35_260
; %bb.259:
	v_lshl_add_u32 v4, v0, 3, 0
	scratch_load_b64 v[0:1], v4, off offset:-8
	scratch_load_b64 v[2:3], off, off offset:144
	s_waitcnt vmcnt(1)
	scratch_store_b64 off, v[0:1], off offset:144
	s_waitcnt vmcnt(0)
	scratch_store_b64 v4, v[2:3], off offset:-8
.LBB35_260:
	s_or_b32 exec_lo, exec_lo, s0
	v_dual_mov_b32 v0, s12 :: v_dual_mov_b32 v1, s13
	s_mov_b32 s0, exec_lo
	flat_load_b32 v0, v[0:1] offset:68
	s_waitcnt vmcnt(0) lgkmcnt(0)
	v_cmpx_ne_u32_e32 18, v0
	s_cbranch_execz .LBB35_262
; %bb.261:
	v_lshl_add_u32 v4, v0, 3, 0
	scratch_load_b64 v[0:1], v4, off offset:-8
	scratch_load_b64 v[2:3], off, off offset:136
	s_waitcnt vmcnt(1)
	scratch_store_b64 off, v[0:1], off offset:136
	s_waitcnt vmcnt(0)
	scratch_store_b64 v4, v[2:3], off offset:-8
.LBB35_262:
	s_or_b32 exec_lo, exec_lo, s0
	v_dual_mov_b32 v0, s12 :: v_dual_mov_b32 v1, s13
	s_mov_b32 s0, exec_lo
	flat_load_b32 v0, v[0:1] offset:64
	s_waitcnt vmcnt(0) lgkmcnt(0)
	v_cmpx_ne_u32_e32 17, v0
	s_cbranch_execz .LBB35_264
; %bb.263:
	v_lshl_add_u32 v4, v0, 3, 0
	scratch_load_b64 v[0:1], v4, off offset:-8
	scratch_load_b64 v[2:3], off, off offset:128
	s_waitcnt vmcnt(1)
	scratch_store_b64 off, v[0:1], off offset:128
	s_waitcnt vmcnt(0)
	scratch_store_b64 v4, v[2:3], off offset:-8
.LBB35_264:
	s_or_b32 exec_lo, exec_lo, s0
	v_dual_mov_b32 v0, s12 :: v_dual_mov_b32 v1, s13
	s_mov_b32 s0, exec_lo
	flat_load_b32 v0, v[0:1] offset:60
	s_waitcnt vmcnt(0) lgkmcnt(0)
	v_cmpx_ne_u32_e32 16, v0
	s_cbranch_execz .LBB35_266
; %bb.265:
	v_lshl_add_u32 v4, v0, 3, 0
	scratch_load_b64 v[0:1], v4, off offset:-8
	scratch_load_b64 v[2:3], off, off offset:120
	s_waitcnt vmcnt(1)
	scratch_store_b64 off, v[0:1], off offset:120
	s_waitcnt vmcnt(0)
	scratch_store_b64 v4, v[2:3], off offset:-8
.LBB35_266:
	s_or_b32 exec_lo, exec_lo, s0
	v_dual_mov_b32 v0, s12 :: v_dual_mov_b32 v1, s13
	s_mov_b32 s0, exec_lo
	flat_load_b32 v0, v[0:1] offset:56
	s_waitcnt vmcnt(0) lgkmcnt(0)
	v_cmpx_ne_u32_e32 15, v0
	s_cbranch_execz .LBB35_268
; %bb.267:
	v_lshl_add_u32 v4, v0, 3, 0
	scratch_load_b64 v[0:1], v4, off offset:-8
	scratch_load_b64 v[2:3], off, off offset:112
	s_waitcnt vmcnt(1)
	scratch_store_b64 off, v[0:1], off offset:112
	s_waitcnt vmcnt(0)
	scratch_store_b64 v4, v[2:3], off offset:-8
.LBB35_268:
	s_or_b32 exec_lo, exec_lo, s0
	v_dual_mov_b32 v0, s12 :: v_dual_mov_b32 v1, s13
	s_mov_b32 s0, exec_lo
	flat_load_b32 v0, v[0:1] offset:52
	s_waitcnt vmcnt(0) lgkmcnt(0)
	v_cmpx_ne_u32_e32 14, v0
	s_cbranch_execz .LBB35_270
; %bb.269:
	v_lshl_add_u32 v4, v0, 3, 0
	scratch_load_b64 v[0:1], v4, off offset:-8
	scratch_load_b64 v[2:3], off, off offset:104
	s_waitcnt vmcnt(1)
	scratch_store_b64 off, v[0:1], off offset:104
	s_waitcnt vmcnt(0)
	scratch_store_b64 v4, v[2:3], off offset:-8
.LBB35_270:
	s_or_b32 exec_lo, exec_lo, s0
	v_dual_mov_b32 v0, s12 :: v_dual_mov_b32 v1, s13
	s_mov_b32 s0, exec_lo
	flat_load_b32 v0, v[0:1] offset:48
	s_waitcnt vmcnt(0) lgkmcnt(0)
	v_cmpx_ne_u32_e32 13, v0
	s_cbranch_execz .LBB35_272
; %bb.271:
	v_lshl_add_u32 v4, v0, 3, 0
	scratch_load_b64 v[0:1], v4, off offset:-8
	scratch_load_b64 v[2:3], off, off offset:96
	s_waitcnt vmcnt(1)
	scratch_store_b64 off, v[0:1], off offset:96
	s_waitcnt vmcnt(0)
	scratch_store_b64 v4, v[2:3], off offset:-8
.LBB35_272:
	s_or_b32 exec_lo, exec_lo, s0
	v_dual_mov_b32 v0, s12 :: v_dual_mov_b32 v1, s13
	s_mov_b32 s0, exec_lo
	flat_load_b32 v0, v[0:1] offset:44
	s_waitcnt vmcnt(0) lgkmcnt(0)
	v_cmpx_ne_u32_e32 12, v0
	s_cbranch_execz .LBB35_274
; %bb.273:
	v_lshl_add_u32 v4, v0, 3, 0
	scratch_load_b64 v[0:1], v4, off offset:-8
	scratch_load_b64 v[2:3], off, off offset:88
	s_waitcnt vmcnt(1)
	scratch_store_b64 off, v[0:1], off offset:88
	s_waitcnt vmcnt(0)
	scratch_store_b64 v4, v[2:3], off offset:-8
.LBB35_274:
	s_or_b32 exec_lo, exec_lo, s0
	v_dual_mov_b32 v0, s12 :: v_dual_mov_b32 v1, s13
	s_mov_b32 s0, exec_lo
	flat_load_b32 v0, v[0:1] offset:40
	s_waitcnt vmcnt(0) lgkmcnt(0)
	v_cmpx_ne_u32_e32 11, v0
	s_cbranch_execz .LBB35_276
; %bb.275:
	v_lshl_add_u32 v4, v0, 3, 0
	scratch_load_b64 v[0:1], v4, off offset:-8
	scratch_load_b64 v[2:3], off, off offset:80
	s_waitcnt vmcnt(1)
	scratch_store_b64 off, v[0:1], off offset:80
	s_waitcnt vmcnt(0)
	scratch_store_b64 v4, v[2:3], off offset:-8
.LBB35_276:
	s_or_b32 exec_lo, exec_lo, s0
	v_dual_mov_b32 v0, s12 :: v_dual_mov_b32 v1, s13
	s_mov_b32 s0, exec_lo
	flat_load_b32 v0, v[0:1] offset:36
	s_waitcnt vmcnt(0) lgkmcnt(0)
	v_cmpx_ne_u32_e32 10, v0
	s_cbranch_execz .LBB35_278
; %bb.277:
	v_lshl_add_u32 v4, v0, 3, 0
	scratch_load_b64 v[0:1], v4, off offset:-8
	scratch_load_b64 v[2:3], off, off offset:72
	s_waitcnt vmcnt(1)
	scratch_store_b64 off, v[0:1], off offset:72
	s_waitcnt vmcnt(0)
	scratch_store_b64 v4, v[2:3], off offset:-8
.LBB35_278:
	s_or_b32 exec_lo, exec_lo, s0
	v_dual_mov_b32 v0, s12 :: v_dual_mov_b32 v1, s13
	s_mov_b32 s0, exec_lo
	flat_load_b32 v0, v[0:1] offset:32
	s_waitcnt vmcnt(0) lgkmcnt(0)
	v_cmpx_ne_u32_e32 9, v0
	s_cbranch_execz .LBB35_280
; %bb.279:
	v_lshl_add_u32 v4, v0, 3, 0
	scratch_load_b64 v[0:1], v4, off offset:-8
	scratch_load_b64 v[2:3], off, off offset:64
	s_waitcnt vmcnt(1)
	scratch_store_b64 off, v[0:1], off offset:64
	s_waitcnt vmcnt(0)
	scratch_store_b64 v4, v[2:3], off offset:-8
.LBB35_280:
	s_or_b32 exec_lo, exec_lo, s0
	v_dual_mov_b32 v0, s12 :: v_dual_mov_b32 v1, s13
	s_mov_b32 s0, exec_lo
	flat_load_b32 v0, v[0:1] offset:28
	s_waitcnt vmcnt(0) lgkmcnt(0)
	v_cmpx_ne_u32_e32 8, v0
	s_cbranch_execz .LBB35_282
; %bb.281:
	v_lshl_add_u32 v4, v0, 3, 0
	scratch_load_b64 v[0:1], v4, off offset:-8
	scratch_load_b64 v[2:3], off, off offset:56
	s_waitcnt vmcnt(1)
	scratch_store_b64 off, v[0:1], off offset:56
	s_waitcnt vmcnt(0)
	scratch_store_b64 v4, v[2:3], off offset:-8
.LBB35_282:
	s_or_b32 exec_lo, exec_lo, s0
	v_dual_mov_b32 v0, s12 :: v_dual_mov_b32 v1, s13
	s_mov_b32 s0, exec_lo
	flat_load_b32 v0, v[0:1] offset:24
	s_waitcnt vmcnt(0) lgkmcnt(0)
	v_cmpx_ne_u32_e32 7, v0
	s_cbranch_execz .LBB35_284
; %bb.283:
	v_lshl_add_u32 v4, v0, 3, 0
	scratch_load_b64 v[0:1], v4, off offset:-8
	scratch_load_b64 v[2:3], off, off offset:48
	s_waitcnt vmcnt(1)
	scratch_store_b64 off, v[0:1], off offset:48
	s_waitcnt vmcnt(0)
	scratch_store_b64 v4, v[2:3], off offset:-8
.LBB35_284:
	s_or_b32 exec_lo, exec_lo, s0
	v_dual_mov_b32 v0, s12 :: v_dual_mov_b32 v1, s13
	s_mov_b32 s0, exec_lo
	flat_load_b32 v0, v[0:1] offset:20
	s_waitcnt vmcnt(0) lgkmcnt(0)
	v_cmpx_ne_u32_e32 6, v0
	s_cbranch_execz .LBB35_286
; %bb.285:
	v_lshl_add_u32 v4, v0, 3, 0
	scratch_load_b64 v[0:1], v4, off offset:-8
	scratch_load_b64 v[2:3], off, off offset:40
	s_waitcnt vmcnt(1)
	scratch_store_b64 off, v[0:1], off offset:40
	s_waitcnt vmcnt(0)
	scratch_store_b64 v4, v[2:3], off offset:-8
.LBB35_286:
	s_or_b32 exec_lo, exec_lo, s0
	v_dual_mov_b32 v0, s12 :: v_dual_mov_b32 v1, s13
	s_mov_b32 s0, exec_lo
	flat_load_b32 v0, v[0:1] offset:16
	s_waitcnt vmcnt(0) lgkmcnt(0)
	v_cmpx_ne_u32_e32 5, v0
	s_cbranch_execz .LBB35_288
; %bb.287:
	v_lshl_add_u32 v4, v0, 3, 0
	scratch_load_b64 v[0:1], v4, off offset:-8
	scratch_load_b64 v[2:3], off, off offset:32
	s_waitcnt vmcnt(1)
	scratch_store_b64 off, v[0:1], off offset:32
	s_waitcnt vmcnt(0)
	scratch_store_b64 v4, v[2:3], off offset:-8
.LBB35_288:
	s_or_b32 exec_lo, exec_lo, s0
	v_dual_mov_b32 v0, s12 :: v_dual_mov_b32 v1, s13
	s_mov_b32 s0, exec_lo
	flat_load_b32 v0, v[0:1] offset:12
	s_waitcnt vmcnt(0) lgkmcnt(0)
	v_cmpx_ne_u32_e32 4, v0
	s_cbranch_execz .LBB35_290
; %bb.289:
	v_lshl_add_u32 v4, v0, 3, 0
	scratch_load_b64 v[0:1], v4, off offset:-8
	scratch_load_b64 v[2:3], off, off offset:24
	s_waitcnt vmcnt(1)
	scratch_store_b64 off, v[0:1], off offset:24
	s_waitcnt vmcnt(0)
	scratch_store_b64 v4, v[2:3], off offset:-8
.LBB35_290:
	s_or_b32 exec_lo, exec_lo, s0
	v_dual_mov_b32 v0, s12 :: v_dual_mov_b32 v1, s13
	s_mov_b32 s0, exec_lo
	flat_load_b32 v0, v[0:1] offset:8
	s_waitcnt vmcnt(0) lgkmcnt(0)
	v_cmpx_ne_u32_e32 3, v0
	s_cbranch_execz .LBB35_292
; %bb.291:
	v_lshl_add_u32 v4, v0, 3, 0
	scratch_load_b64 v[0:1], v4, off offset:-8
	scratch_load_b64 v[2:3], off, off offset:16
	s_waitcnt vmcnt(1)
	scratch_store_b64 off, v[0:1], off offset:16
	s_waitcnt vmcnt(0)
	scratch_store_b64 v4, v[2:3], off offset:-8
.LBB35_292:
	s_or_b32 exec_lo, exec_lo, s0
	v_dual_mov_b32 v0, s12 :: v_dual_mov_b32 v1, s13
	s_mov_b32 s0, exec_lo
	flat_load_b32 v0, v[0:1] offset:4
	s_waitcnt vmcnt(0) lgkmcnt(0)
	v_cmpx_ne_u32_e32 2, v0
	s_cbranch_execz .LBB35_294
; %bb.293:
	v_lshl_add_u32 v4, v0, 3, 0
	scratch_load_b64 v[0:1], v4, off offset:-8
	scratch_load_b64 v[2:3], off, off offset:8
	s_waitcnt vmcnt(1)
	scratch_store_b64 off, v[0:1], off offset:8
	s_waitcnt vmcnt(0)
	scratch_store_b64 v4, v[2:3], off offset:-8
.LBB35_294:
	s_or_b32 exec_lo, exec_lo, s0
	v_dual_mov_b32 v0, s12 :: v_dual_mov_b32 v1, s13
	s_mov_b32 s0, exec_lo
	flat_load_b32 v0, v[0:1]
	scratch_load_b64 v[2:3], off, off
	s_waitcnt vmcnt(1) lgkmcnt(0)
	v_cmpx_ne_u32_e32 1, v0
	s_cbranch_execz .LBB35_296
; %bb.295:
	v_lshl_add_u32 v4, v0, 3, 0
	scratch_load_b64 v[0:1], v4, off offset:-8
	s_waitcnt vmcnt(0)
	scratch_store_b64 off, v[0:1], off
	scratch_store_b64 v4, v[2:3], off offset:-8
	scratch_load_b64 v[2:3], off, off
.LBB35_296:
	s_or_b32 exec_lo, exec_lo, s0
.LBB35_297:
	s_clause 0x9
	scratch_load_b128 v[77:80], off, off offset:8
	scratch_load_b128 v[81:84], off, off offset:24
	;; [unrolled: 1-line block ×10, first 2 shown]
	s_waitcnt vmcnt(10)
	global_store_b64 v[5:6], v[2:3], off
	s_clause 0x1
	scratch_load_b128 v[0:3], off, off offset:168
	scratch_load_b128 v[117:120], off, off offset:248
	s_waitcnt vmcnt(11)
	global_store_b64 v[7:8], v[77:78], off
	scratch_load_b128 v[4:7], off, off offset:184
	global_store_b64 v[9:10], v[79:80], off
	s_waitcnt vmcnt(11)
	s_clause 0x1
	global_store_b64 v[11:12], v[81:82], off
	global_store_b64 v[15:16], v[83:84], off
	s_waitcnt vmcnt(10)
	s_clause 0x1
	global_store_b64 v[19:20], v[85:86], off
	global_store_b64 v[17:18], v[87:88], off
	s_clause 0x4
	scratch_load_b128 v[77:80], off, off offset:200
	scratch_load_b128 v[8:11], off, off offset:216
	;; [unrolled: 1-line block ×4, first 2 shown]
	scratch_load_b64 v[19:20], off, off offset:280
	s_waitcnt vmcnt(14)
	s_clause 0x1
	global_store_b64 v[13:14], v[89:90], off
	global_store_b64 v[21:22], v[91:92], off
	s_waitcnt vmcnt(13)
	s_clause 0x1
	global_store_b64 v[23:24], v[93:94], off
	global_store_b64 v[25:26], v[95:96], off
	;; [unrolled: 4-line block ×12, first 2 shown]
	global_store_b64 v[69:70], v[117:118], off
	global_store_b64 v[71:72], v[119:120], off
	s_waitcnt vmcnt(1)
	s_clause 0x1
	global_store_b64 v[73:74], v[15:16], off
	global_store_b64 v[75:76], v[17:18], off
	s_waitcnt vmcnt(0)
	global_store_b64 v[45:46], v[19:20], off
	s_endpgm
	.section	.rodata,"a",@progbits
	.p2align	6, 0x0
	.amdhsa_kernel _ZN9rocsolver6v33100L18getri_kernel_smallILi36EdPdEEvT1_iilPiilS4_bb
		.amdhsa_group_segment_fixed_size 584
		.amdhsa_private_segment_fixed_size 304
		.amdhsa_kernarg_size 60
		.amdhsa_user_sgpr_count 15
		.amdhsa_user_sgpr_dispatch_ptr 0
		.amdhsa_user_sgpr_queue_ptr 0
		.amdhsa_user_sgpr_kernarg_segment_ptr 1
		.amdhsa_user_sgpr_dispatch_id 0
		.amdhsa_user_sgpr_private_segment_size 0
		.amdhsa_wavefront_size32 1
		.amdhsa_uses_dynamic_stack 0
		.amdhsa_enable_private_segment 1
		.amdhsa_system_sgpr_workgroup_id_x 1
		.amdhsa_system_sgpr_workgroup_id_y 0
		.amdhsa_system_sgpr_workgroup_id_z 0
		.amdhsa_system_sgpr_workgroup_info 0
		.amdhsa_system_vgpr_workitem_id 0
		.amdhsa_next_free_vgpr 121
		.amdhsa_next_free_sgpr 18
		.amdhsa_reserve_vcc 1
		.amdhsa_float_round_mode_32 0
		.amdhsa_float_round_mode_16_64 0
		.amdhsa_float_denorm_mode_32 3
		.amdhsa_float_denorm_mode_16_64 3
		.amdhsa_dx10_clamp 1
		.amdhsa_ieee_mode 1
		.amdhsa_fp16_overflow 0
		.amdhsa_workgroup_processor_mode 1
		.amdhsa_memory_ordered 1
		.amdhsa_forward_progress 0
		.amdhsa_shared_vgpr_count 0
		.amdhsa_exception_fp_ieee_invalid_op 0
		.amdhsa_exception_fp_denorm_src 0
		.amdhsa_exception_fp_ieee_div_zero 0
		.amdhsa_exception_fp_ieee_overflow 0
		.amdhsa_exception_fp_ieee_underflow 0
		.amdhsa_exception_fp_ieee_inexact 0
		.amdhsa_exception_int_div_zero 0
	.end_amdhsa_kernel
	.section	.text._ZN9rocsolver6v33100L18getri_kernel_smallILi36EdPdEEvT1_iilPiilS4_bb,"axG",@progbits,_ZN9rocsolver6v33100L18getri_kernel_smallILi36EdPdEEvT1_iilPiilS4_bb,comdat
.Lfunc_end35:
	.size	_ZN9rocsolver6v33100L18getri_kernel_smallILi36EdPdEEvT1_iilPiilS4_bb, .Lfunc_end35-_ZN9rocsolver6v33100L18getri_kernel_smallILi36EdPdEEvT1_iilPiilS4_bb
                                        ; -- End function
	.section	.AMDGPU.csdata,"",@progbits
; Kernel info:
; codeLenInByte = 29520
; NumSgprs: 20
; NumVgprs: 121
; ScratchSize: 304
; MemoryBound: 0
; FloatMode: 240
; IeeeMode: 1
; LDSByteSize: 584 bytes/workgroup (compile time only)
; SGPRBlocks: 2
; VGPRBlocks: 15
; NumSGPRsForWavesPerEU: 20
; NumVGPRsForWavesPerEU: 121
; Occupancy: 10
; WaveLimiterHint : 1
; COMPUTE_PGM_RSRC2:SCRATCH_EN: 1
; COMPUTE_PGM_RSRC2:USER_SGPR: 15
; COMPUTE_PGM_RSRC2:TRAP_HANDLER: 0
; COMPUTE_PGM_RSRC2:TGID_X_EN: 1
; COMPUTE_PGM_RSRC2:TGID_Y_EN: 0
; COMPUTE_PGM_RSRC2:TGID_Z_EN: 0
; COMPUTE_PGM_RSRC2:TIDIG_COMP_CNT: 0
	.section	.text._ZN9rocsolver6v33100L18getri_kernel_smallILi37EdPdEEvT1_iilPiilS4_bb,"axG",@progbits,_ZN9rocsolver6v33100L18getri_kernel_smallILi37EdPdEEvT1_iilPiilS4_bb,comdat
	.globl	_ZN9rocsolver6v33100L18getri_kernel_smallILi37EdPdEEvT1_iilPiilS4_bb ; -- Begin function _ZN9rocsolver6v33100L18getri_kernel_smallILi37EdPdEEvT1_iilPiilS4_bb
	.p2align	8
	.type	_ZN9rocsolver6v33100L18getri_kernel_smallILi37EdPdEEvT1_iilPiilS4_bb,@function
_ZN9rocsolver6v33100L18getri_kernel_smallILi37EdPdEEvT1_iilPiilS4_bb: ; @_ZN9rocsolver6v33100L18getri_kernel_smallILi37EdPdEEvT1_iilPiilS4_bb
; %bb.0:
	s_mov_b32 s2, exec_lo
	v_cmpx_gt_u32_e32 37, v0
	s_cbranch_execz .LBB36_158
; %bb.1:
	s_clause 0x2
	s_load_b32 s17, s[0:1], 0x38
	s_load_b128 s[8:11], s[0:1], 0x10
	s_load_b128 s[4:7], s[0:1], 0x28
	s_mov_b32 s14, s15
                                        ; implicit-def: $sgpr12_sgpr13
	s_waitcnt lgkmcnt(0)
	s_bitcmp1_b32 s17, 8
	s_cselect_b32 s16, -1, 0
	s_bfe_u32 s2, s17, 0x10008
	s_ashr_i32 s15, s15, 31
	s_cmp_eq_u32 s2, 0
	s_cbranch_scc1 .LBB36_3
; %bb.2:
	s_load_b32 s2, s[0:1], 0x20
	s_mul_i32 s3, s14, s5
	s_mul_hi_u32 s5, s14, s4
	s_mul_i32 s12, s15, s4
	s_add_i32 s3, s5, s3
	s_mul_i32 s4, s14, s4
	s_add_i32 s5, s3, s12
	s_delay_alu instid0(SALU_CYCLE_1)
	s_lshl_b64 s[4:5], s[4:5], 2
	s_waitcnt lgkmcnt(0)
	s_ashr_i32 s3, s2, 31
	s_add_u32 s4, s10, s4
	s_addc_u32 s5, s11, s5
	s_lshl_b64 s[2:3], s[2:3], 2
	s_delay_alu instid0(SALU_CYCLE_1)
	s_add_u32 s12, s4, s2
	s_addc_u32 s13, s5, s3
.LBB36_3:
	s_load_b128 s[0:3], s[0:1], 0x0
	s_mul_i32 s4, s14, s9
	s_mul_hi_u32 s5, s14, s8
	s_mul_i32 s9, s15, s8
	s_add_i32 s5, s5, s4
	s_mul_i32 s4, s14, s8
	s_add_i32 s5, s5, s9
	v_lshlrev_b32_e32 v87, 3, v0
	s_lshl_b64 s[4:5], s[4:5], 3
	s_waitcnt lgkmcnt(0)
	v_add3_u32 v3, s3, s3, v0
	s_ashr_i32 s9, s2, 31
	s_mov_b32 s8, s2
	s_add_u32 s2, s0, s4
	s_addc_u32 s5, s1, s5
	v_add_nc_u32_e32 v5, s3, v3
	s_lshl_b64 s[0:1], s[8:9], 3
	v_ashrrev_i32_e32 v4, 31, v3
	s_add_u32 s0, s2, s0
	s_addc_u32 s1, s5, s1
	v_add_co_u32 v13, s2, s0, v87
	v_add_nc_u32_e32 v7, s3, v5
	s_mov_b32 s4, s3
	s_ashr_i32 s5, s3, 31
	v_add_co_ci_u32_e64 v14, null, s1, 0, s2
	v_lshlrev_b64 v[3:4], 3, v[3:4]
	s_lshl_b64 s[4:5], s[4:5], 3
	v_ashrrev_i32_e32 v8, 31, v7
	v_add_co_u32 v17, vcc_lo, v13, s4
	v_add_nc_u32_e32 v9, s3, v7
	v_add_co_ci_u32_e32 v18, vcc_lo, s5, v14, vcc_lo
	v_add_co_u32 v19, vcc_lo, s0, v3
	v_add_co_ci_u32_e32 v20, vcc_lo, s1, v4, vcc_lo
	v_lshlrev_b64 v[3:4], 3, v[7:8]
	v_add_nc_u32_e32 v7, s3, v9
	v_ashrrev_i32_e32 v6, 31, v5
	v_ashrrev_i32_e32 v10, 31, v9
	global_load_b64 v[1:2], v87, s[0:1]
	s_bitcmp0_b32 s17, 0
	v_add_nc_u32_e32 v11, s3, v7
	v_lshlrev_b64 v[5:6], 3, v[5:6]
	v_ashrrev_i32_e32 v8, 31, v7
	s_delay_alu instid0(VALU_DEP_3) | instskip(SKIP_1) | instid1(VALU_DEP_4)
	v_add_nc_u32_e32 v27, s3, v11
	v_ashrrev_i32_e32 v12, 31, v11
	v_add_co_u32 v15, vcc_lo, s0, v5
	v_add_co_ci_u32_e32 v16, vcc_lo, s1, v6, vcc_lo
	s_delay_alu instid0(VALU_DEP_4) | instskip(SKIP_3) | instid1(VALU_DEP_4)
	v_add_nc_u32_e32 v29, s3, v27
	v_lshlrev_b64 v[5:6], 3, v[9:10]
	v_add_co_u32 v21, vcc_lo, s0, v3
	v_lshlrev_b64 v[25:26], 3, v[7:8]
	v_add_nc_u32_e32 v33, s3, v29
	v_add_co_ci_u32_e32 v22, vcc_lo, s1, v4, vcc_lo
	v_add_co_u32 v23, vcc_lo, s0, v5
	s_delay_alu instid0(VALU_DEP_3)
	v_add_nc_u32_e32 v35, s3, v33
	v_lshlrev_b64 v[11:12], 3, v[11:12]
	v_ashrrev_i32_e32 v28, 31, v27
	v_add_co_ci_u32_e32 v24, vcc_lo, s1, v6, vcc_lo
	v_add_co_u32 v25, vcc_lo, s0, v25
	v_ashrrev_i32_e32 v30, 31, v29
	v_add_nc_u32_e32 v37, s3, v35
	v_add_co_ci_u32_e32 v26, vcc_lo, s1, v26, vcc_lo
	v_lshlrev_b64 v[31:32], 3, v[27:28]
	v_add_co_u32 v27, vcc_lo, s0, v11
	v_add_co_ci_u32_e32 v28, vcc_lo, s1, v12, vcc_lo
	v_lshlrev_b64 v[11:12], 3, v[29:30]
	v_ashrrev_i32_e32 v34, 31, v33
	v_add_nc_u32_e32 v39, s3, v37
	v_add_co_u32 v29, vcc_lo, s0, v31
	v_ashrrev_i32_e32 v36, 31, v35
	v_add_co_ci_u32_e32 v30, vcc_lo, s1, v32, vcc_lo
	v_lshlrev_b64 v[33:34], 3, v[33:34]
	v_add_nc_u32_e32 v41, s3, v39
	v_add_co_u32 v31, vcc_lo, s0, v11
	v_add_co_ci_u32_e32 v32, vcc_lo, s1, v12, vcc_lo
	v_lshlrev_b64 v[11:12], 3, v[35:36]
	v_ashrrev_i32_e32 v38, 31, v37
	v_add_nc_u32_e32 v43, s3, v41
	v_add_co_u32 v33, vcc_lo, s0, v33
	v_ashrrev_i32_e32 v40, 31, v39
	v_add_co_ci_u32_e32 v34, vcc_lo, s1, v34, vcc_lo
	v_lshlrev_b64 v[37:38], 3, v[37:38]
	v_add_co_u32 v35, vcc_lo, s0, v11
	v_add_nc_u32_e32 v45, s3, v43
	v_add_co_ci_u32_e32 v36, vcc_lo, s1, v12, vcc_lo
	v_lshlrev_b64 v[11:12], 3, v[39:40]
	v_ashrrev_i32_e32 v42, 31, v41
	v_add_co_u32 v37, vcc_lo, s0, v37
	v_ashrrev_i32_e32 v44, 31, v43
	v_add_nc_u32_e32 v49, s3, v45
	v_add_co_ci_u32_e32 v38, vcc_lo, s1, v38, vcc_lo
	v_lshlrev_b64 v[41:42], 3, v[41:42]
	v_add_co_u32 v39, vcc_lo, s0, v11
	v_ashrrev_i32_e32 v46, 31, v45
	v_add_co_ci_u32_e32 v40, vcc_lo, s1, v12, vcc_lo
	v_lshlrev_b64 v[11:12], 3, v[43:44]
	v_ashrrev_i32_e32 v50, 31, v49
	v_add_co_u32 v41, vcc_lo, s0, v41
	v_lshlrev_b64 v[45:46], 3, v[45:46]
	v_add_co_ci_u32_e32 v42, vcc_lo, s1, v42, vcc_lo
	v_add_co_u32 v43, vcc_lo, s0, v11
	v_lshlrev_b64 v[47:48], 3, v[49:50]
	v_add_co_ci_u32_e32 v44, vcc_lo, s1, v12, vcc_lo
	v_add_co_u32 v45, vcc_lo, s0, v45
	v_add_co_ci_u32_e32 v46, vcc_lo, s1, v46, vcc_lo
	s_clause 0x3
	global_load_b64 v[3:4], v[17:18], off
	global_load_b64 v[5:6], v[19:20], off
	global_load_b64 v[7:8], v[15:16], off
	global_load_b64 v[9:10], v[21:22], off
	v_add_co_u32 v47, vcc_lo, s0, v47
	s_clause 0x8
	global_load_b64 v[11:12], v[23:24], off
	global_load_b64 v[88:89], v[25:26], off
	;; [unrolled: 1-line block ×9, first 2 shown]
	v_add_co_ci_u32_e32 v48, vcc_lo, s1, v48, vcc_lo
	s_clause 0x3
	global_load_b64 v[104:105], v[41:42], off
	global_load_b64 v[106:107], v[43:44], off
	global_load_b64 v[108:109], v[45:46], off
	global_load_b64 v[110:111], v[47:48], off
	v_add_nc_u32_e32 v49, s3, v49
	s_delay_alu instid0(VALU_DEP_1) | instskip(SKIP_1) | instid1(VALU_DEP_2)
	v_add_nc_u32_e32 v51, s3, v49
	v_ashrrev_i32_e32 v50, 31, v49
	v_add_nc_u32_e32 v53, s3, v51
	v_ashrrev_i32_e32 v52, 31, v51
	s_delay_alu instid0(VALU_DEP_3) | instskip(NEXT) | instid1(VALU_DEP_3)
	v_lshlrev_b64 v[49:50], 3, v[49:50]
	v_add_nc_u32_e32 v55, s3, v53
	v_ashrrev_i32_e32 v54, 31, v53
	s_delay_alu instid0(VALU_DEP_4) | instskip(NEXT) | instid1(VALU_DEP_4)
	v_lshlrev_b64 v[51:52], 3, v[51:52]
	v_add_co_u32 v49, vcc_lo, s0, v49
	s_delay_alu instid0(VALU_DEP_4) | instskip(SKIP_3) | instid1(VALU_DEP_4)
	v_add_nc_u32_e32 v57, s3, v55
	v_ashrrev_i32_e32 v56, 31, v55
	v_lshlrev_b64 v[53:54], 3, v[53:54]
	v_add_co_ci_u32_e32 v50, vcc_lo, s1, v50, vcc_lo
	v_add_nc_u32_e32 v59, s3, v57
	v_ashrrev_i32_e32 v58, 31, v57
	v_add_co_u32 v51, vcc_lo, s0, v51
	v_lshlrev_b64 v[55:56], 3, v[55:56]
	s_delay_alu instid0(VALU_DEP_4) | instskip(SKIP_3) | instid1(VALU_DEP_4)
	v_add_nc_u32_e32 v61, s3, v59
	v_ashrrev_i32_e32 v60, 31, v59
	v_add_co_ci_u32_e32 v52, vcc_lo, s1, v52, vcc_lo
	v_add_co_u32 v53, vcc_lo, s0, v53
	v_add_nc_u32_e32 v63, s3, v61
	v_lshlrev_b64 v[57:58], 3, v[57:58]
	v_ashrrev_i32_e32 v62, 31, v61
	v_add_co_ci_u32_e32 v54, vcc_lo, s1, v54, vcc_lo
	s_delay_alu instid0(VALU_DEP_4) | instskip(SKIP_3) | instid1(VALU_DEP_4)
	v_add_nc_u32_e32 v65, s3, v63
	v_add_co_u32 v55, vcc_lo, s0, v55
	v_lshlrev_b64 v[59:60], 3, v[59:60]
	v_ashrrev_i32_e32 v64, 31, v63
	v_add_nc_u32_e32 v67, s3, v65
	v_add_co_ci_u32_e32 v56, vcc_lo, s1, v56, vcc_lo
	v_add_co_u32 v57, vcc_lo, s0, v57
	s_delay_alu instid0(VALU_DEP_3) | instskip(SKIP_3) | instid1(VALU_DEP_4)
	v_add_nc_u32_e32 v69, s3, v67
	v_lshlrev_b64 v[61:62], 3, v[61:62]
	v_ashrrev_i32_e32 v66, 31, v65
	v_add_co_ci_u32_e32 v58, vcc_lo, s1, v58, vcc_lo
	v_add_nc_u32_e32 v71, s3, v69
	v_add_co_u32 v59, vcc_lo, s0, v59
	v_lshlrev_b64 v[63:64], 3, v[63:64]
	v_ashrrev_i32_e32 v68, 31, v67
	s_delay_alu instid0(VALU_DEP_4) | instskip(SKIP_2) | instid1(VALU_DEP_3)
	v_add_nc_u32_e32 v73, s3, v71
	v_add_co_ci_u32_e32 v60, vcc_lo, s1, v60, vcc_lo
	v_add_co_u32 v61, vcc_lo, s0, v61
	v_add_nc_u32_e32 v75, s3, v73
	v_lshlrev_b64 v[65:66], 3, v[65:66]
	v_ashrrev_i32_e32 v70, 31, v69
	v_add_co_ci_u32_e32 v62, vcc_lo, s1, v62, vcc_lo
	s_delay_alu instid0(VALU_DEP_4)
	v_add_nc_u32_e32 v77, s3, v75
	v_add_co_u32 v63, vcc_lo, s0, v63
	v_lshlrev_b64 v[67:68], 3, v[67:68]
	v_ashrrev_i32_e32 v72, 31, v71
	v_add_co_ci_u32_e32 v64, vcc_lo, s1, v64, vcc_lo
	v_add_co_u32 v65, vcc_lo, s0, v65
	v_lshlrev_b64 v[69:70], 3, v[69:70]
	v_ashrrev_i32_e32 v74, 31, v73
	v_add_nc_u32_e32 v79, s3, v77
	v_add_co_ci_u32_e32 v66, vcc_lo, s1, v66, vcc_lo
	v_add_co_u32 v67, vcc_lo, s0, v67
	v_lshlrev_b64 v[71:72], 3, v[71:72]
	v_ashrrev_i32_e32 v76, 31, v75
	v_add_co_ci_u32_e32 v68, vcc_lo, s1, v68, vcc_lo
	v_add_co_u32 v69, vcc_lo, s0, v69
	v_lshlrev_b64 v[73:74], 3, v[73:74]
	v_add_nc_u32_e32 v81, s3, v79
	v_ashrrev_i32_e32 v78, 31, v77
	v_add_co_ci_u32_e32 v70, vcc_lo, s1, v70, vcc_lo
	v_add_co_u32 v71, vcc_lo, s0, v71
	v_lshlrev_b64 v[75:76], 3, v[75:76]
	v_ashrrev_i32_e32 v80, 31, v79
	v_add_co_ci_u32_e32 v72, vcc_lo, s1, v72, vcc_lo
	v_add_nc_u32_e32 v85, s3, v81
	v_add_co_u32 v73, vcc_lo, s0, v73
	v_lshlrev_b64 v[77:78], 3, v[77:78]
	v_ashrrev_i32_e32 v82, 31, v81
	v_add_co_ci_u32_e32 v74, vcc_lo, s1, v74, vcc_lo
	v_add_co_u32 v75, vcc_lo, s0, v75
	v_lshlrev_b64 v[79:80], 3, v[79:80]
	v_add_nc_u32_e32 v112, s3, v85
	v_add_co_ci_u32_e32 v76, vcc_lo, s1, v76, vcc_lo
	v_add_co_u32 v77, vcc_lo, s0, v77
	v_lshlrev_b64 v[81:82], 3, v[81:82]
	v_ashrrev_i32_e32 v86, 31, v85
	v_add_co_ci_u32_e32 v78, vcc_lo, s1, v78, vcc_lo
	v_add_co_u32 v83, vcc_lo, s0, v79
	v_ashrrev_i32_e32 v113, 31, v112
	v_add_co_ci_u32_e32 v84, vcc_lo, s1, v80, vcc_lo
	v_lshlrev_b64 v[79:80], 3, v[85:86]
	v_add_co_u32 v85, vcc_lo, s0, v81
	v_add_co_ci_u32_e32 v86, vcc_lo, s1, v82, vcc_lo
	v_lshlrev_b64 v[81:82], 3, v[112:113]
	s_delay_alu instid0(VALU_DEP_4) | instskip(SKIP_1) | instid1(VALU_DEP_3)
	v_add_co_u32 v79, vcc_lo, s0, v79
	v_add_co_ci_u32_e32 v80, vcc_lo, s1, v80, vcc_lo
	v_add_co_u32 v81, vcc_lo, s0, v81
	s_delay_alu instid0(VALU_DEP_4)
	v_add_co_ci_u32_e32 v82, vcc_lo, s1, v82, vcc_lo
	s_mov_b32 s1, -1
	s_waitcnt vmcnt(16)
	scratch_store_b128 off, v[1:4], off
	s_clause 0x2
	global_load_b64 v[1:2], v[49:50], off
	global_load_b64 v[3:4], v[51:52], off
	global_load_b64 v[112:113], v[53:54], off
	s_waitcnt vmcnt(17)
	scratch_store_b128 off, v[5:8], off offset:16
	s_waitcnt vmcnt(15)
	scratch_store_b128 off, v[9:12], off offset:32
	s_clause 0x3
	global_load_b64 v[114:115], v[55:56], off
	global_load_b64 v[5:6], v[57:58], off
	global_load_b64 v[7:8], v[59:60], off
	global_load_b64 v[9:10], v[61:62], off
	s_waitcnt vmcnt(17)
	scratch_store_b128 off, v[88:91], off offset:48
	s_waitcnt vmcnt(15)
	scratch_store_b128 off, v[92:95], off offset:64
	s_clause 0x3
	global_load_b64 v[11:12], v[63:64], off
	;; [unrolled: 9-line block ×3, first 2 shown]
	global_load_b64 v[96:97], v[73:74], off
	global_load_b64 v[98:99], v[75:76], off
	;; [unrolled: 1-line block ×3, first 2 shown]
	s_waitcnt vmcnt(17)
	scratch_store_b128 off, v[104:107], off offset:112
	s_clause 0x2
	global_load_b64 v[102:103], v[83:84], off
	global_load_b64 v[104:105], v[85:86], off
	global_load_b64 v[106:107], v[79:80], off
	s_waitcnt vmcnt(18)
	scratch_store_b128 off, v[108:111], off offset:128
	global_load_b64 v[108:109], v[81:82], off
	s_waitcnt vmcnt(17)
	scratch_store_b128 off, v[1:4], off offset:144
	s_waitcnt vmcnt(15)
	scratch_store_b128 off, v[112:115], off offset:160
	;; [unrolled: 2-line block ×9, first 2 shown]
	s_waitcnt vmcnt(0)
	scratch_store_b64 off, v[108:109], off offset:288
	s_cbranch_scc1 .LBB36_156
; %bb.4:
	v_cmp_eq_u32_e64 s0, 0, v0
	s_delay_alu instid0(VALU_DEP_1)
	s_and_saveexec_b32 s1, s0
	s_cbranch_execz .LBB36_6
; %bb.5:
	v_mov_b32_e32 v1, 0
	ds_store_b32 v1, v1 offset:296
.LBB36_6:
	s_or_b32 exec_lo, exec_lo, s1
	s_waitcnt lgkmcnt(0)
	s_waitcnt_vscnt null, 0x0
	s_barrier
	buffer_gl0_inv
	scratch_load_b64 v[1:2], v87, off
	s_mov_b32 s2, exec_lo
	s_waitcnt vmcnt(0)
	v_cmpx_eq_f64_e32 0, v[1:2]
	s_cbranch_execz .LBB36_10
; %bb.7:
	v_mov_b32_e32 v1, 0
	s_mov_b32 s3, 0
	ds_load_b32 v2, v1 offset:296
	s_waitcnt lgkmcnt(0)
	v_readfirstlane_b32 s1, v2
	v_add_nc_u32_e32 v2, 1, v0
	s_delay_alu instid0(VALU_DEP_2) | instskip(NEXT) | instid1(VALU_DEP_1)
	s_cmp_eq_u32 s1, 0
	v_cmp_gt_i32_e32 vcc_lo, s1, v2
	s_cselect_b32 s4, -1, 0
	s_delay_alu instid0(SALU_CYCLE_1) | instskip(NEXT) | instid1(SALU_CYCLE_1)
	s_or_b32 s4, s4, vcc_lo
	s_and_b32 exec_lo, exec_lo, s4
	s_cbranch_execz .LBB36_10
; %bb.8:
	v_mov_b32_e32 v3, s1
.LBB36_9:                               ; =>This Inner Loop Header: Depth=1
	ds_cmpstore_rtn_b32 v3, v1, v2, v3 offset:296
	s_waitcnt lgkmcnt(0)
	v_cmp_ne_u32_e32 vcc_lo, 0, v3
	v_cmp_le_i32_e64 s1, v3, v2
	s_delay_alu instid0(VALU_DEP_1) | instskip(NEXT) | instid1(SALU_CYCLE_1)
	s_and_b32 s1, vcc_lo, s1
	s_and_b32 s1, exec_lo, s1
	s_delay_alu instid0(SALU_CYCLE_1) | instskip(NEXT) | instid1(SALU_CYCLE_1)
	s_or_b32 s3, s1, s3
	s_and_not1_b32 exec_lo, exec_lo, s3
	s_cbranch_execnz .LBB36_9
.LBB36_10:
	s_or_b32 exec_lo, exec_lo, s2
	v_mov_b32_e32 v1, 0
	s_barrier
	buffer_gl0_inv
	ds_load_b32 v2, v1 offset:296
	s_and_saveexec_b32 s1, s0
	s_cbranch_execz .LBB36_12
; %bb.11:
	s_lshl_b64 s[2:3], s[14:15], 2
	s_delay_alu instid0(SALU_CYCLE_1)
	s_add_u32 s2, s6, s2
	s_addc_u32 s3, s7, s3
	s_waitcnt lgkmcnt(0)
	global_store_b32 v1, v2, s[2:3]
.LBB36_12:
	s_or_b32 exec_lo, exec_lo, s1
	s_waitcnt lgkmcnt(0)
	v_cmp_ne_u32_e32 vcc_lo, 0, v2
	s_mov_b32 s1, 0
	s_cbranch_vccnz .LBB36_156
; %bb.13:
	v_add_nc_u32_e32 v3, 0, v87
	scratch_load_b64 v[1:2], v3, off
	s_waitcnt vmcnt(0)
	v_div_scale_f64 v[4:5], null, v[1:2], v[1:2], 1.0
	v_div_scale_f64 v[10:11], vcc_lo, 1.0, v[1:2], 1.0
	s_delay_alu instid0(VALU_DEP_2) | instskip(SKIP_2) | instid1(VALU_DEP_1)
	v_rcp_f64_e32 v[6:7], v[4:5]
	s_waitcnt_depctr 0xfff
	v_fma_f64 v[8:9], -v[4:5], v[6:7], 1.0
	v_fma_f64 v[6:7], v[6:7], v[8:9], v[6:7]
	s_delay_alu instid0(VALU_DEP_1) | instskip(NEXT) | instid1(VALU_DEP_1)
	v_fma_f64 v[8:9], -v[4:5], v[6:7], 1.0
	v_fma_f64 v[6:7], v[6:7], v[8:9], v[6:7]
	s_delay_alu instid0(VALU_DEP_1) | instskip(NEXT) | instid1(VALU_DEP_1)
	v_mul_f64 v[8:9], v[10:11], v[6:7]
	v_fma_f64 v[4:5], -v[4:5], v[8:9], v[10:11]
	s_delay_alu instid0(VALU_DEP_1) | instskip(NEXT) | instid1(VALU_DEP_1)
	v_div_fmas_f64 v[4:5], v[4:5], v[6:7], v[8:9]
	v_div_fixup_f64 v[1:2], v[4:5], v[1:2], 1.0
	v_add_nc_u32_e32 v4, 0x130, v87
	scratch_store_b64 v3, v[1:2], off
	scratch_load_b64 v[5:6], off, off offset:8
	v_xor_b32_e32 v2, 0x80000000, v2
	s_waitcnt vmcnt(0)
	ds_store_2addr_b64 v87, v[1:2], v[5:6] offset1:38
	s_waitcnt lgkmcnt(0)
	s_waitcnt_vscnt null, 0x0
	s_barrier
	buffer_gl0_inv
	s_and_saveexec_b32 s1, s0
	s_cbranch_execz .LBB36_15
; %bb.14:
	scratch_load_b64 v[1:2], v3, off
	ds_load_b64 v[5:6], v4
	s_waitcnt vmcnt(0) lgkmcnt(0)
	v_fma_f64 v[1:2], v[1:2], v[5:6], 0
	v_mov_b32_e32 v5, 0
	ds_load_b64 v[5:6], v5 offset:8
	s_waitcnt lgkmcnt(0)
	v_mul_f64 v[1:2], v[1:2], v[5:6]
	scratch_store_b64 off, v[1:2], off offset:8
.LBB36_15:
	s_or_b32 exec_lo, exec_lo, s1
	s_waitcnt_vscnt null, 0x0
	s_barrier
	buffer_gl0_inv
	scratch_load_b64 v[1:2], off, off offset:16
	s_mov_b32 s1, exec_lo
	s_waitcnt vmcnt(0)
	ds_store_b64 v4, v[1:2]
	s_waitcnt lgkmcnt(0)
	s_barrier
	buffer_gl0_inv
	v_cmpx_gt_u32_e32 2, v0
	s_cbranch_execz .LBB36_19
; %bb.16:
	scratch_load_b64 v[1:2], v3, off
	ds_load_b64 v[5:6], v4
	s_waitcnt vmcnt(0) lgkmcnt(0)
	v_fma_f64 v[1:2], v[1:2], v[5:6], 0
	s_and_saveexec_b32 s2, s0
	s_cbranch_execz .LBB36_18
; %bb.17:
	scratch_load_b64 v[5:6], off, off offset:8
	v_mov_b32_e32 v7, 0
	ds_load_b64 v[7:8], v7 offset:312
	s_waitcnt vmcnt(0) lgkmcnt(0)
	v_fma_f64 v[1:2], v[5:6], v[7:8], v[1:2]
.LBB36_18:
	s_or_b32 exec_lo, exec_lo, s2
	v_mov_b32_e32 v5, 0
	ds_load_b64 v[5:6], v5 offset:16
	s_waitcnt lgkmcnt(0)
	v_mul_f64 v[1:2], v[1:2], v[5:6]
	scratch_store_b64 off, v[1:2], off offset:16
.LBB36_19:
	s_or_b32 exec_lo, exec_lo, s1
	s_waitcnt_vscnt null, 0x0
	s_barrier
	buffer_gl0_inv
	scratch_load_b64 v[1:2], off, off offset:24
	v_add_nc_u32_e32 v5, -1, v0
	s_mov_b32 s0, exec_lo
	s_waitcnt vmcnt(0)
	ds_store_b64 v4, v[1:2]
	s_waitcnt lgkmcnt(0)
	s_barrier
	buffer_gl0_inv
	v_cmpx_gt_u32_e32 3, v0
	s_cbranch_execz .LBB36_23
; %bb.20:
	v_dual_mov_b32 v1, 0 :: v_dual_add_nc_u32 v6, -1, v0
	v_dual_mov_b32 v2, 0 :: v_dual_add_nc_u32 v7, 0x130, v87
	v_add_nc_u32_e32 v8, 0, v87
	s_mov_b32 s1, 0
.LBB36_21:                              ; =>This Inner Loop Header: Depth=1
	scratch_load_b64 v[9:10], v8, off
	ds_load_b64 v[11:12], v7
	v_add_nc_u32_e32 v6, 1, v6
	v_add_nc_u32_e32 v7, 8, v7
	v_add_nc_u32_e32 v8, 8, v8
	s_delay_alu instid0(VALU_DEP_3)
	v_cmp_lt_u32_e32 vcc_lo, 1, v6
	s_or_b32 s1, vcc_lo, s1
	s_waitcnt vmcnt(0) lgkmcnt(0)
	v_fma_f64 v[1:2], v[9:10], v[11:12], v[1:2]
	s_and_not1_b32 exec_lo, exec_lo, s1
	s_cbranch_execnz .LBB36_21
; %bb.22:
	s_or_b32 exec_lo, exec_lo, s1
	v_mov_b32_e32 v6, 0
	ds_load_b64 v[6:7], v6 offset:24
	s_waitcnt lgkmcnt(0)
	v_mul_f64 v[1:2], v[1:2], v[6:7]
	scratch_store_b64 off, v[1:2], off offset:24
.LBB36_23:
	s_or_b32 exec_lo, exec_lo, s0
	s_waitcnt_vscnt null, 0x0
	s_barrier
	buffer_gl0_inv
	scratch_load_b64 v[1:2], off, off offset:32
	s_mov_b32 s0, exec_lo
	s_waitcnt vmcnt(0)
	ds_store_b64 v4, v[1:2]
	s_waitcnt lgkmcnt(0)
	s_barrier
	buffer_gl0_inv
	v_cmpx_gt_u32_e32 4, v0
	s_cbranch_execz .LBB36_27
; %bb.24:
	v_dual_mov_b32 v1, 0 :: v_dual_add_nc_u32 v6, -1, v0
	v_dual_mov_b32 v2, 0 :: v_dual_add_nc_u32 v7, 0x130, v87
	v_add_nc_u32_e32 v8, 0, v87
	s_mov_b32 s1, 0
.LBB36_25:                              ; =>This Inner Loop Header: Depth=1
	scratch_load_b64 v[9:10], v8, off
	ds_load_b64 v[11:12], v7
	v_add_nc_u32_e32 v6, 1, v6
	v_add_nc_u32_e32 v7, 8, v7
	v_add_nc_u32_e32 v8, 8, v8
	s_delay_alu instid0(VALU_DEP_3)
	v_cmp_lt_u32_e32 vcc_lo, 2, v6
	s_or_b32 s1, vcc_lo, s1
	s_waitcnt vmcnt(0) lgkmcnt(0)
	v_fma_f64 v[1:2], v[9:10], v[11:12], v[1:2]
	s_and_not1_b32 exec_lo, exec_lo, s1
	s_cbranch_execnz .LBB36_25
; %bb.26:
	s_or_b32 exec_lo, exec_lo, s1
	v_mov_b32_e32 v6, 0
	ds_load_b64 v[6:7], v6 offset:32
	s_waitcnt lgkmcnt(0)
	v_mul_f64 v[1:2], v[1:2], v[6:7]
	scratch_store_b64 off, v[1:2], off offset:32
.LBB36_27:
	s_or_b32 exec_lo, exec_lo, s0
	s_waitcnt_vscnt null, 0x0
	s_barrier
	buffer_gl0_inv
	scratch_load_b64 v[1:2], off, off offset:40
	;; [unrolled: 39-line block ×20, first 2 shown]
	s_mov_b32 s0, exec_lo
	s_waitcnt vmcnt(0)
	ds_store_b64 v4, v[1:2]
	s_waitcnt lgkmcnt(0)
	s_barrier
	buffer_gl0_inv
	v_cmpx_gt_u32_e32 23, v0
	s_cbranch_execz .LBB36_103
; %bb.100:
	v_dual_mov_b32 v1, 0 :: v_dual_add_nc_u32 v6, -1, v0
	v_dual_mov_b32 v2, 0 :: v_dual_add_nc_u32 v7, 0x130, v87
	v_add_nc_u32_e32 v8, 0, v87
	s_mov_b32 s1, 0
.LBB36_101:                             ; =>This Inner Loop Header: Depth=1
	scratch_load_b64 v[9:10], v8, off
	ds_load_b64 v[11:12], v7
	v_add_nc_u32_e32 v6, 1, v6
	v_add_nc_u32_e32 v7, 8, v7
	v_add_nc_u32_e32 v8, 8, v8
	s_delay_alu instid0(VALU_DEP_3)
	v_cmp_lt_u32_e32 vcc_lo, 21, v6
	s_or_b32 s1, vcc_lo, s1
	s_waitcnt vmcnt(0) lgkmcnt(0)
	v_fma_f64 v[1:2], v[9:10], v[11:12], v[1:2]
	s_and_not1_b32 exec_lo, exec_lo, s1
	s_cbranch_execnz .LBB36_101
; %bb.102:
	s_or_b32 exec_lo, exec_lo, s1
	v_mov_b32_e32 v6, 0
	ds_load_b64 v[6:7], v6 offset:184
	s_waitcnt lgkmcnt(0)
	v_mul_f64 v[1:2], v[1:2], v[6:7]
	scratch_store_b64 off, v[1:2], off offset:184
.LBB36_103:
	s_or_b32 exec_lo, exec_lo, s0
	s_waitcnt_vscnt null, 0x0
	s_barrier
	buffer_gl0_inv
	scratch_load_b64 v[1:2], off, off offset:192
	s_mov_b32 s0, exec_lo
	s_waitcnt vmcnt(0)
	ds_store_b64 v4, v[1:2]
	s_waitcnt lgkmcnt(0)
	s_barrier
	buffer_gl0_inv
	v_cmpx_gt_u32_e32 24, v0
	s_cbranch_execz .LBB36_107
; %bb.104:
	v_dual_mov_b32 v1, 0 :: v_dual_add_nc_u32 v6, -1, v0
	v_dual_mov_b32 v2, 0 :: v_dual_add_nc_u32 v7, 0x130, v87
	v_add_nc_u32_e32 v8, 0, v87
	s_mov_b32 s1, 0
.LBB36_105:                             ; =>This Inner Loop Header: Depth=1
	scratch_load_b64 v[9:10], v8, off
	ds_load_b64 v[11:12], v7
	v_add_nc_u32_e32 v6, 1, v6
	v_add_nc_u32_e32 v7, 8, v7
	v_add_nc_u32_e32 v8, 8, v8
	s_delay_alu instid0(VALU_DEP_3)
	v_cmp_lt_u32_e32 vcc_lo, 22, v6
	s_or_b32 s1, vcc_lo, s1
	s_waitcnt vmcnt(0) lgkmcnt(0)
	v_fma_f64 v[1:2], v[9:10], v[11:12], v[1:2]
	s_and_not1_b32 exec_lo, exec_lo, s1
	s_cbranch_execnz .LBB36_105
; %bb.106:
	s_or_b32 exec_lo, exec_lo, s1
	v_mov_b32_e32 v6, 0
	ds_load_b64 v[6:7], v6 offset:192
	s_waitcnt lgkmcnt(0)
	v_mul_f64 v[1:2], v[1:2], v[6:7]
	scratch_store_b64 off, v[1:2], off offset:192
.LBB36_107:
	s_or_b32 exec_lo, exec_lo, s0
	s_waitcnt_vscnt null, 0x0
	s_barrier
	buffer_gl0_inv
	scratch_load_b64 v[1:2], off, off offset:200
	;; [unrolled: 39-line block ×13, first 2 shown]
	s_mov_b32 s0, exec_lo
	s_waitcnt vmcnt(0)
	ds_store_b64 v4, v[1:2]
	s_waitcnt lgkmcnt(0)
	s_barrier
	buffer_gl0_inv
	v_cmpx_ne_u32_e32 36, v0
	s_cbranch_execz .LBB36_155
; %bb.152:
	v_mov_b32_e32 v1, 0
	v_mov_b32_e32 v2, 0
	s_mov_b32 s1, 0
.LBB36_153:                             ; =>This Inner Loop Header: Depth=1
	scratch_load_b64 v[6:7], v3, off
	ds_load_b64 v[8:9], v4
	v_add_nc_u32_e32 v5, 1, v5
	v_add_nc_u32_e32 v4, 8, v4
	;; [unrolled: 1-line block ×3, first 2 shown]
	s_delay_alu instid0(VALU_DEP_3)
	v_cmp_lt_u32_e32 vcc_lo, 34, v5
	s_or_b32 s1, vcc_lo, s1
	s_waitcnt vmcnt(0) lgkmcnt(0)
	v_fma_f64 v[1:2], v[6:7], v[8:9], v[1:2]
	s_and_not1_b32 exec_lo, exec_lo, s1
	s_cbranch_execnz .LBB36_153
; %bb.154:
	s_or_b32 exec_lo, exec_lo, s1
	v_mov_b32_e32 v3, 0
	ds_load_b64 v[3:4], v3 offset:288
	s_waitcnt lgkmcnt(0)
	v_mul_f64 v[1:2], v[1:2], v[3:4]
	scratch_store_b64 off, v[1:2], off offset:288
.LBB36_155:
	s_or_b32 exec_lo, exec_lo, s0
	s_mov_b32 s1, -1
	s_waitcnt_vscnt null, 0x0
	s_barrier
	buffer_gl0_inv
.LBB36_156:
	s_and_b32 vcc_lo, exec_lo, s1
	s_cbranch_vccz .LBB36_158
; %bb.157:
	s_lshl_b64 s[0:1], s[14:15], 2
	v_mov_b32_e32 v1, 0
	s_add_u32 s0, s6, s0
	s_addc_u32 s1, s7, s1
	global_load_b32 v1, v1, s[0:1]
	s_waitcnt vmcnt(0)
	v_cmp_ne_u32_e32 vcc_lo, 0, v1
	s_cbranch_vccz .LBB36_159
.LBB36_158:
	s_endpgm
.LBB36_159:
	v_lshl_add_u32 v3, v0, 3, 0x130
	s_mov_b32 s0, exec_lo
	v_cmpx_eq_u32_e32 36, v0
	s_cbranch_execz .LBB36_161
; %bb.160:
	scratch_load_b64 v[1:2], off, off offset:280
	v_mov_b32_e32 v4, 0
	s_delay_alu instid0(VALU_DEP_1)
	v_mov_b32_e32 v5, v4
	scratch_store_b64 off, v[4:5], off offset:280
	s_waitcnt vmcnt(0)
	ds_store_b64 v3, v[1:2]
.LBB36_161:
	s_or_b32 exec_lo, exec_lo, s0
	s_waitcnt lgkmcnt(0)
	s_waitcnt_vscnt null, 0x0
	s_barrier
	buffer_gl0_inv
	scratch_load_b128 v[4:7], off, off offset:280
	v_mov_b32_e32 v1, 0
	s_mov_b32 s0, exec_lo
	ds_load_b64 v[8:9], v1 offset:592
	s_waitcnt vmcnt(0) lgkmcnt(0)
	v_fma_f64 v[6:7], v[6:7], v[8:9], 0
	s_delay_alu instid0(VALU_DEP_1)
	v_add_f64 v[4:5], v[4:5], -v[6:7]
	scratch_store_b64 off, v[4:5], off offset:280
	v_cmpx_lt_u32_e32 34, v0
	s_cbranch_execz .LBB36_163
; %bb.162:
	scratch_load_b64 v[4:5], off, off offset:272
	v_mov_b32_e32 v2, v1
	scratch_store_b64 off, v[1:2], off offset:272
	s_waitcnt vmcnt(0)
	ds_store_b64 v3, v[4:5]
.LBB36_163:
	s_or_b32 exec_lo, exec_lo, s0
	s_waitcnt lgkmcnt(0)
	s_waitcnt_vscnt null, 0x0
	s_barrier
	buffer_gl0_inv
	s_clause 0x1
	scratch_load_b128 v[4:7], off, off offset:272
	scratch_load_b64 v[87:88], off, off offset:288
	ds_load_2addr_b64 v[8:11], v1 offset0:73 offset1:74
	s_mov_b32 s0, exec_lo
	s_waitcnt vmcnt(1) lgkmcnt(0)
	v_fma_f64 v[1:2], v[6:7], v[8:9], 0
	s_waitcnt vmcnt(0)
	s_delay_alu instid0(VALU_DEP_1) | instskip(NEXT) | instid1(VALU_DEP_1)
	v_fma_f64 v[1:2], v[87:88], v[10:11], v[1:2]
	v_add_f64 v[1:2], v[4:5], -v[1:2]
	scratch_store_b64 off, v[1:2], off offset:272
	v_cmpx_lt_u32_e32 33, v0
	s_cbranch_execz .LBB36_165
; %bb.164:
	scratch_load_b64 v[1:2], off, off offset:264
	v_mov_b32_e32 v4, 0
	s_delay_alu instid0(VALU_DEP_1)
	v_mov_b32_e32 v5, v4
	scratch_store_b64 off, v[4:5], off offset:264
	s_waitcnt vmcnt(0)
	ds_store_b64 v3, v[1:2]
.LBB36_165:
	s_or_b32 exec_lo, exec_lo, s0
	s_waitcnt lgkmcnt(0)
	s_waitcnt_vscnt null, 0x0
	s_barrier
	buffer_gl0_inv
	s_clause 0x1
	scratch_load_b128 v[4:7], off, off offset:264
	scratch_load_b128 v[8:11], off, off offset:280
	v_mov_b32_e32 v1, 0
	ds_load_b128 v[87:90], v1 offset:576
	ds_load_b64 v[91:92], v1 offset:592
	s_mov_b32 s0, exec_lo
	s_waitcnt vmcnt(1) lgkmcnt(1)
	v_fma_f64 v[6:7], v[6:7], v[87:88], 0
	s_waitcnt vmcnt(0)
	s_delay_alu instid0(VALU_DEP_1) | instskip(SKIP_1) | instid1(VALU_DEP_1)
	v_fma_f64 v[6:7], v[8:9], v[89:90], v[6:7]
	s_waitcnt lgkmcnt(0)
	v_fma_f64 v[6:7], v[10:11], v[91:92], v[6:7]
	s_delay_alu instid0(VALU_DEP_1)
	v_add_f64 v[4:5], v[4:5], -v[6:7]
	scratch_store_b64 off, v[4:5], off offset:264
	v_cmpx_lt_u32_e32 32, v0
	s_cbranch_execz .LBB36_167
; %bb.166:
	scratch_load_b64 v[4:5], off, off offset:256
	v_mov_b32_e32 v2, v1
	scratch_store_b64 off, v[1:2], off offset:256
	s_waitcnt vmcnt(0)
	ds_store_b64 v3, v[4:5]
.LBB36_167:
	s_or_b32 exec_lo, exec_lo, s0
	s_waitcnt lgkmcnt(0)
	s_waitcnt_vscnt null, 0x0
	s_barrier
	buffer_gl0_inv
	s_clause 0x2
	scratch_load_b128 v[4:7], off, off offset:256
	scratch_load_b128 v[8:11], off, off offset:272
	scratch_load_b64 v[95:96], off, off offset:288
	ds_load_2addr_b64 v[87:90], v1 offset0:71 offset1:72
	ds_load_2addr_b64 v[91:94], v1 offset0:73 offset1:74
	s_mov_b32 s0, exec_lo
	s_waitcnt vmcnt(2) lgkmcnt(1)
	v_fma_f64 v[1:2], v[6:7], v[87:88], 0
	s_waitcnt vmcnt(1)
	s_delay_alu instid0(VALU_DEP_1) | instskip(SKIP_1) | instid1(VALU_DEP_1)
	v_fma_f64 v[1:2], v[8:9], v[89:90], v[1:2]
	s_waitcnt lgkmcnt(0)
	v_fma_f64 v[1:2], v[10:11], v[91:92], v[1:2]
	s_waitcnt vmcnt(0)
	s_delay_alu instid0(VALU_DEP_1) | instskip(NEXT) | instid1(VALU_DEP_1)
	v_fma_f64 v[1:2], v[95:96], v[93:94], v[1:2]
	v_add_f64 v[1:2], v[4:5], -v[1:2]
	scratch_store_b64 off, v[1:2], off offset:256
	v_cmpx_lt_u32_e32 31, v0
	s_cbranch_execz .LBB36_169
; %bb.168:
	scratch_load_b64 v[1:2], off, off offset:248
	v_mov_b32_e32 v4, 0
	s_delay_alu instid0(VALU_DEP_1)
	v_mov_b32_e32 v5, v4
	scratch_store_b64 off, v[4:5], off offset:248
	s_waitcnt vmcnt(0)
	ds_store_b64 v3, v[1:2]
.LBB36_169:
	s_or_b32 exec_lo, exec_lo, s0
	s_waitcnt lgkmcnt(0)
	s_waitcnt_vscnt null, 0x0
	s_barrier
	buffer_gl0_inv
	s_clause 0x2
	scratch_load_b128 v[4:7], off, off offset:248
	scratch_load_b128 v[8:11], off, off offset:264
	;; [unrolled: 1-line block ×3, first 2 shown]
	v_mov_b32_e32 v1, 0
	s_mov_b32 s0, exec_lo
	ds_load_b128 v[91:94], v1 offset:560
	s_waitcnt vmcnt(2) lgkmcnt(0)
	v_fma_f64 v[6:7], v[6:7], v[91:92], 0
	s_waitcnt vmcnt(1)
	s_delay_alu instid0(VALU_DEP_1) | instskip(SKIP_4) | instid1(VALU_DEP_1)
	v_fma_f64 v[91:92], v[8:9], v[93:94], v[6:7]
	ds_load_b128 v[6:9], v1 offset:576
	s_waitcnt lgkmcnt(0)
	v_fma_f64 v[6:7], v[10:11], v[6:7], v[91:92]
	s_waitcnt vmcnt(0)
	v_fma_f64 v[6:7], v[87:88], v[8:9], v[6:7]
	ds_load_b64 v[8:9], v1 offset:592
	s_waitcnt lgkmcnt(0)
	v_fma_f64 v[6:7], v[89:90], v[8:9], v[6:7]
	s_delay_alu instid0(VALU_DEP_1)
	v_add_f64 v[4:5], v[4:5], -v[6:7]
	scratch_store_b64 off, v[4:5], off offset:248
	v_cmpx_lt_u32_e32 30, v0
	s_cbranch_execz .LBB36_171
; %bb.170:
	scratch_load_b64 v[4:5], off, off offset:240
	v_mov_b32_e32 v2, v1
	scratch_store_b64 off, v[1:2], off offset:240
	s_waitcnt vmcnt(0)
	ds_store_b64 v3, v[4:5]
.LBB36_171:
	s_or_b32 exec_lo, exec_lo, s0
	s_waitcnt lgkmcnt(0)
	s_waitcnt_vscnt null, 0x0
	s_barrier
	buffer_gl0_inv
	s_clause 0x3
	scratch_load_b128 v[4:7], off, off offset:240
	scratch_load_b128 v[8:11], off, off offset:256
	;; [unrolled: 1-line block ×3, first 2 shown]
	scratch_load_b64 v[95:96], off, off offset:288
	ds_load_2addr_b64 v[91:94], v1 offset0:69 offset1:70
	s_mov_b32 s0, exec_lo
	s_waitcnt vmcnt(3) lgkmcnt(0)
	v_fma_f64 v[6:7], v[6:7], v[91:92], 0
	s_waitcnt vmcnt(2)
	s_delay_alu instid0(VALU_DEP_1) | instskip(SKIP_4) | instid1(VALU_DEP_1)
	v_fma_f64 v[91:92], v[8:9], v[93:94], v[6:7]
	ds_load_2addr_b64 v[6:9], v1 offset0:71 offset1:72
	s_waitcnt lgkmcnt(0)
	v_fma_f64 v[6:7], v[10:11], v[6:7], v[91:92]
	s_waitcnt vmcnt(1)
	v_fma_f64 v[10:11], v[87:88], v[8:9], v[6:7]
	ds_load_2addr_b64 v[6:9], v1 offset0:73 offset1:74
	s_waitcnt lgkmcnt(0)
	v_fma_f64 v[1:2], v[89:90], v[6:7], v[10:11]
	s_waitcnt vmcnt(0)
	s_delay_alu instid0(VALU_DEP_1) | instskip(NEXT) | instid1(VALU_DEP_1)
	v_fma_f64 v[1:2], v[95:96], v[8:9], v[1:2]
	v_add_f64 v[1:2], v[4:5], -v[1:2]
	scratch_store_b64 off, v[1:2], off offset:240
	v_cmpx_lt_u32_e32 29, v0
	s_cbranch_execz .LBB36_173
; %bb.172:
	scratch_load_b64 v[1:2], off, off offset:232
	v_mov_b32_e32 v4, 0
	s_delay_alu instid0(VALU_DEP_1)
	v_mov_b32_e32 v5, v4
	scratch_store_b64 off, v[4:5], off offset:232
	s_waitcnt vmcnt(0)
	ds_store_b64 v3, v[1:2]
.LBB36_173:
	s_or_b32 exec_lo, exec_lo, s0
	s_waitcnt lgkmcnt(0)
	s_waitcnt_vscnt null, 0x0
	s_barrier
	buffer_gl0_inv
	s_clause 0x3
	scratch_load_b128 v[4:7], off, off offset:232
	scratch_load_b128 v[8:11], off, off offset:248
	;; [unrolled: 1-line block ×4, first 2 shown]
	v_mov_b32_e32 v1, 0
	ds_load_b128 v[95:98], v1 offset:544
	ds_load_b128 v[99:102], v1 offset:560
	s_mov_b32 s0, exec_lo
	s_waitcnt vmcnt(3) lgkmcnt(1)
	v_fma_f64 v[6:7], v[6:7], v[95:96], 0
	s_waitcnt vmcnt(2)
	s_delay_alu instid0(VALU_DEP_1) | instskip(SKIP_1) | instid1(VALU_DEP_1)
	v_fma_f64 v[6:7], v[8:9], v[97:98], v[6:7]
	s_waitcnt lgkmcnt(0)
	v_fma_f64 v[6:7], v[10:11], v[99:100], v[6:7]
	s_waitcnt vmcnt(1)
	s_delay_alu instid0(VALU_DEP_1)
	v_fma_f64 v[10:11], v[87:88], v[101:102], v[6:7]
	ds_load_b128 v[6:9], v1 offset:576
	ds_load_b64 v[87:88], v1 offset:592
	s_waitcnt lgkmcnt(1)
	v_fma_f64 v[6:7], v[89:90], v[6:7], v[10:11]
	s_waitcnt vmcnt(0)
	s_delay_alu instid0(VALU_DEP_1) | instskip(SKIP_1) | instid1(VALU_DEP_1)
	v_fma_f64 v[6:7], v[91:92], v[8:9], v[6:7]
	s_waitcnt lgkmcnt(0)
	v_fma_f64 v[6:7], v[93:94], v[87:88], v[6:7]
	s_delay_alu instid0(VALU_DEP_1)
	v_add_f64 v[4:5], v[4:5], -v[6:7]
	scratch_store_b64 off, v[4:5], off offset:232
	v_cmpx_lt_u32_e32 28, v0
	s_cbranch_execz .LBB36_175
; %bb.174:
	scratch_load_b64 v[4:5], off, off offset:224
	v_mov_b32_e32 v2, v1
	scratch_store_b64 off, v[1:2], off offset:224
	s_waitcnt vmcnt(0)
	ds_store_b64 v3, v[4:5]
.LBB36_175:
	s_or_b32 exec_lo, exec_lo, s0
	s_waitcnt lgkmcnt(0)
	s_waitcnt_vscnt null, 0x0
	s_barrier
	buffer_gl0_inv
	s_clause 0x4
	scratch_load_b128 v[4:7], off, off offset:224
	scratch_load_b128 v[8:11], off, off offset:240
	;; [unrolled: 1-line block ×4, first 2 shown]
	scratch_load_b64 v[103:104], off, off offset:288
	ds_load_2addr_b64 v[95:98], v1 offset0:67 offset1:68
	ds_load_2addr_b64 v[99:102], v1 offset0:69 offset1:70
	s_mov_b32 s0, exec_lo
	s_waitcnt vmcnt(4) lgkmcnt(1)
	v_fma_f64 v[6:7], v[6:7], v[95:96], 0
	s_waitcnt vmcnt(3)
	s_delay_alu instid0(VALU_DEP_1) | instskip(SKIP_1) | instid1(VALU_DEP_1)
	v_fma_f64 v[6:7], v[8:9], v[97:98], v[6:7]
	s_waitcnt lgkmcnt(0)
	v_fma_f64 v[6:7], v[10:11], v[99:100], v[6:7]
	s_waitcnt vmcnt(2)
	s_delay_alu instid0(VALU_DEP_1)
	v_fma_f64 v[10:11], v[87:88], v[101:102], v[6:7]
	ds_load_2addr_b64 v[6:9], v1 offset0:71 offset1:72
	ds_load_2addr_b64 v[95:98], v1 offset0:73 offset1:74
	s_waitcnt lgkmcnt(1)
	v_fma_f64 v[1:2], v[89:90], v[6:7], v[10:11]
	s_waitcnt vmcnt(1)
	s_delay_alu instid0(VALU_DEP_1) | instskip(SKIP_1) | instid1(VALU_DEP_1)
	v_fma_f64 v[1:2], v[91:92], v[8:9], v[1:2]
	s_waitcnt lgkmcnt(0)
	v_fma_f64 v[1:2], v[93:94], v[95:96], v[1:2]
	s_waitcnt vmcnt(0)
	s_delay_alu instid0(VALU_DEP_1) | instskip(NEXT) | instid1(VALU_DEP_1)
	v_fma_f64 v[1:2], v[103:104], v[97:98], v[1:2]
	v_add_f64 v[1:2], v[4:5], -v[1:2]
	scratch_store_b64 off, v[1:2], off offset:224
	v_cmpx_lt_u32_e32 27, v0
	s_cbranch_execz .LBB36_177
; %bb.176:
	scratch_load_b64 v[1:2], off, off offset:216
	v_mov_b32_e32 v4, 0
	s_delay_alu instid0(VALU_DEP_1)
	v_mov_b32_e32 v5, v4
	scratch_store_b64 off, v[4:5], off offset:216
	s_waitcnt vmcnt(0)
	ds_store_b64 v3, v[1:2]
.LBB36_177:
	s_or_b32 exec_lo, exec_lo, s0
	s_waitcnt lgkmcnt(0)
	s_waitcnt_vscnt null, 0x0
	s_barrier
	buffer_gl0_inv
	s_clause 0x4
	scratch_load_b128 v[4:7], off, off offset:216
	scratch_load_b128 v[8:11], off, off offset:232
	;; [unrolled: 1-line block ×5, first 2 shown]
	v_mov_b32_e32 v1, 0
	ds_load_b128 v[99:102], v1 offset:528
	ds_load_b128 v[103:106], v1 offset:544
	s_mov_b32 s0, exec_lo
	s_waitcnt vmcnt(4) lgkmcnt(1)
	v_fma_f64 v[6:7], v[6:7], v[99:100], 0
	s_waitcnt vmcnt(3)
	s_delay_alu instid0(VALU_DEP_1) | instskip(SKIP_1) | instid1(VALU_DEP_1)
	v_fma_f64 v[6:7], v[8:9], v[101:102], v[6:7]
	s_waitcnt lgkmcnt(0)
	v_fma_f64 v[6:7], v[10:11], v[103:104], v[6:7]
	s_waitcnt vmcnt(2)
	s_delay_alu instid0(VALU_DEP_1)
	v_fma_f64 v[10:11], v[87:88], v[105:106], v[6:7]
	ds_load_b128 v[6:9], v1 offset:560
	ds_load_b128 v[99:102], v1 offset:576
	s_waitcnt lgkmcnt(1)
	v_fma_f64 v[6:7], v[89:90], v[6:7], v[10:11]
	s_waitcnt vmcnt(1)
	s_delay_alu instid0(VALU_DEP_1) | instskip(SKIP_4) | instid1(VALU_DEP_1)
	v_fma_f64 v[6:7], v[91:92], v[8:9], v[6:7]
	ds_load_b64 v[8:9], v1 offset:592
	s_waitcnt lgkmcnt(1)
	v_fma_f64 v[6:7], v[93:94], v[99:100], v[6:7]
	s_waitcnt vmcnt(0)
	v_fma_f64 v[6:7], v[95:96], v[101:102], v[6:7]
	s_waitcnt lgkmcnt(0)
	s_delay_alu instid0(VALU_DEP_1) | instskip(NEXT) | instid1(VALU_DEP_1)
	v_fma_f64 v[6:7], v[97:98], v[8:9], v[6:7]
	v_add_f64 v[4:5], v[4:5], -v[6:7]
	scratch_store_b64 off, v[4:5], off offset:216
	v_cmpx_lt_u32_e32 26, v0
	s_cbranch_execz .LBB36_179
; %bb.178:
	scratch_load_b64 v[4:5], off, off offset:208
	v_mov_b32_e32 v2, v1
	scratch_store_b64 off, v[1:2], off offset:208
	s_waitcnt vmcnt(0)
	ds_store_b64 v3, v[4:5]
.LBB36_179:
	s_or_b32 exec_lo, exec_lo, s0
	s_waitcnt lgkmcnt(0)
	s_waitcnt_vscnt null, 0x0
	s_barrier
	buffer_gl0_inv
	s_clause 0x4
	scratch_load_b128 v[4:7], off, off offset:208
	scratch_load_b128 v[8:11], off, off offset:224
	;; [unrolled: 1-line block ×5, first 2 shown]
	ds_load_2addr_b64 v[99:102], v1 offset0:65 offset1:66
	ds_load_2addr_b64 v[103:106], v1 offset0:67 offset1:68
	scratch_load_b64 v[107:108], off, off offset:288
	s_mov_b32 s0, exec_lo
	s_waitcnt vmcnt(5) lgkmcnt(1)
	v_fma_f64 v[6:7], v[6:7], v[99:100], 0
	s_waitcnt vmcnt(4)
	s_delay_alu instid0(VALU_DEP_1) | instskip(SKIP_1) | instid1(VALU_DEP_1)
	v_fma_f64 v[6:7], v[8:9], v[101:102], v[6:7]
	s_waitcnt lgkmcnt(0)
	v_fma_f64 v[6:7], v[10:11], v[103:104], v[6:7]
	s_waitcnt vmcnt(3)
	s_delay_alu instid0(VALU_DEP_1)
	v_fma_f64 v[10:11], v[87:88], v[105:106], v[6:7]
	ds_load_2addr_b64 v[6:9], v1 offset0:69 offset1:70
	ds_load_2addr_b64 v[99:102], v1 offset0:71 offset1:72
	s_waitcnt lgkmcnt(1)
	v_fma_f64 v[6:7], v[89:90], v[6:7], v[10:11]
	s_waitcnt vmcnt(2)
	s_delay_alu instid0(VALU_DEP_1) | instskip(SKIP_1) | instid1(VALU_DEP_1)
	v_fma_f64 v[6:7], v[91:92], v[8:9], v[6:7]
	s_waitcnt lgkmcnt(0)
	v_fma_f64 v[6:7], v[93:94], v[99:100], v[6:7]
	s_waitcnt vmcnt(1)
	s_delay_alu instid0(VALU_DEP_1) | instskip(SKIP_4) | instid1(VALU_DEP_1)
	v_fma_f64 v[10:11], v[95:96], v[101:102], v[6:7]
	ds_load_2addr_b64 v[6:9], v1 offset0:73 offset1:74
	s_waitcnt lgkmcnt(0)
	v_fma_f64 v[1:2], v[97:98], v[6:7], v[10:11]
	s_waitcnt vmcnt(0)
	v_fma_f64 v[1:2], v[107:108], v[8:9], v[1:2]
	s_delay_alu instid0(VALU_DEP_1)
	v_add_f64 v[1:2], v[4:5], -v[1:2]
	scratch_store_b64 off, v[1:2], off offset:208
	v_cmpx_lt_u32_e32 25, v0
	s_cbranch_execz .LBB36_181
; %bb.180:
	scratch_load_b64 v[1:2], off, off offset:200
	v_mov_b32_e32 v4, 0
	s_delay_alu instid0(VALU_DEP_1)
	v_mov_b32_e32 v5, v4
	scratch_store_b64 off, v[4:5], off offset:200
	s_waitcnt vmcnt(0)
	ds_store_b64 v3, v[1:2]
.LBB36_181:
	s_or_b32 exec_lo, exec_lo, s0
	s_waitcnt lgkmcnt(0)
	s_waitcnt_vscnt null, 0x0
	s_barrier
	buffer_gl0_inv
	s_clause 0x4
	scratch_load_b128 v[4:7], off, off offset:200
	scratch_load_b128 v[8:11], off, off offset:216
	;; [unrolled: 1-line block ×5, first 2 shown]
	v_mov_b32_e32 v1, 0
	ds_load_b128 v[99:102], v1 offset:512
	ds_load_b128 v[103:106], v1 offset:528
	scratch_load_b128 v[107:110], off, off offset:280
	s_mov_b32 s0, exec_lo
	s_waitcnt vmcnt(5) lgkmcnt(1)
	v_fma_f64 v[6:7], v[6:7], v[99:100], 0
	s_waitcnt vmcnt(4)
	s_delay_alu instid0(VALU_DEP_1) | instskip(SKIP_1) | instid1(VALU_DEP_1)
	v_fma_f64 v[6:7], v[8:9], v[101:102], v[6:7]
	s_waitcnt lgkmcnt(0)
	v_fma_f64 v[6:7], v[10:11], v[103:104], v[6:7]
	s_waitcnt vmcnt(3)
	s_delay_alu instid0(VALU_DEP_1)
	v_fma_f64 v[10:11], v[87:88], v[105:106], v[6:7]
	ds_load_b128 v[6:9], v1 offset:544
	ds_load_b128 v[99:102], v1 offset:560
	s_waitcnt lgkmcnt(1)
	v_fma_f64 v[6:7], v[89:90], v[6:7], v[10:11]
	s_waitcnt vmcnt(2)
	s_delay_alu instid0(VALU_DEP_1) | instskip(SKIP_1) | instid1(VALU_DEP_1)
	v_fma_f64 v[6:7], v[91:92], v[8:9], v[6:7]
	s_waitcnt lgkmcnt(0)
	v_fma_f64 v[6:7], v[93:94], v[99:100], v[6:7]
	s_waitcnt vmcnt(1)
	s_delay_alu instid0(VALU_DEP_1)
	v_fma_f64 v[10:11], v[95:96], v[101:102], v[6:7]
	ds_load_b128 v[6:9], v1 offset:576
	ds_load_b64 v[87:88], v1 offset:592
	s_waitcnt lgkmcnt(1)
	v_fma_f64 v[6:7], v[97:98], v[6:7], v[10:11]
	s_waitcnt vmcnt(0)
	s_delay_alu instid0(VALU_DEP_1) | instskip(SKIP_1) | instid1(VALU_DEP_1)
	v_fma_f64 v[6:7], v[107:108], v[8:9], v[6:7]
	s_waitcnt lgkmcnt(0)
	v_fma_f64 v[6:7], v[109:110], v[87:88], v[6:7]
	s_delay_alu instid0(VALU_DEP_1)
	v_add_f64 v[4:5], v[4:5], -v[6:7]
	scratch_store_b64 off, v[4:5], off offset:200
	v_cmpx_lt_u32_e32 24, v0
	s_cbranch_execz .LBB36_183
; %bb.182:
	scratch_load_b64 v[4:5], off, off offset:192
	v_mov_b32_e32 v2, v1
	scratch_store_b64 off, v[1:2], off offset:192
	s_waitcnt vmcnt(0)
	ds_store_b64 v3, v[4:5]
.LBB36_183:
	s_or_b32 exec_lo, exec_lo, s0
	s_waitcnt lgkmcnt(0)
	s_waitcnt_vscnt null, 0x0
	s_barrier
	buffer_gl0_inv
	s_clause 0x4
	scratch_load_b128 v[4:7], off, off offset:192
	scratch_load_b128 v[8:11], off, off offset:208
	;; [unrolled: 1-line block ×5, first 2 shown]
	ds_load_2addr_b64 v[99:102], v1 offset0:63 offset1:64
	ds_load_2addr_b64 v[103:106], v1 offset0:65 offset1:66
	scratch_load_b128 v[107:110], off, off offset:272
	s_mov_b32 s0, exec_lo
	s_waitcnt vmcnt(5) lgkmcnt(1)
	v_fma_f64 v[6:7], v[6:7], v[99:100], 0
	s_waitcnt vmcnt(4)
	s_delay_alu instid0(VALU_DEP_1) | instskip(SKIP_1) | instid1(VALU_DEP_1)
	v_fma_f64 v[6:7], v[8:9], v[101:102], v[6:7]
	s_waitcnt lgkmcnt(0)
	v_fma_f64 v[6:7], v[10:11], v[103:104], v[6:7]
	scratch_load_b64 v[10:11], off, off offset:288
	s_waitcnt vmcnt(4)
	v_fma_f64 v[87:88], v[87:88], v[105:106], v[6:7]
	ds_load_2addr_b64 v[6:9], v1 offset0:67 offset1:68
	ds_load_2addr_b64 v[99:102], v1 offset0:69 offset1:70
	s_waitcnt lgkmcnt(1)
	v_fma_f64 v[6:7], v[89:90], v[6:7], v[87:88]
	s_waitcnt vmcnt(3)
	s_delay_alu instid0(VALU_DEP_1) | instskip(SKIP_1) | instid1(VALU_DEP_1)
	v_fma_f64 v[6:7], v[91:92], v[8:9], v[6:7]
	s_waitcnt lgkmcnt(0)
	v_fma_f64 v[6:7], v[93:94], v[99:100], v[6:7]
	s_waitcnt vmcnt(2)
	s_delay_alu instid0(VALU_DEP_1)
	v_fma_f64 v[91:92], v[95:96], v[101:102], v[6:7]
	ds_load_2addr_b64 v[6:9], v1 offset0:71 offset1:72
	ds_load_2addr_b64 v[87:90], v1 offset0:73 offset1:74
	s_waitcnt lgkmcnt(1)
	v_fma_f64 v[1:2], v[97:98], v[6:7], v[91:92]
	s_waitcnt vmcnt(1)
	s_delay_alu instid0(VALU_DEP_1) | instskip(SKIP_1) | instid1(VALU_DEP_1)
	v_fma_f64 v[1:2], v[107:108], v[8:9], v[1:2]
	s_waitcnt lgkmcnt(0)
	v_fma_f64 v[1:2], v[109:110], v[87:88], v[1:2]
	s_waitcnt vmcnt(0)
	s_delay_alu instid0(VALU_DEP_1) | instskip(NEXT) | instid1(VALU_DEP_1)
	v_fma_f64 v[1:2], v[10:11], v[89:90], v[1:2]
	v_add_f64 v[1:2], v[4:5], -v[1:2]
	scratch_store_b64 off, v[1:2], off offset:192
	v_cmpx_lt_u32_e32 23, v0
	s_cbranch_execz .LBB36_185
; %bb.184:
	scratch_load_b64 v[1:2], off, off offset:184
	v_mov_b32_e32 v4, 0
	s_delay_alu instid0(VALU_DEP_1)
	v_mov_b32_e32 v5, v4
	scratch_store_b64 off, v[4:5], off offset:184
	s_waitcnt vmcnt(0)
	ds_store_b64 v3, v[1:2]
.LBB36_185:
	s_or_b32 exec_lo, exec_lo, s0
	s_waitcnt lgkmcnt(0)
	s_waitcnt_vscnt null, 0x0
	s_barrier
	buffer_gl0_inv
	s_clause 0x4
	scratch_load_b128 v[4:7], off, off offset:184
	scratch_load_b128 v[8:11], off, off offset:200
	scratch_load_b128 v[87:90], off, off offset:216
	scratch_load_b128 v[91:94], off, off offset:232
	scratch_load_b128 v[95:98], off, off offset:248
	v_mov_b32_e32 v1, 0
	ds_load_b128 v[99:102], v1 offset:496
	ds_load_b128 v[103:106], v1 offset:512
	scratch_load_b128 v[107:110], off, off offset:264
	s_mov_b32 s0, exec_lo
	s_waitcnt vmcnt(5) lgkmcnt(1)
	v_fma_f64 v[6:7], v[6:7], v[99:100], 0
	s_waitcnt vmcnt(4)
	s_delay_alu instid0(VALU_DEP_1) | instskip(SKIP_1) | instid1(VALU_DEP_1)
	v_fma_f64 v[6:7], v[8:9], v[101:102], v[6:7]
	s_waitcnt lgkmcnt(0)
	v_fma_f64 v[10:11], v[10:11], v[103:104], v[6:7]
	scratch_load_b128 v[6:9], off, off offset:280
	s_waitcnt vmcnt(4)
	v_fma_f64 v[10:11], v[87:88], v[105:106], v[10:11]
	ds_load_b128 v[99:102], v1 offset:528
	ds_load_b128 v[103:106], v1 offset:544
	s_waitcnt lgkmcnt(1)
	v_fma_f64 v[10:11], v[89:90], v[99:100], v[10:11]
	s_waitcnt vmcnt(3)
	s_delay_alu instid0(VALU_DEP_1) | instskip(SKIP_1) | instid1(VALU_DEP_1)
	v_fma_f64 v[10:11], v[91:92], v[101:102], v[10:11]
	s_waitcnt lgkmcnt(0)
	v_fma_f64 v[10:11], v[93:94], v[103:104], v[10:11]
	ds_load_b128 v[87:90], v1 offset:560
	ds_load_b128 v[91:94], v1 offset:576
	s_waitcnt vmcnt(2)
	v_fma_f64 v[10:11], v[95:96], v[105:106], v[10:11]
	s_waitcnt lgkmcnt(1)
	s_delay_alu instid0(VALU_DEP_1) | instskip(SKIP_1) | instid1(VALU_DEP_1)
	v_fma_f64 v[10:11], v[97:98], v[87:88], v[10:11]
	s_waitcnt vmcnt(1)
	v_fma_f64 v[10:11], v[107:108], v[89:90], v[10:11]
	s_waitcnt lgkmcnt(0)
	s_delay_alu instid0(VALU_DEP_1) | instskip(SKIP_1) | instid1(VALU_DEP_1)
	v_fma_f64 v[10:11], v[109:110], v[91:92], v[10:11]
	s_waitcnt vmcnt(0)
	v_fma_f64 v[6:7], v[6:7], v[93:94], v[10:11]
	ds_load_b64 v[10:11], v1 offset:592
	s_waitcnt lgkmcnt(0)
	v_fma_f64 v[6:7], v[8:9], v[10:11], v[6:7]
	s_delay_alu instid0(VALU_DEP_1)
	v_add_f64 v[4:5], v[4:5], -v[6:7]
	scratch_store_b64 off, v[4:5], off offset:184
	v_cmpx_lt_u32_e32 22, v0
	s_cbranch_execz .LBB36_187
; %bb.186:
	scratch_load_b64 v[4:5], off, off offset:176
	v_mov_b32_e32 v2, v1
	scratch_store_b64 off, v[1:2], off offset:176
	s_waitcnt vmcnt(0)
	ds_store_b64 v3, v[4:5]
.LBB36_187:
	s_or_b32 exec_lo, exec_lo, s0
	s_waitcnt lgkmcnt(0)
	s_waitcnt_vscnt null, 0x0
	s_barrier
	buffer_gl0_inv
	s_clause 0x4
	scratch_load_b128 v[4:7], off, off offset:176
	scratch_load_b128 v[8:11], off, off offset:192
	;; [unrolled: 1-line block ×5, first 2 shown]
	ds_load_2addr_b64 v[99:102], v1 offset0:61 offset1:62
	ds_load_2addr_b64 v[103:106], v1 offset0:63 offset1:64
	scratch_load_b128 v[107:110], off, off offset:256
	s_mov_b32 s0, exec_lo
	s_waitcnt vmcnt(5) lgkmcnt(1)
	v_fma_f64 v[6:7], v[6:7], v[99:100], 0
	s_waitcnt vmcnt(4)
	s_delay_alu instid0(VALU_DEP_1) | instskip(SKIP_1) | instid1(VALU_DEP_1)
	v_fma_f64 v[6:7], v[8:9], v[101:102], v[6:7]
	s_waitcnt lgkmcnt(0)
	v_fma_f64 v[10:11], v[10:11], v[103:104], v[6:7]
	scratch_load_b128 v[6:9], off, off offset:272
	s_waitcnt vmcnt(4)
	v_fma_f64 v[10:11], v[87:88], v[105:106], v[10:11]
	ds_load_2addr_b64 v[99:102], v1 offset0:65 offset1:66
	ds_load_2addr_b64 v[103:106], v1 offset0:67 offset1:68
	s_waitcnt lgkmcnt(1)
	v_fma_f64 v[10:11], v[89:90], v[99:100], v[10:11]
	scratch_load_b64 v[99:100], off, off offset:288
	s_waitcnt vmcnt(4)
	v_fma_f64 v[10:11], v[91:92], v[101:102], v[10:11]
	s_waitcnt lgkmcnt(0)
	s_delay_alu instid0(VALU_DEP_1)
	v_fma_f64 v[10:11], v[93:94], v[103:104], v[10:11]
	ds_load_2addr_b64 v[87:90], v1 offset0:69 offset1:70
	ds_load_2addr_b64 v[91:94], v1 offset0:71 offset1:72
	s_waitcnt vmcnt(3)
	v_fma_f64 v[10:11], v[95:96], v[105:106], v[10:11]
	s_waitcnt lgkmcnt(1)
	s_delay_alu instid0(VALU_DEP_1) | instskip(SKIP_1) | instid1(VALU_DEP_1)
	v_fma_f64 v[10:11], v[97:98], v[87:88], v[10:11]
	s_waitcnt vmcnt(2)
	v_fma_f64 v[10:11], v[107:108], v[89:90], v[10:11]
	ds_load_2addr_b64 v[87:90], v1 offset0:73 offset1:74
	s_waitcnt lgkmcnt(1)
	v_fma_f64 v[10:11], v[109:110], v[91:92], v[10:11]
	s_waitcnt vmcnt(1)
	s_delay_alu instid0(VALU_DEP_1) | instskip(SKIP_1) | instid1(VALU_DEP_1)
	v_fma_f64 v[6:7], v[6:7], v[93:94], v[10:11]
	s_waitcnt lgkmcnt(0)
	v_fma_f64 v[1:2], v[8:9], v[87:88], v[6:7]
	s_waitcnt vmcnt(0)
	s_delay_alu instid0(VALU_DEP_1) | instskip(NEXT) | instid1(VALU_DEP_1)
	v_fma_f64 v[1:2], v[99:100], v[89:90], v[1:2]
	v_add_f64 v[1:2], v[4:5], -v[1:2]
	scratch_store_b64 off, v[1:2], off offset:176
	v_cmpx_lt_u32_e32 21, v0
	s_cbranch_execz .LBB36_189
; %bb.188:
	scratch_load_b64 v[1:2], off, off offset:168
	v_mov_b32_e32 v4, 0
	s_delay_alu instid0(VALU_DEP_1)
	v_mov_b32_e32 v5, v4
	scratch_store_b64 off, v[4:5], off offset:168
	s_waitcnt vmcnt(0)
	ds_store_b64 v3, v[1:2]
.LBB36_189:
	s_or_b32 exec_lo, exec_lo, s0
	s_waitcnt lgkmcnt(0)
	s_waitcnt_vscnt null, 0x0
	s_barrier
	buffer_gl0_inv
	s_clause 0x4
	scratch_load_b128 v[4:7], off, off offset:168
	scratch_load_b128 v[8:11], off, off offset:184
	;; [unrolled: 1-line block ×5, first 2 shown]
	v_mov_b32_e32 v1, 0
	ds_load_b128 v[99:102], v1 offset:480
	ds_load_b128 v[103:106], v1 offset:496
	scratch_load_b128 v[107:110], off, off offset:248
	s_mov_b32 s0, exec_lo
	s_waitcnt vmcnt(5) lgkmcnt(1)
	v_fma_f64 v[6:7], v[6:7], v[99:100], 0
	s_waitcnt vmcnt(4)
	s_delay_alu instid0(VALU_DEP_1) | instskip(SKIP_1) | instid1(VALU_DEP_1)
	v_fma_f64 v[6:7], v[8:9], v[101:102], v[6:7]
	s_waitcnt lgkmcnt(0)
	v_fma_f64 v[10:11], v[10:11], v[103:104], v[6:7]
	scratch_load_b128 v[6:9], off, off offset:264
	s_waitcnt vmcnt(4)
	v_fma_f64 v[10:11], v[87:88], v[105:106], v[10:11]
	ds_load_b128 v[99:102], v1 offset:512
	ds_load_b128 v[103:106], v1 offset:528
	s_waitcnt lgkmcnt(1)
	v_fma_f64 v[10:11], v[89:90], v[99:100], v[10:11]
	scratch_load_b128 v[87:90], off, off offset:280
	s_waitcnt vmcnt(4)
	v_fma_f64 v[10:11], v[91:92], v[101:102], v[10:11]
	s_waitcnt lgkmcnt(0)
	s_delay_alu instid0(VALU_DEP_1)
	v_fma_f64 v[10:11], v[93:94], v[103:104], v[10:11]
	ds_load_b128 v[91:94], v1 offset:544
	ds_load_b128 v[99:102], v1 offset:560
	s_waitcnt vmcnt(3)
	v_fma_f64 v[10:11], v[95:96], v[105:106], v[10:11]
	s_waitcnt lgkmcnt(1)
	s_delay_alu instid0(VALU_DEP_1) | instskip(SKIP_1) | instid1(VALU_DEP_1)
	v_fma_f64 v[10:11], v[97:98], v[91:92], v[10:11]
	s_waitcnt vmcnt(2)
	v_fma_f64 v[10:11], v[107:108], v[93:94], v[10:11]
	s_waitcnt lgkmcnt(0)
	s_delay_alu instid0(VALU_DEP_1) | instskip(SKIP_1) | instid1(VALU_DEP_1)
	v_fma_f64 v[10:11], v[109:110], v[99:100], v[10:11]
	s_waitcnt vmcnt(1)
	v_fma_f64 v[6:7], v[6:7], v[101:102], v[10:11]
	ds_load_b128 v[91:94], v1 offset:576
	ds_load_b64 v[10:11], v1 offset:592
	s_waitcnt lgkmcnt(1)
	v_fma_f64 v[6:7], v[8:9], v[91:92], v[6:7]
	s_waitcnt vmcnt(0)
	s_delay_alu instid0(VALU_DEP_1) | instskip(SKIP_1) | instid1(VALU_DEP_1)
	v_fma_f64 v[6:7], v[87:88], v[93:94], v[6:7]
	s_waitcnt lgkmcnt(0)
	v_fma_f64 v[6:7], v[89:90], v[10:11], v[6:7]
	s_delay_alu instid0(VALU_DEP_1)
	v_add_f64 v[4:5], v[4:5], -v[6:7]
	scratch_store_b64 off, v[4:5], off offset:168
	v_cmpx_lt_u32_e32 20, v0
	s_cbranch_execz .LBB36_191
; %bb.190:
	scratch_load_b64 v[4:5], off, off offset:160
	v_mov_b32_e32 v2, v1
	scratch_store_b64 off, v[1:2], off offset:160
	s_waitcnt vmcnt(0)
	ds_store_b64 v3, v[4:5]
.LBB36_191:
	s_or_b32 exec_lo, exec_lo, s0
	s_waitcnt lgkmcnt(0)
	s_waitcnt_vscnt null, 0x0
	s_barrier
	buffer_gl0_inv
	s_clause 0x4
	scratch_load_b128 v[4:7], off, off offset:160
	scratch_load_b128 v[8:11], off, off offset:176
	;; [unrolled: 1-line block ×5, first 2 shown]
	ds_load_2addr_b64 v[99:102], v1 offset0:59 offset1:60
	ds_load_2addr_b64 v[103:106], v1 offset0:61 offset1:62
	scratch_load_b128 v[107:110], off, off offset:240
	s_mov_b32 s0, exec_lo
	s_waitcnt vmcnt(5) lgkmcnt(1)
	v_fma_f64 v[6:7], v[6:7], v[99:100], 0
	s_waitcnt vmcnt(4)
	s_delay_alu instid0(VALU_DEP_1) | instskip(SKIP_1) | instid1(VALU_DEP_1)
	v_fma_f64 v[6:7], v[8:9], v[101:102], v[6:7]
	s_waitcnt lgkmcnt(0)
	v_fma_f64 v[10:11], v[10:11], v[103:104], v[6:7]
	scratch_load_b128 v[6:9], off, off offset:256
	s_waitcnt vmcnt(4)
	v_fma_f64 v[10:11], v[87:88], v[105:106], v[10:11]
	ds_load_2addr_b64 v[99:102], v1 offset0:63 offset1:64
	ds_load_2addr_b64 v[103:106], v1 offset0:65 offset1:66
	s_waitcnt lgkmcnt(1)
	v_fma_f64 v[10:11], v[89:90], v[99:100], v[10:11]
	scratch_load_b128 v[87:90], off, off offset:272
	s_waitcnt vmcnt(4)
	v_fma_f64 v[10:11], v[91:92], v[101:102], v[10:11]
	s_waitcnt lgkmcnt(0)
	s_delay_alu instid0(VALU_DEP_1)
	v_fma_f64 v[10:11], v[93:94], v[103:104], v[10:11]
	scratch_load_b64 v[103:104], off, off offset:288
	ds_load_2addr_b64 v[91:94], v1 offset0:67 offset1:68
	ds_load_2addr_b64 v[99:102], v1 offset0:69 offset1:70
	s_waitcnt vmcnt(4)
	v_fma_f64 v[10:11], v[95:96], v[105:106], v[10:11]
	s_waitcnt lgkmcnt(1)
	s_delay_alu instid0(VALU_DEP_1) | instskip(SKIP_1) | instid1(VALU_DEP_1)
	v_fma_f64 v[10:11], v[97:98], v[91:92], v[10:11]
	s_waitcnt vmcnt(3)
	v_fma_f64 v[10:11], v[107:108], v[93:94], v[10:11]
	ds_load_2addr_b64 v[91:94], v1 offset0:71 offset1:72
	ds_load_2addr_b64 v[95:98], v1 offset0:73 offset1:74
	s_waitcnt lgkmcnt(2)
	v_fma_f64 v[10:11], v[109:110], v[99:100], v[10:11]
	s_waitcnt vmcnt(2)
	s_delay_alu instid0(VALU_DEP_1) | instskip(SKIP_1) | instid1(VALU_DEP_1)
	v_fma_f64 v[6:7], v[6:7], v[101:102], v[10:11]
	s_waitcnt lgkmcnt(1)
	v_fma_f64 v[1:2], v[8:9], v[91:92], v[6:7]
	s_waitcnt vmcnt(1)
	s_delay_alu instid0(VALU_DEP_1) | instskip(SKIP_1) | instid1(VALU_DEP_1)
	v_fma_f64 v[1:2], v[87:88], v[93:94], v[1:2]
	s_waitcnt lgkmcnt(0)
	v_fma_f64 v[1:2], v[89:90], v[95:96], v[1:2]
	s_waitcnt vmcnt(0)
	s_delay_alu instid0(VALU_DEP_1) | instskip(NEXT) | instid1(VALU_DEP_1)
	v_fma_f64 v[1:2], v[103:104], v[97:98], v[1:2]
	v_add_f64 v[1:2], v[4:5], -v[1:2]
	scratch_store_b64 off, v[1:2], off offset:160
	v_cmpx_lt_u32_e32 19, v0
	s_cbranch_execz .LBB36_193
; %bb.192:
	scratch_load_b64 v[1:2], off, off offset:152
	v_mov_b32_e32 v4, 0
	s_delay_alu instid0(VALU_DEP_1)
	v_mov_b32_e32 v5, v4
	scratch_store_b64 off, v[4:5], off offset:152
	s_waitcnt vmcnt(0)
	ds_store_b64 v3, v[1:2]
.LBB36_193:
	s_or_b32 exec_lo, exec_lo, s0
	s_waitcnt lgkmcnt(0)
	s_waitcnt_vscnt null, 0x0
	s_barrier
	buffer_gl0_inv
	s_clause 0x4
	scratch_load_b128 v[4:7], off, off offset:152
	scratch_load_b128 v[8:11], off, off offset:168
	;; [unrolled: 1-line block ×5, first 2 shown]
	v_mov_b32_e32 v1, 0
	ds_load_b128 v[99:102], v1 offset:464
	ds_load_b128 v[103:106], v1 offset:480
	scratch_load_b128 v[107:110], off, off offset:232
	s_mov_b32 s0, exec_lo
	s_waitcnt vmcnt(5) lgkmcnt(1)
	v_fma_f64 v[6:7], v[6:7], v[99:100], 0
	s_waitcnt vmcnt(4)
	s_delay_alu instid0(VALU_DEP_1) | instskip(SKIP_1) | instid1(VALU_DEP_1)
	v_fma_f64 v[6:7], v[8:9], v[101:102], v[6:7]
	s_waitcnt lgkmcnt(0)
	v_fma_f64 v[10:11], v[10:11], v[103:104], v[6:7]
	scratch_load_b128 v[6:9], off, off offset:248
	s_waitcnt vmcnt(4)
	v_fma_f64 v[10:11], v[87:88], v[105:106], v[10:11]
	ds_load_b128 v[99:102], v1 offset:496
	ds_load_b128 v[103:106], v1 offset:512
	s_waitcnt lgkmcnt(1)
	v_fma_f64 v[10:11], v[89:90], v[99:100], v[10:11]
	scratch_load_b128 v[87:90], off, off offset:264
	s_waitcnt vmcnt(4)
	v_fma_f64 v[10:11], v[91:92], v[101:102], v[10:11]
	s_waitcnt lgkmcnt(0)
	s_delay_alu instid0(VALU_DEP_1)
	v_fma_f64 v[10:11], v[93:94], v[103:104], v[10:11]
	scratch_load_b128 v[91:94], off, off offset:280
	s_waitcnt vmcnt(4)
	v_fma_f64 v[10:11], v[95:96], v[105:106], v[10:11]
	ds_load_b128 v[99:102], v1 offset:528
	ds_load_b128 v[103:106], v1 offset:544
	s_waitcnt lgkmcnt(1)
	v_fma_f64 v[10:11], v[97:98], v[99:100], v[10:11]
	s_waitcnt vmcnt(3)
	s_delay_alu instid0(VALU_DEP_1)
	v_fma_f64 v[10:11], v[107:108], v[101:102], v[10:11]
	ds_load_b128 v[95:98], v1 offset:560
	ds_load_b128 v[99:102], v1 offset:576
	s_waitcnt lgkmcnt(2)
	v_fma_f64 v[10:11], v[109:110], v[103:104], v[10:11]
	s_waitcnt vmcnt(2)
	s_delay_alu instid0(VALU_DEP_1) | instskip(SKIP_1) | instid1(VALU_DEP_1)
	v_fma_f64 v[6:7], v[6:7], v[105:106], v[10:11]
	s_waitcnt lgkmcnt(1)
	v_fma_f64 v[6:7], v[8:9], v[95:96], v[6:7]
	ds_load_b64 v[8:9], v1 offset:592
	s_waitcnt vmcnt(1)
	v_fma_f64 v[6:7], v[87:88], v[97:98], v[6:7]
	s_waitcnt lgkmcnt(1)
	s_delay_alu instid0(VALU_DEP_1) | instskip(SKIP_1) | instid1(VALU_DEP_1)
	v_fma_f64 v[6:7], v[89:90], v[99:100], v[6:7]
	s_waitcnt vmcnt(0)
	v_fma_f64 v[6:7], v[91:92], v[101:102], v[6:7]
	s_waitcnt lgkmcnt(0)
	s_delay_alu instid0(VALU_DEP_1) | instskip(NEXT) | instid1(VALU_DEP_1)
	v_fma_f64 v[6:7], v[93:94], v[8:9], v[6:7]
	v_add_f64 v[4:5], v[4:5], -v[6:7]
	scratch_store_b64 off, v[4:5], off offset:152
	v_cmpx_lt_u32_e32 18, v0
	s_cbranch_execz .LBB36_195
; %bb.194:
	scratch_load_b64 v[4:5], off, off offset:144
	v_mov_b32_e32 v2, v1
	scratch_store_b64 off, v[1:2], off offset:144
	s_waitcnt vmcnt(0)
	ds_store_b64 v3, v[4:5]
.LBB36_195:
	s_or_b32 exec_lo, exec_lo, s0
	s_waitcnt lgkmcnt(0)
	s_waitcnt_vscnt null, 0x0
	s_barrier
	buffer_gl0_inv
	s_clause 0x4
	scratch_load_b128 v[4:7], off, off offset:144
	scratch_load_b128 v[8:11], off, off offset:160
	;; [unrolled: 1-line block ×5, first 2 shown]
	ds_load_2addr_b64 v[99:102], v1 offset0:57 offset1:58
	ds_load_2addr_b64 v[103:106], v1 offset0:59 offset1:60
	scratch_load_b128 v[107:110], off, off offset:224
	s_mov_b32 s0, exec_lo
	s_waitcnt vmcnt(5) lgkmcnt(1)
	v_fma_f64 v[6:7], v[6:7], v[99:100], 0
	s_waitcnt vmcnt(4)
	s_delay_alu instid0(VALU_DEP_1) | instskip(SKIP_1) | instid1(VALU_DEP_1)
	v_fma_f64 v[6:7], v[8:9], v[101:102], v[6:7]
	s_waitcnt lgkmcnt(0)
	v_fma_f64 v[10:11], v[10:11], v[103:104], v[6:7]
	scratch_load_b128 v[6:9], off, off offset:240
	s_waitcnt vmcnt(4)
	v_fma_f64 v[10:11], v[87:88], v[105:106], v[10:11]
	ds_load_2addr_b64 v[99:102], v1 offset0:61 offset1:62
	ds_load_2addr_b64 v[103:106], v1 offset0:63 offset1:64
	s_waitcnt lgkmcnt(1)
	v_fma_f64 v[10:11], v[89:90], v[99:100], v[10:11]
	scratch_load_b128 v[87:90], off, off offset:256
	s_waitcnt vmcnt(4)
	v_fma_f64 v[10:11], v[91:92], v[101:102], v[10:11]
	s_waitcnt lgkmcnt(0)
	s_delay_alu instid0(VALU_DEP_1)
	v_fma_f64 v[10:11], v[93:94], v[103:104], v[10:11]
	scratch_load_b128 v[91:94], off, off offset:272
	s_waitcnt vmcnt(4)
	v_fma_f64 v[10:11], v[95:96], v[105:106], v[10:11]
	ds_load_2addr_b64 v[99:102], v1 offset0:65 offset1:66
	ds_load_2addr_b64 v[103:106], v1 offset0:67 offset1:68
	scratch_load_b64 v[111:112], off, off offset:288
	s_waitcnt lgkmcnt(1)
	v_fma_f64 v[10:11], v[97:98], v[99:100], v[10:11]
	s_waitcnt vmcnt(4)
	s_delay_alu instid0(VALU_DEP_1)
	v_fma_f64 v[10:11], v[107:108], v[101:102], v[10:11]
	ds_load_2addr_b64 v[95:98], v1 offset0:69 offset1:70
	ds_load_2addr_b64 v[99:102], v1 offset0:71 offset1:72
	s_waitcnt lgkmcnt(2)
	v_fma_f64 v[10:11], v[109:110], v[103:104], v[10:11]
	s_waitcnt vmcnt(3)
	s_delay_alu instid0(VALU_DEP_1) | instskip(SKIP_1) | instid1(VALU_DEP_1)
	v_fma_f64 v[6:7], v[6:7], v[105:106], v[10:11]
	s_waitcnt lgkmcnt(1)
	v_fma_f64 v[6:7], v[8:9], v[95:96], v[6:7]
	s_waitcnt vmcnt(2)
	s_delay_alu instid0(VALU_DEP_1) | instskip(SKIP_1) | instid1(VALU_DEP_1)
	v_fma_f64 v[6:7], v[87:88], v[97:98], v[6:7]
	s_waitcnt lgkmcnt(0)
	v_fma_f64 v[6:7], v[89:90], v[99:100], v[6:7]
	s_waitcnt vmcnt(1)
	s_delay_alu instid0(VALU_DEP_1) | instskip(SKIP_4) | instid1(VALU_DEP_1)
	v_fma_f64 v[10:11], v[91:92], v[101:102], v[6:7]
	ds_load_2addr_b64 v[6:9], v1 offset0:73 offset1:74
	s_waitcnt lgkmcnt(0)
	v_fma_f64 v[1:2], v[93:94], v[6:7], v[10:11]
	s_waitcnt vmcnt(0)
	v_fma_f64 v[1:2], v[111:112], v[8:9], v[1:2]
	s_delay_alu instid0(VALU_DEP_1)
	v_add_f64 v[1:2], v[4:5], -v[1:2]
	scratch_store_b64 off, v[1:2], off offset:144
	v_cmpx_lt_u32_e32 17, v0
	s_cbranch_execz .LBB36_197
; %bb.196:
	scratch_load_b64 v[1:2], off, off offset:136
	v_mov_b32_e32 v4, 0
	s_delay_alu instid0(VALU_DEP_1)
	v_mov_b32_e32 v5, v4
	scratch_store_b64 off, v[4:5], off offset:136
	s_waitcnt vmcnt(0)
	ds_store_b64 v3, v[1:2]
.LBB36_197:
	s_or_b32 exec_lo, exec_lo, s0
	s_waitcnt lgkmcnt(0)
	s_waitcnt_vscnt null, 0x0
	s_barrier
	buffer_gl0_inv
	s_clause 0x4
	scratch_load_b128 v[4:7], off, off offset:136
	scratch_load_b128 v[8:11], off, off offset:152
	;; [unrolled: 1-line block ×5, first 2 shown]
	v_mov_b32_e32 v1, 0
	ds_load_b128 v[99:102], v1 offset:448
	ds_load_b128 v[103:106], v1 offset:464
	scratch_load_b128 v[107:110], off, off offset:216
	s_mov_b32 s0, exec_lo
	s_waitcnt vmcnt(5) lgkmcnt(1)
	v_fma_f64 v[6:7], v[6:7], v[99:100], 0
	s_waitcnt vmcnt(4)
	s_delay_alu instid0(VALU_DEP_1) | instskip(SKIP_1) | instid1(VALU_DEP_1)
	v_fma_f64 v[6:7], v[8:9], v[101:102], v[6:7]
	s_waitcnt lgkmcnt(0)
	v_fma_f64 v[10:11], v[10:11], v[103:104], v[6:7]
	scratch_load_b128 v[6:9], off, off offset:232
	s_waitcnt vmcnt(4)
	v_fma_f64 v[10:11], v[87:88], v[105:106], v[10:11]
	ds_load_b128 v[99:102], v1 offset:480
	ds_load_b128 v[103:106], v1 offset:496
	s_waitcnt lgkmcnt(1)
	v_fma_f64 v[10:11], v[89:90], v[99:100], v[10:11]
	scratch_load_b128 v[87:90], off, off offset:248
	s_waitcnt vmcnt(4)
	v_fma_f64 v[10:11], v[91:92], v[101:102], v[10:11]
	s_waitcnt lgkmcnt(0)
	s_delay_alu instid0(VALU_DEP_1)
	v_fma_f64 v[10:11], v[93:94], v[103:104], v[10:11]
	scratch_load_b128 v[91:94], off, off offset:264
	s_waitcnt vmcnt(4)
	v_fma_f64 v[10:11], v[95:96], v[105:106], v[10:11]
	ds_load_b128 v[99:102], v1 offset:512
	ds_load_b128 v[103:106], v1 offset:528
	s_waitcnt lgkmcnt(1)
	v_fma_f64 v[10:11], v[97:98], v[99:100], v[10:11]
	scratch_load_b128 v[95:98], off, off offset:280
	s_waitcnt vmcnt(4)
	v_fma_f64 v[10:11], v[107:108], v[101:102], v[10:11]
	s_waitcnt lgkmcnt(0)
	s_delay_alu instid0(VALU_DEP_1) | instskip(SKIP_1) | instid1(VALU_DEP_1)
	v_fma_f64 v[10:11], v[109:110], v[103:104], v[10:11]
	s_waitcnt vmcnt(3)
	v_fma_f64 v[6:7], v[6:7], v[105:106], v[10:11]
	ds_load_b128 v[99:102], v1 offset:544
	ds_load_b128 v[103:106], v1 offset:560
	s_waitcnt lgkmcnt(1)
	v_fma_f64 v[6:7], v[8:9], v[99:100], v[6:7]
	s_waitcnt vmcnt(2)
	s_delay_alu instid0(VALU_DEP_1) | instskip(SKIP_1) | instid1(VALU_DEP_1)
	v_fma_f64 v[6:7], v[87:88], v[101:102], v[6:7]
	s_waitcnt lgkmcnt(0)
	v_fma_f64 v[6:7], v[89:90], v[103:104], v[6:7]
	s_waitcnt vmcnt(1)
	s_delay_alu instid0(VALU_DEP_1)
	v_fma_f64 v[10:11], v[91:92], v[105:106], v[6:7]
	ds_load_b128 v[6:9], v1 offset:576
	ds_load_b64 v[87:88], v1 offset:592
	s_waitcnt lgkmcnt(1)
	v_fma_f64 v[6:7], v[93:94], v[6:7], v[10:11]
	s_waitcnt vmcnt(0)
	s_delay_alu instid0(VALU_DEP_1) | instskip(SKIP_1) | instid1(VALU_DEP_1)
	v_fma_f64 v[6:7], v[95:96], v[8:9], v[6:7]
	s_waitcnt lgkmcnt(0)
	v_fma_f64 v[6:7], v[97:98], v[87:88], v[6:7]
	s_delay_alu instid0(VALU_DEP_1)
	v_add_f64 v[4:5], v[4:5], -v[6:7]
	scratch_store_b64 off, v[4:5], off offset:136
	v_cmpx_lt_u32_e32 16, v0
	s_cbranch_execz .LBB36_199
; %bb.198:
	scratch_load_b64 v[4:5], off, off offset:128
	v_mov_b32_e32 v2, v1
	scratch_store_b64 off, v[1:2], off offset:128
	s_waitcnt vmcnt(0)
	ds_store_b64 v3, v[4:5]
.LBB36_199:
	s_or_b32 exec_lo, exec_lo, s0
	s_waitcnt lgkmcnt(0)
	s_waitcnt_vscnt null, 0x0
	s_barrier
	buffer_gl0_inv
	s_clause 0x4
	scratch_load_b128 v[4:7], off, off offset:128
	scratch_load_b128 v[8:11], off, off offset:144
	;; [unrolled: 1-line block ×5, first 2 shown]
	ds_load_2addr_b64 v[99:102], v1 offset0:55 offset1:56
	ds_load_2addr_b64 v[103:106], v1 offset0:57 offset1:58
	scratch_load_b128 v[107:110], off, off offset:208
	s_mov_b32 s0, exec_lo
	s_waitcnt vmcnt(5) lgkmcnt(1)
	v_fma_f64 v[6:7], v[6:7], v[99:100], 0
	s_waitcnt vmcnt(4)
	s_delay_alu instid0(VALU_DEP_1) | instskip(SKIP_1) | instid1(VALU_DEP_1)
	v_fma_f64 v[6:7], v[8:9], v[101:102], v[6:7]
	s_waitcnt lgkmcnt(0)
	v_fma_f64 v[10:11], v[10:11], v[103:104], v[6:7]
	scratch_load_b128 v[6:9], off, off offset:224
	s_waitcnt vmcnt(4)
	v_fma_f64 v[10:11], v[87:88], v[105:106], v[10:11]
	ds_load_2addr_b64 v[99:102], v1 offset0:59 offset1:60
	ds_load_2addr_b64 v[103:106], v1 offset0:61 offset1:62
	s_waitcnt lgkmcnt(1)
	v_fma_f64 v[10:11], v[89:90], v[99:100], v[10:11]
	scratch_load_b128 v[87:90], off, off offset:240
	s_waitcnt vmcnt(4)
	v_fma_f64 v[10:11], v[91:92], v[101:102], v[10:11]
	s_waitcnt lgkmcnt(0)
	s_delay_alu instid0(VALU_DEP_1)
	v_fma_f64 v[10:11], v[93:94], v[103:104], v[10:11]
	scratch_load_b128 v[91:94], off, off offset:256
	s_waitcnt vmcnt(4)
	v_fma_f64 v[10:11], v[95:96], v[105:106], v[10:11]
	ds_load_2addr_b64 v[99:102], v1 offset0:63 offset1:64
	ds_load_2addr_b64 v[103:106], v1 offset0:65 offset1:66
	s_waitcnt lgkmcnt(1)
	v_fma_f64 v[10:11], v[97:98], v[99:100], v[10:11]
	scratch_load_b128 v[95:98], off, off offset:272
	s_waitcnt vmcnt(4)
	v_fma_f64 v[10:11], v[107:108], v[101:102], v[10:11]
	scratch_load_b64 v[107:108], off, off offset:288
	s_waitcnt lgkmcnt(0)
	v_fma_f64 v[10:11], v[109:110], v[103:104], v[10:11]
	s_waitcnt vmcnt(4)
	s_delay_alu instid0(VALU_DEP_1)
	v_fma_f64 v[6:7], v[6:7], v[105:106], v[10:11]
	ds_load_2addr_b64 v[99:102], v1 offset0:67 offset1:68
	ds_load_2addr_b64 v[103:106], v1 offset0:69 offset1:70
	s_waitcnt lgkmcnt(1)
	v_fma_f64 v[6:7], v[8:9], v[99:100], v[6:7]
	s_waitcnt vmcnt(3)
	s_delay_alu instid0(VALU_DEP_1) | instskip(SKIP_1) | instid1(VALU_DEP_1)
	v_fma_f64 v[6:7], v[87:88], v[101:102], v[6:7]
	s_waitcnt lgkmcnt(0)
	v_fma_f64 v[6:7], v[89:90], v[103:104], v[6:7]
	s_waitcnt vmcnt(2)
	s_delay_alu instid0(VALU_DEP_1)
	v_fma_f64 v[10:11], v[91:92], v[105:106], v[6:7]
	ds_load_2addr_b64 v[6:9], v1 offset0:71 offset1:72
	ds_load_2addr_b64 v[87:90], v1 offset0:73 offset1:74
	s_waitcnt lgkmcnt(1)
	v_fma_f64 v[1:2], v[93:94], v[6:7], v[10:11]
	s_waitcnt vmcnt(1)
	s_delay_alu instid0(VALU_DEP_1) | instskip(SKIP_1) | instid1(VALU_DEP_1)
	v_fma_f64 v[1:2], v[95:96], v[8:9], v[1:2]
	s_waitcnt lgkmcnt(0)
	v_fma_f64 v[1:2], v[97:98], v[87:88], v[1:2]
	s_waitcnt vmcnt(0)
	s_delay_alu instid0(VALU_DEP_1) | instskip(NEXT) | instid1(VALU_DEP_1)
	v_fma_f64 v[1:2], v[107:108], v[89:90], v[1:2]
	v_add_f64 v[1:2], v[4:5], -v[1:2]
	scratch_store_b64 off, v[1:2], off offset:128
	v_cmpx_lt_u32_e32 15, v0
	s_cbranch_execz .LBB36_201
; %bb.200:
	scratch_load_b64 v[1:2], off, off offset:120
	v_mov_b32_e32 v4, 0
	s_delay_alu instid0(VALU_DEP_1)
	v_mov_b32_e32 v5, v4
	scratch_store_b64 off, v[4:5], off offset:120
	s_waitcnt vmcnt(0)
	ds_store_b64 v3, v[1:2]
.LBB36_201:
	s_or_b32 exec_lo, exec_lo, s0
	s_waitcnt lgkmcnt(0)
	s_waitcnt_vscnt null, 0x0
	s_barrier
	buffer_gl0_inv
	s_clause 0x4
	scratch_load_b128 v[4:7], off, off offset:120
	scratch_load_b128 v[8:11], off, off offset:136
	;; [unrolled: 1-line block ×5, first 2 shown]
	v_mov_b32_e32 v1, 0
	ds_load_b128 v[99:102], v1 offset:432
	ds_load_b128 v[103:106], v1 offset:448
	scratch_load_b128 v[107:110], off, off offset:200
	s_mov_b32 s0, exec_lo
	s_waitcnt vmcnt(5) lgkmcnt(1)
	v_fma_f64 v[6:7], v[6:7], v[99:100], 0
	s_waitcnt vmcnt(4)
	s_delay_alu instid0(VALU_DEP_1) | instskip(SKIP_1) | instid1(VALU_DEP_1)
	v_fma_f64 v[6:7], v[8:9], v[101:102], v[6:7]
	s_waitcnt lgkmcnt(0)
	v_fma_f64 v[10:11], v[10:11], v[103:104], v[6:7]
	scratch_load_b128 v[6:9], off, off offset:216
	s_waitcnt vmcnt(4)
	v_fma_f64 v[10:11], v[87:88], v[105:106], v[10:11]
	ds_load_b128 v[99:102], v1 offset:464
	ds_load_b128 v[103:106], v1 offset:480
	s_waitcnt lgkmcnt(1)
	v_fma_f64 v[10:11], v[89:90], v[99:100], v[10:11]
	scratch_load_b128 v[87:90], off, off offset:232
	s_waitcnt vmcnt(4)
	v_fma_f64 v[10:11], v[91:92], v[101:102], v[10:11]
	s_waitcnt lgkmcnt(0)
	s_delay_alu instid0(VALU_DEP_1)
	v_fma_f64 v[10:11], v[93:94], v[103:104], v[10:11]
	scratch_load_b128 v[91:94], off, off offset:248
	s_waitcnt vmcnt(4)
	v_fma_f64 v[10:11], v[95:96], v[105:106], v[10:11]
	ds_load_b128 v[99:102], v1 offset:496
	ds_load_b128 v[103:106], v1 offset:512
	s_waitcnt lgkmcnt(1)
	v_fma_f64 v[10:11], v[97:98], v[99:100], v[10:11]
	scratch_load_b128 v[95:98], off, off offset:264
	s_waitcnt vmcnt(4)
	v_fma_f64 v[10:11], v[107:108], v[101:102], v[10:11]
	scratch_load_b128 v[99:102], off, off offset:280
	s_waitcnt lgkmcnt(0)
	v_fma_f64 v[10:11], v[109:110], v[103:104], v[10:11]
	s_waitcnt vmcnt(4)
	s_delay_alu instid0(VALU_DEP_1)
	v_fma_f64 v[6:7], v[6:7], v[105:106], v[10:11]
	ds_load_b128 v[103:106], v1 offset:528
	ds_load_b128 v[107:110], v1 offset:544
	s_waitcnt lgkmcnt(1)
	v_fma_f64 v[6:7], v[8:9], v[103:104], v[6:7]
	s_waitcnt vmcnt(3)
	s_delay_alu instid0(VALU_DEP_1) | instskip(SKIP_1) | instid1(VALU_DEP_1)
	v_fma_f64 v[6:7], v[87:88], v[105:106], v[6:7]
	s_waitcnt lgkmcnt(0)
	v_fma_f64 v[6:7], v[89:90], v[107:108], v[6:7]
	s_waitcnt vmcnt(2)
	s_delay_alu instid0(VALU_DEP_1)
	v_fma_f64 v[10:11], v[91:92], v[109:110], v[6:7]
	ds_load_b128 v[6:9], v1 offset:560
	ds_load_b128 v[87:90], v1 offset:576
	s_waitcnt lgkmcnt(1)
	v_fma_f64 v[6:7], v[93:94], v[6:7], v[10:11]
	s_waitcnt vmcnt(1)
	s_delay_alu instid0(VALU_DEP_1) | instskip(SKIP_4) | instid1(VALU_DEP_1)
	v_fma_f64 v[6:7], v[95:96], v[8:9], v[6:7]
	ds_load_b64 v[8:9], v1 offset:592
	s_waitcnt lgkmcnt(1)
	v_fma_f64 v[6:7], v[97:98], v[87:88], v[6:7]
	s_waitcnt vmcnt(0)
	v_fma_f64 v[6:7], v[99:100], v[89:90], v[6:7]
	s_waitcnt lgkmcnt(0)
	s_delay_alu instid0(VALU_DEP_1) | instskip(NEXT) | instid1(VALU_DEP_1)
	v_fma_f64 v[6:7], v[101:102], v[8:9], v[6:7]
	v_add_f64 v[4:5], v[4:5], -v[6:7]
	scratch_store_b64 off, v[4:5], off offset:120
	v_cmpx_lt_u32_e32 14, v0
	s_cbranch_execz .LBB36_203
; %bb.202:
	scratch_load_b64 v[4:5], off, off offset:112
	v_mov_b32_e32 v2, v1
	scratch_store_b64 off, v[1:2], off offset:112
	s_waitcnt vmcnt(0)
	ds_store_b64 v3, v[4:5]
.LBB36_203:
	s_or_b32 exec_lo, exec_lo, s0
	s_waitcnt lgkmcnt(0)
	s_waitcnt_vscnt null, 0x0
	s_barrier
	buffer_gl0_inv
	s_clause 0x4
	scratch_load_b128 v[4:7], off, off offset:112
	scratch_load_b128 v[8:11], off, off offset:128
	;; [unrolled: 1-line block ×5, first 2 shown]
	ds_load_2addr_b64 v[99:102], v1 offset0:53 offset1:54
	ds_load_2addr_b64 v[103:106], v1 offset0:55 offset1:56
	scratch_load_b128 v[107:110], off, off offset:192
	s_mov_b32 s0, exec_lo
	s_waitcnt vmcnt(5) lgkmcnt(1)
	v_fma_f64 v[6:7], v[6:7], v[99:100], 0
	s_waitcnt vmcnt(4)
	s_delay_alu instid0(VALU_DEP_1) | instskip(SKIP_1) | instid1(VALU_DEP_1)
	v_fma_f64 v[6:7], v[8:9], v[101:102], v[6:7]
	s_waitcnt lgkmcnt(0)
	v_fma_f64 v[10:11], v[10:11], v[103:104], v[6:7]
	scratch_load_b128 v[6:9], off, off offset:208
	s_waitcnt vmcnt(4)
	v_fma_f64 v[10:11], v[87:88], v[105:106], v[10:11]
	ds_load_2addr_b64 v[99:102], v1 offset0:57 offset1:58
	ds_load_2addr_b64 v[103:106], v1 offset0:59 offset1:60
	s_waitcnt lgkmcnt(1)
	v_fma_f64 v[10:11], v[89:90], v[99:100], v[10:11]
	scratch_load_b128 v[87:90], off, off offset:224
	s_waitcnt vmcnt(4)
	v_fma_f64 v[10:11], v[91:92], v[101:102], v[10:11]
	s_waitcnt lgkmcnt(0)
	s_delay_alu instid0(VALU_DEP_1)
	v_fma_f64 v[10:11], v[93:94], v[103:104], v[10:11]
	scratch_load_b128 v[91:94], off, off offset:240
	s_waitcnt vmcnt(4)
	v_fma_f64 v[10:11], v[95:96], v[105:106], v[10:11]
	ds_load_2addr_b64 v[99:102], v1 offset0:61 offset1:62
	ds_load_2addr_b64 v[103:106], v1 offset0:63 offset1:64
	s_waitcnt lgkmcnt(1)
	v_fma_f64 v[10:11], v[97:98], v[99:100], v[10:11]
	scratch_load_b128 v[95:98], off, off offset:256
	s_waitcnt vmcnt(4)
	v_fma_f64 v[10:11], v[107:108], v[101:102], v[10:11]
	scratch_load_b128 v[99:102], off, off offset:272
	s_waitcnt lgkmcnt(0)
	v_fma_f64 v[10:11], v[109:110], v[103:104], v[10:11]
	s_waitcnt vmcnt(4)
	s_delay_alu instid0(VALU_DEP_1)
	v_fma_f64 v[6:7], v[6:7], v[105:106], v[10:11]
	ds_load_2addr_b64 v[103:106], v1 offset0:65 offset1:66
	ds_load_2addr_b64 v[107:110], v1 offset0:67 offset1:68
	scratch_load_b64 v[10:11], off, off offset:288
	s_waitcnt lgkmcnt(1)
	v_fma_f64 v[6:7], v[8:9], v[103:104], v[6:7]
	s_waitcnt vmcnt(4)
	s_delay_alu instid0(VALU_DEP_1) | instskip(SKIP_1) | instid1(VALU_DEP_1)
	v_fma_f64 v[6:7], v[87:88], v[105:106], v[6:7]
	s_waitcnt lgkmcnt(0)
	v_fma_f64 v[6:7], v[89:90], v[107:108], v[6:7]
	s_waitcnt vmcnt(3)
	s_delay_alu instid0(VALU_DEP_1)
	v_fma_f64 v[91:92], v[91:92], v[109:110], v[6:7]
	ds_load_2addr_b64 v[6:9], v1 offset0:69 offset1:70
	ds_load_2addr_b64 v[87:90], v1 offset0:71 offset1:72
	s_waitcnt lgkmcnt(1)
	v_fma_f64 v[6:7], v[93:94], v[6:7], v[91:92]
	s_waitcnt vmcnt(2)
	s_delay_alu instid0(VALU_DEP_1) | instskip(SKIP_1) | instid1(VALU_DEP_1)
	v_fma_f64 v[6:7], v[95:96], v[8:9], v[6:7]
	s_waitcnt lgkmcnt(0)
	v_fma_f64 v[6:7], v[97:98], v[87:88], v[6:7]
	s_waitcnt vmcnt(1)
	s_delay_alu instid0(VALU_DEP_1) | instskip(SKIP_4) | instid1(VALU_DEP_1)
	v_fma_f64 v[87:88], v[99:100], v[89:90], v[6:7]
	ds_load_2addr_b64 v[6:9], v1 offset0:73 offset1:74
	s_waitcnt lgkmcnt(0)
	v_fma_f64 v[1:2], v[101:102], v[6:7], v[87:88]
	s_waitcnt vmcnt(0)
	v_fma_f64 v[1:2], v[10:11], v[8:9], v[1:2]
	s_delay_alu instid0(VALU_DEP_1)
	v_add_f64 v[1:2], v[4:5], -v[1:2]
	scratch_store_b64 off, v[1:2], off offset:112
	v_cmpx_lt_u32_e32 13, v0
	s_cbranch_execz .LBB36_205
; %bb.204:
	scratch_load_b64 v[1:2], off, off offset:104
	v_mov_b32_e32 v4, 0
	s_delay_alu instid0(VALU_DEP_1)
	v_mov_b32_e32 v5, v4
	scratch_store_b64 off, v[4:5], off offset:104
	s_waitcnt vmcnt(0)
	ds_store_b64 v3, v[1:2]
.LBB36_205:
	s_or_b32 exec_lo, exec_lo, s0
	s_waitcnt lgkmcnt(0)
	s_waitcnt_vscnt null, 0x0
	s_barrier
	buffer_gl0_inv
	s_clause 0x4
	scratch_load_b128 v[4:7], off, off offset:104
	scratch_load_b128 v[8:11], off, off offset:120
	scratch_load_b128 v[87:90], off, off offset:136
	scratch_load_b128 v[91:94], off, off offset:152
	scratch_load_b128 v[95:98], off, off offset:168
	v_mov_b32_e32 v1, 0
	ds_load_b128 v[99:102], v1 offset:416
	ds_load_b128 v[103:106], v1 offset:432
	scratch_load_b128 v[107:110], off, off offset:184
	s_mov_b32 s0, exec_lo
	s_waitcnt vmcnt(5) lgkmcnt(1)
	v_fma_f64 v[6:7], v[6:7], v[99:100], 0
	s_waitcnt vmcnt(4)
	s_delay_alu instid0(VALU_DEP_1) | instskip(SKIP_1) | instid1(VALU_DEP_1)
	v_fma_f64 v[6:7], v[8:9], v[101:102], v[6:7]
	s_waitcnt lgkmcnt(0)
	v_fma_f64 v[10:11], v[10:11], v[103:104], v[6:7]
	scratch_load_b128 v[6:9], off, off offset:200
	s_waitcnt vmcnt(4)
	v_fma_f64 v[10:11], v[87:88], v[105:106], v[10:11]
	ds_load_b128 v[99:102], v1 offset:448
	ds_load_b128 v[103:106], v1 offset:464
	s_waitcnt lgkmcnt(1)
	v_fma_f64 v[10:11], v[89:90], v[99:100], v[10:11]
	scratch_load_b128 v[87:90], off, off offset:216
	s_waitcnt vmcnt(4)
	v_fma_f64 v[10:11], v[91:92], v[101:102], v[10:11]
	s_waitcnt lgkmcnt(0)
	s_delay_alu instid0(VALU_DEP_1)
	v_fma_f64 v[10:11], v[93:94], v[103:104], v[10:11]
	scratch_load_b128 v[91:94], off, off offset:232
	s_waitcnt vmcnt(4)
	v_fma_f64 v[10:11], v[95:96], v[105:106], v[10:11]
	ds_load_b128 v[99:102], v1 offset:480
	ds_load_b128 v[103:106], v1 offset:496
	s_waitcnt lgkmcnt(1)
	v_fma_f64 v[10:11], v[97:98], v[99:100], v[10:11]
	scratch_load_b128 v[95:98], off, off offset:248
	s_waitcnt vmcnt(4)
	v_fma_f64 v[10:11], v[107:108], v[101:102], v[10:11]
	scratch_load_b128 v[99:102], off, off offset:264
	s_waitcnt lgkmcnt(0)
	v_fma_f64 v[10:11], v[109:110], v[103:104], v[10:11]
	s_waitcnt vmcnt(4)
	s_delay_alu instid0(VALU_DEP_1)
	v_fma_f64 v[6:7], v[6:7], v[105:106], v[10:11]
	ds_load_b128 v[103:106], v1 offset:512
	ds_load_b128 v[107:110], v1 offset:528
	s_waitcnt lgkmcnt(1)
	v_fma_f64 v[10:11], v[8:9], v[103:104], v[6:7]
	scratch_load_b128 v[6:9], off, off offset:280
	s_waitcnt vmcnt(4)
	v_fma_f64 v[10:11], v[87:88], v[105:106], v[10:11]
	s_waitcnt lgkmcnt(0)
	s_delay_alu instid0(VALU_DEP_1)
	v_fma_f64 v[10:11], v[89:90], v[107:108], v[10:11]
	ds_load_b128 v[87:90], v1 offset:544
	ds_load_b128 v[103:106], v1 offset:560
	s_waitcnt vmcnt(3)
	v_fma_f64 v[10:11], v[91:92], v[109:110], v[10:11]
	s_waitcnt lgkmcnt(1)
	s_delay_alu instid0(VALU_DEP_1) | instskip(SKIP_1) | instid1(VALU_DEP_1)
	v_fma_f64 v[10:11], v[93:94], v[87:88], v[10:11]
	s_waitcnt vmcnt(2)
	v_fma_f64 v[10:11], v[95:96], v[89:90], v[10:11]
	ds_load_b128 v[87:90], v1 offset:576
	ds_load_b64 v[91:92], v1 offset:592
	s_waitcnt lgkmcnt(2)
	v_fma_f64 v[10:11], v[97:98], v[103:104], v[10:11]
	s_waitcnt vmcnt(1)
	s_delay_alu instid0(VALU_DEP_1) | instskip(SKIP_1) | instid1(VALU_DEP_1)
	v_fma_f64 v[10:11], v[99:100], v[105:106], v[10:11]
	s_waitcnt lgkmcnt(1)
	v_fma_f64 v[10:11], v[101:102], v[87:88], v[10:11]
	s_waitcnt vmcnt(0)
	s_delay_alu instid0(VALU_DEP_1) | instskip(SKIP_1) | instid1(VALU_DEP_1)
	v_fma_f64 v[6:7], v[6:7], v[89:90], v[10:11]
	s_waitcnt lgkmcnt(0)
	v_fma_f64 v[6:7], v[8:9], v[91:92], v[6:7]
	s_delay_alu instid0(VALU_DEP_1)
	v_add_f64 v[4:5], v[4:5], -v[6:7]
	scratch_store_b64 off, v[4:5], off offset:104
	v_cmpx_lt_u32_e32 12, v0
	s_cbranch_execz .LBB36_207
; %bb.206:
	scratch_load_b64 v[4:5], off, off offset:96
	v_mov_b32_e32 v2, v1
	scratch_store_b64 off, v[1:2], off offset:96
	s_waitcnt vmcnt(0)
	ds_store_b64 v3, v[4:5]
.LBB36_207:
	s_or_b32 exec_lo, exec_lo, s0
	s_waitcnt lgkmcnt(0)
	s_waitcnt_vscnt null, 0x0
	s_barrier
	buffer_gl0_inv
	s_clause 0x4
	scratch_load_b128 v[4:7], off, off offset:96
	scratch_load_b128 v[8:11], off, off offset:112
	;; [unrolled: 1-line block ×5, first 2 shown]
	ds_load_2addr_b64 v[99:102], v1 offset0:51 offset1:52
	ds_load_2addr_b64 v[103:106], v1 offset0:53 offset1:54
	scratch_load_b128 v[107:110], off, off offset:176
	s_mov_b32 s0, exec_lo
	s_waitcnt vmcnt(5) lgkmcnt(1)
	v_fma_f64 v[6:7], v[6:7], v[99:100], 0
	s_waitcnt vmcnt(4)
	s_delay_alu instid0(VALU_DEP_1) | instskip(SKIP_1) | instid1(VALU_DEP_1)
	v_fma_f64 v[6:7], v[8:9], v[101:102], v[6:7]
	s_waitcnt lgkmcnt(0)
	v_fma_f64 v[10:11], v[10:11], v[103:104], v[6:7]
	scratch_load_b128 v[6:9], off, off offset:192
	s_waitcnt vmcnt(4)
	v_fma_f64 v[10:11], v[87:88], v[105:106], v[10:11]
	ds_load_2addr_b64 v[99:102], v1 offset0:55 offset1:56
	ds_load_2addr_b64 v[103:106], v1 offset0:57 offset1:58
	s_waitcnt lgkmcnt(1)
	v_fma_f64 v[10:11], v[89:90], v[99:100], v[10:11]
	scratch_load_b128 v[87:90], off, off offset:208
	s_waitcnt vmcnt(4)
	v_fma_f64 v[10:11], v[91:92], v[101:102], v[10:11]
	s_waitcnt lgkmcnt(0)
	s_delay_alu instid0(VALU_DEP_1)
	v_fma_f64 v[10:11], v[93:94], v[103:104], v[10:11]
	scratch_load_b128 v[91:94], off, off offset:224
	s_waitcnt vmcnt(4)
	v_fma_f64 v[10:11], v[95:96], v[105:106], v[10:11]
	ds_load_2addr_b64 v[99:102], v1 offset0:59 offset1:60
	ds_load_2addr_b64 v[103:106], v1 offset0:61 offset1:62
	s_waitcnt lgkmcnt(1)
	v_fma_f64 v[10:11], v[97:98], v[99:100], v[10:11]
	scratch_load_b128 v[95:98], off, off offset:240
	s_waitcnt vmcnt(4)
	v_fma_f64 v[10:11], v[107:108], v[101:102], v[10:11]
	scratch_load_b128 v[99:102], off, off offset:256
	s_waitcnt lgkmcnt(0)
	v_fma_f64 v[10:11], v[109:110], v[103:104], v[10:11]
	s_waitcnt vmcnt(4)
	s_delay_alu instid0(VALU_DEP_1)
	v_fma_f64 v[6:7], v[6:7], v[105:106], v[10:11]
	ds_load_2addr_b64 v[103:106], v1 offset0:63 offset1:64
	ds_load_2addr_b64 v[107:110], v1 offset0:65 offset1:66
	s_waitcnt lgkmcnt(1)
	v_fma_f64 v[10:11], v[8:9], v[103:104], v[6:7]
	scratch_load_b128 v[6:9], off, off offset:272
	s_waitcnt vmcnt(4)
	v_fma_f64 v[10:11], v[87:88], v[105:106], v[10:11]
	s_waitcnt lgkmcnt(0)
	s_delay_alu instid0(VALU_DEP_1)
	v_fma_f64 v[10:11], v[89:90], v[107:108], v[10:11]
	scratch_load_b64 v[107:108], off, off offset:288
	ds_load_2addr_b64 v[87:90], v1 offset0:67 offset1:68
	ds_load_2addr_b64 v[103:106], v1 offset0:69 offset1:70
	s_waitcnt vmcnt(4)
	v_fma_f64 v[10:11], v[91:92], v[109:110], v[10:11]
	s_waitcnt lgkmcnt(1)
	s_delay_alu instid0(VALU_DEP_1) | instskip(SKIP_1) | instid1(VALU_DEP_1)
	v_fma_f64 v[10:11], v[93:94], v[87:88], v[10:11]
	s_waitcnt vmcnt(3)
	v_fma_f64 v[10:11], v[95:96], v[89:90], v[10:11]
	ds_load_2addr_b64 v[87:90], v1 offset0:71 offset1:72
	ds_load_2addr_b64 v[91:94], v1 offset0:73 offset1:74
	s_waitcnt lgkmcnt(2)
	v_fma_f64 v[10:11], v[97:98], v[103:104], v[10:11]
	s_waitcnt vmcnt(2)
	s_delay_alu instid0(VALU_DEP_1) | instskip(SKIP_1) | instid1(VALU_DEP_1)
	v_fma_f64 v[10:11], v[99:100], v[105:106], v[10:11]
	s_waitcnt lgkmcnt(1)
	v_fma_f64 v[1:2], v[101:102], v[87:88], v[10:11]
	s_waitcnt vmcnt(1)
	s_delay_alu instid0(VALU_DEP_1) | instskip(SKIP_1) | instid1(VALU_DEP_1)
	v_fma_f64 v[1:2], v[6:7], v[89:90], v[1:2]
	s_waitcnt lgkmcnt(0)
	v_fma_f64 v[1:2], v[8:9], v[91:92], v[1:2]
	s_waitcnt vmcnt(0)
	s_delay_alu instid0(VALU_DEP_1) | instskip(NEXT) | instid1(VALU_DEP_1)
	v_fma_f64 v[1:2], v[107:108], v[93:94], v[1:2]
	v_add_f64 v[1:2], v[4:5], -v[1:2]
	scratch_store_b64 off, v[1:2], off offset:96
	v_cmpx_lt_u32_e32 11, v0
	s_cbranch_execz .LBB36_209
; %bb.208:
	scratch_load_b64 v[1:2], off, off offset:88
	v_mov_b32_e32 v4, 0
	s_delay_alu instid0(VALU_DEP_1)
	v_mov_b32_e32 v5, v4
	scratch_store_b64 off, v[4:5], off offset:88
	s_waitcnt vmcnt(0)
	ds_store_b64 v3, v[1:2]
.LBB36_209:
	s_or_b32 exec_lo, exec_lo, s0
	s_waitcnt lgkmcnt(0)
	s_waitcnt_vscnt null, 0x0
	s_barrier
	buffer_gl0_inv
	s_clause 0x4
	scratch_load_b128 v[4:7], off, off offset:88
	scratch_load_b128 v[8:11], off, off offset:104
	;; [unrolled: 1-line block ×5, first 2 shown]
	v_mov_b32_e32 v1, 0
	ds_load_b128 v[99:102], v1 offset:400
	ds_load_b128 v[103:106], v1 offset:416
	scratch_load_b128 v[107:110], off, off offset:168
	s_mov_b32 s0, exec_lo
	s_waitcnt vmcnt(5) lgkmcnt(1)
	v_fma_f64 v[6:7], v[6:7], v[99:100], 0
	s_waitcnt vmcnt(4)
	s_delay_alu instid0(VALU_DEP_1) | instskip(SKIP_1) | instid1(VALU_DEP_1)
	v_fma_f64 v[6:7], v[8:9], v[101:102], v[6:7]
	s_waitcnt lgkmcnt(0)
	v_fma_f64 v[10:11], v[10:11], v[103:104], v[6:7]
	scratch_load_b128 v[6:9], off, off offset:184
	s_waitcnt vmcnt(4)
	v_fma_f64 v[10:11], v[87:88], v[105:106], v[10:11]
	ds_load_b128 v[99:102], v1 offset:432
	ds_load_b128 v[103:106], v1 offset:448
	s_waitcnt lgkmcnt(1)
	v_fma_f64 v[10:11], v[89:90], v[99:100], v[10:11]
	scratch_load_b128 v[87:90], off, off offset:200
	s_waitcnt vmcnt(4)
	v_fma_f64 v[10:11], v[91:92], v[101:102], v[10:11]
	s_waitcnt lgkmcnt(0)
	s_delay_alu instid0(VALU_DEP_1)
	v_fma_f64 v[10:11], v[93:94], v[103:104], v[10:11]
	scratch_load_b128 v[91:94], off, off offset:216
	s_waitcnt vmcnt(4)
	v_fma_f64 v[10:11], v[95:96], v[105:106], v[10:11]
	ds_load_b128 v[99:102], v1 offset:464
	ds_load_b128 v[103:106], v1 offset:480
	s_waitcnt lgkmcnt(1)
	v_fma_f64 v[10:11], v[97:98], v[99:100], v[10:11]
	scratch_load_b128 v[95:98], off, off offset:232
	s_waitcnt vmcnt(4)
	v_fma_f64 v[10:11], v[107:108], v[101:102], v[10:11]
	scratch_load_b128 v[99:102], off, off offset:248
	s_waitcnt lgkmcnt(0)
	v_fma_f64 v[10:11], v[109:110], v[103:104], v[10:11]
	s_waitcnt vmcnt(4)
	s_delay_alu instid0(VALU_DEP_1)
	v_fma_f64 v[6:7], v[6:7], v[105:106], v[10:11]
	ds_load_b128 v[103:106], v1 offset:496
	ds_load_b128 v[107:110], v1 offset:512
	s_waitcnt lgkmcnt(1)
	v_fma_f64 v[10:11], v[8:9], v[103:104], v[6:7]
	scratch_load_b128 v[6:9], off, off offset:264
	s_waitcnt vmcnt(4)
	v_fma_f64 v[10:11], v[87:88], v[105:106], v[10:11]
	s_waitcnt lgkmcnt(0)
	s_delay_alu instid0(VALU_DEP_1)
	v_fma_f64 v[10:11], v[89:90], v[107:108], v[10:11]
	scratch_load_b128 v[87:90], off, off offset:280
	s_waitcnt vmcnt(4)
	v_fma_f64 v[10:11], v[91:92], v[109:110], v[10:11]
	ds_load_b128 v[103:106], v1 offset:528
	ds_load_b128 v[107:110], v1 offset:544
	s_waitcnt lgkmcnt(1)
	v_fma_f64 v[10:11], v[93:94], v[103:104], v[10:11]
	s_waitcnt vmcnt(3)
	s_delay_alu instid0(VALU_DEP_1) | instskip(SKIP_1) | instid1(VALU_DEP_1)
	v_fma_f64 v[10:11], v[95:96], v[105:106], v[10:11]
	s_waitcnt lgkmcnt(0)
	v_fma_f64 v[10:11], v[97:98], v[107:108], v[10:11]
	ds_load_b128 v[91:94], v1 offset:560
	ds_load_b128 v[95:98], v1 offset:576
	s_waitcnt vmcnt(2)
	v_fma_f64 v[10:11], v[99:100], v[109:110], v[10:11]
	s_waitcnt lgkmcnt(1)
	s_delay_alu instid0(VALU_DEP_1) | instskip(SKIP_1) | instid1(VALU_DEP_1)
	v_fma_f64 v[10:11], v[101:102], v[91:92], v[10:11]
	s_waitcnt vmcnt(1)
	v_fma_f64 v[6:7], v[6:7], v[93:94], v[10:11]
	s_waitcnt lgkmcnt(0)
	s_delay_alu instid0(VALU_DEP_1) | instskip(SKIP_4) | instid1(VALU_DEP_1)
	v_fma_f64 v[6:7], v[8:9], v[95:96], v[6:7]
	ds_load_b64 v[8:9], v1 offset:592
	s_waitcnt vmcnt(0)
	v_fma_f64 v[6:7], v[87:88], v[97:98], v[6:7]
	s_waitcnt lgkmcnt(0)
	v_fma_f64 v[6:7], v[89:90], v[8:9], v[6:7]
	s_delay_alu instid0(VALU_DEP_1)
	v_add_f64 v[4:5], v[4:5], -v[6:7]
	scratch_store_b64 off, v[4:5], off offset:88
	v_cmpx_lt_u32_e32 10, v0
	s_cbranch_execz .LBB36_211
; %bb.210:
	scratch_load_b64 v[4:5], off, off offset:80
	v_mov_b32_e32 v2, v1
	scratch_store_b64 off, v[1:2], off offset:80
	s_waitcnt vmcnt(0)
	ds_store_b64 v3, v[4:5]
.LBB36_211:
	s_or_b32 exec_lo, exec_lo, s0
	s_waitcnt lgkmcnt(0)
	s_waitcnt_vscnt null, 0x0
	s_barrier
	buffer_gl0_inv
	s_clause 0x4
	scratch_load_b128 v[4:7], off, off offset:80
	scratch_load_b128 v[8:11], off, off offset:96
	scratch_load_b128 v[87:90], off, off offset:112
	scratch_load_b128 v[91:94], off, off offset:128
	scratch_load_b128 v[95:98], off, off offset:144
	ds_load_2addr_b64 v[99:102], v1 offset0:49 offset1:50
	ds_load_2addr_b64 v[103:106], v1 offset0:51 offset1:52
	scratch_load_b128 v[107:110], off, off offset:160
	s_mov_b32 s0, exec_lo
	s_waitcnt vmcnt(5) lgkmcnt(1)
	v_fma_f64 v[6:7], v[6:7], v[99:100], 0
	s_waitcnt vmcnt(4)
	s_delay_alu instid0(VALU_DEP_1) | instskip(SKIP_1) | instid1(VALU_DEP_1)
	v_fma_f64 v[6:7], v[8:9], v[101:102], v[6:7]
	s_waitcnt lgkmcnt(0)
	v_fma_f64 v[10:11], v[10:11], v[103:104], v[6:7]
	scratch_load_b128 v[6:9], off, off offset:176
	s_waitcnt vmcnt(4)
	v_fma_f64 v[10:11], v[87:88], v[105:106], v[10:11]
	ds_load_2addr_b64 v[99:102], v1 offset0:53 offset1:54
	ds_load_2addr_b64 v[103:106], v1 offset0:55 offset1:56
	s_waitcnt lgkmcnt(1)
	v_fma_f64 v[10:11], v[89:90], v[99:100], v[10:11]
	scratch_load_b128 v[87:90], off, off offset:192
	s_waitcnt vmcnt(4)
	v_fma_f64 v[10:11], v[91:92], v[101:102], v[10:11]
	s_waitcnt lgkmcnt(0)
	s_delay_alu instid0(VALU_DEP_1)
	v_fma_f64 v[10:11], v[93:94], v[103:104], v[10:11]
	scratch_load_b128 v[91:94], off, off offset:208
	s_waitcnt vmcnt(4)
	v_fma_f64 v[10:11], v[95:96], v[105:106], v[10:11]
	ds_load_2addr_b64 v[99:102], v1 offset0:57 offset1:58
	ds_load_2addr_b64 v[103:106], v1 offset0:59 offset1:60
	s_waitcnt lgkmcnt(1)
	v_fma_f64 v[10:11], v[97:98], v[99:100], v[10:11]
	scratch_load_b128 v[95:98], off, off offset:224
	s_waitcnt vmcnt(4)
	v_fma_f64 v[10:11], v[107:108], v[101:102], v[10:11]
	scratch_load_b128 v[99:102], off, off offset:240
	s_waitcnt lgkmcnt(0)
	v_fma_f64 v[10:11], v[109:110], v[103:104], v[10:11]
	s_waitcnt vmcnt(4)
	s_delay_alu instid0(VALU_DEP_1)
	v_fma_f64 v[6:7], v[6:7], v[105:106], v[10:11]
	ds_load_2addr_b64 v[103:106], v1 offset0:61 offset1:62
	ds_load_2addr_b64 v[107:110], v1 offset0:63 offset1:64
	s_waitcnt lgkmcnt(1)
	v_fma_f64 v[10:11], v[8:9], v[103:104], v[6:7]
	scratch_load_b128 v[6:9], off, off offset:256
	s_waitcnt vmcnt(4)
	v_fma_f64 v[10:11], v[87:88], v[105:106], v[10:11]
	s_waitcnt lgkmcnt(0)
	s_delay_alu instid0(VALU_DEP_1)
	v_fma_f64 v[10:11], v[89:90], v[107:108], v[10:11]
	scratch_load_b128 v[87:90], off, off offset:272
	s_waitcnt vmcnt(4)
	v_fma_f64 v[10:11], v[91:92], v[109:110], v[10:11]
	ds_load_2addr_b64 v[103:106], v1 offset0:65 offset1:66
	ds_load_2addr_b64 v[107:110], v1 offset0:67 offset1:68
	s_waitcnt lgkmcnt(1)
	v_fma_f64 v[10:11], v[93:94], v[103:104], v[10:11]
	scratch_load_b64 v[103:104], off, off offset:288
	s_waitcnt vmcnt(4)
	v_fma_f64 v[10:11], v[95:96], v[105:106], v[10:11]
	s_waitcnt lgkmcnt(0)
	s_delay_alu instid0(VALU_DEP_1)
	v_fma_f64 v[10:11], v[97:98], v[107:108], v[10:11]
	ds_load_2addr_b64 v[91:94], v1 offset0:69 offset1:70
	ds_load_2addr_b64 v[95:98], v1 offset0:71 offset1:72
	s_waitcnt vmcnt(3)
	v_fma_f64 v[10:11], v[99:100], v[109:110], v[10:11]
	s_waitcnt lgkmcnt(1)
	s_delay_alu instid0(VALU_DEP_1) | instskip(SKIP_1) | instid1(VALU_DEP_1)
	v_fma_f64 v[10:11], v[101:102], v[91:92], v[10:11]
	s_waitcnt vmcnt(2)
	v_fma_f64 v[6:7], v[6:7], v[93:94], v[10:11]
	s_waitcnt lgkmcnt(0)
	s_delay_alu instid0(VALU_DEP_1) | instskip(SKIP_1) | instid1(VALU_DEP_1)
	v_fma_f64 v[6:7], v[8:9], v[95:96], v[6:7]
	s_waitcnt vmcnt(1)
	v_fma_f64 v[10:11], v[87:88], v[97:98], v[6:7]
	ds_load_2addr_b64 v[6:9], v1 offset0:73 offset1:74
	s_waitcnt lgkmcnt(0)
	v_fma_f64 v[1:2], v[89:90], v[6:7], v[10:11]
	s_waitcnt vmcnt(0)
	s_delay_alu instid0(VALU_DEP_1) | instskip(NEXT) | instid1(VALU_DEP_1)
	v_fma_f64 v[1:2], v[103:104], v[8:9], v[1:2]
	v_add_f64 v[1:2], v[4:5], -v[1:2]
	scratch_store_b64 off, v[1:2], off offset:80
	v_cmpx_lt_u32_e32 9, v0
	s_cbranch_execz .LBB36_213
; %bb.212:
	scratch_load_b64 v[1:2], off, off offset:72
	v_mov_b32_e32 v4, 0
	s_delay_alu instid0(VALU_DEP_1)
	v_mov_b32_e32 v5, v4
	scratch_store_b64 off, v[4:5], off offset:72
	s_waitcnt vmcnt(0)
	ds_store_b64 v3, v[1:2]
.LBB36_213:
	s_or_b32 exec_lo, exec_lo, s0
	s_waitcnt lgkmcnt(0)
	s_waitcnt_vscnt null, 0x0
	s_barrier
	buffer_gl0_inv
	s_clause 0x4
	scratch_load_b128 v[4:7], off, off offset:72
	scratch_load_b128 v[8:11], off, off offset:88
	;; [unrolled: 1-line block ×5, first 2 shown]
	v_mov_b32_e32 v1, 0
	ds_load_b128 v[99:102], v1 offset:384
	ds_load_b128 v[103:106], v1 offset:400
	scratch_load_b128 v[107:110], off, off offset:152
	s_mov_b32 s0, exec_lo
	s_waitcnt vmcnt(5) lgkmcnt(1)
	v_fma_f64 v[6:7], v[6:7], v[99:100], 0
	s_waitcnt vmcnt(4)
	s_delay_alu instid0(VALU_DEP_1) | instskip(SKIP_1) | instid1(VALU_DEP_1)
	v_fma_f64 v[6:7], v[8:9], v[101:102], v[6:7]
	s_waitcnt lgkmcnt(0)
	v_fma_f64 v[10:11], v[10:11], v[103:104], v[6:7]
	scratch_load_b128 v[6:9], off, off offset:168
	s_waitcnt vmcnt(4)
	v_fma_f64 v[10:11], v[87:88], v[105:106], v[10:11]
	ds_load_b128 v[99:102], v1 offset:416
	ds_load_b128 v[103:106], v1 offset:432
	s_waitcnt lgkmcnt(1)
	v_fma_f64 v[10:11], v[89:90], v[99:100], v[10:11]
	scratch_load_b128 v[87:90], off, off offset:184
	s_waitcnt vmcnt(4)
	v_fma_f64 v[10:11], v[91:92], v[101:102], v[10:11]
	s_waitcnt lgkmcnt(0)
	s_delay_alu instid0(VALU_DEP_1)
	v_fma_f64 v[10:11], v[93:94], v[103:104], v[10:11]
	scratch_load_b128 v[91:94], off, off offset:200
	s_waitcnt vmcnt(4)
	v_fma_f64 v[10:11], v[95:96], v[105:106], v[10:11]
	ds_load_b128 v[99:102], v1 offset:448
	ds_load_b128 v[103:106], v1 offset:464
	s_waitcnt lgkmcnt(1)
	v_fma_f64 v[10:11], v[97:98], v[99:100], v[10:11]
	scratch_load_b128 v[95:98], off, off offset:216
	s_waitcnt vmcnt(4)
	v_fma_f64 v[10:11], v[107:108], v[101:102], v[10:11]
	scratch_load_b128 v[99:102], off, off offset:232
	s_waitcnt lgkmcnt(0)
	v_fma_f64 v[10:11], v[109:110], v[103:104], v[10:11]
	s_waitcnt vmcnt(4)
	s_delay_alu instid0(VALU_DEP_1)
	v_fma_f64 v[6:7], v[6:7], v[105:106], v[10:11]
	ds_load_b128 v[103:106], v1 offset:480
	ds_load_b128 v[107:110], v1 offset:496
	s_waitcnt lgkmcnt(1)
	v_fma_f64 v[10:11], v[8:9], v[103:104], v[6:7]
	scratch_load_b128 v[6:9], off, off offset:248
	s_waitcnt vmcnt(4)
	v_fma_f64 v[10:11], v[87:88], v[105:106], v[10:11]
	s_waitcnt lgkmcnt(0)
	s_delay_alu instid0(VALU_DEP_1)
	v_fma_f64 v[10:11], v[89:90], v[107:108], v[10:11]
	scratch_load_b128 v[87:90], off, off offset:264
	s_waitcnt vmcnt(4)
	v_fma_f64 v[10:11], v[91:92], v[109:110], v[10:11]
	ds_load_b128 v[103:106], v1 offset:512
	ds_load_b128 v[107:110], v1 offset:528
	s_waitcnt lgkmcnt(1)
	v_fma_f64 v[10:11], v[93:94], v[103:104], v[10:11]
	scratch_load_b128 v[91:94], off, off offset:280
	s_waitcnt vmcnt(4)
	v_fma_f64 v[10:11], v[95:96], v[105:106], v[10:11]
	s_waitcnt lgkmcnt(0)
	s_delay_alu instid0(VALU_DEP_1)
	v_fma_f64 v[10:11], v[97:98], v[107:108], v[10:11]
	ds_load_b128 v[95:98], v1 offset:544
	ds_load_b128 v[103:106], v1 offset:560
	s_waitcnt vmcnt(3)
	v_fma_f64 v[10:11], v[99:100], v[109:110], v[10:11]
	s_waitcnt lgkmcnt(1)
	s_delay_alu instid0(VALU_DEP_1) | instskip(SKIP_1) | instid1(VALU_DEP_1)
	v_fma_f64 v[10:11], v[101:102], v[95:96], v[10:11]
	s_waitcnt vmcnt(2)
	v_fma_f64 v[6:7], v[6:7], v[97:98], v[10:11]
	s_waitcnt lgkmcnt(0)
	s_delay_alu instid0(VALU_DEP_1) | instskip(SKIP_1) | instid1(VALU_DEP_1)
	v_fma_f64 v[6:7], v[8:9], v[103:104], v[6:7]
	s_waitcnt vmcnt(1)
	v_fma_f64 v[10:11], v[87:88], v[105:106], v[6:7]
	ds_load_b128 v[6:9], v1 offset:576
	ds_load_b64 v[87:88], v1 offset:592
	s_waitcnt lgkmcnt(1)
	v_fma_f64 v[6:7], v[89:90], v[6:7], v[10:11]
	s_waitcnt vmcnt(0)
	s_delay_alu instid0(VALU_DEP_1) | instskip(SKIP_1) | instid1(VALU_DEP_1)
	v_fma_f64 v[6:7], v[91:92], v[8:9], v[6:7]
	s_waitcnt lgkmcnt(0)
	v_fma_f64 v[6:7], v[93:94], v[87:88], v[6:7]
	s_delay_alu instid0(VALU_DEP_1)
	v_add_f64 v[4:5], v[4:5], -v[6:7]
	scratch_store_b64 off, v[4:5], off offset:72
	v_cmpx_lt_u32_e32 8, v0
	s_cbranch_execz .LBB36_215
; %bb.214:
	scratch_load_b64 v[4:5], off, off offset:64
	v_mov_b32_e32 v2, v1
	scratch_store_b64 off, v[1:2], off offset:64
	s_waitcnt vmcnt(0)
	ds_store_b64 v3, v[4:5]
.LBB36_215:
	s_or_b32 exec_lo, exec_lo, s0
	s_waitcnt lgkmcnt(0)
	s_waitcnt_vscnt null, 0x0
	s_barrier
	buffer_gl0_inv
	s_clause 0x4
	scratch_load_b128 v[4:7], off, off offset:64
	scratch_load_b128 v[8:11], off, off offset:80
	;; [unrolled: 1-line block ×5, first 2 shown]
	ds_load_2addr_b64 v[99:102], v1 offset0:47 offset1:48
	ds_load_2addr_b64 v[103:106], v1 offset0:49 offset1:50
	scratch_load_b128 v[107:110], off, off offset:144
	s_mov_b32 s0, exec_lo
	s_waitcnt vmcnt(5) lgkmcnt(1)
	v_fma_f64 v[6:7], v[6:7], v[99:100], 0
	s_waitcnt vmcnt(4)
	s_delay_alu instid0(VALU_DEP_1) | instskip(SKIP_1) | instid1(VALU_DEP_1)
	v_fma_f64 v[6:7], v[8:9], v[101:102], v[6:7]
	s_waitcnt lgkmcnt(0)
	v_fma_f64 v[10:11], v[10:11], v[103:104], v[6:7]
	scratch_load_b128 v[6:9], off, off offset:160
	s_waitcnt vmcnt(4)
	v_fma_f64 v[10:11], v[87:88], v[105:106], v[10:11]
	ds_load_2addr_b64 v[99:102], v1 offset0:51 offset1:52
	ds_load_2addr_b64 v[103:106], v1 offset0:53 offset1:54
	s_waitcnt lgkmcnt(1)
	v_fma_f64 v[10:11], v[89:90], v[99:100], v[10:11]
	scratch_load_b128 v[87:90], off, off offset:176
	s_waitcnt vmcnt(4)
	v_fma_f64 v[10:11], v[91:92], v[101:102], v[10:11]
	s_waitcnt lgkmcnt(0)
	s_delay_alu instid0(VALU_DEP_1)
	v_fma_f64 v[10:11], v[93:94], v[103:104], v[10:11]
	scratch_load_b128 v[91:94], off, off offset:192
	s_waitcnt vmcnt(4)
	v_fma_f64 v[10:11], v[95:96], v[105:106], v[10:11]
	ds_load_2addr_b64 v[99:102], v1 offset0:55 offset1:56
	ds_load_2addr_b64 v[103:106], v1 offset0:57 offset1:58
	s_waitcnt lgkmcnt(1)
	v_fma_f64 v[10:11], v[97:98], v[99:100], v[10:11]
	scratch_load_b128 v[95:98], off, off offset:208
	s_waitcnt vmcnt(4)
	v_fma_f64 v[10:11], v[107:108], v[101:102], v[10:11]
	scratch_load_b128 v[99:102], off, off offset:224
	s_waitcnt lgkmcnt(0)
	v_fma_f64 v[10:11], v[109:110], v[103:104], v[10:11]
	s_waitcnt vmcnt(4)
	s_delay_alu instid0(VALU_DEP_1)
	v_fma_f64 v[6:7], v[6:7], v[105:106], v[10:11]
	ds_load_2addr_b64 v[103:106], v1 offset0:59 offset1:60
	ds_load_2addr_b64 v[107:110], v1 offset0:61 offset1:62
	s_waitcnt lgkmcnt(1)
	v_fma_f64 v[10:11], v[8:9], v[103:104], v[6:7]
	scratch_load_b128 v[6:9], off, off offset:240
	s_waitcnt vmcnt(4)
	v_fma_f64 v[10:11], v[87:88], v[105:106], v[10:11]
	s_waitcnt lgkmcnt(0)
	s_delay_alu instid0(VALU_DEP_1)
	v_fma_f64 v[10:11], v[89:90], v[107:108], v[10:11]
	scratch_load_b128 v[87:90], off, off offset:256
	s_waitcnt vmcnt(4)
	v_fma_f64 v[10:11], v[91:92], v[109:110], v[10:11]
	ds_load_2addr_b64 v[103:106], v1 offset0:63 offset1:64
	ds_load_2addr_b64 v[107:110], v1 offset0:65 offset1:66
	s_waitcnt lgkmcnt(1)
	v_fma_f64 v[10:11], v[93:94], v[103:104], v[10:11]
	scratch_load_b128 v[91:94], off, off offset:272
	s_waitcnt vmcnt(4)
	v_fma_f64 v[10:11], v[95:96], v[105:106], v[10:11]
	s_waitcnt lgkmcnt(0)
	s_delay_alu instid0(VALU_DEP_1)
	v_fma_f64 v[10:11], v[97:98], v[107:108], v[10:11]
	scratch_load_b64 v[107:108], off, off offset:288
	ds_load_2addr_b64 v[95:98], v1 offset0:67 offset1:68
	ds_load_2addr_b64 v[103:106], v1 offset0:69 offset1:70
	s_waitcnt vmcnt(4)
	v_fma_f64 v[10:11], v[99:100], v[109:110], v[10:11]
	s_waitcnt lgkmcnt(1)
	s_delay_alu instid0(VALU_DEP_1) | instskip(SKIP_1) | instid1(VALU_DEP_1)
	v_fma_f64 v[10:11], v[101:102], v[95:96], v[10:11]
	s_waitcnt vmcnt(3)
	v_fma_f64 v[6:7], v[6:7], v[97:98], v[10:11]
	s_waitcnt lgkmcnt(0)
	s_delay_alu instid0(VALU_DEP_1) | instskip(SKIP_1) | instid1(VALU_DEP_1)
	v_fma_f64 v[6:7], v[8:9], v[103:104], v[6:7]
	s_waitcnt vmcnt(2)
	v_fma_f64 v[10:11], v[87:88], v[105:106], v[6:7]
	ds_load_2addr_b64 v[6:9], v1 offset0:71 offset1:72
	ds_load_2addr_b64 v[95:98], v1 offset0:73 offset1:74
	s_waitcnt lgkmcnt(1)
	v_fma_f64 v[1:2], v[89:90], v[6:7], v[10:11]
	s_waitcnt vmcnt(1)
	s_delay_alu instid0(VALU_DEP_1) | instskip(SKIP_1) | instid1(VALU_DEP_1)
	v_fma_f64 v[1:2], v[91:92], v[8:9], v[1:2]
	s_waitcnt lgkmcnt(0)
	v_fma_f64 v[1:2], v[93:94], v[95:96], v[1:2]
	s_waitcnt vmcnt(0)
	s_delay_alu instid0(VALU_DEP_1) | instskip(NEXT) | instid1(VALU_DEP_1)
	v_fma_f64 v[1:2], v[107:108], v[97:98], v[1:2]
	v_add_f64 v[1:2], v[4:5], -v[1:2]
	scratch_store_b64 off, v[1:2], off offset:64
	v_cmpx_lt_u32_e32 7, v0
	s_cbranch_execz .LBB36_217
; %bb.216:
	scratch_load_b64 v[1:2], off, off offset:56
	v_mov_b32_e32 v4, 0
	s_delay_alu instid0(VALU_DEP_1)
	v_mov_b32_e32 v5, v4
	scratch_store_b64 off, v[4:5], off offset:56
	s_waitcnt vmcnt(0)
	ds_store_b64 v3, v[1:2]
.LBB36_217:
	s_or_b32 exec_lo, exec_lo, s0
	s_waitcnt lgkmcnt(0)
	s_waitcnt_vscnt null, 0x0
	s_barrier
	buffer_gl0_inv
	s_clause 0x4
	scratch_load_b128 v[4:7], off, off offset:56
	scratch_load_b128 v[8:11], off, off offset:72
	;; [unrolled: 1-line block ×5, first 2 shown]
	v_mov_b32_e32 v1, 0
	ds_load_b128 v[99:102], v1 offset:368
	ds_load_b128 v[103:106], v1 offset:384
	scratch_load_b128 v[107:110], off, off offset:136
	s_mov_b32 s0, exec_lo
	s_waitcnt vmcnt(5) lgkmcnt(1)
	v_fma_f64 v[6:7], v[6:7], v[99:100], 0
	s_waitcnt vmcnt(4)
	s_delay_alu instid0(VALU_DEP_1) | instskip(SKIP_1) | instid1(VALU_DEP_1)
	v_fma_f64 v[6:7], v[8:9], v[101:102], v[6:7]
	s_waitcnt lgkmcnt(0)
	v_fma_f64 v[10:11], v[10:11], v[103:104], v[6:7]
	scratch_load_b128 v[6:9], off, off offset:152
	s_waitcnt vmcnt(4)
	v_fma_f64 v[10:11], v[87:88], v[105:106], v[10:11]
	ds_load_b128 v[99:102], v1 offset:400
	ds_load_b128 v[103:106], v1 offset:416
	s_waitcnt lgkmcnt(1)
	v_fma_f64 v[10:11], v[89:90], v[99:100], v[10:11]
	scratch_load_b128 v[87:90], off, off offset:168
	s_waitcnt vmcnt(4)
	v_fma_f64 v[10:11], v[91:92], v[101:102], v[10:11]
	s_waitcnt lgkmcnt(0)
	s_delay_alu instid0(VALU_DEP_1)
	v_fma_f64 v[10:11], v[93:94], v[103:104], v[10:11]
	scratch_load_b128 v[91:94], off, off offset:184
	s_waitcnt vmcnt(4)
	v_fma_f64 v[10:11], v[95:96], v[105:106], v[10:11]
	ds_load_b128 v[99:102], v1 offset:432
	ds_load_b128 v[103:106], v1 offset:448
	s_waitcnt lgkmcnt(1)
	v_fma_f64 v[10:11], v[97:98], v[99:100], v[10:11]
	scratch_load_b128 v[95:98], off, off offset:200
	s_waitcnt vmcnt(4)
	v_fma_f64 v[10:11], v[107:108], v[101:102], v[10:11]
	scratch_load_b128 v[99:102], off, off offset:216
	s_waitcnt lgkmcnt(0)
	v_fma_f64 v[10:11], v[109:110], v[103:104], v[10:11]
	s_waitcnt vmcnt(4)
	s_delay_alu instid0(VALU_DEP_1)
	v_fma_f64 v[6:7], v[6:7], v[105:106], v[10:11]
	ds_load_b128 v[103:106], v1 offset:464
	ds_load_b128 v[107:110], v1 offset:480
	s_waitcnt lgkmcnt(1)
	v_fma_f64 v[10:11], v[8:9], v[103:104], v[6:7]
	scratch_load_b128 v[6:9], off, off offset:232
	s_waitcnt vmcnt(4)
	v_fma_f64 v[10:11], v[87:88], v[105:106], v[10:11]
	s_waitcnt lgkmcnt(0)
	s_delay_alu instid0(VALU_DEP_1)
	v_fma_f64 v[10:11], v[89:90], v[107:108], v[10:11]
	scratch_load_b128 v[87:90], off, off offset:248
	s_waitcnt vmcnt(4)
	v_fma_f64 v[10:11], v[91:92], v[109:110], v[10:11]
	ds_load_b128 v[103:106], v1 offset:496
	ds_load_b128 v[107:110], v1 offset:512
	s_waitcnt lgkmcnt(1)
	v_fma_f64 v[10:11], v[93:94], v[103:104], v[10:11]
	scratch_load_b128 v[91:94], off, off offset:264
	s_waitcnt vmcnt(4)
	v_fma_f64 v[10:11], v[95:96], v[105:106], v[10:11]
	s_waitcnt lgkmcnt(0)
	s_delay_alu instid0(VALU_DEP_1)
	v_fma_f64 v[10:11], v[97:98], v[107:108], v[10:11]
	scratch_load_b128 v[95:98], off, off offset:280
	s_waitcnt vmcnt(4)
	v_fma_f64 v[10:11], v[99:100], v[109:110], v[10:11]
	ds_load_b128 v[103:106], v1 offset:528
	ds_load_b128 v[107:110], v1 offset:544
	s_waitcnt lgkmcnt(1)
	v_fma_f64 v[10:11], v[101:102], v[103:104], v[10:11]
	s_waitcnt vmcnt(3)
	s_delay_alu instid0(VALU_DEP_1) | instskip(SKIP_1) | instid1(VALU_DEP_1)
	v_fma_f64 v[6:7], v[6:7], v[105:106], v[10:11]
	s_waitcnt lgkmcnt(0)
	v_fma_f64 v[6:7], v[8:9], v[107:108], v[6:7]
	s_waitcnt vmcnt(2)
	s_delay_alu instid0(VALU_DEP_1)
	v_fma_f64 v[10:11], v[87:88], v[109:110], v[6:7]
	ds_load_b128 v[6:9], v1 offset:560
	ds_load_b128 v[99:102], v1 offset:576
	s_waitcnt lgkmcnt(1)
	v_fma_f64 v[6:7], v[89:90], v[6:7], v[10:11]
	s_waitcnt vmcnt(1)
	s_delay_alu instid0(VALU_DEP_1) | instskip(SKIP_4) | instid1(VALU_DEP_1)
	v_fma_f64 v[6:7], v[91:92], v[8:9], v[6:7]
	ds_load_b64 v[8:9], v1 offset:592
	s_waitcnt lgkmcnt(1)
	v_fma_f64 v[6:7], v[93:94], v[99:100], v[6:7]
	s_waitcnt vmcnt(0)
	v_fma_f64 v[6:7], v[95:96], v[101:102], v[6:7]
	s_waitcnt lgkmcnt(0)
	s_delay_alu instid0(VALU_DEP_1) | instskip(NEXT) | instid1(VALU_DEP_1)
	v_fma_f64 v[6:7], v[97:98], v[8:9], v[6:7]
	v_add_f64 v[4:5], v[4:5], -v[6:7]
	scratch_store_b64 off, v[4:5], off offset:56
	v_cmpx_lt_u32_e32 6, v0
	s_cbranch_execz .LBB36_219
; %bb.218:
	scratch_load_b64 v[4:5], off, off offset:48
	v_mov_b32_e32 v2, v1
	scratch_store_b64 off, v[1:2], off offset:48
	s_waitcnt vmcnt(0)
	ds_store_b64 v3, v[4:5]
.LBB36_219:
	s_or_b32 exec_lo, exec_lo, s0
	s_waitcnt lgkmcnt(0)
	s_waitcnt_vscnt null, 0x0
	s_barrier
	buffer_gl0_inv
	s_clause 0x4
	scratch_load_b128 v[4:7], off, off offset:48
	scratch_load_b128 v[8:11], off, off offset:64
	;; [unrolled: 1-line block ×5, first 2 shown]
	ds_load_2addr_b64 v[99:102], v1 offset0:45 offset1:46
	ds_load_2addr_b64 v[103:106], v1 offset0:47 offset1:48
	scratch_load_b128 v[107:110], off, off offset:128
	s_mov_b32 s0, exec_lo
	s_waitcnt vmcnt(5) lgkmcnt(1)
	v_fma_f64 v[6:7], v[6:7], v[99:100], 0
	s_waitcnt vmcnt(4)
	s_delay_alu instid0(VALU_DEP_1) | instskip(SKIP_1) | instid1(VALU_DEP_1)
	v_fma_f64 v[6:7], v[8:9], v[101:102], v[6:7]
	s_waitcnt lgkmcnt(0)
	v_fma_f64 v[10:11], v[10:11], v[103:104], v[6:7]
	scratch_load_b128 v[6:9], off, off offset:144
	s_waitcnt vmcnt(4)
	v_fma_f64 v[10:11], v[87:88], v[105:106], v[10:11]
	ds_load_2addr_b64 v[99:102], v1 offset0:49 offset1:50
	ds_load_2addr_b64 v[103:106], v1 offset0:51 offset1:52
	s_waitcnt lgkmcnt(1)
	v_fma_f64 v[10:11], v[89:90], v[99:100], v[10:11]
	scratch_load_b128 v[87:90], off, off offset:160
	s_waitcnt vmcnt(4)
	v_fma_f64 v[10:11], v[91:92], v[101:102], v[10:11]
	s_waitcnt lgkmcnt(0)
	s_delay_alu instid0(VALU_DEP_1)
	v_fma_f64 v[10:11], v[93:94], v[103:104], v[10:11]
	scratch_load_b128 v[91:94], off, off offset:176
	s_waitcnt vmcnt(4)
	v_fma_f64 v[10:11], v[95:96], v[105:106], v[10:11]
	ds_load_2addr_b64 v[99:102], v1 offset0:53 offset1:54
	ds_load_2addr_b64 v[103:106], v1 offset0:55 offset1:56
	s_waitcnt lgkmcnt(1)
	v_fma_f64 v[10:11], v[97:98], v[99:100], v[10:11]
	scratch_load_b128 v[95:98], off, off offset:192
	s_waitcnt vmcnt(4)
	v_fma_f64 v[10:11], v[107:108], v[101:102], v[10:11]
	scratch_load_b128 v[99:102], off, off offset:208
	s_waitcnt lgkmcnt(0)
	v_fma_f64 v[10:11], v[109:110], v[103:104], v[10:11]
	s_waitcnt vmcnt(4)
	s_delay_alu instid0(VALU_DEP_1)
	v_fma_f64 v[6:7], v[6:7], v[105:106], v[10:11]
	ds_load_2addr_b64 v[103:106], v1 offset0:57 offset1:58
	ds_load_2addr_b64 v[107:110], v1 offset0:59 offset1:60
	s_waitcnt lgkmcnt(1)
	v_fma_f64 v[10:11], v[8:9], v[103:104], v[6:7]
	scratch_load_b128 v[6:9], off, off offset:224
	s_waitcnt vmcnt(4)
	v_fma_f64 v[10:11], v[87:88], v[105:106], v[10:11]
	s_waitcnt lgkmcnt(0)
	s_delay_alu instid0(VALU_DEP_1)
	v_fma_f64 v[10:11], v[89:90], v[107:108], v[10:11]
	scratch_load_b128 v[87:90], off, off offset:240
	s_waitcnt vmcnt(4)
	v_fma_f64 v[10:11], v[91:92], v[109:110], v[10:11]
	ds_load_2addr_b64 v[103:106], v1 offset0:61 offset1:62
	ds_load_2addr_b64 v[107:110], v1 offset0:63 offset1:64
	s_waitcnt lgkmcnt(1)
	v_fma_f64 v[10:11], v[93:94], v[103:104], v[10:11]
	scratch_load_b128 v[91:94], off, off offset:256
	s_waitcnt vmcnt(4)
	v_fma_f64 v[10:11], v[95:96], v[105:106], v[10:11]
	s_waitcnt lgkmcnt(0)
	s_delay_alu instid0(VALU_DEP_1)
	v_fma_f64 v[10:11], v[97:98], v[107:108], v[10:11]
	scratch_load_b128 v[95:98], off, off offset:272
	s_waitcnt vmcnt(4)
	v_fma_f64 v[10:11], v[99:100], v[109:110], v[10:11]
	ds_load_2addr_b64 v[103:106], v1 offset0:65 offset1:66
	ds_load_2addr_b64 v[107:110], v1 offset0:67 offset1:68
	s_waitcnt lgkmcnt(1)
	v_fma_f64 v[10:11], v[101:102], v[103:104], v[10:11]
	scratch_load_b64 v[103:104], off, off offset:288
	s_waitcnt vmcnt(4)
	v_fma_f64 v[6:7], v[6:7], v[105:106], v[10:11]
	s_waitcnt lgkmcnt(0)
	s_delay_alu instid0(VALU_DEP_1) | instskip(SKIP_1) | instid1(VALU_DEP_1)
	v_fma_f64 v[6:7], v[8:9], v[107:108], v[6:7]
	s_waitcnt vmcnt(3)
	v_fma_f64 v[10:11], v[87:88], v[109:110], v[6:7]
	ds_load_2addr_b64 v[6:9], v1 offset0:69 offset1:70
	ds_load_2addr_b64 v[99:102], v1 offset0:71 offset1:72
	s_waitcnt lgkmcnt(1)
	v_fma_f64 v[6:7], v[89:90], v[6:7], v[10:11]
	s_waitcnt vmcnt(2)
	s_delay_alu instid0(VALU_DEP_1) | instskip(SKIP_1) | instid1(VALU_DEP_1)
	v_fma_f64 v[6:7], v[91:92], v[8:9], v[6:7]
	s_waitcnt lgkmcnt(0)
	v_fma_f64 v[6:7], v[93:94], v[99:100], v[6:7]
	s_waitcnt vmcnt(1)
	s_delay_alu instid0(VALU_DEP_1) | instskip(SKIP_4) | instid1(VALU_DEP_1)
	v_fma_f64 v[10:11], v[95:96], v[101:102], v[6:7]
	ds_load_2addr_b64 v[6:9], v1 offset0:73 offset1:74
	s_waitcnt lgkmcnt(0)
	v_fma_f64 v[1:2], v[97:98], v[6:7], v[10:11]
	s_waitcnt vmcnt(0)
	v_fma_f64 v[1:2], v[103:104], v[8:9], v[1:2]
	s_delay_alu instid0(VALU_DEP_1)
	v_add_f64 v[1:2], v[4:5], -v[1:2]
	scratch_store_b64 off, v[1:2], off offset:48
	v_cmpx_lt_u32_e32 5, v0
	s_cbranch_execz .LBB36_221
; %bb.220:
	scratch_load_b64 v[1:2], off, off offset:40
	v_mov_b32_e32 v4, 0
	s_delay_alu instid0(VALU_DEP_1)
	v_mov_b32_e32 v5, v4
	scratch_store_b64 off, v[4:5], off offset:40
	s_waitcnt vmcnt(0)
	ds_store_b64 v3, v[1:2]
.LBB36_221:
	s_or_b32 exec_lo, exec_lo, s0
	s_waitcnt lgkmcnt(0)
	s_waitcnt_vscnt null, 0x0
	s_barrier
	buffer_gl0_inv
	s_clause 0x4
	scratch_load_b128 v[4:7], off, off offset:40
	scratch_load_b128 v[8:11], off, off offset:56
	;; [unrolled: 1-line block ×5, first 2 shown]
	v_mov_b32_e32 v1, 0
	ds_load_b128 v[99:102], v1 offset:352
	ds_load_b128 v[103:106], v1 offset:368
	scratch_load_b128 v[107:110], off, off offset:120
	s_mov_b32 s0, exec_lo
	s_waitcnt vmcnt(5) lgkmcnt(1)
	v_fma_f64 v[6:7], v[6:7], v[99:100], 0
	s_waitcnt vmcnt(4)
	s_delay_alu instid0(VALU_DEP_1) | instskip(SKIP_1) | instid1(VALU_DEP_1)
	v_fma_f64 v[6:7], v[8:9], v[101:102], v[6:7]
	s_waitcnt lgkmcnt(0)
	v_fma_f64 v[10:11], v[10:11], v[103:104], v[6:7]
	scratch_load_b128 v[6:9], off, off offset:136
	s_waitcnt vmcnt(4)
	v_fma_f64 v[10:11], v[87:88], v[105:106], v[10:11]
	ds_load_b128 v[99:102], v1 offset:384
	ds_load_b128 v[103:106], v1 offset:400
	s_waitcnt lgkmcnt(1)
	v_fma_f64 v[10:11], v[89:90], v[99:100], v[10:11]
	scratch_load_b128 v[87:90], off, off offset:152
	s_waitcnt vmcnt(4)
	v_fma_f64 v[10:11], v[91:92], v[101:102], v[10:11]
	s_waitcnt lgkmcnt(0)
	s_delay_alu instid0(VALU_DEP_1)
	v_fma_f64 v[10:11], v[93:94], v[103:104], v[10:11]
	scratch_load_b128 v[91:94], off, off offset:168
	s_waitcnt vmcnt(4)
	v_fma_f64 v[10:11], v[95:96], v[105:106], v[10:11]
	ds_load_b128 v[99:102], v1 offset:416
	ds_load_b128 v[103:106], v1 offset:432
	s_waitcnt lgkmcnt(1)
	v_fma_f64 v[10:11], v[97:98], v[99:100], v[10:11]
	scratch_load_b128 v[95:98], off, off offset:184
	s_waitcnt vmcnt(4)
	v_fma_f64 v[10:11], v[107:108], v[101:102], v[10:11]
	scratch_load_b128 v[99:102], off, off offset:200
	s_waitcnt lgkmcnt(0)
	v_fma_f64 v[10:11], v[109:110], v[103:104], v[10:11]
	s_waitcnt vmcnt(4)
	s_delay_alu instid0(VALU_DEP_1)
	v_fma_f64 v[6:7], v[6:7], v[105:106], v[10:11]
	ds_load_b128 v[103:106], v1 offset:448
	ds_load_b128 v[107:110], v1 offset:464
	s_waitcnt lgkmcnt(1)
	v_fma_f64 v[10:11], v[8:9], v[103:104], v[6:7]
	scratch_load_b128 v[6:9], off, off offset:216
	s_waitcnt vmcnt(4)
	v_fma_f64 v[10:11], v[87:88], v[105:106], v[10:11]
	s_waitcnt lgkmcnt(0)
	s_delay_alu instid0(VALU_DEP_1)
	v_fma_f64 v[10:11], v[89:90], v[107:108], v[10:11]
	scratch_load_b128 v[87:90], off, off offset:232
	s_waitcnt vmcnt(4)
	v_fma_f64 v[10:11], v[91:92], v[109:110], v[10:11]
	ds_load_b128 v[103:106], v1 offset:480
	ds_load_b128 v[107:110], v1 offset:496
	s_waitcnt lgkmcnt(1)
	v_fma_f64 v[10:11], v[93:94], v[103:104], v[10:11]
	scratch_load_b128 v[91:94], off, off offset:248
	s_waitcnt vmcnt(4)
	v_fma_f64 v[10:11], v[95:96], v[105:106], v[10:11]
	s_waitcnt lgkmcnt(0)
	s_delay_alu instid0(VALU_DEP_1)
	v_fma_f64 v[10:11], v[97:98], v[107:108], v[10:11]
	scratch_load_b128 v[95:98], off, off offset:264
	s_waitcnt vmcnt(4)
	v_fma_f64 v[10:11], v[99:100], v[109:110], v[10:11]
	ds_load_b128 v[103:106], v1 offset:512
	ds_load_b128 v[107:110], v1 offset:528
	s_waitcnt lgkmcnt(1)
	v_fma_f64 v[10:11], v[101:102], v[103:104], v[10:11]
	scratch_load_b128 v[99:102], off, off offset:280
	s_waitcnt vmcnt(4)
	v_fma_f64 v[6:7], v[6:7], v[105:106], v[10:11]
	s_waitcnt lgkmcnt(0)
	s_delay_alu instid0(VALU_DEP_1) | instskip(SKIP_1) | instid1(VALU_DEP_1)
	v_fma_f64 v[6:7], v[8:9], v[107:108], v[6:7]
	s_waitcnt vmcnt(3)
	v_fma_f64 v[10:11], v[87:88], v[109:110], v[6:7]
	ds_load_b128 v[6:9], v1 offset:544
	ds_load_b128 v[103:106], v1 offset:560
	s_waitcnt lgkmcnt(1)
	v_fma_f64 v[6:7], v[89:90], v[6:7], v[10:11]
	s_waitcnt vmcnt(2)
	s_delay_alu instid0(VALU_DEP_1) | instskip(SKIP_1) | instid1(VALU_DEP_1)
	v_fma_f64 v[6:7], v[91:92], v[8:9], v[6:7]
	s_waitcnt lgkmcnt(0)
	v_fma_f64 v[6:7], v[93:94], v[103:104], v[6:7]
	s_waitcnt vmcnt(1)
	s_delay_alu instid0(VALU_DEP_1)
	v_fma_f64 v[10:11], v[95:96], v[105:106], v[6:7]
	ds_load_b128 v[6:9], v1 offset:576
	ds_load_b64 v[87:88], v1 offset:592
	s_waitcnt lgkmcnt(1)
	v_fma_f64 v[6:7], v[97:98], v[6:7], v[10:11]
	s_waitcnt vmcnt(0)
	s_delay_alu instid0(VALU_DEP_1) | instskip(SKIP_1) | instid1(VALU_DEP_1)
	v_fma_f64 v[6:7], v[99:100], v[8:9], v[6:7]
	s_waitcnt lgkmcnt(0)
	v_fma_f64 v[6:7], v[101:102], v[87:88], v[6:7]
	s_delay_alu instid0(VALU_DEP_1)
	v_add_f64 v[4:5], v[4:5], -v[6:7]
	scratch_store_b64 off, v[4:5], off offset:40
	v_cmpx_lt_u32_e32 4, v0
	s_cbranch_execz .LBB36_223
; %bb.222:
	scratch_load_b64 v[4:5], off, off offset:32
	v_mov_b32_e32 v2, v1
	scratch_store_b64 off, v[1:2], off offset:32
	s_waitcnt vmcnt(0)
	ds_store_b64 v3, v[4:5]
.LBB36_223:
	s_or_b32 exec_lo, exec_lo, s0
	s_waitcnt lgkmcnt(0)
	s_waitcnt_vscnt null, 0x0
	s_barrier
	buffer_gl0_inv
	s_clause 0x4
	scratch_load_b128 v[4:7], off, off offset:32
	scratch_load_b128 v[8:11], off, off offset:48
	;; [unrolled: 1-line block ×5, first 2 shown]
	ds_load_2addr_b64 v[99:102], v1 offset0:43 offset1:44
	ds_load_2addr_b64 v[103:106], v1 offset0:45 offset1:46
	scratch_load_b128 v[107:110], off, off offset:112
	s_mov_b32 s0, exec_lo
	s_waitcnt vmcnt(5) lgkmcnt(1)
	v_fma_f64 v[6:7], v[6:7], v[99:100], 0
	s_waitcnt vmcnt(4)
	s_delay_alu instid0(VALU_DEP_1) | instskip(SKIP_1) | instid1(VALU_DEP_1)
	v_fma_f64 v[6:7], v[8:9], v[101:102], v[6:7]
	s_waitcnt lgkmcnt(0)
	v_fma_f64 v[10:11], v[10:11], v[103:104], v[6:7]
	scratch_load_b128 v[6:9], off, off offset:128
	s_waitcnt vmcnt(4)
	v_fma_f64 v[10:11], v[87:88], v[105:106], v[10:11]
	ds_load_2addr_b64 v[99:102], v1 offset0:47 offset1:48
	ds_load_2addr_b64 v[103:106], v1 offset0:49 offset1:50
	s_waitcnt lgkmcnt(1)
	v_fma_f64 v[10:11], v[89:90], v[99:100], v[10:11]
	scratch_load_b128 v[87:90], off, off offset:144
	s_waitcnt vmcnt(4)
	v_fma_f64 v[10:11], v[91:92], v[101:102], v[10:11]
	s_waitcnt lgkmcnt(0)
	s_delay_alu instid0(VALU_DEP_1)
	v_fma_f64 v[10:11], v[93:94], v[103:104], v[10:11]
	scratch_load_b128 v[91:94], off, off offset:160
	s_waitcnt vmcnt(4)
	v_fma_f64 v[10:11], v[95:96], v[105:106], v[10:11]
	ds_load_2addr_b64 v[99:102], v1 offset0:51 offset1:52
	ds_load_2addr_b64 v[103:106], v1 offset0:53 offset1:54
	s_waitcnt lgkmcnt(1)
	v_fma_f64 v[10:11], v[97:98], v[99:100], v[10:11]
	scratch_load_b128 v[95:98], off, off offset:176
	s_waitcnt vmcnt(4)
	v_fma_f64 v[10:11], v[107:108], v[101:102], v[10:11]
	scratch_load_b128 v[99:102], off, off offset:192
	s_waitcnt lgkmcnt(0)
	v_fma_f64 v[10:11], v[109:110], v[103:104], v[10:11]
	s_waitcnt vmcnt(4)
	s_delay_alu instid0(VALU_DEP_1)
	v_fma_f64 v[6:7], v[6:7], v[105:106], v[10:11]
	ds_load_2addr_b64 v[103:106], v1 offset0:55 offset1:56
	ds_load_2addr_b64 v[107:110], v1 offset0:57 offset1:58
	s_waitcnt lgkmcnt(1)
	v_fma_f64 v[10:11], v[8:9], v[103:104], v[6:7]
	scratch_load_b128 v[6:9], off, off offset:208
	s_waitcnt vmcnt(4)
	v_fma_f64 v[10:11], v[87:88], v[105:106], v[10:11]
	s_waitcnt lgkmcnt(0)
	s_delay_alu instid0(VALU_DEP_1)
	v_fma_f64 v[10:11], v[89:90], v[107:108], v[10:11]
	scratch_load_b128 v[87:90], off, off offset:224
	s_waitcnt vmcnt(4)
	v_fma_f64 v[10:11], v[91:92], v[109:110], v[10:11]
	ds_load_2addr_b64 v[103:106], v1 offset0:59 offset1:60
	ds_load_2addr_b64 v[107:110], v1 offset0:61 offset1:62
	s_waitcnt lgkmcnt(1)
	v_fma_f64 v[10:11], v[93:94], v[103:104], v[10:11]
	scratch_load_b128 v[91:94], off, off offset:240
	s_waitcnt vmcnt(4)
	v_fma_f64 v[10:11], v[95:96], v[105:106], v[10:11]
	s_waitcnt lgkmcnt(0)
	s_delay_alu instid0(VALU_DEP_1)
	v_fma_f64 v[10:11], v[97:98], v[107:108], v[10:11]
	scratch_load_b128 v[95:98], off, off offset:256
	s_waitcnt vmcnt(4)
	v_fma_f64 v[10:11], v[99:100], v[109:110], v[10:11]
	ds_load_2addr_b64 v[103:106], v1 offset0:63 offset1:64
	ds_load_2addr_b64 v[107:110], v1 offset0:65 offset1:66
	s_waitcnt lgkmcnt(1)
	v_fma_f64 v[10:11], v[101:102], v[103:104], v[10:11]
	scratch_load_b128 v[99:102], off, off offset:272
	s_waitcnt vmcnt(4)
	v_fma_f64 v[6:7], v[6:7], v[105:106], v[10:11]
	scratch_load_b64 v[10:11], off, off offset:288
	s_waitcnt lgkmcnt(0)
	v_fma_f64 v[6:7], v[8:9], v[107:108], v[6:7]
	s_waitcnt vmcnt(4)
	s_delay_alu instid0(VALU_DEP_1)
	v_fma_f64 v[87:88], v[87:88], v[109:110], v[6:7]
	ds_load_2addr_b64 v[6:9], v1 offset0:67 offset1:68
	ds_load_2addr_b64 v[103:106], v1 offset0:69 offset1:70
	s_waitcnt lgkmcnt(1)
	v_fma_f64 v[6:7], v[89:90], v[6:7], v[87:88]
	s_waitcnt vmcnt(3)
	s_delay_alu instid0(VALU_DEP_1) | instskip(SKIP_1) | instid1(VALU_DEP_1)
	v_fma_f64 v[6:7], v[91:92], v[8:9], v[6:7]
	s_waitcnt lgkmcnt(0)
	v_fma_f64 v[6:7], v[93:94], v[103:104], v[6:7]
	s_waitcnt vmcnt(2)
	s_delay_alu instid0(VALU_DEP_1)
	v_fma_f64 v[91:92], v[95:96], v[105:106], v[6:7]
	ds_load_2addr_b64 v[6:9], v1 offset0:71 offset1:72
	ds_load_2addr_b64 v[87:90], v1 offset0:73 offset1:74
	s_waitcnt lgkmcnt(1)
	v_fma_f64 v[1:2], v[97:98], v[6:7], v[91:92]
	s_waitcnt vmcnt(1)
	s_delay_alu instid0(VALU_DEP_1) | instskip(SKIP_1) | instid1(VALU_DEP_1)
	v_fma_f64 v[1:2], v[99:100], v[8:9], v[1:2]
	s_waitcnt lgkmcnt(0)
	v_fma_f64 v[1:2], v[101:102], v[87:88], v[1:2]
	s_waitcnt vmcnt(0)
	s_delay_alu instid0(VALU_DEP_1) | instskip(NEXT) | instid1(VALU_DEP_1)
	v_fma_f64 v[1:2], v[10:11], v[89:90], v[1:2]
	v_add_f64 v[1:2], v[4:5], -v[1:2]
	scratch_store_b64 off, v[1:2], off offset:32
	v_cmpx_lt_u32_e32 3, v0
	s_cbranch_execz .LBB36_225
; %bb.224:
	scratch_load_b64 v[1:2], off, off offset:24
	v_mov_b32_e32 v4, 0
	s_delay_alu instid0(VALU_DEP_1)
	v_mov_b32_e32 v5, v4
	scratch_store_b64 off, v[4:5], off offset:24
	s_waitcnt vmcnt(0)
	ds_store_b64 v3, v[1:2]
.LBB36_225:
	s_or_b32 exec_lo, exec_lo, s0
	s_waitcnt lgkmcnt(0)
	s_waitcnt_vscnt null, 0x0
	s_barrier
	buffer_gl0_inv
	s_clause 0x4
	scratch_load_b128 v[4:7], off, off offset:24
	scratch_load_b128 v[8:11], off, off offset:40
	;; [unrolled: 1-line block ×5, first 2 shown]
	v_mov_b32_e32 v1, 0
	ds_load_b128 v[99:102], v1 offset:336
	ds_load_b128 v[103:106], v1 offset:352
	scratch_load_b128 v[107:110], off, off offset:104
	s_mov_b32 s0, exec_lo
	s_waitcnt vmcnt(5) lgkmcnt(1)
	v_fma_f64 v[6:7], v[6:7], v[99:100], 0
	s_waitcnt vmcnt(4)
	s_delay_alu instid0(VALU_DEP_1) | instskip(SKIP_1) | instid1(VALU_DEP_1)
	v_fma_f64 v[6:7], v[8:9], v[101:102], v[6:7]
	s_waitcnt lgkmcnt(0)
	v_fma_f64 v[10:11], v[10:11], v[103:104], v[6:7]
	scratch_load_b128 v[6:9], off, off offset:120
	s_waitcnt vmcnt(4)
	v_fma_f64 v[10:11], v[87:88], v[105:106], v[10:11]
	ds_load_b128 v[99:102], v1 offset:368
	ds_load_b128 v[103:106], v1 offset:384
	s_waitcnt lgkmcnt(1)
	v_fma_f64 v[10:11], v[89:90], v[99:100], v[10:11]
	scratch_load_b128 v[87:90], off, off offset:136
	s_waitcnt vmcnt(4)
	v_fma_f64 v[10:11], v[91:92], v[101:102], v[10:11]
	s_waitcnt lgkmcnt(0)
	s_delay_alu instid0(VALU_DEP_1)
	v_fma_f64 v[10:11], v[93:94], v[103:104], v[10:11]
	scratch_load_b128 v[91:94], off, off offset:152
	s_waitcnt vmcnt(4)
	v_fma_f64 v[10:11], v[95:96], v[105:106], v[10:11]
	ds_load_b128 v[99:102], v1 offset:400
	ds_load_b128 v[103:106], v1 offset:416
	s_waitcnt lgkmcnt(1)
	v_fma_f64 v[10:11], v[97:98], v[99:100], v[10:11]
	scratch_load_b128 v[95:98], off, off offset:168
	s_waitcnt vmcnt(4)
	v_fma_f64 v[10:11], v[107:108], v[101:102], v[10:11]
	scratch_load_b128 v[99:102], off, off offset:184
	s_waitcnt lgkmcnt(0)
	v_fma_f64 v[10:11], v[109:110], v[103:104], v[10:11]
	s_waitcnt vmcnt(4)
	s_delay_alu instid0(VALU_DEP_1)
	v_fma_f64 v[6:7], v[6:7], v[105:106], v[10:11]
	ds_load_b128 v[103:106], v1 offset:432
	ds_load_b128 v[107:110], v1 offset:448
	s_waitcnt lgkmcnt(1)
	v_fma_f64 v[10:11], v[8:9], v[103:104], v[6:7]
	scratch_load_b128 v[6:9], off, off offset:200
	s_waitcnt vmcnt(4)
	v_fma_f64 v[10:11], v[87:88], v[105:106], v[10:11]
	s_waitcnt lgkmcnt(0)
	s_delay_alu instid0(VALU_DEP_1)
	v_fma_f64 v[10:11], v[89:90], v[107:108], v[10:11]
	scratch_load_b128 v[87:90], off, off offset:216
	s_waitcnt vmcnt(4)
	v_fma_f64 v[10:11], v[91:92], v[109:110], v[10:11]
	ds_load_b128 v[103:106], v1 offset:464
	ds_load_b128 v[107:110], v1 offset:480
	s_waitcnt lgkmcnt(1)
	v_fma_f64 v[10:11], v[93:94], v[103:104], v[10:11]
	scratch_load_b128 v[91:94], off, off offset:232
	s_waitcnt vmcnt(4)
	v_fma_f64 v[10:11], v[95:96], v[105:106], v[10:11]
	s_waitcnt lgkmcnt(0)
	s_delay_alu instid0(VALU_DEP_1)
	v_fma_f64 v[10:11], v[97:98], v[107:108], v[10:11]
	scratch_load_b128 v[95:98], off, off offset:248
	s_waitcnt vmcnt(4)
	;; [unrolled: 13-line block ×3, first 2 shown]
	v_fma_f64 v[10:11], v[87:88], v[109:110], v[10:11]
	ds_load_b128 v[103:106], v1 offset:528
	ds_load_b128 v[107:110], v1 offset:544
	s_waitcnt lgkmcnt(1)
	v_fma_f64 v[10:11], v[89:90], v[103:104], v[10:11]
	s_waitcnt vmcnt(3)
	s_delay_alu instid0(VALU_DEP_1) | instskip(SKIP_1) | instid1(VALU_DEP_1)
	v_fma_f64 v[10:11], v[91:92], v[105:106], v[10:11]
	s_waitcnt lgkmcnt(0)
	v_fma_f64 v[10:11], v[93:94], v[107:108], v[10:11]
	ds_load_b128 v[87:90], v1 offset:560
	ds_load_b128 v[91:94], v1 offset:576
	s_waitcnt vmcnt(2)
	v_fma_f64 v[10:11], v[95:96], v[109:110], v[10:11]
	s_waitcnt lgkmcnt(1)
	s_delay_alu instid0(VALU_DEP_1) | instskip(SKIP_1) | instid1(VALU_DEP_1)
	v_fma_f64 v[10:11], v[97:98], v[87:88], v[10:11]
	s_waitcnt vmcnt(1)
	v_fma_f64 v[10:11], v[99:100], v[89:90], v[10:11]
	s_waitcnt lgkmcnt(0)
	s_delay_alu instid0(VALU_DEP_1) | instskip(SKIP_1) | instid1(VALU_DEP_1)
	v_fma_f64 v[10:11], v[101:102], v[91:92], v[10:11]
	s_waitcnt vmcnt(0)
	v_fma_f64 v[6:7], v[6:7], v[93:94], v[10:11]
	ds_load_b64 v[10:11], v1 offset:592
	s_waitcnt lgkmcnt(0)
	v_fma_f64 v[6:7], v[8:9], v[10:11], v[6:7]
	s_delay_alu instid0(VALU_DEP_1)
	v_add_f64 v[4:5], v[4:5], -v[6:7]
	scratch_store_b64 off, v[4:5], off offset:24
	v_cmpx_lt_u32_e32 2, v0
	s_cbranch_execz .LBB36_227
; %bb.226:
	scratch_load_b64 v[4:5], off, off offset:16
	v_mov_b32_e32 v2, v1
	scratch_store_b64 off, v[1:2], off offset:16
	s_waitcnt vmcnt(0)
	ds_store_b64 v3, v[4:5]
.LBB36_227:
	s_or_b32 exec_lo, exec_lo, s0
	s_waitcnt lgkmcnt(0)
	s_waitcnt_vscnt null, 0x0
	s_barrier
	buffer_gl0_inv
	s_clause 0x4
	scratch_load_b128 v[4:7], off, off offset:16
	scratch_load_b128 v[8:11], off, off offset:32
	;; [unrolled: 1-line block ×5, first 2 shown]
	ds_load_2addr_b64 v[99:102], v1 offset0:41 offset1:42
	ds_load_2addr_b64 v[103:106], v1 offset0:43 offset1:44
	scratch_load_b128 v[107:110], off, off offset:96
	s_mov_b32 s0, exec_lo
	s_waitcnt vmcnt(5) lgkmcnt(1)
	v_fma_f64 v[6:7], v[6:7], v[99:100], 0
	s_waitcnt vmcnt(4)
	s_delay_alu instid0(VALU_DEP_1) | instskip(SKIP_1) | instid1(VALU_DEP_1)
	v_fma_f64 v[6:7], v[8:9], v[101:102], v[6:7]
	s_waitcnt lgkmcnt(0)
	v_fma_f64 v[10:11], v[10:11], v[103:104], v[6:7]
	scratch_load_b128 v[6:9], off, off offset:112
	s_waitcnt vmcnt(4)
	v_fma_f64 v[10:11], v[87:88], v[105:106], v[10:11]
	ds_load_2addr_b64 v[99:102], v1 offset0:45 offset1:46
	ds_load_2addr_b64 v[103:106], v1 offset0:47 offset1:48
	s_waitcnt lgkmcnt(1)
	v_fma_f64 v[10:11], v[89:90], v[99:100], v[10:11]
	scratch_load_b128 v[87:90], off, off offset:128
	s_waitcnt vmcnt(4)
	v_fma_f64 v[10:11], v[91:92], v[101:102], v[10:11]
	s_waitcnt lgkmcnt(0)
	s_delay_alu instid0(VALU_DEP_1)
	v_fma_f64 v[10:11], v[93:94], v[103:104], v[10:11]
	scratch_load_b128 v[91:94], off, off offset:144
	s_waitcnt vmcnt(4)
	v_fma_f64 v[10:11], v[95:96], v[105:106], v[10:11]
	ds_load_2addr_b64 v[99:102], v1 offset0:49 offset1:50
	ds_load_2addr_b64 v[103:106], v1 offset0:51 offset1:52
	s_waitcnt lgkmcnt(1)
	v_fma_f64 v[10:11], v[97:98], v[99:100], v[10:11]
	scratch_load_b128 v[95:98], off, off offset:160
	s_waitcnt vmcnt(4)
	v_fma_f64 v[10:11], v[107:108], v[101:102], v[10:11]
	scratch_load_b128 v[99:102], off, off offset:176
	s_waitcnt lgkmcnt(0)
	v_fma_f64 v[10:11], v[109:110], v[103:104], v[10:11]
	s_waitcnt vmcnt(4)
	s_delay_alu instid0(VALU_DEP_1)
	v_fma_f64 v[6:7], v[6:7], v[105:106], v[10:11]
	ds_load_2addr_b64 v[103:106], v1 offset0:53 offset1:54
	ds_load_2addr_b64 v[107:110], v1 offset0:55 offset1:56
	s_waitcnt lgkmcnt(1)
	v_fma_f64 v[10:11], v[8:9], v[103:104], v[6:7]
	scratch_load_b128 v[6:9], off, off offset:192
	s_waitcnt vmcnt(4)
	v_fma_f64 v[10:11], v[87:88], v[105:106], v[10:11]
	s_waitcnt lgkmcnt(0)
	s_delay_alu instid0(VALU_DEP_1)
	v_fma_f64 v[10:11], v[89:90], v[107:108], v[10:11]
	scratch_load_b128 v[87:90], off, off offset:208
	s_waitcnt vmcnt(4)
	v_fma_f64 v[10:11], v[91:92], v[109:110], v[10:11]
	ds_load_2addr_b64 v[103:106], v1 offset0:57 offset1:58
	ds_load_2addr_b64 v[107:110], v1 offset0:59 offset1:60
	s_waitcnt lgkmcnt(1)
	v_fma_f64 v[10:11], v[93:94], v[103:104], v[10:11]
	scratch_load_b128 v[91:94], off, off offset:224
	s_waitcnt vmcnt(4)
	v_fma_f64 v[10:11], v[95:96], v[105:106], v[10:11]
	s_waitcnt lgkmcnt(0)
	s_delay_alu instid0(VALU_DEP_1)
	v_fma_f64 v[10:11], v[97:98], v[107:108], v[10:11]
	scratch_load_b128 v[95:98], off, off offset:240
	s_waitcnt vmcnt(4)
	;; [unrolled: 13-line block ×3, first 2 shown]
	v_fma_f64 v[10:11], v[87:88], v[109:110], v[10:11]
	ds_load_2addr_b64 v[103:106], v1 offset0:65 offset1:66
	ds_load_2addr_b64 v[107:110], v1 offset0:67 offset1:68
	s_waitcnt lgkmcnt(1)
	v_fma_f64 v[10:11], v[89:90], v[103:104], v[10:11]
	scratch_load_b64 v[103:104], off, off offset:288
	s_waitcnt vmcnt(4)
	v_fma_f64 v[10:11], v[91:92], v[105:106], v[10:11]
	s_waitcnt lgkmcnt(0)
	s_delay_alu instid0(VALU_DEP_1)
	v_fma_f64 v[10:11], v[93:94], v[107:108], v[10:11]
	ds_load_2addr_b64 v[87:90], v1 offset0:69 offset1:70
	ds_load_2addr_b64 v[91:94], v1 offset0:71 offset1:72
	s_waitcnt vmcnt(3)
	v_fma_f64 v[10:11], v[95:96], v[109:110], v[10:11]
	s_waitcnt lgkmcnt(1)
	s_delay_alu instid0(VALU_DEP_1) | instskip(SKIP_1) | instid1(VALU_DEP_1)
	v_fma_f64 v[10:11], v[97:98], v[87:88], v[10:11]
	s_waitcnt vmcnt(2)
	v_fma_f64 v[10:11], v[99:100], v[89:90], v[10:11]
	ds_load_2addr_b64 v[87:90], v1 offset0:73 offset1:74
	s_waitcnt lgkmcnt(1)
	v_fma_f64 v[10:11], v[101:102], v[91:92], v[10:11]
	s_waitcnt vmcnt(1)
	s_delay_alu instid0(VALU_DEP_1) | instskip(SKIP_1) | instid1(VALU_DEP_1)
	v_fma_f64 v[6:7], v[6:7], v[93:94], v[10:11]
	s_waitcnt lgkmcnt(0)
	v_fma_f64 v[1:2], v[8:9], v[87:88], v[6:7]
	s_waitcnt vmcnt(0)
	s_delay_alu instid0(VALU_DEP_1) | instskip(NEXT) | instid1(VALU_DEP_1)
	v_fma_f64 v[1:2], v[103:104], v[89:90], v[1:2]
	v_add_f64 v[1:2], v[4:5], -v[1:2]
	scratch_store_b64 off, v[1:2], off offset:16
	v_cmpx_lt_u32_e32 1, v0
	s_cbranch_execz .LBB36_229
; %bb.228:
	scratch_load_b64 v[1:2], off, off offset:8
	v_mov_b32_e32 v4, 0
	s_delay_alu instid0(VALU_DEP_1)
	v_mov_b32_e32 v5, v4
	scratch_store_b64 off, v[4:5], off offset:8
	s_waitcnt vmcnt(0)
	ds_store_b64 v3, v[1:2]
.LBB36_229:
	s_or_b32 exec_lo, exec_lo, s0
	s_waitcnt lgkmcnt(0)
	s_waitcnt_vscnt null, 0x0
	s_barrier
	buffer_gl0_inv
	s_clause 0x4
	scratch_load_b128 v[5:8], off, off offset:8
	scratch_load_b128 v[9:12], off, off offset:24
	;; [unrolled: 1-line block ×5, first 2 shown]
	v_mov_b32_e32 v4, 0
	ds_load_b128 v[99:102], v4 offset:320
	ds_load_b128 v[103:106], v4 offset:336
	scratch_load_b128 v[107:110], off, off offset:88
	s_mov_b32 s0, exec_lo
	s_waitcnt vmcnt(5) lgkmcnt(1)
	v_fma_f64 v[1:2], v[7:8], v[99:100], 0
	s_waitcnt vmcnt(4)
	s_delay_alu instid0(VALU_DEP_1) | instskip(SKIP_4) | instid1(VALU_DEP_1)
	v_fma_f64 v[1:2], v[9:10], v[101:102], v[1:2]
	scratch_load_b128 v[7:10], off, off offset:104
	s_waitcnt lgkmcnt(0)
	v_fma_f64 v[1:2], v[11:12], v[103:104], v[1:2]
	s_waitcnt vmcnt(4)
	v_fma_f64 v[1:2], v[87:88], v[105:106], v[1:2]
	ds_load_b128 v[99:102], v4 offset:352
	ds_load_b128 v[103:106], v4 offset:368
	s_waitcnt lgkmcnt(1)
	v_fma_f64 v[1:2], v[89:90], v[99:100], v[1:2]
	scratch_load_b128 v[87:90], off, off offset:120
	s_waitcnt vmcnt(4)
	v_fma_f64 v[1:2], v[91:92], v[101:102], v[1:2]
	s_waitcnt lgkmcnt(0)
	s_delay_alu instid0(VALU_DEP_1)
	v_fma_f64 v[1:2], v[93:94], v[103:104], v[1:2]
	scratch_load_b128 v[91:94], off, off offset:136
	s_waitcnt vmcnt(4)
	v_fma_f64 v[1:2], v[95:96], v[105:106], v[1:2]
	ds_load_b128 v[99:102], v4 offset:384
	ds_load_b128 v[103:106], v4 offset:400
	s_waitcnt lgkmcnt(1)
	v_fma_f64 v[1:2], v[97:98], v[99:100], v[1:2]
	scratch_load_b128 v[95:98], off, off offset:152
	s_waitcnt vmcnt(4)
	v_fma_f64 v[1:2], v[107:108], v[101:102], v[1:2]
	scratch_load_b128 v[99:102], off, off offset:168
	s_waitcnt lgkmcnt(0)
	v_fma_f64 v[1:2], v[109:110], v[103:104], v[1:2]
	s_waitcnt vmcnt(4)
	s_delay_alu instid0(VALU_DEP_1)
	v_fma_f64 v[1:2], v[7:8], v[105:106], v[1:2]
	ds_load_b128 v[103:106], v4 offset:416
	ds_load_b128 v[107:110], v4 offset:432
	s_waitcnt lgkmcnt(1)
	v_fma_f64 v[1:2], v[9:10], v[103:104], v[1:2]
	scratch_load_b128 v[7:10], off, off offset:184
	s_waitcnt vmcnt(4)
	v_fma_f64 v[1:2], v[87:88], v[105:106], v[1:2]
	s_waitcnt lgkmcnt(0)
	s_delay_alu instid0(VALU_DEP_1)
	v_fma_f64 v[1:2], v[89:90], v[107:108], v[1:2]
	scratch_load_b128 v[87:90], off, off offset:200
	s_waitcnt vmcnt(4)
	v_fma_f64 v[1:2], v[91:92], v[109:110], v[1:2]
	ds_load_b128 v[103:106], v4 offset:448
	ds_load_b128 v[107:110], v4 offset:464
	s_waitcnt lgkmcnt(1)
	v_fma_f64 v[1:2], v[93:94], v[103:104], v[1:2]
	scratch_load_b128 v[91:94], off, off offset:216
	s_waitcnt vmcnt(4)
	v_fma_f64 v[1:2], v[95:96], v[105:106], v[1:2]
	s_waitcnt lgkmcnt(0)
	s_delay_alu instid0(VALU_DEP_1)
	v_fma_f64 v[1:2], v[97:98], v[107:108], v[1:2]
	scratch_load_b128 v[95:98], off, off offset:232
	s_waitcnt vmcnt(4)
	;; [unrolled: 13-line block ×3, first 2 shown]
	v_fma_f64 v[1:2], v[87:88], v[109:110], v[1:2]
	ds_load_b128 v[103:106], v4 offset:512
	ds_load_b128 v[107:110], v4 offset:528
	s_waitcnt lgkmcnt(1)
	v_fma_f64 v[1:2], v[89:90], v[103:104], v[1:2]
	scratch_load_b128 v[87:90], off, off offset:280
	s_waitcnt vmcnt(4)
	v_fma_f64 v[1:2], v[91:92], v[105:106], v[1:2]
	s_waitcnt lgkmcnt(0)
	s_delay_alu instid0(VALU_DEP_1)
	v_fma_f64 v[1:2], v[93:94], v[107:108], v[1:2]
	ds_load_b128 v[91:94], v4 offset:544
	ds_load_b128 v[103:106], v4 offset:560
	s_waitcnt vmcnt(3)
	v_fma_f64 v[1:2], v[95:96], v[109:110], v[1:2]
	s_waitcnt lgkmcnt(1)
	s_delay_alu instid0(VALU_DEP_1) | instskip(SKIP_1) | instid1(VALU_DEP_1)
	v_fma_f64 v[1:2], v[97:98], v[91:92], v[1:2]
	s_waitcnt vmcnt(2)
	v_fma_f64 v[1:2], v[99:100], v[93:94], v[1:2]
	s_waitcnt lgkmcnt(0)
	s_delay_alu instid0(VALU_DEP_1) | instskip(SKIP_1) | instid1(VALU_DEP_1)
	v_fma_f64 v[1:2], v[101:102], v[103:104], v[1:2]
	s_waitcnt vmcnt(1)
	v_fma_f64 v[1:2], v[7:8], v[105:106], v[1:2]
	ds_load_b128 v[91:94], v4 offset:576
	ds_load_b64 v[7:8], v4 offset:592
	s_waitcnt lgkmcnt(1)
	v_fma_f64 v[1:2], v[9:10], v[91:92], v[1:2]
	s_waitcnt vmcnt(0)
	s_delay_alu instid0(VALU_DEP_1) | instskip(SKIP_1) | instid1(VALU_DEP_1)
	v_fma_f64 v[1:2], v[87:88], v[93:94], v[1:2]
	s_waitcnt lgkmcnt(0)
	v_fma_f64 v[1:2], v[89:90], v[7:8], v[1:2]
	s_delay_alu instid0(VALU_DEP_1)
	v_add_f64 v[1:2], v[5:6], -v[1:2]
	scratch_store_b64 off, v[1:2], off offset:8
	v_cmpx_ne_u32_e32 0, v0
	s_cbranch_execz .LBB36_231
; %bb.230:
	scratch_load_b64 v[0:1], off, off
	v_mov_b32_e32 v5, v4
	scratch_store_b64 off, v[4:5], off
	s_waitcnt vmcnt(0)
	ds_store_b64 v3, v[0:1]
.LBB36_231:
	s_or_b32 exec_lo, exec_lo, s0
	s_waitcnt lgkmcnt(0)
	s_waitcnt_vscnt null, 0x0
	s_barrier
	buffer_gl0_inv
	s_clause 0x4
	scratch_load_b128 v[5:8], off, off
	scratch_load_b128 v[0:3], off, off offset:16
	scratch_load_b128 v[9:12], off, off offset:32
	scratch_load_b128 v[87:90], off, off offset:48
	scratch_load_b128 v[91:94], off, off offset:64
	ds_load_2addr_b64 v[95:98], v4 offset0:39 offset1:40
	ds_load_2addr_b64 v[99:102], v4 offset0:41 offset1:42
	scratch_load_b128 v[103:106], off, off offset:80
	s_and_b32 vcc_lo, exec_lo, s16
	s_waitcnt vmcnt(5) lgkmcnt(1)
	v_fma_f64 v[7:8], v[7:8], v[95:96], 0
	s_waitcnt vmcnt(4)
	s_delay_alu instid0(VALU_DEP_1) | instskip(SKIP_1) | instid1(VALU_DEP_1)
	v_fma_f64 v[0:1], v[0:1], v[97:98], v[7:8]
	s_waitcnt lgkmcnt(0)
	v_fma_f64 v[7:8], v[2:3], v[99:100], v[0:1]
	scratch_load_b128 v[0:3], off, off offset:96
	s_waitcnt vmcnt(4)
	v_fma_f64 v[99:100], v[9:10], v[101:102], v[7:8]
	ds_load_2addr_b64 v[7:10], v4 offset0:43 offset1:44
	ds_load_2addr_b64 v[95:98], v4 offset0:45 offset1:46
	s_waitcnt lgkmcnt(1)
	v_fma_f64 v[7:8], v[11:12], v[7:8], v[99:100]
	scratch_load_b128 v[99:102], off, off offset:112
	s_waitcnt vmcnt(4)
	v_fma_f64 v[7:8], v[87:88], v[9:10], v[7:8]
	s_waitcnt lgkmcnt(0)
	s_delay_alu instid0(VALU_DEP_1)
	v_fma_f64 v[11:12], v[89:90], v[95:96], v[7:8]
	scratch_load_b128 v[7:10], off, off offset:128
	s_waitcnt vmcnt(4)
	v_fma_f64 v[11:12], v[91:92], v[97:98], v[11:12]
	ds_load_2addr_b64 v[87:90], v4 offset0:47 offset1:48
	ds_load_2addr_b64 v[95:98], v4 offset0:49 offset1:50
	s_waitcnt lgkmcnt(1)
	v_fma_f64 v[11:12], v[93:94], v[87:88], v[11:12]
	scratch_load_b128 v[91:94], off, off offset:144
	s_waitcnt vmcnt(4)
	v_fma_f64 v[11:12], v[103:104], v[89:90], v[11:12]
	scratch_load_b128 v[87:90], off, off offset:160
	s_waitcnt lgkmcnt(0)
	v_fma_f64 v[11:12], v[105:106], v[95:96], v[11:12]
	s_waitcnt vmcnt(4)
	s_delay_alu instid0(VALU_DEP_1)
	v_fma_f64 v[0:1], v[0:1], v[97:98], v[11:12]
	ds_load_2addr_b64 v[95:98], v4 offset0:51 offset1:52
	ds_load_2addr_b64 v[103:106], v4 offset0:53 offset1:54
	s_waitcnt lgkmcnt(1)
	v_fma_f64 v[11:12], v[2:3], v[95:96], v[0:1]
	scratch_load_b128 v[0:3], off, off offset:176
	s_waitcnt vmcnt(4)
	v_fma_f64 v[11:12], v[99:100], v[97:98], v[11:12]
	scratch_load_b128 v[95:98], off, off offset:192
	s_waitcnt lgkmcnt(0)
	v_fma_f64 v[11:12], v[101:102], v[103:104], v[11:12]
	s_waitcnt vmcnt(4)
	s_delay_alu instid0(VALU_DEP_1)
	v_fma_f64 v[7:8], v[7:8], v[105:106], v[11:12]
	ds_load_2addr_b64 v[99:102], v4 offset0:55 offset1:56
	ds_load_2addr_b64 v[103:106], v4 offset0:57 offset1:58
	s_waitcnt lgkmcnt(1)
	v_fma_f64 v[11:12], v[9:10], v[99:100], v[7:8]
	scratch_load_b128 v[7:10], off, off offset:208
	s_waitcnt vmcnt(4)
	v_fma_f64 v[11:12], v[91:92], v[101:102], v[11:12]
	s_waitcnt lgkmcnt(0)
	s_delay_alu instid0(VALU_DEP_1)
	v_fma_f64 v[11:12], v[93:94], v[103:104], v[11:12]
	scratch_load_b128 v[91:94], off, off offset:224
	s_waitcnt vmcnt(4)
	v_fma_f64 v[11:12], v[87:88], v[105:106], v[11:12]
	ds_load_2addr_b64 v[99:102], v4 offset0:59 offset1:60
	ds_load_2addr_b64 v[103:106], v4 offset0:61 offset1:62
	s_waitcnt lgkmcnt(1)
	v_fma_f64 v[11:12], v[89:90], v[99:100], v[11:12]
	scratch_load_b128 v[87:90], off, off offset:240
	s_waitcnt vmcnt(4)
	v_fma_f64 v[0:1], v[0:1], v[101:102], v[11:12]
	scratch_load_b128 v[99:102], off, off offset:256
	s_waitcnt lgkmcnt(0)
	v_fma_f64 v[0:1], v[2:3], v[103:104], v[0:1]
	s_waitcnt vmcnt(4)
	s_delay_alu instid0(VALU_DEP_1)
	v_fma_f64 v[0:1], v[95:96], v[105:106], v[0:1]
	ds_load_2addr_b64 v[103:106], v4 offset0:63 offset1:64
	ds_load_2addr_b64 v[107:110], v4 offset0:65 offset1:66
	s_waitcnt lgkmcnt(1)
	v_fma_f64 v[11:12], v[97:98], v[103:104], v[0:1]
	scratch_load_b128 v[0:3], off, off offset:272
	s_waitcnt vmcnt(4)
	v_fma_f64 v[7:8], v[7:8], v[105:106], v[11:12]
	scratch_load_b64 v[11:12], off, off offset:288
	s_waitcnt lgkmcnt(0)
	v_fma_f64 v[7:8], v[9:10], v[107:108], v[7:8]
	s_waitcnt vmcnt(4)
	s_delay_alu instid0(VALU_DEP_1)
	v_fma_f64 v[91:92], v[91:92], v[109:110], v[7:8]
	ds_load_2addr_b64 v[7:10], v4 offset0:67 offset1:68
	ds_load_2addr_b64 v[95:98], v4 offset0:69 offset1:70
	s_waitcnt lgkmcnt(1)
	v_fma_f64 v[7:8], v[93:94], v[7:8], v[91:92]
	s_waitcnt vmcnt(3)
	s_delay_alu instid0(VALU_DEP_1) | instskip(SKIP_1) | instid1(VALU_DEP_1)
	v_fma_f64 v[7:8], v[87:88], v[9:10], v[7:8]
	s_waitcnt lgkmcnt(0)
	v_fma_f64 v[7:8], v[89:90], v[95:96], v[7:8]
	s_waitcnt vmcnt(2)
	s_delay_alu instid0(VALU_DEP_1)
	v_fma_f64 v[91:92], v[99:100], v[97:98], v[7:8]
	ds_load_2addr_b64 v[7:10], v4 offset0:71 offset1:72
	ds_load_2addr_b64 v[87:90], v4 offset0:73 offset1:74
	s_waitcnt lgkmcnt(1)
	v_fma_f64 v[7:8], v[101:102], v[7:8], v[91:92]
	s_waitcnt vmcnt(1)
	s_delay_alu instid0(VALU_DEP_1) | instskip(SKIP_1) | instid1(VALU_DEP_1)
	v_fma_f64 v[0:1], v[0:1], v[9:10], v[7:8]
	s_waitcnt lgkmcnt(0)
	v_fma_f64 v[0:1], v[2:3], v[87:88], v[0:1]
	s_waitcnt vmcnt(0)
	s_delay_alu instid0(VALU_DEP_1) | instskip(NEXT) | instid1(VALU_DEP_1)
	v_fma_f64 v[0:1], v[11:12], v[89:90], v[0:1]
	v_add_f64 v[0:1], v[5:6], -v[0:1]
	scratch_store_b64 off, v[0:1], off
	s_cbranch_vccz .LBB36_305
; %bb.232:
	v_dual_mov_b32 v0, s12 :: v_dual_mov_b32 v1, s13
	s_mov_b32 s0, exec_lo
	flat_load_b32 v0, v[0:1] offset:140
	s_waitcnt vmcnt(0) lgkmcnt(0)
	v_cmpx_ne_u32_e32 36, v0
	s_cbranch_execz .LBB36_234
; %bb.233:
	v_lshl_add_u32 v4, v0, 3, 0
	scratch_load_b64 v[0:1], v4, off offset:-8
	s_waitcnt vmcnt(0)
	scratch_store_b64 off, v[0:1], off offset:280
	scratch_store_b64 v4, v[2:3], off offset:-8
.LBB36_234:
	s_or_b32 exec_lo, exec_lo, s0
	v_dual_mov_b32 v0, s12 :: v_dual_mov_b32 v1, s13
	s_mov_b32 s0, exec_lo
	flat_load_b32 v0, v[0:1] offset:136
	s_waitcnt vmcnt(0) lgkmcnt(0)
	v_cmpx_ne_u32_e32 35, v0
	s_cbranch_execz .LBB36_236
; %bb.235:
	v_lshl_add_u32 v4, v0, 3, 0
	scratch_load_b64 v[0:1], v4, off offset:-8
	scratch_load_b64 v[2:3], off, off offset:272
	s_waitcnt vmcnt(1)
	scratch_store_b64 off, v[0:1], off offset:272
	s_waitcnt vmcnt(0)
	scratch_store_b64 v4, v[2:3], off offset:-8
.LBB36_236:
	s_or_b32 exec_lo, exec_lo, s0
	v_dual_mov_b32 v0, s12 :: v_dual_mov_b32 v1, s13
	s_mov_b32 s0, exec_lo
	flat_load_b32 v0, v[0:1] offset:132
	s_waitcnt vmcnt(0) lgkmcnt(0)
	v_cmpx_ne_u32_e32 34, v0
	s_cbranch_execz .LBB36_238
; %bb.237:
	v_lshl_add_u32 v4, v0, 3, 0
	scratch_load_b64 v[0:1], v4, off offset:-8
	scratch_load_b64 v[2:3], off, off offset:264
	s_waitcnt vmcnt(1)
	scratch_store_b64 off, v[0:1], off offset:264
	s_waitcnt vmcnt(0)
	scratch_store_b64 v4, v[2:3], off offset:-8
.LBB36_238:
	;; [unrolled: 16-line block ×34, first 2 shown]
	s_or_b32 exec_lo, exec_lo, s0
	v_dual_mov_b32 v0, s12 :: v_dual_mov_b32 v1, s13
	s_mov_b32 s0, exec_lo
	flat_load_b32 v2, v[0:1]
	scratch_load_b64 v[0:1], off, off
	s_waitcnt vmcnt(1) lgkmcnt(0)
	v_cmpx_ne_u32_e32 1, v2
	s_cbranch_execz .LBB36_304
; %bb.303:
	v_lshl_add_u32 v4, v2, 3, 0
	scratch_load_b64 v[2:3], v4, off offset:-8
	s_waitcnt vmcnt(0)
	scratch_store_b64 off, v[2:3], off
	scratch_store_b64 v4, v[0:1], off offset:-8
	scratch_load_b64 v[0:1], off, off
.LBB36_304:
	s_or_b32 exec_lo, exec_lo, s0
.LBB36_305:
	s_clause 0x8
	scratch_load_b128 v[2:5], off, off offset:8
	scratch_load_b128 v[6:9], off, off offset:24
	;; [unrolled: 1-line block ×9, first 2 shown]
	s_waitcnt vmcnt(9)
	global_store_b64 v[13:14], v[0:1], off
	s_clause 0x1
	scratch_load_b128 v[10:13], off, off offset:152
	scratch_load_b128 v[115:118], off, off offset:216
	s_waitcnt vmcnt(10)
	global_store_b64 v[17:18], v[2:3], off
	scratch_load_b128 v[0:3], off, off offset:168
	global_store_b64 v[19:20], v[4:5], off
	scratch_load_b128 v[17:20], off, off offset:184
	s_waitcnt vmcnt(11)
	global_store_b64 v[15:16], v[6:7], off
	scratch_load_b128 v[4:7], off, off offset:200
	global_store_b64 v[21:22], v[8:9], off
	s_waitcnt vmcnt(11)
	global_store_b64 v[23:24], v[87:88], off
	scratch_load_b128 v[21:24], off, off offset:232
	global_store_b64 v[25:26], v[89:90], off
	scratch_load_b128 v[87:90], off, off offset:248
	s_waitcnt vmcnt(12)
	global_store_b64 v[27:28], v[91:92], off
	scratch_load_b128 v[25:28], off, off offset:264
	global_store_b64 v[29:30], v[93:94], off
	scratch_load_b128 v[91:94], off, off offset:280
	s_waitcnt vmcnt(13)
	s_clause 0x1
	global_store_b64 v[31:32], v[95:96], off
	global_store_b64 v[33:34], v[97:98], off
	s_waitcnt vmcnt(12)
	s_clause 0x1
	global_store_b64 v[35:36], v[99:100], off
	global_store_b64 v[37:38], v[101:102], off
	;; [unrolled: 4-line block ×9, first 2 shown]
	global_store_b64 v[67:68], v[115:116], off
	global_store_b64 v[69:70], v[117:118], off
	s_waitcnt vmcnt(3)
	s_clause 0x1
	global_store_b64 v[71:72], v[21:22], off
	global_store_b64 v[73:74], v[23:24], off
	s_waitcnt vmcnt(2)
	s_clause 0x1
	;; [unrolled: 4-line block ×4, first 2 shown]
	global_store_b64 v[79:80], v[91:92], off
	global_store_b64 v[81:82], v[93:94], off
	s_endpgm
	.section	.rodata,"a",@progbits
	.p2align	6, 0x0
	.amdhsa_kernel _ZN9rocsolver6v33100L18getri_kernel_smallILi37EdPdEEvT1_iilPiilS4_bb
		.amdhsa_group_segment_fixed_size 600
		.amdhsa_private_segment_fixed_size 304
		.amdhsa_kernarg_size 60
		.amdhsa_user_sgpr_count 15
		.amdhsa_user_sgpr_dispatch_ptr 0
		.amdhsa_user_sgpr_queue_ptr 0
		.amdhsa_user_sgpr_kernarg_segment_ptr 1
		.amdhsa_user_sgpr_dispatch_id 0
		.amdhsa_user_sgpr_private_segment_size 0
		.amdhsa_wavefront_size32 1
		.amdhsa_uses_dynamic_stack 0
		.amdhsa_enable_private_segment 1
		.amdhsa_system_sgpr_workgroup_id_x 1
		.amdhsa_system_sgpr_workgroup_id_y 0
		.amdhsa_system_sgpr_workgroup_id_z 0
		.amdhsa_system_sgpr_workgroup_info 0
		.amdhsa_system_vgpr_workitem_id 0
		.amdhsa_next_free_vgpr 119
		.amdhsa_next_free_sgpr 18
		.amdhsa_reserve_vcc 1
		.amdhsa_float_round_mode_32 0
		.amdhsa_float_round_mode_16_64 0
		.amdhsa_float_denorm_mode_32 3
		.amdhsa_float_denorm_mode_16_64 3
		.amdhsa_dx10_clamp 1
		.amdhsa_ieee_mode 1
		.amdhsa_fp16_overflow 0
		.amdhsa_workgroup_processor_mode 1
		.amdhsa_memory_ordered 1
		.amdhsa_forward_progress 0
		.amdhsa_shared_vgpr_count 0
		.amdhsa_exception_fp_ieee_invalid_op 0
		.amdhsa_exception_fp_denorm_src 0
		.amdhsa_exception_fp_ieee_div_zero 0
		.amdhsa_exception_fp_ieee_overflow 0
		.amdhsa_exception_fp_ieee_underflow 0
		.amdhsa_exception_fp_ieee_inexact 0
		.amdhsa_exception_int_div_zero 0
	.end_amdhsa_kernel
	.section	.text._ZN9rocsolver6v33100L18getri_kernel_smallILi37EdPdEEvT1_iilPiilS4_bb,"axG",@progbits,_ZN9rocsolver6v33100L18getri_kernel_smallILi37EdPdEEvT1_iilPiilS4_bb,comdat
.Lfunc_end36:
	.size	_ZN9rocsolver6v33100L18getri_kernel_smallILi37EdPdEEvT1_iilPiilS4_bb, .Lfunc_end36-_ZN9rocsolver6v33100L18getri_kernel_smallILi37EdPdEEvT1_iilPiilS4_bb
                                        ; -- End function
	.section	.AMDGPU.csdata,"",@progbits
; Kernel info:
; codeLenInByte = 30688
; NumSgprs: 20
; NumVgprs: 119
; ScratchSize: 304
; MemoryBound: 0
; FloatMode: 240
; IeeeMode: 1
; LDSByteSize: 600 bytes/workgroup (compile time only)
; SGPRBlocks: 2
; VGPRBlocks: 14
; NumSGPRsForWavesPerEU: 20
; NumVGPRsForWavesPerEU: 119
; Occupancy: 12
; WaveLimiterHint : 1
; COMPUTE_PGM_RSRC2:SCRATCH_EN: 1
; COMPUTE_PGM_RSRC2:USER_SGPR: 15
; COMPUTE_PGM_RSRC2:TRAP_HANDLER: 0
; COMPUTE_PGM_RSRC2:TGID_X_EN: 1
; COMPUTE_PGM_RSRC2:TGID_Y_EN: 0
; COMPUTE_PGM_RSRC2:TGID_Z_EN: 0
; COMPUTE_PGM_RSRC2:TIDIG_COMP_CNT: 0
	.section	.text._ZN9rocsolver6v33100L18getri_kernel_smallILi38EdPdEEvT1_iilPiilS4_bb,"axG",@progbits,_ZN9rocsolver6v33100L18getri_kernel_smallILi38EdPdEEvT1_iilPiilS4_bb,comdat
	.globl	_ZN9rocsolver6v33100L18getri_kernel_smallILi38EdPdEEvT1_iilPiilS4_bb ; -- Begin function _ZN9rocsolver6v33100L18getri_kernel_smallILi38EdPdEEvT1_iilPiilS4_bb
	.p2align	8
	.type	_ZN9rocsolver6v33100L18getri_kernel_smallILi38EdPdEEvT1_iilPiilS4_bb,@function
_ZN9rocsolver6v33100L18getri_kernel_smallILi38EdPdEEvT1_iilPiilS4_bb: ; @_ZN9rocsolver6v33100L18getri_kernel_smallILi38EdPdEEvT1_iilPiilS4_bb
; %bb.0:
	s_mov_b32 s2, exec_lo
	v_cmpx_gt_u32_e32 38, v0
	s_cbranch_execz .LBB37_162
; %bb.1:
	s_clause 0x2
	s_load_b32 s17, s[0:1], 0x38
	s_load_b128 s[8:11], s[0:1], 0x10
	s_load_b128 s[4:7], s[0:1], 0x28
	s_mov_b32 s14, s15
                                        ; implicit-def: $sgpr12_sgpr13
	s_waitcnt lgkmcnt(0)
	s_bitcmp1_b32 s17, 8
	s_cselect_b32 s16, -1, 0
	s_bfe_u32 s2, s17, 0x10008
	s_ashr_i32 s15, s15, 31
	s_cmp_eq_u32 s2, 0
	s_cbranch_scc1 .LBB37_3
; %bb.2:
	s_load_b32 s2, s[0:1], 0x20
	s_mul_i32 s3, s14, s5
	s_mul_hi_u32 s5, s14, s4
	s_mul_i32 s12, s15, s4
	s_add_i32 s3, s5, s3
	s_mul_i32 s4, s14, s4
	s_add_i32 s5, s3, s12
	s_delay_alu instid0(SALU_CYCLE_1)
	s_lshl_b64 s[4:5], s[4:5], 2
	s_waitcnt lgkmcnt(0)
	s_ashr_i32 s3, s2, 31
	s_add_u32 s4, s10, s4
	s_addc_u32 s5, s11, s5
	s_lshl_b64 s[2:3], s[2:3], 2
	s_delay_alu instid0(SALU_CYCLE_1)
	s_add_u32 s12, s4, s2
	s_addc_u32 s13, s5, s3
.LBB37_3:
	s_load_b128 s[0:3], s[0:1], 0x0
	s_mul_i32 s4, s14, s9
	s_mul_hi_u32 s5, s14, s8
	s_mul_i32 s9, s15, s8
	s_add_i32 s5, s5, s4
	s_mul_i32 s4, s14, s8
	s_add_i32 s5, s5, s9
	v_lshlrev_b32_e32 v81, 3, v0
	s_lshl_b64 s[4:5], s[4:5], 3
	s_waitcnt lgkmcnt(0)
	s_ashr_i32 s9, s2, 31
	s_mov_b32 s8, s2
	s_add_u32 s2, s0, s4
	s_addc_u32 s5, s1, s5
	s_lshl_b64 s[0:1], s[8:9], 3
	v_add3_u32 v5, s3, s3, v0
	s_add_u32 s0, s2, s0
	s_addc_u32 s1, s5, s1
	v_add_co_u32 v11, s2, s0, v81
	s_mov_b32 s4, s3
	s_ashr_i32 s5, s3, 31
	v_add_co_ci_u32_e64 v12, null, s1, 0, s2
	s_lshl_b64 s[4:5], s[4:5], 3
	v_add_nc_u32_e32 v17, s3, v5
	v_add_co_u32 v9, vcc_lo, v11, s4
	v_ashrrev_i32_e32 v6, 31, v5
	v_add_co_ci_u32_e32 v10, vcc_lo, s5, v12, vcc_lo
	s_delay_alu instid0(VALU_DEP_4)
	v_ashrrev_i32_e32 v18, 31, v17
	s_clause 0x1
	global_load_b64 v[1:2], v81, s[0:1]
	global_load_b64 v[3:4], v[9:10], off
	v_lshlrev_b64 v[5:6], 3, v[5:6]
	s_bitcmp0_b32 s17, 0
	v_lshlrev_b64 v[7:8], 3, v[17:18]
	v_add_nc_u32_e32 v17, s3, v17
	s_delay_alu instid0(VALU_DEP_3) | instskip(NEXT) | instid1(VALU_DEP_4)
	v_add_co_u32 v13, vcc_lo, s0, v5
	v_add_co_ci_u32_e32 v14, vcc_lo, s1, v6, vcc_lo
	s_delay_alu instid0(VALU_DEP_4)
	v_add_co_u32 v15, vcc_lo, s0, v7
	v_add_co_ci_u32_e32 v16, vcc_lo, s1, v8, vcc_lo
	s_clause 0x1
	global_load_b64 v[5:6], v[13:14], off
	global_load_b64 v[7:8], v[15:16], off
	v_add_nc_u32_e32 v19, s3, v17
	v_ashrrev_i32_e32 v18, 31, v17
	s_delay_alu instid0(VALU_DEP_2) | instskip(SKIP_1) | instid1(VALU_DEP_3)
	v_add_nc_u32_e32 v21, s3, v19
	v_ashrrev_i32_e32 v20, 31, v19
	v_lshlrev_b64 v[17:18], 3, v[17:18]
	s_delay_alu instid0(VALU_DEP_3) | instskip(NEXT) | instid1(VALU_DEP_3)
	v_add_nc_u32_e32 v25, s3, v21
	v_lshlrev_b64 v[19:20], 3, v[19:20]
	v_ashrrev_i32_e32 v22, 31, v21
	s_delay_alu instid0(VALU_DEP_4) | instskip(NEXT) | instid1(VALU_DEP_4)
	v_add_co_u32 v31, vcc_lo, s0, v17
	v_add_nc_u32_e32 v27, s3, v25
	v_ashrrev_i32_e32 v26, 31, v25
	v_add_co_ci_u32_e32 v32, vcc_lo, s1, v18, vcc_lo
	v_lshlrev_b64 v[17:18], 3, v[21:22]
	s_delay_alu instid0(VALU_DEP_4) | instskip(SKIP_2) | instid1(VALU_DEP_3)
	v_add_nc_u32_e32 v33, s3, v27
	v_add_co_u32 v23, vcc_lo, s0, v19
	v_add_co_ci_u32_e32 v24, vcc_lo, s1, v20, vcc_lo
	v_add_nc_u32_e32 v35, s3, v33
	v_lshlrev_b64 v[19:20], 3, v[25:26]
	v_ashrrev_i32_e32 v28, 31, v27
	v_add_co_u32 v29, vcc_lo, s0, v17
	s_delay_alu instid0(VALU_DEP_4) | instskip(SKIP_3) | instid1(VALU_DEP_4)
	v_add_nc_u32_e32 v37, s3, v35
	v_ashrrev_i32_e32 v34, 31, v33
	v_add_co_ci_u32_e32 v30, vcc_lo, s1, v18, vcc_lo
	v_lshlrev_b64 v[17:18], 3, v[27:28]
	v_add_nc_u32_e32 v39, s3, v37
	v_add_co_u32 v25, vcc_lo, s0, v19
	v_add_co_ci_u32_e32 v26, vcc_lo, s1, v20, vcc_lo
	s_delay_alu instid0(VALU_DEP_3)
	v_add_nc_u32_e32 v41, s3, v39
	v_lshlrev_b64 v[19:20], 3, v[33:34]
	s_clause 0x1
	global_load_b64 v[51:52], v[31:32], off
	global_load_b64 v[53:54], v[23:24], off
	v_ashrrev_i32_e32 v36, 31, v35
	v_add_nc_u32_e32 v43, s3, v41
	v_add_co_u32 v21, vcc_lo, s0, v17
	v_ashrrev_i32_e32 v38, 31, v37
	v_add_co_ci_u32_e32 v22, vcc_lo, s1, v18, vcc_lo
	s_delay_alu instid0(VALU_DEP_4) | instskip(SKIP_3) | instid1(VALU_DEP_4)
	v_add_nc_u32_e32 v45, s3, v43
	v_lshlrev_b64 v[27:28], 3, v[35:36]
	v_add_co_u32 v17, vcc_lo, s0, v19
	v_ashrrev_i32_e32 v40, 31, v39
	v_add_nc_u32_e32 v47, s3, v45
	v_add_co_ci_u32_e32 v18, vcc_lo, s1, v20, vcc_lo
	v_lshlrev_b64 v[33:34], 3, v[37:38]
	v_ashrrev_i32_e32 v42, 31, v41
	s_delay_alu instid0(VALU_DEP_4)
	v_add_nc_u32_e32 v49, s3, v47
	s_clause 0x2
	global_load_b64 v[57:58], v[29:30], off
	global_load_b64 v[59:60], v[25:26], off
	;; [unrolled: 1-line block ×3, first 2 shown]
	v_add_co_u32 v19, vcc_lo, s0, v27
	v_lshlrev_b64 v[35:36], 3, v[39:40]
	v_add_nc_u32_e32 v55, s3, v49
	global_load_b64 v[63:64], v[17:18], off
	v_add_co_ci_u32_e32 v20, vcc_lo, s1, v28, vcc_lo
	v_add_co_u32 v27, vcc_lo, s0, v33
	v_add_nc_u32_e32 v82, s3, v55
	v_lshlrev_b64 v[37:38], 3, v[41:42]
	v_ashrrev_i32_e32 v44, 31, v43
	v_add_co_ci_u32_e32 v28, vcc_lo, s1, v34, vcc_lo
	s_delay_alu instid0(VALU_DEP_4) | instskip(SKIP_3) | instid1(VALU_DEP_4)
	v_add_nc_u32_e32 v90, s3, v82
	v_add_co_u32 v33, vcc_lo, s0, v35
	v_ashrrev_i32_e32 v46, 31, v45
	v_add_co_ci_u32_e32 v34, vcc_lo, s1, v36, vcc_lo
	v_add_nc_u32_e32 v92, s3, v90
	v_lshlrev_b64 v[39:40], 3, v[43:44]
	v_add_co_u32 v35, vcc_lo, s0, v37
	v_add_co_ci_u32_e32 v36, vcc_lo, s1, v38, vcc_lo
	s_delay_alu instid0(VALU_DEP_4) | instskip(SKIP_3) | instid1(VALU_DEP_4)
	v_add_nc_u32_e32 v94, s3, v92
	v_lshlrev_b64 v[37:38], 3, v[45:46]
	v_ashrrev_i32_e32 v48, 31, v47
	v_add_co_u32 v39, vcc_lo, s0, v39
	v_add_nc_u32_e32 v96, s3, v94
	s_clause 0x2
	global_load_b64 v[65:66], v[19:20], off
	global_load_b64 v[67:68], v[27:28], off
	;; [unrolled: 1-line block ×3, first 2 shown]
	v_add_co_ci_u32_e32 v40, vcc_lo, s1, v40, vcc_lo
	v_lshlrev_b64 v[45:46], 3, v[47:48]
	v_add_nc_u32_e32 v98, s3, v96
	global_load_b64 v[71:72], v[35:36], off
	v_ashrrev_i32_e32 v50, 31, v49
	v_add_co_u32 v41, vcc_lo, s0, v37
	v_add_nc_u32_e32 v100, s3, v98
	v_add_co_ci_u32_e32 v42, vcc_lo, s1, v38, vcc_lo
	s_delay_alu instid0(VALU_DEP_4) | instskip(SKIP_1) | instid1(VALU_DEP_4)
	v_lshlrev_b64 v[47:48], 3, v[49:50]
	v_ashrrev_i32_e32 v56, 31, v55
	v_add_nc_u32_e32 v102, s3, v100
	v_ashrrev_i32_e32 v83, 31, v82
	v_ashrrev_i32_e32 v91, 31, v90
	;; [unrolled: 1-line block ×4, first 2 shown]
	v_add_nc_u32_e32 v104, s3, v102
	v_ashrrev_i32_e32 v97, 31, v96
	v_ashrrev_i32_e32 v99, 31, v98
	;; [unrolled: 1-line block ×4, first 2 shown]
	v_add_nc_u32_e32 v106, s3, v104
	v_ashrrev_i32_e32 v105, 31, v104
	s_delay_alu instid0(VALU_DEP_2) | instskip(SKIP_1) | instid1(VALU_DEP_2)
	v_add_nc_u32_e32 v108, s3, v106
	v_ashrrev_i32_e32 v107, 31, v106
	v_add_nc_u32_e32 v110, s3, v108
	v_ashrrev_i32_e32 v109, 31, v108
	s_delay_alu instid0(VALU_DEP_2) | instskip(SKIP_1) | instid1(VALU_DEP_2)
	v_add_nc_u32_e32 v112, s3, v110
	v_ashrrev_i32_e32 v111, 31, v110
	;; [unrolled: 5-line block ×5, first 2 shown]
	v_ashrrev_i32_e32 v44, 31, v43
	s_delay_alu instid0(VALU_DEP_1) | instskip(SKIP_2) | instid1(VALU_DEP_3)
	v_lshlrev_b64 v[37:38], 3, v[43:44]
	v_add_co_u32 v43, vcc_lo, s0, v45
	v_add_co_ci_u32_e32 v44, vcc_lo, s1, v46, vcc_lo
	v_add_co_u32 v37, vcc_lo, s0, v37
	s_delay_alu instid0(VALU_DEP_4)
	v_add_co_ci_u32_e32 v38, vcc_lo, s1, v38, vcc_lo
	v_add_co_u32 v45, vcc_lo, s0, v47
	v_add_co_ci_u32_e32 v46, vcc_lo, s1, v48, vcc_lo
	global_load_b64 v[84:85], v[37:38], off
	s_waitcnt vmcnt(13)
	scratch_store_b128 off, v[1:4], off
	v_lshlrev_b64 v[1:2], 3, v[55:56]
	s_clause 0x3
	global_load_b64 v[73:74], v[39:40], off
	global_load_b64 v[75:76], v[41:42], off
	;; [unrolled: 1-line block ×4, first 2 shown]
	v_lshlrev_b64 v[3:4], 3, v[82:83]
	v_lshlrev_b64 v[55:56], 3, v[94:95]
	;; [unrolled: 1-line block ×3, first 2 shown]
	v_add_co_u32 v47, vcc_lo, s0, v1
	v_add_co_ci_u32_e32 v48, vcc_lo, s1, v2, vcc_lo
	v_add_co_u32 v49, vcc_lo, s0, v3
	v_add_co_ci_u32_e32 v50, vcc_lo, s1, v4, vcc_lo
	v_lshlrev_b64 v[1:2], 3, v[90:91]
	s_waitcnt vmcnt(15)
	scratch_store_b128 off, v[5:8], off offset:16
	s_clause 0x1
	global_load_b64 v[86:87], v[47:48], off
	global_load_b64 v[88:89], v[49:50], off
	v_add_co_u32 v4, vcc_lo, s0, v1
	v_add_co_ci_u32_e32 v5, vcc_lo, s1, v2, vcc_lo
	v_lshlrev_b64 v[1:2], 3, v[92:93]
	global_load_b64 v[90:91], v[4:5], off
	v_add_co_u32 v6, vcc_lo, s0, v1
	v_add_co_ci_u32_e32 v7, vcc_lo, s1, v2, vcc_lo
	v_lshlrev_b64 v[1:2], 3, v[96:97]
	s_waitcnt vmcnt(16)
	scratch_store_b128 off, v[51:54], off offset:32
	v_add_co_u32 v51, vcc_lo, s0, v55
	v_add_co_ci_u32_e32 v52, vcc_lo, s1, v56, vcc_lo
	v_lshlrev_b64 v[55:56], 3, v[98:99]
	v_add_co_u32 v53, vcc_lo, s0, v1
	v_add_co_ci_u32_e32 v54, vcc_lo, s1, v2, vcc_lo
	v_lshlrev_b64 v[1:2], 3, v[100:101]
	s_delay_alu instid0(VALU_DEP_4)
	v_add_co_u32 v55, vcc_lo, s0, v55
	v_add_co_ci_u32_e32 v56, vcc_lo, s1, v56, vcc_lo
	s_waitcnt vmcnt(14)
	scratch_store_b128 off, v[57:60], off offset:48
	s_waitcnt vmcnt(12)
	scratch_store_b128 off, v[61:64], off offset:64
	v_add_co_u32 v57, vcc_lo, s0, v1
	v_add_co_ci_u32_e32 v58, vcc_lo, s1, v2, vcc_lo
	v_lshlrev_b64 v[1:2], 3, v[104:105]
	v_add_co_u32 v59, vcc_lo, s0, v82
	v_add_co_ci_u32_e32 v60, vcc_lo, s1, v83, vcc_lo
	v_lshlrev_b64 v[63:64], 3, v[106:107]
	s_delay_alu instid0(VALU_DEP_4) | instskip(SKIP_2) | instid1(VALU_DEP_4)
	v_add_co_u32 v61, vcc_lo, s0, v1
	v_add_co_ci_u32_e32 v62, vcc_lo, s1, v2, vcc_lo
	v_lshlrev_b64 v[1:2], 3, v[108:109]
	v_add_co_u32 v63, vcc_lo, s0, v63
	v_add_co_ci_u32_e32 v64, vcc_lo, s1, v64, vcc_lo
	v_lshlrev_b64 v[82:83], 3, v[110:111]
	s_clause 0x3
	global_load_b64 v[92:93], v[6:7], off
	global_load_b64 v[94:95], v[51:52], off
	;; [unrolled: 1-line block ×4, first 2 shown]
	s_waitcnt vmcnt(14)
	scratch_store_b128 off, v[65:68], off offset:80
	s_waitcnt vmcnt(12)
	scratch_store_b128 off, v[69:72], off offset:96
	v_add_co_u32 v65, vcc_lo, s0, v1
	v_add_co_ci_u32_e32 v66, vcc_lo, s1, v2, vcc_lo
	v_lshlrev_b64 v[1:2], 3, v[112:113]
	v_add_co_u32 v67, vcc_lo, s0, v82
	v_add_co_ci_u32_e32 v68, vcc_lo, s1, v83, vcc_lo
	v_lshlrev_b64 v[71:72], 3, v[114:115]
	s_delay_alu instid0(VALU_DEP_4) | instskip(SKIP_2) | instid1(VALU_DEP_4)
	v_add_co_u32 v69, vcc_lo, s0, v1
	v_add_co_ci_u32_e32 v70, vcc_lo, s1, v2, vcc_lo
	v_lshlrev_b64 v[1:2], 3, v[116:117]
	v_add_co_u32 v71, vcc_lo, s0, v71
	v_add_co_ci_u32_e32 v72, vcc_lo, s1, v72, vcc_lo
	v_lshlrev_b64 v[82:83], 3, v[118:119]
	s_clause 0x3
	global_load_b64 v[100:101], v[57:58], off
	global_load_b64 v[102:103], v[59:60], off
	;; [unrolled: 1-line block ×4, first 2 shown]
	s_waitcnt vmcnt(13)
	scratch_store_b128 off, v[73:76], off offset:112
	s_waitcnt vmcnt(11)
	scratch_store_b128 off, v[77:80], off offset:128
	v_add_co_u32 v73, vcc_lo, s0, v1
	v_add_co_ci_u32_e32 v74, vcc_lo, s1, v2, vcc_lo
	v_lshlrev_b64 v[1:2], 3, v[120:121]
	v_add_co_u32 v75, vcc_lo, s0, v82
	v_lshlrev_b64 v[79:80], 3, v[122:123]
	v_add_co_ci_u32_e32 v76, vcc_lo, s1, v83, vcc_lo
	s_delay_alu instid0(VALU_DEP_4) | instskip(SKIP_1) | instid1(VALU_DEP_4)
	v_add_co_u32 v77, vcc_lo, s0, v1
	v_add_co_ci_u32_e32 v78, vcc_lo, s1, v2, vcc_lo
	v_add_co_u32 v79, vcc_lo, s0, v79
	v_add_co_ci_u32_e32 v80, vcc_lo, s1, v80, vcc_lo
	s_clause 0x3
	global_load_b64 v[108:109], v[65:66], off
	global_load_b64 v[110:111], v[67:68], off
	;; [unrolled: 1-line block ×4, first 2 shown]
	s_waitcnt vmcnt(13)
	scratch_store_b128 off, v[86:89], off offset:144
	s_clause 0x3
	global_load_b64 v[116:117], v[73:74], off
	global_load_b64 v[86:87], v[75:76], off
	;; [unrolled: 1-line block ×4, first 2 shown]
	s_mov_b32 s1, -1
	s_waitcnt vmcnt(15)
	scratch_store_b128 off, v[90:93], off offset:160
	s_waitcnt vmcnt(13)
	scratch_store_b128 off, v[94:97], off offset:176
	;; [unrolled: 2-line block ×9, first 2 shown]
	s_cbranch_scc1 .LBB37_160
; %bb.4:
	v_cmp_eq_u32_e64 s0, 0, v0
	s_delay_alu instid0(VALU_DEP_1)
	s_and_saveexec_b32 s1, s0
	s_cbranch_execz .LBB37_6
; %bb.5:
	v_mov_b32_e32 v1, 0
	ds_store_b32 v1, v1 offset:608
.LBB37_6:
	s_or_b32 exec_lo, exec_lo, s1
	s_waitcnt lgkmcnt(0)
	s_waitcnt_vscnt null, 0x0
	s_barrier
	buffer_gl0_inv
	scratch_load_b64 v[1:2], v81, off
	s_mov_b32 s2, exec_lo
	s_waitcnt vmcnt(0)
	v_cmpx_eq_f64_e32 0, v[1:2]
	s_cbranch_execz .LBB37_10
; %bb.7:
	v_mov_b32_e32 v1, 0
	s_mov_b32 s3, 0
	ds_load_b32 v2, v1 offset:608
	s_waitcnt lgkmcnt(0)
	v_readfirstlane_b32 s1, v2
	v_add_nc_u32_e32 v2, 1, v0
	s_delay_alu instid0(VALU_DEP_2) | instskip(NEXT) | instid1(VALU_DEP_1)
	s_cmp_eq_u32 s1, 0
	v_cmp_gt_i32_e32 vcc_lo, s1, v2
	s_cselect_b32 s4, -1, 0
	s_delay_alu instid0(SALU_CYCLE_1) | instskip(NEXT) | instid1(SALU_CYCLE_1)
	s_or_b32 s4, s4, vcc_lo
	s_and_b32 exec_lo, exec_lo, s4
	s_cbranch_execz .LBB37_10
; %bb.8:
	v_mov_b32_e32 v3, s1
.LBB37_9:                               ; =>This Inner Loop Header: Depth=1
	ds_cmpstore_rtn_b32 v3, v1, v2, v3 offset:608
	s_waitcnt lgkmcnt(0)
	v_cmp_ne_u32_e32 vcc_lo, 0, v3
	v_cmp_le_i32_e64 s1, v3, v2
	s_delay_alu instid0(VALU_DEP_1) | instskip(NEXT) | instid1(SALU_CYCLE_1)
	s_and_b32 s1, vcc_lo, s1
	s_and_b32 s1, exec_lo, s1
	s_delay_alu instid0(SALU_CYCLE_1) | instskip(NEXT) | instid1(SALU_CYCLE_1)
	s_or_b32 s3, s1, s3
	s_and_not1_b32 exec_lo, exec_lo, s3
	s_cbranch_execnz .LBB37_9
.LBB37_10:
	s_or_b32 exec_lo, exec_lo, s2
	v_mov_b32_e32 v1, 0
	s_barrier
	buffer_gl0_inv
	ds_load_b32 v2, v1 offset:608
	s_and_saveexec_b32 s1, s0
	s_cbranch_execz .LBB37_12
; %bb.11:
	s_lshl_b64 s[2:3], s[14:15], 2
	s_delay_alu instid0(SALU_CYCLE_1)
	s_add_u32 s2, s6, s2
	s_addc_u32 s3, s7, s3
	s_waitcnt lgkmcnt(0)
	global_store_b32 v1, v2, s[2:3]
.LBB37_12:
	s_or_b32 exec_lo, exec_lo, s1
	s_waitcnt lgkmcnt(0)
	v_cmp_ne_u32_e32 vcc_lo, 0, v2
	s_mov_b32 s1, 0
	s_cbranch_vccnz .LBB37_160
; %bb.13:
	v_add_nc_u32_e32 v3, 0, v81
	v_add_nc_u32_e32 v8, 0x130, v81
	scratch_load_b64 v[1:2], v3, off
	s_waitcnt vmcnt(0)
	v_div_scale_f64 v[82:83], null, v[1:2], v[1:2], 1.0
	v_div_scale_f64 v[88:89], vcc_lo, 1.0, v[1:2], 1.0
	s_delay_alu instid0(VALU_DEP_2) | instskip(SKIP_2) | instid1(VALU_DEP_1)
	v_rcp_f64_e32 v[84:85], v[82:83]
	s_waitcnt_depctr 0xfff
	v_fma_f64 v[86:87], -v[82:83], v[84:85], 1.0
	v_fma_f64 v[84:85], v[84:85], v[86:87], v[84:85]
	s_delay_alu instid0(VALU_DEP_1) | instskip(NEXT) | instid1(VALU_DEP_1)
	v_fma_f64 v[86:87], -v[82:83], v[84:85], 1.0
	v_fma_f64 v[84:85], v[84:85], v[86:87], v[84:85]
	s_delay_alu instid0(VALU_DEP_1) | instskip(NEXT) | instid1(VALU_DEP_1)
	v_mul_f64 v[86:87], v[88:89], v[84:85]
	v_fma_f64 v[82:83], -v[82:83], v[86:87], v[88:89]
	s_delay_alu instid0(VALU_DEP_1) | instskip(NEXT) | instid1(VALU_DEP_1)
	v_div_fmas_f64 v[82:83], v[82:83], v[84:85], v[86:87]
	v_div_fixup_f64 v[1:2], v[82:83], v[1:2], 1.0
	scratch_store_b64 v3, v[1:2], off
	scratch_load_b64 v[82:83], off, off offset:8
	v_xor_b32_e32 v2, 0x80000000, v2
	s_waitcnt vmcnt(0)
	ds_store_2addr_b64 v81, v[1:2], v[82:83] offset1:38
	s_waitcnt lgkmcnt(0)
	s_waitcnt_vscnt null, 0x0
	s_barrier
	buffer_gl0_inv
	s_and_saveexec_b32 s1, s0
	s_cbranch_execz .LBB37_15
; %bb.14:
	scratch_load_b64 v[1:2], v3, off
	ds_load_b64 v[82:83], v8
	s_waitcnt vmcnt(0) lgkmcnt(0)
	v_fma_f64 v[1:2], v[1:2], v[82:83], 0
	v_mov_b32_e32 v82, 0
	ds_load_b64 v[82:83], v82 offset:8
	s_waitcnt lgkmcnt(0)
	v_mul_f64 v[1:2], v[1:2], v[82:83]
	scratch_store_b64 off, v[1:2], off offset:8
.LBB37_15:
	s_or_b32 exec_lo, exec_lo, s1
	s_waitcnt_vscnt null, 0x0
	s_barrier
	buffer_gl0_inv
	scratch_load_b64 v[1:2], off, off offset:16
	s_mov_b32 s1, exec_lo
	s_waitcnt vmcnt(0)
	ds_store_b64 v8, v[1:2]
	s_waitcnt lgkmcnt(0)
	s_barrier
	buffer_gl0_inv
	v_cmpx_gt_u32_e32 2, v0
	s_cbranch_execz .LBB37_19
; %bb.16:
	scratch_load_b64 v[1:2], v3, off
	ds_load_b64 v[82:83], v8
	s_waitcnt vmcnt(0) lgkmcnt(0)
	v_fma_f64 v[1:2], v[1:2], v[82:83], 0
	s_and_saveexec_b32 s2, s0
	s_cbranch_execz .LBB37_18
; %bb.17:
	scratch_load_b64 v[82:83], off, off offset:8
	v_mov_b32_e32 v84, 0
	ds_load_b64 v[84:85], v84 offset:312
	s_waitcnt vmcnt(0) lgkmcnt(0)
	v_fma_f64 v[1:2], v[82:83], v[84:85], v[1:2]
.LBB37_18:
	s_or_b32 exec_lo, exec_lo, s2
	v_mov_b32_e32 v82, 0
	ds_load_b64 v[82:83], v82 offset:16
	s_waitcnt lgkmcnt(0)
	v_mul_f64 v[1:2], v[1:2], v[82:83]
	scratch_store_b64 off, v[1:2], off offset:16
.LBB37_19:
	s_or_b32 exec_lo, exec_lo, s1
	s_waitcnt_vscnt null, 0x0
	s_barrier
	buffer_gl0_inv
	scratch_load_b64 v[1:2], off, off offset:24
	v_add_nc_u32_e32 v82, -1, v0
	s_mov_b32 s0, exec_lo
	s_waitcnt vmcnt(0)
	ds_store_b64 v8, v[1:2]
	s_waitcnt lgkmcnt(0)
	s_barrier
	buffer_gl0_inv
	v_cmpx_gt_u32_e32 3, v0
	s_cbranch_execz .LBB37_23
; %bb.20:
	v_dual_mov_b32 v1, 0 :: v_dual_add_nc_u32 v84, 0x130, v81
	v_dual_mov_b32 v2, 0 :: v_dual_add_nc_u32 v83, -1, v0
	v_add_nc_u32_e32 v85, 0, v81
	s_mov_b32 s1, 0
.LBB37_21:                              ; =>This Inner Loop Header: Depth=1
	scratch_load_b64 v[86:87], v85, off
	ds_load_b64 v[88:89], v84
	v_add_nc_u32_e32 v83, 1, v83
	v_add_nc_u32_e32 v84, 8, v84
	v_add_nc_u32_e32 v85, 8, v85
	s_delay_alu instid0(VALU_DEP_3)
	v_cmp_lt_u32_e32 vcc_lo, 1, v83
	s_or_b32 s1, vcc_lo, s1
	s_waitcnt vmcnt(0) lgkmcnt(0)
	v_fma_f64 v[1:2], v[86:87], v[88:89], v[1:2]
	s_and_not1_b32 exec_lo, exec_lo, s1
	s_cbranch_execnz .LBB37_21
; %bb.22:
	s_or_b32 exec_lo, exec_lo, s1
	v_mov_b32_e32 v83, 0
	ds_load_b64 v[83:84], v83 offset:24
	s_waitcnt lgkmcnt(0)
	v_mul_f64 v[1:2], v[1:2], v[83:84]
	scratch_store_b64 off, v[1:2], off offset:24
.LBB37_23:
	s_or_b32 exec_lo, exec_lo, s0
	s_waitcnt_vscnt null, 0x0
	s_barrier
	buffer_gl0_inv
	scratch_load_b64 v[1:2], off, off offset:32
	s_mov_b32 s0, exec_lo
	s_waitcnt vmcnt(0)
	ds_store_b64 v8, v[1:2]
	s_waitcnt lgkmcnt(0)
	s_barrier
	buffer_gl0_inv
	v_cmpx_gt_u32_e32 4, v0
	s_cbranch_execz .LBB37_27
; %bb.24:
	v_dual_mov_b32 v1, 0 :: v_dual_add_nc_u32 v84, 0x130, v81
	v_dual_mov_b32 v2, 0 :: v_dual_add_nc_u32 v83, -1, v0
	v_add_nc_u32_e32 v85, 0, v81
	s_mov_b32 s1, 0
.LBB37_25:                              ; =>This Inner Loop Header: Depth=1
	scratch_load_b64 v[86:87], v85, off
	ds_load_b64 v[88:89], v84
	v_add_nc_u32_e32 v83, 1, v83
	v_add_nc_u32_e32 v84, 8, v84
	v_add_nc_u32_e32 v85, 8, v85
	s_delay_alu instid0(VALU_DEP_3)
	v_cmp_lt_u32_e32 vcc_lo, 2, v83
	s_or_b32 s1, vcc_lo, s1
	s_waitcnt vmcnt(0) lgkmcnt(0)
	v_fma_f64 v[1:2], v[86:87], v[88:89], v[1:2]
	s_and_not1_b32 exec_lo, exec_lo, s1
	s_cbranch_execnz .LBB37_25
; %bb.26:
	s_or_b32 exec_lo, exec_lo, s1
	v_mov_b32_e32 v83, 0
	ds_load_b64 v[83:84], v83 offset:32
	s_waitcnt lgkmcnt(0)
	v_mul_f64 v[1:2], v[1:2], v[83:84]
	scratch_store_b64 off, v[1:2], off offset:32
.LBB37_27:
	s_or_b32 exec_lo, exec_lo, s0
	s_waitcnt_vscnt null, 0x0
	s_barrier
	buffer_gl0_inv
	scratch_load_b64 v[1:2], off, off offset:40
	;; [unrolled: 39-line block ×20, first 2 shown]
	s_mov_b32 s0, exec_lo
	s_waitcnt vmcnt(0)
	ds_store_b64 v8, v[1:2]
	s_waitcnt lgkmcnt(0)
	s_barrier
	buffer_gl0_inv
	v_cmpx_gt_u32_e32 23, v0
	s_cbranch_execz .LBB37_103
; %bb.100:
	v_dual_mov_b32 v1, 0 :: v_dual_add_nc_u32 v84, 0x130, v81
	v_dual_mov_b32 v2, 0 :: v_dual_add_nc_u32 v83, -1, v0
	v_add_nc_u32_e32 v85, 0, v81
	s_mov_b32 s1, 0
.LBB37_101:                             ; =>This Inner Loop Header: Depth=1
	scratch_load_b64 v[86:87], v85, off
	ds_load_b64 v[88:89], v84
	v_add_nc_u32_e32 v83, 1, v83
	v_add_nc_u32_e32 v84, 8, v84
	v_add_nc_u32_e32 v85, 8, v85
	s_delay_alu instid0(VALU_DEP_3)
	v_cmp_lt_u32_e32 vcc_lo, 21, v83
	s_or_b32 s1, vcc_lo, s1
	s_waitcnt vmcnt(0) lgkmcnt(0)
	v_fma_f64 v[1:2], v[86:87], v[88:89], v[1:2]
	s_and_not1_b32 exec_lo, exec_lo, s1
	s_cbranch_execnz .LBB37_101
; %bb.102:
	s_or_b32 exec_lo, exec_lo, s1
	v_mov_b32_e32 v83, 0
	ds_load_b64 v[83:84], v83 offset:184
	s_waitcnt lgkmcnt(0)
	v_mul_f64 v[1:2], v[1:2], v[83:84]
	scratch_store_b64 off, v[1:2], off offset:184
.LBB37_103:
	s_or_b32 exec_lo, exec_lo, s0
	s_waitcnt_vscnt null, 0x0
	s_barrier
	buffer_gl0_inv
	scratch_load_b64 v[1:2], off, off offset:192
	s_mov_b32 s0, exec_lo
	s_waitcnt vmcnt(0)
	ds_store_b64 v8, v[1:2]
	s_waitcnt lgkmcnt(0)
	s_barrier
	buffer_gl0_inv
	v_cmpx_gt_u32_e32 24, v0
	s_cbranch_execz .LBB37_107
; %bb.104:
	v_dual_mov_b32 v1, 0 :: v_dual_add_nc_u32 v84, 0x130, v81
	v_dual_mov_b32 v2, 0 :: v_dual_add_nc_u32 v83, -1, v0
	v_add_nc_u32_e32 v85, 0, v81
	s_mov_b32 s1, 0
.LBB37_105:                             ; =>This Inner Loop Header: Depth=1
	scratch_load_b64 v[86:87], v85, off
	ds_load_b64 v[88:89], v84
	v_add_nc_u32_e32 v83, 1, v83
	v_add_nc_u32_e32 v84, 8, v84
	v_add_nc_u32_e32 v85, 8, v85
	s_delay_alu instid0(VALU_DEP_3)
	v_cmp_lt_u32_e32 vcc_lo, 22, v83
	s_or_b32 s1, vcc_lo, s1
	s_waitcnt vmcnt(0) lgkmcnt(0)
	v_fma_f64 v[1:2], v[86:87], v[88:89], v[1:2]
	s_and_not1_b32 exec_lo, exec_lo, s1
	s_cbranch_execnz .LBB37_105
; %bb.106:
	s_or_b32 exec_lo, exec_lo, s1
	v_mov_b32_e32 v83, 0
	ds_load_b64 v[83:84], v83 offset:192
	s_waitcnt lgkmcnt(0)
	v_mul_f64 v[1:2], v[1:2], v[83:84]
	scratch_store_b64 off, v[1:2], off offset:192
.LBB37_107:
	s_or_b32 exec_lo, exec_lo, s0
	s_waitcnt_vscnt null, 0x0
	s_barrier
	buffer_gl0_inv
	scratch_load_b64 v[1:2], off, off offset:200
	;; [unrolled: 39-line block ×14, first 2 shown]
	s_mov_b32 s0, exec_lo
	s_waitcnt vmcnt(0)
	ds_store_b64 v8, v[1:2]
	s_waitcnt lgkmcnt(0)
	s_barrier
	buffer_gl0_inv
	v_cmpx_ne_u32_e32 37, v0
	s_cbranch_execz .LBB37_159
; %bb.156:
	v_mov_b32_e32 v1, 0
	v_mov_b32_e32 v2, 0
	s_mov_b32 s1, 0
.LBB37_157:                             ; =>This Inner Loop Header: Depth=1
	scratch_load_b64 v[83:84], v3, off
	ds_load_b64 v[85:86], v8
	v_add_nc_u32_e32 v82, 1, v82
	v_add_nc_u32_e32 v8, 8, v8
	;; [unrolled: 1-line block ×3, first 2 shown]
	s_delay_alu instid0(VALU_DEP_3)
	v_cmp_lt_u32_e32 vcc_lo, 35, v82
	s_or_b32 s1, vcc_lo, s1
	s_waitcnt vmcnt(0) lgkmcnt(0)
	v_fma_f64 v[1:2], v[83:84], v[85:86], v[1:2]
	s_and_not1_b32 exec_lo, exec_lo, s1
	s_cbranch_execnz .LBB37_157
; %bb.158:
	s_or_b32 exec_lo, exec_lo, s1
	v_mov_b32_e32 v3, 0
	ds_load_b64 v[81:82], v3 offset:296
	s_waitcnt lgkmcnt(0)
	v_mul_f64 v[1:2], v[1:2], v[81:82]
	scratch_store_b64 off, v[1:2], off offset:296
.LBB37_159:
	s_or_b32 exec_lo, exec_lo, s0
	s_mov_b32 s1, -1
	s_waitcnt_vscnt null, 0x0
	s_barrier
	buffer_gl0_inv
.LBB37_160:
	s_and_b32 vcc_lo, exec_lo, s1
	s_cbranch_vccz .LBB37_162
; %bb.161:
	s_lshl_b64 s[0:1], s[14:15], 2
	v_mov_b32_e32 v1, 0
	s_add_u32 s0, s6, s0
	s_addc_u32 s1, s7, s1
	global_load_b32 v1, v1, s[0:1]
	s_waitcnt vmcnt(0)
	v_cmp_ne_u32_e32 vcc_lo, 0, v1
	s_cbranch_vccz .LBB37_163
.LBB37_162:
	s_endpgm
.LBB37_163:
	v_lshl_add_u32 v3, v0, 3, 0x130
	s_mov_b32 s0, exec_lo
	v_cmpx_eq_u32_e32 37, v0
	s_cbranch_execz .LBB37_165
; %bb.164:
	scratch_load_b64 v[1:2], off, off offset:288
	v_mov_b32_e32 v81, 0
	s_delay_alu instid0(VALU_DEP_1)
	v_mov_b32_e32 v82, v81
	scratch_store_b64 off, v[81:82], off offset:288
	s_waitcnt vmcnt(0)
	ds_store_b64 v3, v[1:2]
.LBB37_165:
	s_or_b32 exec_lo, exec_lo, s0
	s_waitcnt lgkmcnt(0)
	s_waitcnt_vscnt null, 0x0
	s_barrier
	buffer_gl0_inv
	scratch_load_b128 v[81:84], off, off offset:288
	v_mov_b32_e32 v1, 0
	s_mov_b32 s0, exec_lo
	ds_load_b64 v[85:86], v1 offset:600
	s_waitcnt vmcnt(0) lgkmcnt(0)
	v_fma_f64 v[83:84], v[83:84], v[85:86], 0
	s_delay_alu instid0(VALU_DEP_1)
	v_add_f64 v[81:82], v[81:82], -v[83:84]
	scratch_store_b64 off, v[81:82], off offset:288
	v_cmpx_lt_u32_e32 35, v0
	s_cbranch_execz .LBB37_167
; %bb.166:
	scratch_load_b64 v[81:82], off, off offset:280
	v_mov_b32_e32 v2, v1
	scratch_store_b64 off, v[1:2], off offset:280
	s_waitcnt vmcnt(0)
	ds_store_b64 v3, v[81:82]
.LBB37_167:
	s_or_b32 exec_lo, exec_lo, s0
	s_waitcnt lgkmcnt(0)
	s_waitcnt_vscnt null, 0x0
	s_barrier
	buffer_gl0_inv
	s_clause 0x1
	scratch_load_b128 v[81:84], off, off offset:280
	scratch_load_b64 v[89:90], off, off offset:296
	ds_load_b128 v[85:88], v1 offset:592
	s_mov_b32 s0, exec_lo
	s_waitcnt vmcnt(1) lgkmcnt(0)
	v_fma_f64 v[1:2], v[83:84], v[85:86], 0
	s_waitcnt vmcnt(0)
	s_delay_alu instid0(VALU_DEP_1) | instskip(NEXT) | instid1(VALU_DEP_1)
	v_fma_f64 v[1:2], v[89:90], v[87:88], v[1:2]
	v_add_f64 v[1:2], v[81:82], -v[1:2]
	scratch_store_b64 off, v[1:2], off offset:280
	v_cmpx_lt_u32_e32 34, v0
	s_cbranch_execz .LBB37_169
; %bb.168:
	scratch_load_b64 v[1:2], off, off offset:272
	v_mov_b32_e32 v81, 0
	s_delay_alu instid0(VALU_DEP_1)
	v_mov_b32_e32 v82, v81
	scratch_store_b64 off, v[81:82], off offset:272
	s_waitcnt vmcnt(0)
	ds_store_b64 v3, v[1:2]
.LBB37_169:
	s_or_b32 exec_lo, exec_lo, s0
	s_waitcnt lgkmcnt(0)
	s_waitcnt_vscnt null, 0x0
	s_barrier
	buffer_gl0_inv
	s_clause 0x1
	scratch_load_b128 v[81:84], off, off offset:272
	scratch_load_b128 v[85:88], off, off offset:288
	v_mov_b32_e32 v1, 0
	ds_load_2addr_b64 v[89:92], v1 offset0:73 offset1:74
	ds_load_b64 v[93:94], v1 offset:600
	s_mov_b32 s0, exec_lo
	s_waitcnt vmcnt(1) lgkmcnt(1)
	v_fma_f64 v[83:84], v[83:84], v[89:90], 0
	s_waitcnt vmcnt(0)
	s_delay_alu instid0(VALU_DEP_1) | instskip(SKIP_1) | instid1(VALU_DEP_1)
	v_fma_f64 v[83:84], v[85:86], v[91:92], v[83:84]
	s_waitcnt lgkmcnt(0)
	v_fma_f64 v[83:84], v[87:88], v[93:94], v[83:84]
	s_delay_alu instid0(VALU_DEP_1)
	v_add_f64 v[81:82], v[81:82], -v[83:84]
	scratch_store_b64 off, v[81:82], off offset:272
	v_cmpx_lt_u32_e32 33, v0
	s_cbranch_execz .LBB37_171
; %bb.170:
	scratch_load_b64 v[81:82], off, off offset:264
	v_mov_b32_e32 v2, v1
	scratch_store_b64 off, v[1:2], off offset:264
	s_waitcnt vmcnt(0)
	ds_store_b64 v3, v[81:82]
.LBB37_171:
	s_or_b32 exec_lo, exec_lo, s0
	s_waitcnt lgkmcnt(0)
	s_waitcnt_vscnt null, 0x0
	s_barrier
	buffer_gl0_inv
	s_clause 0x2
	scratch_load_b128 v[81:84], off, off offset:264
	scratch_load_b128 v[85:88], off, off offset:280
	scratch_load_b64 v[93:94], off, off offset:296
	ds_load_b128 v[89:92], v1 offset:576
	s_mov_b32 s0, exec_lo
	s_waitcnt vmcnt(2) lgkmcnt(0)
	v_fma_f64 v[83:84], v[83:84], v[89:90], 0
	s_waitcnt vmcnt(1)
	s_delay_alu instid0(VALU_DEP_1) | instskip(SKIP_4) | instid1(VALU_DEP_1)
	v_fma_f64 v[89:90], v[85:86], v[91:92], v[83:84]
	ds_load_b128 v[83:86], v1 offset:592
	s_waitcnt lgkmcnt(0)
	v_fma_f64 v[1:2], v[87:88], v[83:84], v[89:90]
	s_waitcnt vmcnt(0)
	v_fma_f64 v[1:2], v[93:94], v[85:86], v[1:2]
	s_delay_alu instid0(VALU_DEP_1)
	v_add_f64 v[1:2], v[81:82], -v[1:2]
	scratch_store_b64 off, v[1:2], off offset:264
	v_cmpx_lt_u32_e32 32, v0
	s_cbranch_execz .LBB37_173
; %bb.172:
	scratch_load_b64 v[1:2], off, off offset:256
	v_mov_b32_e32 v81, 0
	s_delay_alu instid0(VALU_DEP_1)
	v_mov_b32_e32 v82, v81
	scratch_store_b64 off, v[81:82], off offset:256
	s_waitcnt vmcnt(0)
	ds_store_b64 v3, v[1:2]
.LBB37_173:
	s_or_b32 exec_lo, exec_lo, s0
	s_waitcnt lgkmcnt(0)
	s_waitcnt_vscnt null, 0x0
	s_barrier
	buffer_gl0_inv
	s_clause 0x2
	scratch_load_b128 v[81:84], off, off offset:256
	scratch_load_b128 v[85:88], off, off offset:272
	scratch_load_b128 v[89:92], off, off offset:288
	v_mov_b32_e32 v1, 0
	s_mov_b32 s0, exec_lo
	ds_load_2addr_b64 v[93:96], v1 offset0:71 offset1:72
	s_waitcnt vmcnt(2) lgkmcnt(0)
	v_fma_f64 v[83:84], v[83:84], v[93:94], 0
	s_waitcnt vmcnt(1)
	s_delay_alu instid0(VALU_DEP_1) | instskip(SKIP_4) | instid1(VALU_DEP_1)
	v_fma_f64 v[93:94], v[85:86], v[95:96], v[83:84]
	ds_load_2addr_b64 v[83:86], v1 offset0:73 offset1:74
	s_waitcnt lgkmcnt(0)
	v_fma_f64 v[83:84], v[87:88], v[83:84], v[93:94]
	s_waitcnt vmcnt(0)
	v_fma_f64 v[83:84], v[89:90], v[85:86], v[83:84]
	ds_load_b64 v[85:86], v1 offset:600
	s_waitcnt lgkmcnt(0)
	v_fma_f64 v[83:84], v[91:92], v[85:86], v[83:84]
	s_delay_alu instid0(VALU_DEP_1)
	v_add_f64 v[81:82], v[81:82], -v[83:84]
	scratch_store_b64 off, v[81:82], off offset:256
	v_cmpx_lt_u32_e32 31, v0
	s_cbranch_execz .LBB37_175
; %bb.174:
	scratch_load_b64 v[81:82], off, off offset:248
	v_mov_b32_e32 v2, v1
	scratch_store_b64 off, v[1:2], off offset:248
	s_waitcnt vmcnt(0)
	ds_store_b64 v3, v[81:82]
.LBB37_175:
	s_or_b32 exec_lo, exec_lo, s0
	s_waitcnt lgkmcnt(0)
	s_waitcnt_vscnt null, 0x0
	s_barrier
	buffer_gl0_inv
	s_clause 0x3
	scratch_load_b128 v[81:84], off, off offset:248
	scratch_load_b128 v[85:88], off, off offset:264
	;; [unrolled: 1-line block ×3, first 2 shown]
	scratch_load_b64 v[101:102], off, off offset:296
	ds_load_b128 v[93:96], v1 offset:560
	ds_load_b128 v[97:100], v1 offset:576
	s_mov_b32 s0, exec_lo
	s_waitcnt vmcnt(3) lgkmcnt(1)
	v_fma_f64 v[83:84], v[83:84], v[93:94], 0
	s_waitcnt vmcnt(2)
	s_delay_alu instid0(VALU_DEP_1) | instskip(SKIP_1) | instid1(VALU_DEP_1)
	v_fma_f64 v[83:84], v[85:86], v[95:96], v[83:84]
	s_waitcnt lgkmcnt(0)
	v_fma_f64 v[83:84], v[87:88], v[97:98], v[83:84]
	s_waitcnt vmcnt(1)
	s_delay_alu instid0(VALU_DEP_1) | instskip(SKIP_4) | instid1(VALU_DEP_1)
	v_fma_f64 v[87:88], v[89:90], v[99:100], v[83:84]
	ds_load_b128 v[83:86], v1 offset:592
	s_waitcnt lgkmcnt(0)
	v_fma_f64 v[1:2], v[91:92], v[83:84], v[87:88]
	s_waitcnt vmcnt(0)
	v_fma_f64 v[1:2], v[101:102], v[85:86], v[1:2]
	s_delay_alu instid0(VALU_DEP_1)
	v_add_f64 v[1:2], v[81:82], -v[1:2]
	scratch_store_b64 off, v[1:2], off offset:248
	v_cmpx_lt_u32_e32 30, v0
	s_cbranch_execz .LBB37_177
; %bb.176:
	scratch_load_b64 v[1:2], off, off offset:240
	v_mov_b32_e32 v81, 0
	s_delay_alu instid0(VALU_DEP_1)
	v_mov_b32_e32 v82, v81
	scratch_store_b64 off, v[81:82], off offset:240
	s_waitcnt vmcnt(0)
	ds_store_b64 v3, v[1:2]
.LBB37_177:
	s_or_b32 exec_lo, exec_lo, s0
	s_waitcnt lgkmcnt(0)
	s_waitcnt_vscnt null, 0x0
	s_barrier
	buffer_gl0_inv
	s_clause 0x3
	scratch_load_b128 v[81:84], off, off offset:240
	scratch_load_b128 v[85:88], off, off offset:256
	;; [unrolled: 1-line block ×4, first 2 shown]
	v_mov_b32_e32 v1, 0
	ds_load_2addr_b64 v[97:100], v1 offset0:69 offset1:70
	ds_load_2addr_b64 v[101:104], v1 offset0:71 offset1:72
	s_mov_b32 s0, exec_lo
	s_waitcnt vmcnt(3) lgkmcnt(1)
	v_fma_f64 v[83:84], v[83:84], v[97:98], 0
	s_waitcnt vmcnt(2)
	s_delay_alu instid0(VALU_DEP_1) | instskip(SKIP_1) | instid1(VALU_DEP_1)
	v_fma_f64 v[83:84], v[85:86], v[99:100], v[83:84]
	s_waitcnt lgkmcnt(0)
	v_fma_f64 v[83:84], v[87:88], v[101:102], v[83:84]
	s_waitcnt vmcnt(1)
	s_delay_alu instid0(VALU_DEP_1)
	v_fma_f64 v[87:88], v[89:90], v[103:104], v[83:84]
	ds_load_2addr_b64 v[83:86], v1 offset0:73 offset1:74
	ds_load_b64 v[89:90], v1 offset:600
	s_waitcnt lgkmcnt(1)
	v_fma_f64 v[83:84], v[91:92], v[83:84], v[87:88]
	s_waitcnt vmcnt(0)
	s_delay_alu instid0(VALU_DEP_1) | instskip(SKIP_1) | instid1(VALU_DEP_1)
	v_fma_f64 v[83:84], v[93:94], v[85:86], v[83:84]
	s_waitcnt lgkmcnt(0)
	v_fma_f64 v[83:84], v[95:96], v[89:90], v[83:84]
	s_delay_alu instid0(VALU_DEP_1)
	v_add_f64 v[81:82], v[81:82], -v[83:84]
	scratch_store_b64 off, v[81:82], off offset:240
	v_cmpx_lt_u32_e32 29, v0
	s_cbranch_execz .LBB37_179
; %bb.178:
	scratch_load_b64 v[81:82], off, off offset:232
	v_mov_b32_e32 v2, v1
	scratch_store_b64 off, v[1:2], off offset:232
	s_waitcnt vmcnt(0)
	ds_store_b64 v3, v[81:82]
.LBB37_179:
	s_or_b32 exec_lo, exec_lo, s0
	s_waitcnt lgkmcnt(0)
	s_waitcnt_vscnt null, 0x0
	s_barrier
	buffer_gl0_inv
	s_clause 0x4
	scratch_load_b128 v[81:84], off, off offset:232
	scratch_load_b128 v[85:88], off, off offset:248
	;; [unrolled: 1-line block ×4, first 2 shown]
	scratch_load_b64 v[105:106], off, off offset:296
	ds_load_b128 v[97:100], v1 offset:544
	ds_load_b128 v[101:104], v1 offset:560
	s_mov_b32 s0, exec_lo
	s_waitcnt vmcnt(4) lgkmcnt(1)
	v_fma_f64 v[83:84], v[83:84], v[97:98], 0
	s_waitcnt vmcnt(3)
	s_delay_alu instid0(VALU_DEP_1) | instskip(SKIP_1) | instid1(VALU_DEP_1)
	v_fma_f64 v[83:84], v[85:86], v[99:100], v[83:84]
	s_waitcnt lgkmcnt(0)
	v_fma_f64 v[83:84], v[87:88], v[101:102], v[83:84]
	s_waitcnt vmcnt(2)
	s_delay_alu instid0(VALU_DEP_1)
	v_fma_f64 v[97:98], v[89:90], v[103:104], v[83:84]
	ds_load_b128 v[83:86], v1 offset:576
	ds_load_b128 v[87:90], v1 offset:592
	s_waitcnt lgkmcnt(1)
	v_fma_f64 v[1:2], v[91:92], v[83:84], v[97:98]
	s_waitcnt vmcnt(1)
	s_delay_alu instid0(VALU_DEP_1) | instskip(SKIP_1) | instid1(VALU_DEP_1)
	v_fma_f64 v[1:2], v[93:94], v[85:86], v[1:2]
	s_waitcnt lgkmcnt(0)
	v_fma_f64 v[1:2], v[95:96], v[87:88], v[1:2]
	s_waitcnt vmcnt(0)
	s_delay_alu instid0(VALU_DEP_1) | instskip(NEXT) | instid1(VALU_DEP_1)
	v_fma_f64 v[1:2], v[105:106], v[89:90], v[1:2]
	v_add_f64 v[1:2], v[81:82], -v[1:2]
	scratch_store_b64 off, v[1:2], off offset:232
	v_cmpx_lt_u32_e32 28, v0
	s_cbranch_execz .LBB37_181
; %bb.180:
	scratch_load_b64 v[1:2], off, off offset:224
	v_mov_b32_e32 v81, 0
	s_delay_alu instid0(VALU_DEP_1)
	v_mov_b32_e32 v82, v81
	scratch_store_b64 off, v[81:82], off offset:224
	s_waitcnt vmcnt(0)
	ds_store_b64 v3, v[1:2]
.LBB37_181:
	s_or_b32 exec_lo, exec_lo, s0
	s_waitcnt lgkmcnt(0)
	s_waitcnt_vscnt null, 0x0
	s_barrier
	buffer_gl0_inv
	s_clause 0x4
	scratch_load_b128 v[81:84], off, off offset:224
	scratch_load_b128 v[85:88], off, off offset:240
	;; [unrolled: 1-line block ×5, first 2 shown]
	v_mov_b32_e32 v1, 0
	ds_load_2addr_b64 v[101:104], v1 offset0:67 offset1:68
	ds_load_2addr_b64 v[105:108], v1 offset0:69 offset1:70
	s_mov_b32 s0, exec_lo
	s_waitcnt vmcnt(4) lgkmcnt(1)
	v_fma_f64 v[83:84], v[83:84], v[101:102], 0
	s_waitcnt vmcnt(3)
	s_delay_alu instid0(VALU_DEP_1) | instskip(SKIP_1) | instid1(VALU_DEP_1)
	v_fma_f64 v[83:84], v[85:86], v[103:104], v[83:84]
	s_waitcnt lgkmcnt(0)
	v_fma_f64 v[83:84], v[87:88], v[105:106], v[83:84]
	s_waitcnt vmcnt(2)
	s_delay_alu instid0(VALU_DEP_1)
	v_fma_f64 v[101:102], v[89:90], v[107:108], v[83:84]
	ds_load_2addr_b64 v[83:86], v1 offset0:71 offset1:72
	ds_load_2addr_b64 v[87:90], v1 offset0:73 offset1:74
	s_waitcnt lgkmcnt(1)
	v_fma_f64 v[83:84], v[91:92], v[83:84], v[101:102]
	s_waitcnt vmcnt(1)
	s_delay_alu instid0(VALU_DEP_1) | instskip(SKIP_4) | instid1(VALU_DEP_1)
	v_fma_f64 v[83:84], v[93:94], v[85:86], v[83:84]
	ds_load_b64 v[85:86], v1 offset:600
	s_waitcnt lgkmcnt(1)
	v_fma_f64 v[83:84], v[95:96], v[87:88], v[83:84]
	s_waitcnt vmcnt(0)
	v_fma_f64 v[83:84], v[97:98], v[89:90], v[83:84]
	s_waitcnt lgkmcnt(0)
	s_delay_alu instid0(VALU_DEP_1) | instskip(NEXT) | instid1(VALU_DEP_1)
	v_fma_f64 v[83:84], v[99:100], v[85:86], v[83:84]
	v_add_f64 v[81:82], v[81:82], -v[83:84]
	scratch_store_b64 off, v[81:82], off offset:224
	v_cmpx_lt_u32_e32 27, v0
	s_cbranch_execz .LBB37_183
; %bb.182:
	scratch_load_b64 v[81:82], off, off offset:216
	v_mov_b32_e32 v2, v1
	scratch_store_b64 off, v[1:2], off offset:216
	s_waitcnt vmcnt(0)
	ds_store_b64 v3, v[81:82]
.LBB37_183:
	s_or_b32 exec_lo, exec_lo, s0
	s_waitcnt lgkmcnt(0)
	s_waitcnt_vscnt null, 0x0
	s_barrier
	buffer_gl0_inv
	s_clause 0x4
	scratch_load_b128 v[81:84], off, off offset:216
	scratch_load_b128 v[85:88], off, off offset:232
	;; [unrolled: 1-line block ×5, first 2 shown]
	ds_load_b128 v[101:104], v1 offset:528
	ds_load_b128 v[105:108], v1 offset:544
	s_mov_b32 s0, exec_lo
	s_waitcnt vmcnt(4) lgkmcnt(1)
	v_fma_f64 v[83:84], v[83:84], v[101:102], 0
	scratch_load_b64 v[101:102], off, off offset:296
	s_waitcnt vmcnt(4)
	v_fma_f64 v[83:84], v[85:86], v[103:104], v[83:84]
	s_waitcnt lgkmcnt(0)
	s_delay_alu instid0(VALU_DEP_1) | instskip(SKIP_1) | instid1(VALU_DEP_1)
	v_fma_f64 v[83:84], v[87:88], v[105:106], v[83:84]
	s_waitcnt vmcnt(3)
	v_fma_f64 v[103:104], v[89:90], v[107:108], v[83:84]
	ds_load_b128 v[83:86], v1 offset:560
	ds_load_b128 v[87:90], v1 offset:576
	s_waitcnt lgkmcnt(1)
	v_fma_f64 v[83:84], v[91:92], v[83:84], v[103:104]
	s_waitcnt vmcnt(2)
	s_delay_alu instid0(VALU_DEP_1) | instskip(SKIP_1) | instid1(VALU_DEP_1)
	v_fma_f64 v[83:84], v[93:94], v[85:86], v[83:84]
	s_waitcnt lgkmcnt(0)
	v_fma_f64 v[83:84], v[95:96], v[87:88], v[83:84]
	s_waitcnt vmcnt(1)
	s_delay_alu instid0(VALU_DEP_1) | instskip(SKIP_4) | instid1(VALU_DEP_1)
	v_fma_f64 v[87:88], v[97:98], v[89:90], v[83:84]
	ds_load_b128 v[83:86], v1 offset:592
	s_waitcnt lgkmcnt(0)
	v_fma_f64 v[1:2], v[99:100], v[83:84], v[87:88]
	s_waitcnt vmcnt(0)
	v_fma_f64 v[1:2], v[101:102], v[85:86], v[1:2]
	s_delay_alu instid0(VALU_DEP_1)
	v_add_f64 v[1:2], v[81:82], -v[1:2]
	scratch_store_b64 off, v[1:2], off offset:216
	v_cmpx_lt_u32_e32 26, v0
	s_cbranch_execz .LBB37_185
; %bb.184:
	scratch_load_b64 v[1:2], off, off offset:208
	v_mov_b32_e32 v81, 0
	s_delay_alu instid0(VALU_DEP_1)
	v_mov_b32_e32 v82, v81
	scratch_store_b64 off, v[81:82], off offset:208
	s_waitcnt vmcnt(0)
	ds_store_b64 v3, v[1:2]
.LBB37_185:
	s_or_b32 exec_lo, exec_lo, s0
	s_waitcnt lgkmcnt(0)
	s_waitcnt_vscnt null, 0x0
	s_barrier
	buffer_gl0_inv
	s_clause 0x4
	scratch_load_b128 v[81:84], off, off offset:208
	scratch_load_b128 v[85:88], off, off offset:224
	;; [unrolled: 1-line block ×5, first 2 shown]
	v_mov_b32_e32 v1, 0
	ds_load_2addr_b64 v[101:104], v1 offset0:65 offset1:66
	ds_load_2addr_b64 v[105:108], v1 offset0:67 offset1:68
	scratch_load_b128 v[109:112], off, off offset:288
	s_mov_b32 s0, exec_lo
	s_waitcnt vmcnt(5) lgkmcnt(1)
	v_fma_f64 v[83:84], v[83:84], v[101:102], 0
	s_waitcnt vmcnt(4)
	s_delay_alu instid0(VALU_DEP_1) | instskip(SKIP_1) | instid1(VALU_DEP_1)
	v_fma_f64 v[83:84], v[85:86], v[103:104], v[83:84]
	s_waitcnt lgkmcnt(0)
	v_fma_f64 v[83:84], v[87:88], v[105:106], v[83:84]
	s_waitcnt vmcnt(3)
	s_delay_alu instid0(VALU_DEP_1)
	v_fma_f64 v[101:102], v[89:90], v[107:108], v[83:84]
	ds_load_2addr_b64 v[83:86], v1 offset0:69 offset1:70
	ds_load_2addr_b64 v[87:90], v1 offset0:71 offset1:72
	s_waitcnt lgkmcnt(1)
	v_fma_f64 v[83:84], v[91:92], v[83:84], v[101:102]
	s_waitcnt vmcnt(2)
	s_delay_alu instid0(VALU_DEP_1) | instskip(SKIP_1) | instid1(VALU_DEP_1)
	v_fma_f64 v[83:84], v[93:94], v[85:86], v[83:84]
	s_waitcnt lgkmcnt(0)
	v_fma_f64 v[83:84], v[95:96], v[87:88], v[83:84]
	s_waitcnt vmcnt(1)
	s_delay_alu instid0(VALU_DEP_1)
	v_fma_f64 v[87:88], v[97:98], v[89:90], v[83:84]
	ds_load_2addr_b64 v[83:86], v1 offset0:73 offset1:74
	ds_load_b64 v[89:90], v1 offset:600
	s_waitcnt lgkmcnt(1)
	v_fma_f64 v[83:84], v[99:100], v[83:84], v[87:88]
	s_waitcnt vmcnt(0)
	s_delay_alu instid0(VALU_DEP_1) | instskip(SKIP_1) | instid1(VALU_DEP_1)
	v_fma_f64 v[83:84], v[109:110], v[85:86], v[83:84]
	s_waitcnt lgkmcnt(0)
	v_fma_f64 v[83:84], v[111:112], v[89:90], v[83:84]
	s_delay_alu instid0(VALU_DEP_1)
	v_add_f64 v[81:82], v[81:82], -v[83:84]
	scratch_store_b64 off, v[81:82], off offset:208
	v_cmpx_lt_u32_e32 25, v0
	s_cbranch_execz .LBB37_187
; %bb.186:
	scratch_load_b64 v[81:82], off, off offset:200
	v_mov_b32_e32 v2, v1
	scratch_store_b64 off, v[1:2], off offset:200
	s_waitcnt vmcnt(0)
	ds_store_b64 v3, v[81:82]
.LBB37_187:
	s_or_b32 exec_lo, exec_lo, s0
	s_waitcnt lgkmcnt(0)
	s_waitcnt_vscnt null, 0x0
	s_barrier
	buffer_gl0_inv
	s_clause 0x4
	scratch_load_b128 v[81:84], off, off offset:200
	scratch_load_b128 v[85:88], off, off offset:216
	;; [unrolled: 1-line block ×5, first 2 shown]
	ds_load_b128 v[101:104], v1 offset:512
	ds_load_b128 v[105:108], v1 offset:528
	scratch_load_b128 v[109:112], off, off offset:280
	s_mov_b32 s0, exec_lo
	s_waitcnt vmcnt(5) lgkmcnt(1)
	v_fma_f64 v[83:84], v[83:84], v[101:102], 0
	scratch_load_b64 v[101:102], off, off offset:296
	s_waitcnt vmcnt(5)
	v_fma_f64 v[83:84], v[85:86], v[103:104], v[83:84]
	s_waitcnt lgkmcnt(0)
	s_delay_alu instid0(VALU_DEP_1) | instskip(SKIP_1) | instid1(VALU_DEP_1)
	v_fma_f64 v[83:84], v[87:88], v[105:106], v[83:84]
	s_waitcnt vmcnt(4)
	v_fma_f64 v[103:104], v[89:90], v[107:108], v[83:84]
	ds_load_b128 v[83:86], v1 offset:544
	ds_load_b128 v[87:90], v1 offset:560
	s_waitcnt lgkmcnt(1)
	v_fma_f64 v[83:84], v[91:92], v[83:84], v[103:104]
	s_waitcnt vmcnt(3)
	s_delay_alu instid0(VALU_DEP_1) | instskip(SKIP_1) | instid1(VALU_DEP_1)
	v_fma_f64 v[83:84], v[93:94], v[85:86], v[83:84]
	s_waitcnt lgkmcnt(0)
	v_fma_f64 v[83:84], v[95:96], v[87:88], v[83:84]
	s_waitcnt vmcnt(2)
	s_delay_alu instid0(VALU_DEP_1)
	v_fma_f64 v[91:92], v[97:98], v[89:90], v[83:84]
	ds_load_b128 v[83:86], v1 offset:576
	ds_load_b128 v[87:90], v1 offset:592
	s_waitcnt lgkmcnt(1)
	v_fma_f64 v[1:2], v[99:100], v[83:84], v[91:92]
	s_waitcnt vmcnt(1)
	s_delay_alu instid0(VALU_DEP_1) | instskip(SKIP_1) | instid1(VALU_DEP_1)
	v_fma_f64 v[1:2], v[109:110], v[85:86], v[1:2]
	s_waitcnt lgkmcnt(0)
	v_fma_f64 v[1:2], v[111:112], v[87:88], v[1:2]
	s_waitcnt vmcnt(0)
	s_delay_alu instid0(VALU_DEP_1) | instskip(NEXT) | instid1(VALU_DEP_1)
	v_fma_f64 v[1:2], v[101:102], v[89:90], v[1:2]
	v_add_f64 v[1:2], v[81:82], -v[1:2]
	scratch_store_b64 off, v[1:2], off offset:200
	v_cmpx_lt_u32_e32 24, v0
	s_cbranch_execz .LBB37_189
; %bb.188:
	scratch_load_b64 v[1:2], off, off offset:192
	v_mov_b32_e32 v81, 0
	s_delay_alu instid0(VALU_DEP_1)
	v_mov_b32_e32 v82, v81
	scratch_store_b64 off, v[81:82], off offset:192
	s_waitcnt vmcnt(0)
	ds_store_b64 v3, v[1:2]
.LBB37_189:
	s_or_b32 exec_lo, exec_lo, s0
	s_waitcnt lgkmcnt(0)
	s_waitcnt_vscnt null, 0x0
	s_barrier
	buffer_gl0_inv
	s_clause 0x4
	scratch_load_b128 v[81:84], off, off offset:192
	scratch_load_b128 v[85:88], off, off offset:208
	;; [unrolled: 1-line block ×5, first 2 shown]
	v_mov_b32_e32 v1, 0
	ds_load_2addr_b64 v[101:104], v1 offset0:63 offset1:64
	ds_load_2addr_b64 v[105:108], v1 offset0:65 offset1:66
	scratch_load_b128 v[109:112], off, off offset:272
	s_mov_b32 s0, exec_lo
	s_waitcnt vmcnt(5) lgkmcnt(1)
	v_fma_f64 v[83:84], v[83:84], v[101:102], 0
	s_waitcnt vmcnt(4)
	s_delay_alu instid0(VALU_DEP_1) | instskip(SKIP_1) | instid1(VALU_DEP_1)
	v_fma_f64 v[83:84], v[85:86], v[103:104], v[83:84]
	s_waitcnt lgkmcnt(0)
	v_fma_f64 v[87:88], v[87:88], v[105:106], v[83:84]
	scratch_load_b128 v[83:86], off, off offset:288
	s_waitcnt vmcnt(4)
	v_fma_f64 v[105:106], v[89:90], v[107:108], v[87:88]
	ds_load_2addr_b64 v[87:90], v1 offset0:67 offset1:68
	ds_load_2addr_b64 v[101:104], v1 offset0:69 offset1:70
	s_waitcnt lgkmcnt(1)
	v_fma_f64 v[87:88], v[91:92], v[87:88], v[105:106]
	s_waitcnt vmcnt(3)
	s_delay_alu instid0(VALU_DEP_1) | instskip(SKIP_1) | instid1(VALU_DEP_1)
	v_fma_f64 v[87:88], v[93:94], v[89:90], v[87:88]
	s_waitcnt lgkmcnt(0)
	v_fma_f64 v[87:88], v[95:96], v[101:102], v[87:88]
	s_waitcnt vmcnt(2)
	s_delay_alu instid0(VALU_DEP_1)
	v_fma_f64 v[95:96], v[97:98], v[103:104], v[87:88]
	ds_load_2addr_b64 v[87:90], v1 offset0:71 offset1:72
	ds_load_2addr_b64 v[91:94], v1 offset0:73 offset1:74
	s_waitcnt lgkmcnt(1)
	v_fma_f64 v[87:88], v[99:100], v[87:88], v[95:96]
	s_waitcnt vmcnt(1)
	s_delay_alu instid0(VALU_DEP_1) | instskip(SKIP_1) | instid1(VALU_DEP_1)
	v_fma_f64 v[87:88], v[109:110], v[89:90], v[87:88]
	s_waitcnt lgkmcnt(0)
	v_fma_f64 v[87:88], v[111:112], v[91:92], v[87:88]
	s_waitcnt vmcnt(0)
	s_delay_alu instid0(VALU_DEP_1) | instskip(SKIP_3) | instid1(VALU_DEP_1)
	v_fma_f64 v[83:84], v[83:84], v[93:94], v[87:88]
	ds_load_b64 v[87:88], v1 offset:600
	s_waitcnt lgkmcnt(0)
	v_fma_f64 v[83:84], v[85:86], v[87:88], v[83:84]
	v_add_f64 v[81:82], v[81:82], -v[83:84]
	scratch_store_b64 off, v[81:82], off offset:192
	v_cmpx_lt_u32_e32 23, v0
	s_cbranch_execz .LBB37_191
; %bb.190:
	scratch_load_b64 v[81:82], off, off offset:184
	v_mov_b32_e32 v2, v1
	scratch_store_b64 off, v[1:2], off offset:184
	s_waitcnt vmcnt(0)
	ds_store_b64 v3, v[81:82]
.LBB37_191:
	s_or_b32 exec_lo, exec_lo, s0
	s_waitcnt lgkmcnt(0)
	s_waitcnt_vscnt null, 0x0
	s_barrier
	buffer_gl0_inv
	s_clause 0x4
	scratch_load_b128 v[81:84], off, off offset:184
	scratch_load_b128 v[85:88], off, off offset:200
	;; [unrolled: 1-line block ×5, first 2 shown]
	ds_load_b128 v[101:104], v1 offset:496
	ds_load_b128 v[105:108], v1 offset:512
	scratch_load_b128 v[109:112], off, off offset:264
	s_mov_b32 s0, exec_lo
	s_waitcnt vmcnt(5) lgkmcnt(1)
	v_fma_f64 v[83:84], v[83:84], v[101:102], 0
	s_waitcnt vmcnt(4)
	s_delay_alu instid0(VALU_DEP_1) | instskip(SKIP_1) | instid1(VALU_DEP_1)
	v_fma_f64 v[83:84], v[85:86], v[103:104], v[83:84]
	s_waitcnt lgkmcnt(0)
	v_fma_f64 v[87:88], v[87:88], v[105:106], v[83:84]
	scratch_load_b128 v[83:86], off, off offset:280
	s_waitcnt vmcnt(4)
	v_fma_f64 v[105:106], v[89:90], v[107:108], v[87:88]
	ds_load_b128 v[87:90], v1 offset:528
	ds_load_b128 v[101:104], v1 offset:544
	s_waitcnt lgkmcnt(1)
	v_fma_f64 v[87:88], v[91:92], v[87:88], v[105:106]
	scratch_load_b64 v[105:106], off, off offset:296
	s_waitcnt vmcnt(4)
	v_fma_f64 v[87:88], v[93:94], v[89:90], v[87:88]
	s_waitcnt lgkmcnt(0)
	s_delay_alu instid0(VALU_DEP_1) | instskip(SKIP_1) | instid1(VALU_DEP_1)
	v_fma_f64 v[87:88], v[95:96], v[101:102], v[87:88]
	s_waitcnt vmcnt(3)
	v_fma_f64 v[95:96], v[97:98], v[103:104], v[87:88]
	ds_load_b128 v[87:90], v1 offset:560
	ds_load_b128 v[91:94], v1 offset:576
	s_waitcnt lgkmcnt(1)
	v_fma_f64 v[87:88], v[99:100], v[87:88], v[95:96]
	s_waitcnt vmcnt(2)
	s_delay_alu instid0(VALU_DEP_1) | instskip(SKIP_1) | instid1(VALU_DEP_1)
	v_fma_f64 v[87:88], v[109:110], v[89:90], v[87:88]
	s_waitcnt lgkmcnt(0)
	v_fma_f64 v[87:88], v[111:112], v[91:92], v[87:88]
	s_waitcnt vmcnt(1)
	s_delay_alu instid0(VALU_DEP_1) | instskip(SKIP_4) | instid1(VALU_DEP_1)
	v_fma_f64 v[83:84], v[83:84], v[93:94], v[87:88]
	ds_load_b128 v[87:90], v1 offset:592
	s_waitcnt lgkmcnt(0)
	v_fma_f64 v[1:2], v[85:86], v[87:88], v[83:84]
	s_waitcnt vmcnt(0)
	v_fma_f64 v[1:2], v[105:106], v[89:90], v[1:2]
	s_delay_alu instid0(VALU_DEP_1)
	v_add_f64 v[1:2], v[81:82], -v[1:2]
	scratch_store_b64 off, v[1:2], off offset:184
	v_cmpx_lt_u32_e32 22, v0
	s_cbranch_execz .LBB37_193
; %bb.192:
	scratch_load_b64 v[1:2], off, off offset:176
	v_mov_b32_e32 v81, 0
	s_delay_alu instid0(VALU_DEP_1)
	v_mov_b32_e32 v82, v81
	scratch_store_b64 off, v[81:82], off offset:176
	s_waitcnt vmcnt(0)
	ds_store_b64 v3, v[1:2]
.LBB37_193:
	s_or_b32 exec_lo, exec_lo, s0
	s_waitcnt lgkmcnt(0)
	s_waitcnt_vscnt null, 0x0
	s_barrier
	buffer_gl0_inv
	s_clause 0x4
	scratch_load_b128 v[81:84], off, off offset:176
	scratch_load_b128 v[85:88], off, off offset:192
	;; [unrolled: 1-line block ×5, first 2 shown]
	v_mov_b32_e32 v1, 0
	ds_load_2addr_b64 v[101:104], v1 offset0:61 offset1:62
	ds_load_2addr_b64 v[105:108], v1 offset0:63 offset1:64
	scratch_load_b128 v[109:112], off, off offset:256
	s_mov_b32 s0, exec_lo
	s_waitcnt vmcnt(5) lgkmcnt(1)
	v_fma_f64 v[83:84], v[83:84], v[101:102], 0
	s_waitcnt vmcnt(4)
	s_delay_alu instid0(VALU_DEP_1) | instskip(SKIP_1) | instid1(VALU_DEP_1)
	v_fma_f64 v[83:84], v[85:86], v[103:104], v[83:84]
	s_waitcnt lgkmcnt(0)
	v_fma_f64 v[87:88], v[87:88], v[105:106], v[83:84]
	scratch_load_b128 v[83:86], off, off offset:272
	s_waitcnt vmcnt(4)
	v_fma_f64 v[105:106], v[89:90], v[107:108], v[87:88]
	ds_load_2addr_b64 v[87:90], v1 offset0:65 offset1:66
	ds_load_2addr_b64 v[101:104], v1 offset0:67 offset1:68
	s_waitcnt lgkmcnt(1)
	v_fma_f64 v[87:88], v[91:92], v[87:88], v[105:106]
	scratch_load_b128 v[105:108], off, off offset:288
	s_waitcnt vmcnt(4)
	v_fma_f64 v[87:88], v[93:94], v[89:90], v[87:88]
	s_waitcnt lgkmcnt(0)
	s_delay_alu instid0(VALU_DEP_1) | instskip(SKIP_1) | instid1(VALU_DEP_1)
	v_fma_f64 v[87:88], v[95:96], v[101:102], v[87:88]
	s_waitcnt vmcnt(3)
	v_fma_f64 v[95:96], v[97:98], v[103:104], v[87:88]
	ds_load_2addr_b64 v[87:90], v1 offset0:69 offset1:70
	ds_load_2addr_b64 v[91:94], v1 offset0:71 offset1:72
	s_waitcnt lgkmcnt(1)
	v_fma_f64 v[87:88], v[99:100], v[87:88], v[95:96]
	s_waitcnt vmcnt(2)
	s_delay_alu instid0(VALU_DEP_1) | instskip(SKIP_1) | instid1(VALU_DEP_1)
	v_fma_f64 v[87:88], v[109:110], v[89:90], v[87:88]
	s_waitcnt lgkmcnt(0)
	v_fma_f64 v[87:88], v[111:112], v[91:92], v[87:88]
	s_waitcnt vmcnt(1)
	s_delay_alu instid0(VALU_DEP_1)
	v_fma_f64 v[83:84], v[83:84], v[93:94], v[87:88]
	ds_load_2addr_b64 v[87:90], v1 offset0:73 offset1:74
	ds_load_b64 v[91:92], v1 offset:600
	s_waitcnt lgkmcnt(1)
	v_fma_f64 v[83:84], v[85:86], v[87:88], v[83:84]
	s_waitcnt vmcnt(0)
	s_delay_alu instid0(VALU_DEP_1) | instskip(SKIP_1) | instid1(VALU_DEP_1)
	v_fma_f64 v[83:84], v[105:106], v[89:90], v[83:84]
	s_waitcnt lgkmcnt(0)
	v_fma_f64 v[83:84], v[107:108], v[91:92], v[83:84]
	s_delay_alu instid0(VALU_DEP_1)
	v_add_f64 v[81:82], v[81:82], -v[83:84]
	scratch_store_b64 off, v[81:82], off offset:176
	v_cmpx_lt_u32_e32 21, v0
	s_cbranch_execz .LBB37_195
; %bb.194:
	scratch_load_b64 v[81:82], off, off offset:168
	v_mov_b32_e32 v2, v1
	scratch_store_b64 off, v[1:2], off offset:168
	s_waitcnt vmcnt(0)
	ds_store_b64 v3, v[81:82]
.LBB37_195:
	s_or_b32 exec_lo, exec_lo, s0
	s_waitcnt lgkmcnt(0)
	s_waitcnt_vscnt null, 0x0
	s_barrier
	buffer_gl0_inv
	s_clause 0x4
	scratch_load_b128 v[81:84], off, off offset:168
	scratch_load_b128 v[85:88], off, off offset:184
	scratch_load_b128 v[89:92], off, off offset:200
	scratch_load_b128 v[93:96], off, off offset:216
	scratch_load_b128 v[97:100], off, off offset:232
	ds_load_b128 v[101:104], v1 offset:480
	ds_load_b128 v[105:108], v1 offset:496
	scratch_load_b128 v[109:112], off, off offset:248
	s_mov_b32 s0, exec_lo
	s_waitcnt vmcnt(5) lgkmcnt(1)
	v_fma_f64 v[83:84], v[83:84], v[101:102], 0
	s_waitcnt vmcnt(4)
	s_delay_alu instid0(VALU_DEP_1) | instskip(SKIP_1) | instid1(VALU_DEP_1)
	v_fma_f64 v[83:84], v[85:86], v[103:104], v[83:84]
	s_waitcnt lgkmcnt(0)
	v_fma_f64 v[87:88], v[87:88], v[105:106], v[83:84]
	scratch_load_b128 v[83:86], off, off offset:264
	s_waitcnt vmcnt(4)
	v_fma_f64 v[105:106], v[89:90], v[107:108], v[87:88]
	ds_load_b128 v[87:90], v1 offset:512
	ds_load_b128 v[101:104], v1 offset:528
	s_waitcnt lgkmcnt(1)
	v_fma_f64 v[87:88], v[91:92], v[87:88], v[105:106]
	scratch_load_b128 v[105:108], off, off offset:280
	s_waitcnt vmcnt(4)
	v_fma_f64 v[87:88], v[93:94], v[89:90], v[87:88]
	s_waitcnt lgkmcnt(0)
	s_delay_alu instid0(VALU_DEP_1)
	v_fma_f64 v[87:88], v[95:96], v[101:102], v[87:88]
	scratch_load_b64 v[95:96], off, off offset:296
	s_waitcnt vmcnt(4)
	v_fma_f64 v[97:98], v[97:98], v[103:104], v[87:88]
	ds_load_b128 v[87:90], v1 offset:544
	ds_load_b128 v[91:94], v1 offset:560
	s_waitcnt lgkmcnt(1)
	v_fma_f64 v[87:88], v[99:100], v[87:88], v[97:98]
	s_waitcnt vmcnt(3)
	s_delay_alu instid0(VALU_DEP_1) | instskip(SKIP_1) | instid1(VALU_DEP_1)
	v_fma_f64 v[87:88], v[109:110], v[89:90], v[87:88]
	s_waitcnt lgkmcnt(0)
	v_fma_f64 v[87:88], v[111:112], v[91:92], v[87:88]
	s_waitcnt vmcnt(2)
	s_delay_alu instid0(VALU_DEP_1)
	v_fma_f64 v[83:84], v[83:84], v[93:94], v[87:88]
	ds_load_b128 v[87:90], v1 offset:576
	ds_load_b128 v[91:94], v1 offset:592
	s_waitcnt lgkmcnt(1)
	v_fma_f64 v[1:2], v[85:86], v[87:88], v[83:84]
	s_waitcnt vmcnt(1)
	s_delay_alu instid0(VALU_DEP_1) | instskip(SKIP_1) | instid1(VALU_DEP_1)
	v_fma_f64 v[1:2], v[105:106], v[89:90], v[1:2]
	s_waitcnt lgkmcnt(0)
	v_fma_f64 v[1:2], v[107:108], v[91:92], v[1:2]
	s_waitcnt vmcnt(0)
	s_delay_alu instid0(VALU_DEP_1) | instskip(NEXT) | instid1(VALU_DEP_1)
	v_fma_f64 v[1:2], v[95:96], v[93:94], v[1:2]
	v_add_f64 v[1:2], v[81:82], -v[1:2]
	scratch_store_b64 off, v[1:2], off offset:168
	v_cmpx_lt_u32_e32 20, v0
	s_cbranch_execz .LBB37_197
; %bb.196:
	scratch_load_b64 v[1:2], off, off offset:160
	v_mov_b32_e32 v81, 0
	s_delay_alu instid0(VALU_DEP_1)
	v_mov_b32_e32 v82, v81
	scratch_store_b64 off, v[81:82], off offset:160
	s_waitcnt vmcnt(0)
	ds_store_b64 v3, v[1:2]
.LBB37_197:
	s_or_b32 exec_lo, exec_lo, s0
	s_waitcnt lgkmcnt(0)
	s_waitcnt_vscnt null, 0x0
	s_barrier
	buffer_gl0_inv
	s_clause 0x4
	scratch_load_b128 v[81:84], off, off offset:160
	scratch_load_b128 v[85:88], off, off offset:176
	;; [unrolled: 1-line block ×5, first 2 shown]
	v_mov_b32_e32 v1, 0
	ds_load_2addr_b64 v[101:104], v1 offset0:59 offset1:60
	ds_load_2addr_b64 v[105:108], v1 offset0:61 offset1:62
	scratch_load_b128 v[109:112], off, off offset:240
	s_mov_b32 s0, exec_lo
	s_waitcnt vmcnt(5) lgkmcnt(1)
	v_fma_f64 v[83:84], v[83:84], v[101:102], 0
	s_waitcnt vmcnt(4)
	s_delay_alu instid0(VALU_DEP_1) | instskip(SKIP_1) | instid1(VALU_DEP_1)
	v_fma_f64 v[83:84], v[85:86], v[103:104], v[83:84]
	s_waitcnt lgkmcnt(0)
	v_fma_f64 v[87:88], v[87:88], v[105:106], v[83:84]
	scratch_load_b128 v[83:86], off, off offset:256
	s_waitcnt vmcnt(4)
	v_fma_f64 v[105:106], v[89:90], v[107:108], v[87:88]
	ds_load_2addr_b64 v[87:90], v1 offset0:63 offset1:64
	ds_load_2addr_b64 v[101:104], v1 offset0:65 offset1:66
	s_waitcnt lgkmcnt(1)
	v_fma_f64 v[87:88], v[91:92], v[87:88], v[105:106]
	scratch_load_b128 v[105:108], off, off offset:272
	s_waitcnt vmcnt(4)
	v_fma_f64 v[87:88], v[93:94], v[89:90], v[87:88]
	s_waitcnt lgkmcnt(0)
	s_delay_alu instid0(VALU_DEP_1)
	v_fma_f64 v[91:92], v[95:96], v[101:102], v[87:88]
	scratch_load_b128 v[87:90], off, off offset:288
	s_waitcnt vmcnt(4)
	v_fma_f64 v[101:102], v[97:98], v[103:104], v[91:92]
	ds_load_2addr_b64 v[91:94], v1 offset0:67 offset1:68
	ds_load_2addr_b64 v[95:98], v1 offset0:69 offset1:70
	s_waitcnt lgkmcnt(1)
	v_fma_f64 v[91:92], v[99:100], v[91:92], v[101:102]
	s_waitcnt vmcnt(3)
	s_delay_alu instid0(VALU_DEP_1) | instskip(SKIP_1) | instid1(VALU_DEP_1)
	v_fma_f64 v[91:92], v[109:110], v[93:94], v[91:92]
	s_waitcnt lgkmcnt(0)
	v_fma_f64 v[91:92], v[111:112], v[95:96], v[91:92]
	s_waitcnt vmcnt(2)
	s_delay_alu instid0(VALU_DEP_1)
	v_fma_f64 v[83:84], v[83:84], v[97:98], v[91:92]
	ds_load_2addr_b64 v[91:94], v1 offset0:71 offset1:72
	ds_load_2addr_b64 v[95:98], v1 offset0:73 offset1:74
	s_waitcnt lgkmcnt(1)
	v_fma_f64 v[83:84], v[85:86], v[91:92], v[83:84]
	ds_load_b64 v[85:86], v1 offset:600
	s_waitcnt vmcnt(1)
	v_fma_f64 v[83:84], v[105:106], v[93:94], v[83:84]
	s_waitcnt lgkmcnt(1)
	s_delay_alu instid0(VALU_DEP_1) | instskip(SKIP_1) | instid1(VALU_DEP_1)
	v_fma_f64 v[83:84], v[107:108], v[95:96], v[83:84]
	s_waitcnt vmcnt(0)
	v_fma_f64 v[83:84], v[87:88], v[97:98], v[83:84]
	s_waitcnt lgkmcnt(0)
	s_delay_alu instid0(VALU_DEP_1) | instskip(NEXT) | instid1(VALU_DEP_1)
	v_fma_f64 v[83:84], v[89:90], v[85:86], v[83:84]
	v_add_f64 v[81:82], v[81:82], -v[83:84]
	scratch_store_b64 off, v[81:82], off offset:160
	v_cmpx_lt_u32_e32 19, v0
	s_cbranch_execz .LBB37_199
; %bb.198:
	scratch_load_b64 v[81:82], off, off offset:152
	v_mov_b32_e32 v2, v1
	scratch_store_b64 off, v[1:2], off offset:152
	s_waitcnt vmcnt(0)
	ds_store_b64 v3, v[81:82]
.LBB37_199:
	s_or_b32 exec_lo, exec_lo, s0
	s_waitcnt lgkmcnt(0)
	s_waitcnt_vscnt null, 0x0
	s_barrier
	buffer_gl0_inv
	s_clause 0x4
	scratch_load_b128 v[81:84], off, off offset:152
	scratch_load_b128 v[85:88], off, off offset:168
	;; [unrolled: 1-line block ×5, first 2 shown]
	ds_load_b128 v[101:104], v1 offset:464
	ds_load_b128 v[105:108], v1 offset:480
	scratch_load_b128 v[109:112], off, off offset:232
	s_mov_b32 s0, exec_lo
	s_waitcnt vmcnt(5) lgkmcnt(1)
	v_fma_f64 v[83:84], v[83:84], v[101:102], 0
	s_waitcnt vmcnt(4)
	s_delay_alu instid0(VALU_DEP_1) | instskip(SKIP_1) | instid1(VALU_DEP_1)
	v_fma_f64 v[83:84], v[85:86], v[103:104], v[83:84]
	s_waitcnt lgkmcnt(0)
	v_fma_f64 v[87:88], v[87:88], v[105:106], v[83:84]
	scratch_load_b128 v[83:86], off, off offset:248
	s_waitcnt vmcnt(4)
	v_fma_f64 v[105:106], v[89:90], v[107:108], v[87:88]
	ds_load_b128 v[87:90], v1 offset:496
	ds_load_b128 v[101:104], v1 offset:512
	s_waitcnt lgkmcnt(1)
	v_fma_f64 v[87:88], v[91:92], v[87:88], v[105:106]
	scratch_load_b128 v[105:108], off, off offset:264
	s_waitcnt vmcnt(4)
	v_fma_f64 v[87:88], v[93:94], v[89:90], v[87:88]
	s_waitcnt lgkmcnt(0)
	s_delay_alu instid0(VALU_DEP_1)
	v_fma_f64 v[91:92], v[95:96], v[101:102], v[87:88]
	scratch_load_b128 v[87:90], off, off offset:280
	s_waitcnt vmcnt(4)
	v_fma_f64 v[101:102], v[97:98], v[103:104], v[91:92]
	ds_load_b128 v[91:94], v1 offset:528
	ds_load_b128 v[95:98], v1 offset:544
	s_waitcnt lgkmcnt(1)
	v_fma_f64 v[91:92], v[99:100], v[91:92], v[101:102]
	scratch_load_b64 v[99:100], off, off offset:296
	s_waitcnt vmcnt(4)
	v_fma_f64 v[91:92], v[109:110], v[93:94], v[91:92]
	s_waitcnt lgkmcnt(0)
	s_delay_alu instid0(VALU_DEP_1) | instskip(SKIP_1) | instid1(VALU_DEP_1)
	v_fma_f64 v[91:92], v[111:112], v[95:96], v[91:92]
	s_waitcnt vmcnt(3)
	v_fma_f64 v[83:84], v[83:84], v[97:98], v[91:92]
	ds_load_b128 v[91:94], v1 offset:560
	ds_load_b128 v[95:98], v1 offset:576
	s_waitcnt lgkmcnt(1)
	v_fma_f64 v[83:84], v[85:86], v[91:92], v[83:84]
	s_waitcnt vmcnt(2)
	s_delay_alu instid0(VALU_DEP_1) | instskip(SKIP_1) | instid1(VALU_DEP_1)
	v_fma_f64 v[83:84], v[105:106], v[93:94], v[83:84]
	s_waitcnt lgkmcnt(0)
	v_fma_f64 v[83:84], v[107:108], v[95:96], v[83:84]
	s_waitcnt vmcnt(1)
	s_delay_alu instid0(VALU_DEP_1) | instskip(SKIP_4) | instid1(VALU_DEP_1)
	v_fma_f64 v[87:88], v[87:88], v[97:98], v[83:84]
	ds_load_b128 v[83:86], v1 offset:592
	s_waitcnt lgkmcnt(0)
	v_fma_f64 v[1:2], v[89:90], v[83:84], v[87:88]
	s_waitcnt vmcnt(0)
	v_fma_f64 v[1:2], v[99:100], v[85:86], v[1:2]
	s_delay_alu instid0(VALU_DEP_1)
	v_add_f64 v[1:2], v[81:82], -v[1:2]
	scratch_store_b64 off, v[1:2], off offset:152
	v_cmpx_lt_u32_e32 18, v0
	s_cbranch_execz .LBB37_201
; %bb.200:
	scratch_load_b64 v[1:2], off, off offset:144
	v_mov_b32_e32 v81, 0
	s_delay_alu instid0(VALU_DEP_1)
	v_mov_b32_e32 v82, v81
	scratch_store_b64 off, v[81:82], off offset:144
	s_waitcnt vmcnt(0)
	ds_store_b64 v3, v[1:2]
.LBB37_201:
	s_or_b32 exec_lo, exec_lo, s0
	s_waitcnt lgkmcnt(0)
	s_waitcnt_vscnt null, 0x0
	s_barrier
	buffer_gl0_inv
	s_clause 0x4
	scratch_load_b128 v[81:84], off, off offset:144
	scratch_load_b128 v[85:88], off, off offset:160
	;; [unrolled: 1-line block ×5, first 2 shown]
	v_mov_b32_e32 v1, 0
	ds_load_2addr_b64 v[101:104], v1 offset0:57 offset1:58
	ds_load_2addr_b64 v[105:108], v1 offset0:59 offset1:60
	scratch_load_b128 v[109:112], off, off offset:224
	s_mov_b32 s0, exec_lo
	s_waitcnt vmcnt(5) lgkmcnt(1)
	v_fma_f64 v[83:84], v[83:84], v[101:102], 0
	s_waitcnt vmcnt(4)
	s_delay_alu instid0(VALU_DEP_1) | instskip(SKIP_1) | instid1(VALU_DEP_1)
	v_fma_f64 v[83:84], v[85:86], v[103:104], v[83:84]
	s_waitcnt lgkmcnt(0)
	v_fma_f64 v[87:88], v[87:88], v[105:106], v[83:84]
	scratch_load_b128 v[83:86], off, off offset:240
	s_waitcnt vmcnt(4)
	v_fma_f64 v[105:106], v[89:90], v[107:108], v[87:88]
	ds_load_2addr_b64 v[87:90], v1 offset0:61 offset1:62
	ds_load_2addr_b64 v[101:104], v1 offset0:63 offset1:64
	s_waitcnt lgkmcnt(1)
	v_fma_f64 v[87:88], v[91:92], v[87:88], v[105:106]
	scratch_load_b128 v[105:108], off, off offset:256
	s_waitcnt vmcnt(4)
	v_fma_f64 v[87:88], v[93:94], v[89:90], v[87:88]
	s_waitcnt lgkmcnt(0)
	s_delay_alu instid0(VALU_DEP_1)
	v_fma_f64 v[91:92], v[95:96], v[101:102], v[87:88]
	scratch_load_b128 v[87:90], off, off offset:272
	s_waitcnt vmcnt(4)
	v_fma_f64 v[101:102], v[97:98], v[103:104], v[91:92]
	ds_load_2addr_b64 v[91:94], v1 offset0:65 offset1:66
	ds_load_2addr_b64 v[95:98], v1 offset0:67 offset1:68
	s_waitcnt lgkmcnt(1)
	v_fma_f64 v[91:92], v[99:100], v[91:92], v[101:102]
	scratch_load_b128 v[99:102], off, off offset:288
	s_waitcnt vmcnt(4)
	v_fma_f64 v[91:92], v[109:110], v[93:94], v[91:92]
	s_waitcnt lgkmcnt(0)
	s_delay_alu instid0(VALU_DEP_1) | instskip(SKIP_1) | instid1(VALU_DEP_1)
	v_fma_f64 v[91:92], v[111:112], v[95:96], v[91:92]
	s_waitcnt vmcnt(3)
	v_fma_f64 v[83:84], v[83:84], v[97:98], v[91:92]
	ds_load_2addr_b64 v[91:94], v1 offset0:69 offset1:70
	ds_load_2addr_b64 v[95:98], v1 offset0:71 offset1:72
	s_waitcnt lgkmcnt(1)
	v_fma_f64 v[83:84], v[85:86], v[91:92], v[83:84]
	s_waitcnt vmcnt(2)
	s_delay_alu instid0(VALU_DEP_1) | instskip(SKIP_1) | instid1(VALU_DEP_1)
	v_fma_f64 v[83:84], v[105:106], v[93:94], v[83:84]
	s_waitcnt lgkmcnt(0)
	v_fma_f64 v[83:84], v[107:108], v[95:96], v[83:84]
	s_waitcnt vmcnt(1)
	s_delay_alu instid0(VALU_DEP_1)
	v_fma_f64 v[87:88], v[87:88], v[97:98], v[83:84]
	ds_load_2addr_b64 v[83:86], v1 offset0:73 offset1:74
	ds_load_b64 v[91:92], v1 offset:600
	s_waitcnt lgkmcnt(1)
	v_fma_f64 v[83:84], v[89:90], v[83:84], v[87:88]
	s_waitcnt vmcnt(0)
	s_delay_alu instid0(VALU_DEP_1) | instskip(SKIP_1) | instid1(VALU_DEP_1)
	v_fma_f64 v[83:84], v[99:100], v[85:86], v[83:84]
	s_waitcnt lgkmcnt(0)
	v_fma_f64 v[83:84], v[101:102], v[91:92], v[83:84]
	s_delay_alu instid0(VALU_DEP_1)
	v_add_f64 v[81:82], v[81:82], -v[83:84]
	scratch_store_b64 off, v[81:82], off offset:144
	v_cmpx_lt_u32_e32 17, v0
	s_cbranch_execz .LBB37_203
; %bb.202:
	scratch_load_b64 v[81:82], off, off offset:136
	v_mov_b32_e32 v2, v1
	scratch_store_b64 off, v[1:2], off offset:136
	s_waitcnt vmcnt(0)
	ds_store_b64 v3, v[81:82]
.LBB37_203:
	s_or_b32 exec_lo, exec_lo, s0
	s_waitcnt lgkmcnt(0)
	s_waitcnt_vscnt null, 0x0
	s_barrier
	buffer_gl0_inv
	s_clause 0x4
	scratch_load_b128 v[81:84], off, off offset:136
	scratch_load_b128 v[85:88], off, off offset:152
	;; [unrolled: 1-line block ×5, first 2 shown]
	ds_load_b128 v[101:104], v1 offset:448
	ds_load_b128 v[105:108], v1 offset:464
	scratch_load_b128 v[109:112], off, off offset:216
	s_mov_b32 s0, exec_lo
	s_waitcnt vmcnt(5) lgkmcnt(1)
	v_fma_f64 v[83:84], v[83:84], v[101:102], 0
	s_waitcnt vmcnt(4)
	s_delay_alu instid0(VALU_DEP_1) | instskip(SKIP_1) | instid1(VALU_DEP_1)
	v_fma_f64 v[83:84], v[85:86], v[103:104], v[83:84]
	s_waitcnt lgkmcnt(0)
	v_fma_f64 v[87:88], v[87:88], v[105:106], v[83:84]
	scratch_load_b128 v[83:86], off, off offset:232
	s_waitcnt vmcnt(4)
	v_fma_f64 v[105:106], v[89:90], v[107:108], v[87:88]
	ds_load_b128 v[87:90], v1 offset:480
	ds_load_b128 v[101:104], v1 offset:496
	s_waitcnt lgkmcnt(1)
	v_fma_f64 v[87:88], v[91:92], v[87:88], v[105:106]
	scratch_load_b128 v[105:108], off, off offset:248
	s_waitcnt vmcnt(4)
	v_fma_f64 v[87:88], v[93:94], v[89:90], v[87:88]
	s_waitcnt lgkmcnt(0)
	s_delay_alu instid0(VALU_DEP_1)
	v_fma_f64 v[91:92], v[95:96], v[101:102], v[87:88]
	scratch_load_b128 v[87:90], off, off offset:264
	s_waitcnt vmcnt(4)
	v_fma_f64 v[101:102], v[97:98], v[103:104], v[91:92]
	ds_load_b128 v[91:94], v1 offset:512
	ds_load_b128 v[95:98], v1 offset:528
	scratch_load_b64 v[103:104], off, off offset:296
	s_waitcnt lgkmcnt(1)
	v_fma_f64 v[91:92], v[99:100], v[91:92], v[101:102]
	scratch_load_b128 v[99:102], off, off offset:280
	s_waitcnt vmcnt(5)
	v_fma_f64 v[91:92], v[109:110], v[93:94], v[91:92]
	s_waitcnt lgkmcnt(0)
	s_delay_alu instid0(VALU_DEP_1) | instskip(SKIP_1) | instid1(VALU_DEP_1)
	v_fma_f64 v[91:92], v[111:112], v[95:96], v[91:92]
	s_waitcnt vmcnt(4)
	v_fma_f64 v[83:84], v[83:84], v[97:98], v[91:92]
	ds_load_b128 v[91:94], v1 offset:544
	ds_load_b128 v[95:98], v1 offset:560
	s_waitcnt lgkmcnt(1)
	v_fma_f64 v[83:84], v[85:86], v[91:92], v[83:84]
	s_waitcnt vmcnt(3)
	s_delay_alu instid0(VALU_DEP_1) | instskip(SKIP_1) | instid1(VALU_DEP_1)
	v_fma_f64 v[83:84], v[105:106], v[93:94], v[83:84]
	s_waitcnt lgkmcnt(0)
	v_fma_f64 v[83:84], v[107:108], v[95:96], v[83:84]
	s_waitcnt vmcnt(2)
	s_delay_alu instid0(VALU_DEP_1)
	v_fma_f64 v[87:88], v[87:88], v[97:98], v[83:84]
	ds_load_b128 v[83:86], v1 offset:576
	ds_load_b128 v[91:94], v1 offset:592
	s_waitcnt lgkmcnt(1)
	v_fma_f64 v[1:2], v[89:90], v[83:84], v[87:88]
	s_waitcnt vmcnt(0)
	s_delay_alu instid0(VALU_DEP_1) | instskip(SKIP_1) | instid1(VALU_DEP_1)
	v_fma_f64 v[1:2], v[99:100], v[85:86], v[1:2]
	s_waitcnt lgkmcnt(0)
	v_fma_f64 v[1:2], v[101:102], v[91:92], v[1:2]
	s_delay_alu instid0(VALU_DEP_1) | instskip(NEXT) | instid1(VALU_DEP_1)
	v_fma_f64 v[1:2], v[103:104], v[93:94], v[1:2]
	v_add_f64 v[1:2], v[81:82], -v[1:2]
	scratch_store_b64 off, v[1:2], off offset:136
	v_cmpx_lt_u32_e32 16, v0
	s_cbranch_execz .LBB37_205
; %bb.204:
	scratch_load_b64 v[1:2], off, off offset:128
	v_mov_b32_e32 v81, 0
	s_delay_alu instid0(VALU_DEP_1)
	v_mov_b32_e32 v82, v81
	scratch_store_b64 off, v[81:82], off offset:128
	s_waitcnt vmcnt(0)
	ds_store_b64 v3, v[1:2]
.LBB37_205:
	s_or_b32 exec_lo, exec_lo, s0
	s_waitcnt lgkmcnt(0)
	s_waitcnt_vscnt null, 0x0
	s_barrier
	buffer_gl0_inv
	s_clause 0x4
	scratch_load_b128 v[81:84], off, off offset:128
	scratch_load_b128 v[85:88], off, off offset:144
	scratch_load_b128 v[89:92], off, off offset:160
	scratch_load_b128 v[93:96], off, off offset:176
	scratch_load_b128 v[97:100], off, off offset:192
	v_mov_b32_e32 v1, 0
	ds_load_2addr_b64 v[101:104], v1 offset0:55 offset1:56
	ds_load_2addr_b64 v[105:108], v1 offset0:57 offset1:58
	scratch_load_b128 v[109:112], off, off offset:208
	s_mov_b32 s0, exec_lo
	s_waitcnt vmcnt(5) lgkmcnt(1)
	v_fma_f64 v[83:84], v[83:84], v[101:102], 0
	s_waitcnt vmcnt(4)
	s_delay_alu instid0(VALU_DEP_1) | instskip(SKIP_1) | instid1(VALU_DEP_1)
	v_fma_f64 v[83:84], v[85:86], v[103:104], v[83:84]
	s_waitcnt lgkmcnt(0)
	v_fma_f64 v[87:88], v[87:88], v[105:106], v[83:84]
	scratch_load_b128 v[83:86], off, off offset:224
	s_waitcnt vmcnt(4)
	v_fma_f64 v[105:106], v[89:90], v[107:108], v[87:88]
	ds_load_2addr_b64 v[87:90], v1 offset0:59 offset1:60
	ds_load_2addr_b64 v[101:104], v1 offset0:61 offset1:62
	s_waitcnt lgkmcnt(1)
	v_fma_f64 v[87:88], v[91:92], v[87:88], v[105:106]
	scratch_load_b128 v[105:108], off, off offset:240
	s_waitcnt vmcnt(4)
	v_fma_f64 v[87:88], v[93:94], v[89:90], v[87:88]
	s_waitcnt lgkmcnt(0)
	s_delay_alu instid0(VALU_DEP_1)
	v_fma_f64 v[91:92], v[95:96], v[101:102], v[87:88]
	scratch_load_b128 v[87:90], off, off offset:256
	s_waitcnt vmcnt(4)
	v_fma_f64 v[101:102], v[97:98], v[103:104], v[91:92]
	ds_load_2addr_b64 v[91:94], v1 offset0:63 offset1:64
	ds_load_2addr_b64 v[95:98], v1 offset0:65 offset1:66
	s_waitcnt lgkmcnt(1)
	v_fma_f64 v[91:92], v[99:100], v[91:92], v[101:102]
	scratch_load_b128 v[99:102], off, off offset:272
	s_waitcnt vmcnt(4)
	v_fma_f64 v[91:92], v[109:110], v[93:94], v[91:92]
	s_waitcnt lgkmcnt(0)
	s_delay_alu instid0(VALU_DEP_1)
	v_fma_f64 v[95:96], v[111:112], v[95:96], v[91:92]
	scratch_load_b128 v[91:94], off, off offset:288
	s_waitcnt vmcnt(4)
	v_fma_f64 v[83:84], v[83:84], v[97:98], v[95:96]
	ds_load_2addr_b64 v[95:98], v1 offset0:67 offset1:68
	ds_load_2addr_b64 v[109:112], v1 offset0:69 offset1:70
	s_waitcnt lgkmcnt(1)
	v_fma_f64 v[83:84], v[85:86], v[95:96], v[83:84]
	s_waitcnt vmcnt(3)
	s_delay_alu instid0(VALU_DEP_1) | instskip(SKIP_1) | instid1(VALU_DEP_1)
	v_fma_f64 v[83:84], v[105:106], v[97:98], v[83:84]
	s_waitcnt lgkmcnt(0)
	v_fma_f64 v[83:84], v[107:108], v[109:110], v[83:84]
	s_waitcnt vmcnt(2)
	s_delay_alu instid0(VALU_DEP_1)
	v_fma_f64 v[87:88], v[87:88], v[111:112], v[83:84]
	ds_load_2addr_b64 v[83:86], v1 offset0:71 offset1:72
	ds_load_2addr_b64 v[95:98], v1 offset0:73 offset1:74
	s_waitcnt lgkmcnt(1)
	v_fma_f64 v[83:84], v[89:90], v[83:84], v[87:88]
	s_waitcnt vmcnt(1)
	s_delay_alu instid0(VALU_DEP_1) | instskip(SKIP_4) | instid1(VALU_DEP_1)
	v_fma_f64 v[83:84], v[99:100], v[85:86], v[83:84]
	ds_load_b64 v[85:86], v1 offset:600
	s_waitcnt lgkmcnt(1)
	v_fma_f64 v[83:84], v[101:102], v[95:96], v[83:84]
	s_waitcnt vmcnt(0)
	v_fma_f64 v[83:84], v[91:92], v[97:98], v[83:84]
	s_waitcnt lgkmcnt(0)
	s_delay_alu instid0(VALU_DEP_1) | instskip(NEXT) | instid1(VALU_DEP_1)
	v_fma_f64 v[83:84], v[93:94], v[85:86], v[83:84]
	v_add_f64 v[81:82], v[81:82], -v[83:84]
	scratch_store_b64 off, v[81:82], off offset:128
	v_cmpx_lt_u32_e32 15, v0
	s_cbranch_execz .LBB37_207
; %bb.206:
	scratch_load_b64 v[81:82], off, off offset:120
	v_mov_b32_e32 v2, v1
	scratch_store_b64 off, v[1:2], off offset:120
	s_waitcnt vmcnt(0)
	ds_store_b64 v3, v[81:82]
.LBB37_207:
	s_or_b32 exec_lo, exec_lo, s0
	s_waitcnt lgkmcnt(0)
	s_waitcnt_vscnt null, 0x0
	s_barrier
	buffer_gl0_inv
	s_clause 0x4
	scratch_load_b128 v[81:84], off, off offset:120
	scratch_load_b128 v[85:88], off, off offset:136
	;; [unrolled: 1-line block ×5, first 2 shown]
	ds_load_b128 v[101:104], v1 offset:432
	ds_load_b128 v[105:108], v1 offset:448
	scratch_load_b128 v[109:112], off, off offset:200
	s_mov_b32 s0, exec_lo
	s_waitcnt vmcnt(5) lgkmcnt(1)
	v_fma_f64 v[83:84], v[83:84], v[101:102], 0
	s_waitcnt vmcnt(4)
	s_delay_alu instid0(VALU_DEP_1) | instskip(SKIP_1) | instid1(VALU_DEP_1)
	v_fma_f64 v[83:84], v[85:86], v[103:104], v[83:84]
	s_waitcnt lgkmcnt(0)
	v_fma_f64 v[87:88], v[87:88], v[105:106], v[83:84]
	scratch_load_b128 v[83:86], off, off offset:216
	s_waitcnt vmcnt(4)
	v_fma_f64 v[105:106], v[89:90], v[107:108], v[87:88]
	ds_load_b128 v[87:90], v1 offset:464
	ds_load_b128 v[101:104], v1 offset:480
	s_waitcnt lgkmcnt(1)
	v_fma_f64 v[87:88], v[91:92], v[87:88], v[105:106]
	scratch_load_b128 v[105:108], off, off offset:232
	s_waitcnt vmcnt(4)
	v_fma_f64 v[87:88], v[93:94], v[89:90], v[87:88]
	s_waitcnt lgkmcnt(0)
	s_delay_alu instid0(VALU_DEP_1)
	v_fma_f64 v[91:92], v[95:96], v[101:102], v[87:88]
	scratch_load_b128 v[87:90], off, off offset:248
	s_waitcnt vmcnt(4)
	v_fma_f64 v[101:102], v[97:98], v[103:104], v[91:92]
	ds_load_b128 v[91:94], v1 offset:496
	ds_load_b128 v[95:98], v1 offset:512
	s_waitcnt lgkmcnt(1)
	v_fma_f64 v[91:92], v[99:100], v[91:92], v[101:102]
	scratch_load_b128 v[99:102], off, off offset:264
	s_waitcnt vmcnt(4)
	v_fma_f64 v[91:92], v[109:110], v[93:94], v[91:92]
	s_waitcnt lgkmcnt(0)
	s_delay_alu instid0(VALU_DEP_1)
	v_fma_f64 v[95:96], v[111:112], v[95:96], v[91:92]
	scratch_load_b128 v[91:94], off, off offset:280
	s_waitcnt vmcnt(4)
	v_fma_f64 v[83:84], v[83:84], v[97:98], v[95:96]
	ds_load_b128 v[95:98], v1 offset:528
	ds_load_b128 v[109:112], v1 offset:544
	scratch_load_b64 v[103:104], off, off offset:296
	s_waitcnt lgkmcnt(1)
	v_fma_f64 v[83:84], v[85:86], v[95:96], v[83:84]
	s_waitcnt vmcnt(4)
	s_delay_alu instid0(VALU_DEP_1) | instskip(SKIP_1) | instid1(VALU_DEP_1)
	v_fma_f64 v[83:84], v[105:106], v[97:98], v[83:84]
	s_waitcnt lgkmcnt(0)
	v_fma_f64 v[83:84], v[107:108], v[109:110], v[83:84]
	s_waitcnt vmcnt(3)
	s_delay_alu instid0(VALU_DEP_1)
	v_fma_f64 v[87:88], v[87:88], v[111:112], v[83:84]
	ds_load_b128 v[83:86], v1 offset:560
	ds_load_b128 v[95:98], v1 offset:576
	s_waitcnt lgkmcnt(1)
	v_fma_f64 v[83:84], v[89:90], v[83:84], v[87:88]
	s_waitcnt vmcnt(2)
	s_delay_alu instid0(VALU_DEP_1) | instskip(SKIP_1) | instid1(VALU_DEP_1)
	v_fma_f64 v[83:84], v[99:100], v[85:86], v[83:84]
	s_waitcnt lgkmcnt(0)
	v_fma_f64 v[83:84], v[101:102], v[95:96], v[83:84]
	s_waitcnt vmcnt(1)
	s_delay_alu instid0(VALU_DEP_1) | instskip(SKIP_4) | instid1(VALU_DEP_1)
	v_fma_f64 v[87:88], v[91:92], v[97:98], v[83:84]
	ds_load_b128 v[83:86], v1 offset:592
	s_waitcnt lgkmcnt(0)
	v_fma_f64 v[1:2], v[93:94], v[83:84], v[87:88]
	s_waitcnt vmcnt(0)
	v_fma_f64 v[1:2], v[103:104], v[85:86], v[1:2]
	s_delay_alu instid0(VALU_DEP_1)
	v_add_f64 v[1:2], v[81:82], -v[1:2]
	scratch_store_b64 off, v[1:2], off offset:120
	v_cmpx_lt_u32_e32 14, v0
	s_cbranch_execz .LBB37_209
; %bb.208:
	scratch_load_b64 v[1:2], off, off offset:112
	v_mov_b32_e32 v81, 0
	s_delay_alu instid0(VALU_DEP_1)
	v_mov_b32_e32 v82, v81
	scratch_store_b64 off, v[81:82], off offset:112
	s_waitcnt vmcnt(0)
	ds_store_b64 v3, v[1:2]
.LBB37_209:
	s_or_b32 exec_lo, exec_lo, s0
	s_waitcnt lgkmcnt(0)
	s_waitcnt_vscnt null, 0x0
	s_barrier
	buffer_gl0_inv
	s_clause 0x4
	scratch_load_b128 v[81:84], off, off offset:112
	scratch_load_b128 v[85:88], off, off offset:128
	;; [unrolled: 1-line block ×5, first 2 shown]
	v_mov_b32_e32 v1, 0
	ds_load_2addr_b64 v[101:104], v1 offset0:53 offset1:54
	ds_load_2addr_b64 v[105:108], v1 offset0:55 offset1:56
	scratch_load_b128 v[109:112], off, off offset:192
	s_mov_b32 s0, exec_lo
	s_waitcnt vmcnt(5) lgkmcnt(1)
	v_fma_f64 v[83:84], v[83:84], v[101:102], 0
	s_waitcnt vmcnt(4)
	s_delay_alu instid0(VALU_DEP_1) | instskip(SKIP_1) | instid1(VALU_DEP_1)
	v_fma_f64 v[83:84], v[85:86], v[103:104], v[83:84]
	s_waitcnt lgkmcnt(0)
	v_fma_f64 v[87:88], v[87:88], v[105:106], v[83:84]
	scratch_load_b128 v[83:86], off, off offset:208
	s_waitcnt vmcnt(4)
	v_fma_f64 v[105:106], v[89:90], v[107:108], v[87:88]
	ds_load_2addr_b64 v[87:90], v1 offset0:57 offset1:58
	ds_load_2addr_b64 v[101:104], v1 offset0:59 offset1:60
	s_waitcnt lgkmcnt(1)
	v_fma_f64 v[87:88], v[91:92], v[87:88], v[105:106]
	scratch_load_b128 v[105:108], off, off offset:224
	s_waitcnt vmcnt(4)
	v_fma_f64 v[87:88], v[93:94], v[89:90], v[87:88]
	s_waitcnt lgkmcnt(0)
	s_delay_alu instid0(VALU_DEP_1)
	v_fma_f64 v[91:92], v[95:96], v[101:102], v[87:88]
	scratch_load_b128 v[87:90], off, off offset:240
	s_waitcnt vmcnt(4)
	v_fma_f64 v[101:102], v[97:98], v[103:104], v[91:92]
	ds_load_2addr_b64 v[91:94], v1 offset0:61 offset1:62
	ds_load_2addr_b64 v[95:98], v1 offset0:63 offset1:64
	s_waitcnt lgkmcnt(1)
	v_fma_f64 v[91:92], v[99:100], v[91:92], v[101:102]
	scratch_load_b128 v[99:102], off, off offset:256
	s_waitcnt vmcnt(4)
	v_fma_f64 v[91:92], v[109:110], v[93:94], v[91:92]
	s_waitcnt lgkmcnt(0)
	s_delay_alu instid0(VALU_DEP_1)
	v_fma_f64 v[95:96], v[111:112], v[95:96], v[91:92]
	scratch_load_b128 v[91:94], off, off offset:272
	s_waitcnt vmcnt(4)
	v_fma_f64 v[83:84], v[83:84], v[97:98], v[95:96]
	ds_load_2addr_b64 v[95:98], v1 offset0:65 offset1:66
	ds_load_2addr_b64 v[109:112], v1 offset0:67 offset1:68
	s_waitcnt lgkmcnt(1)
	v_fma_f64 v[95:96], v[85:86], v[95:96], v[83:84]
	scratch_load_b128 v[83:86], off, off offset:288
	s_waitcnt vmcnt(4)
	v_fma_f64 v[95:96], v[105:106], v[97:98], v[95:96]
	s_waitcnt lgkmcnt(0)
	s_delay_alu instid0(VALU_DEP_1) | instskip(SKIP_1) | instid1(VALU_DEP_1)
	v_fma_f64 v[95:96], v[107:108], v[109:110], v[95:96]
	s_waitcnt vmcnt(3)
	v_fma_f64 v[87:88], v[87:88], v[111:112], v[95:96]
	ds_load_2addr_b64 v[95:98], v1 offset0:69 offset1:70
	ds_load_2addr_b64 v[103:106], v1 offset0:71 offset1:72
	s_waitcnt lgkmcnt(1)
	v_fma_f64 v[87:88], v[89:90], v[95:96], v[87:88]
	s_waitcnt vmcnt(2)
	s_delay_alu instid0(VALU_DEP_1) | instskip(SKIP_1) | instid1(VALU_DEP_1)
	v_fma_f64 v[87:88], v[99:100], v[97:98], v[87:88]
	s_waitcnt lgkmcnt(0)
	v_fma_f64 v[87:88], v[101:102], v[103:104], v[87:88]
	s_waitcnt vmcnt(1)
	s_delay_alu instid0(VALU_DEP_1)
	v_fma_f64 v[91:92], v[91:92], v[105:106], v[87:88]
	ds_load_2addr_b64 v[87:90], v1 offset0:73 offset1:74
	ds_load_b64 v[95:96], v1 offset:600
	s_waitcnt lgkmcnt(1)
	v_fma_f64 v[87:88], v[93:94], v[87:88], v[91:92]
	s_waitcnt vmcnt(0)
	s_delay_alu instid0(VALU_DEP_1) | instskip(SKIP_1) | instid1(VALU_DEP_1)
	v_fma_f64 v[83:84], v[83:84], v[89:90], v[87:88]
	s_waitcnt lgkmcnt(0)
	v_fma_f64 v[83:84], v[85:86], v[95:96], v[83:84]
	s_delay_alu instid0(VALU_DEP_1)
	v_add_f64 v[81:82], v[81:82], -v[83:84]
	scratch_store_b64 off, v[81:82], off offset:112
	v_cmpx_lt_u32_e32 13, v0
	s_cbranch_execz .LBB37_211
; %bb.210:
	scratch_load_b64 v[81:82], off, off offset:104
	v_mov_b32_e32 v2, v1
	scratch_store_b64 off, v[1:2], off offset:104
	s_waitcnt vmcnt(0)
	ds_store_b64 v3, v[81:82]
.LBB37_211:
	s_or_b32 exec_lo, exec_lo, s0
	s_waitcnt lgkmcnt(0)
	s_waitcnt_vscnt null, 0x0
	s_barrier
	buffer_gl0_inv
	s_clause 0x4
	scratch_load_b128 v[81:84], off, off offset:104
	scratch_load_b128 v[85:88], off, off offset:120
	;; [unrolled: 1-line block ×5, first 2 shown]
	ds_load_b128 v[101:104], v1 offset:416
	ds_load_b128 v[105:108], v1 offset:432
	scratch_load_b128 v[109:112], off, off offset:184
	s_mov_b32 s0, exec_lo
	s_waitcnt vmcnt(5) lgkmcnt(1)
	v_fma_f64 v[83:84], v[83:84], v[101:102], 0
	s_waitcnt vmcnt(4)
	s_delay_alu instid0(VALU_DEP_1) | instskip(SKIP_1) | instid1(VALU_DEP_1)
	v_fma_f64 v[83:84], v[85:86], v[103:104], v[83:84]
	s_waitcnt lgkmcnt(0)
	v_fma_f64 v[87:88], v[87:88], v[105:106], v[83:84]
	scratch_load_b128 v[83:86], off, off offset:200
	s_waitcnt vmcnt(4)
	v_fma_f64 v[105:106], v[89:90], v[107:108], v[87:88]
	ds_load_b128 v[87:90], v1 offset:448
	ds_load_b128 v[101:104], v1 offset:464
	s_waitcnt lgkmcnt(1)
	v_fma_f64 v[87:88], v[91:92], v[87:88], v[105:106]
	scratch_load_b128 v[105:108], off, off offset:216
	s_waitcnt vmcnt(4)
	v_fma_f64 v[87:88], v[93:94], v[89:90], v[87:88]
	s_waitcnt lgkmcnt(0)
	s_delay_alu instid0(VALU_DEP_1)
	v_fma_f64 v[91:92], v[95:96], v[101:102], v[87:88]
	scratch_load_b128 v[87:90], off, off offset:232
	s_waitcnt vmcnt(4)
	v_fma_f64 v[101:102], v[97:98], v[103:104], v[91:92]
	ds_load_b128 v[91:94], v1 offset:480
	ds_load_b128 v[95:98], v1 offset:496
	s_waitcnt lgkmcnt(1)
	v_fma_f64 v[91:92], v[99:100], v[91:92], v[101:102]
	scratch_load_b128 v[99:102], off, off offset:248
	s_waitcnt vmcnt(4)
	v_fma_f64 v[91:92], v[109:110], v[93:94], v[91:92]
	s_waitcnt lgkmcnt(0)
	s_delay_alu instid0(VALU_DEP_1)
	;; [unrolled: 13-line block ×3, first 2 shown]
	v_fma_f64 v[95:96], v[107:108], v[109:110], v[95:96]
	scratch_load_b64 v[107:108], off, off offset:296
	s_waitcnt vmcnt(4)
	v_fma_f64 v[87:88], v[87:88], v[111:112], v[95:96]
	ds_load_b128 v[95:98], v1 offset:544
	ds_load_b128 v[103:106], v1 offset:560
	s_waitcnt lgkmcnt(1)
	v_fma_f64 v[87:88], v[89:90], v[95:96], v[87:88]
	s_waitcnt vmcnt(3)
	s_delay_alu instid0(VALU_DEP_1) | instskip(SKIP_1) | instid1(VALU_DEP_1)
	v_fma_f64 v[87:88], v[99:100], v[97:98], v[87:88]
	s_waitcnt lgkmcnt(0)
	v_fma_f64 v[87:88], v[101:102], v[103:104], v[87:88]
	s_waitcnt vmcnt(2)
	s_delay_alu instid0(VALU_DEP_1)
	v_fma_f64 v[91:92], v[91:92], v[105:106], v[87:88]
	ds_load_b128 v[87:90], v1 offset:576
	ds_load_b128 v[95:98], v1 offset:592
	s_waitcnt lgkmcnt(1)
	v_fma_f64 v[1:2], v[93:94], v[87:88], v[91:92]
	s_waitcnt vmcnt(1)
	s_delay_alu instid0(VALU_DEP_1) | instskip(SKIP_1) | instid1(VALU_DEP_1)
	v_fma_f64 v[1:2], v[83:84], v[89:90], v[1:2]
	s_waitcnt lgkmcnt(0)
	v_fma_f64 v[1:2], v[85:86], v[95:96], v[1:2]
	s_waitcnt vmcnt(0)
	s_delay_alu instid0(VALU_DEP_1) | instskip(NEXT) | instid1(VALU_DEP_1)
	v_fma_f64 v[1:2], v[107:108], v[97:98], v[1:2]
	v_add_f64 v[1:2], v[81:82], -v[1:2]
	scratch_store_b64 off, v[1:2], off offset:104
	v_cmpx_lt_u32_e32 12, v0
	s_cbranch_execz .LBB37_213
; %bb.212:
	scratch_load_b64 v[1:2], off, off offset:96
	v_mov_b32_e32 v81, 0
	s_delay_alu instid0(VALU_DEP_1)
	v_mov_b32_e32 v82, v81
	scratch_store_b64 off, v[81:82], off offset:96
	s_waitcnt vmcnt(0)
	ds_store_b64 v3, v[1:2]
.LBB37_213:
	s_or_b32 exec_lo, exec_lo, s0
	s_waitcnt lgkmcnt(0)
	s_waitcnt_vscnt null, 0x0
	s_barrier
	buffer_gl0_inv
	s_clause 0x4
	scratch_load_b128 v[81:84], off, off offset:96
	scratch_load_b128 v[85:88], off, off offset:112
	;; [unrolled: 1-line block ×5, first 2 shown]
	v_mov_b32_e32 v1, 0
	ds_load_2addr_b64 v[101:104], v1 offset0:51 offset1:52
	ds_load_2addr_b64 v[105:108], v1 offset0:53 offset1:54
	scratch_load_b128 v[109:112], off, off offset:176
	s_mov_b32 s0, exec_lo
	s_waitcnt vmcnt(5) lgkmcnt(1)
	v_fma_f64 v[83:84], v[83:84], v[101:102], 0
	s_waitcnt vmcnt(4)
	s_delay_alu instid0(VALU_DEP_1) | instskip(SKIP_1) | instid1(VALU_DEP_1)
	v_fma_f64 v[83:84], v[85:86], v[103:104], v[83:84]
	s_waitcnt lgkmcnt(0)
	v_fma_f64 v[87:88], v[87:88], v[105:106], v[83:84]
	scratch_load_b128 v[83:86], off, off offset:192
	s_waitcnt vmcnt(4)
	v_fma_f64 v[105:106], v[89:90], v[107:108], v[87:88]
	ds_load_2addr_b64 v[87:90], v1 offset0:55 offset1:56
	ds_load_2addr_b64 v[101:104], v1 offset0:57 offset1:58
	s_waitcnt lgkmcnt(1)
	v_fma_f64 v[87:88], v[91:92], v[87:88], v[105:106]
	scratch_load_b128 v[105:108], off, off offset:208
	s_waitcnt vmcnt(4)
	v_fma_f64 v[87:88], v[93:94], v[89:90], v[87:88]
	s_waitcnt lgkmcnt(0)
	s_delay_alu instid0(VALU_DEP_1)
	v_fma_f64 v[91:92], v[95:96], v[101:102], v[87:88]
	scratch_load_b128 v[87:90], off, off offset:224
	s_waitcnt vmcnt(4)
	v_fma_f64 v[101:102], v[97:98], v[103:104], v[91:92]
	ds_load_2addr_b64 v[91:94], v1 offset0:59 offset1:60
	ds_load_2addr_b64 v[95:98], v1 offset0:61 offset1:62
	s_waitcnt lgkmcnt(1)
	v_fma_f64 v[91:92], v[99:100], v[91:92], v[101:102]
	scratch_load_b128 v[99:102], off, off offset:240
	s_waitcnt vmcnt(4)
	v_fma_f64 v[91:92], v[109:110], v[93:94], v[91:92]
	s_waitcnt lgkmcnt(0)
	s_delay_alu instid0(VALU_DEP_1)
	;; [unrolled: 13-line block ×3, first 2 shown]
	v_fma_f64 v[103:104], v[107:108], v[109:110], v[95:96]
	scratch_load_b128 v[95:98], off, off offset:288
	s_waitcnt vmcnt(4)
	v_fma_f64 v[87:88], v[87:88], v[111:112], v[103:104]
	ds_load_2addr_b64 v[103:106], v1 offset0:67 offset1:68
	ds_load_2addr_b64 v[107:110], v1 offset0:69 offset1:70
	s_waitcnt lgkmcnt(1)
	v_fma_f64 v[87:88], v[89:90], v[103:104], v[87:88]
	s_waitcnt vmcnt(3)
	s_delay_alu instid0(VALU_DEP_1) | instskip(SKIP_1) | instid1(VALU_DEP_1)
	v_fma_f64 v[87:88], v[99:100], v[105:106], v[87:88]
	s_waitcnt lgkmcnt(0)
	v_fma_f64 v[87:88], v[101:102], v[107:108], v[87:88]
	s_waitcnt vmcnt(2)
	s_delay_alu instid0(VALU_DEP_1)
	v_fma_f64 v[91:92], v[91:92], v[109:110], v[87:88]
	ds_load_2addr_b64 v[87:90], v1 offset0:71 offset1:72
	ds_load_2addr_b64 v[99:102], v1 offset0:73 offset1:74
	s_waitcnt lgkmcnt(1)
	v_fma_f64 v[87:88], v[93:94], v[87:88], v[91:92]
	s_waitcnt vmcnt(1)
	s_delay_alu instid0(VALU_DEP_1) | instskip(SKIP_1) | instid1(VALU_DEP_1)
	v_fma_f64 v[83:84], v[83:84], v[89:90], v[87:88]
	s_waitcnt lgkmcnt(0)
	v_fma_f64 v[83:84], v[85:86], v[99:100], v[83:84]
	ds_load_b64 v[85:86], v1 offset:600
	s_waitcnt vmcnt(0)
	v_fma_f64 v[83:84], v[95:96], v[101:102], v[83:84]
	s_waitcnt lgkmcnt(0)
	s_delay_alu instid0(VALU_DEP_1) | instskip(NEXT) | instid1(VALU_DEP_1)
	v_fma_f64 v[83:84], v[97:98], v[85:86], v[83:84]
	v_add_f64 v[81:82], v[81:82], -v[83:84]
	scratch_store_b64 off, v[81:82], off offset:96
	v_cmpx_lt_u32_e32 11, v0
	s_cbranch_execz .LBB37_215
; %bb.214:
	scratch_load_b64 v[81:82], off, off offset:88
	v_mov_b32_e32 v2, v1
	scratch_store_b64 off, v[1:2], off offset:88
	s_waitcnt vmcnt(0)
	ds_store_b64 v3, v[81:82]
.LBB37_215:
	s_or_b32 exec_lo, exec_lo, s0
	s_waitcnt lgkmcnt(0)
	s_waitcnt_vscnt null, 0x0
	s_barrier
	buffer_gl0_inv
	s_clause 0x4
	scratch_load_b128 v[81:84], off, off offset:88
	scratch_load_b128 v[85:88], off, off offset:104
	;; [unrolled: 1-line block ×5, first 2 shown]
	ds_load_b128 v[101:104], v1 offset:400
	ds_load_b128 v[105:108], v1 offset:416
	scratch_load_b128 v[109:112], off, off offset:168
	s_mov_b32 s0, exec_lo
	s_waitcnt vmcnt(5) lgkmcnt(1)
	v_fma_f64 v[83:84], v[83:84], v[101:102], 0
	s_waitcnt vmcnt(4)
	s_delay_alu instid0(VALU_DEP_1) | instskip(SKIP_1) | instid1(VALU_DEP_1)
	v_fma_f64 v[83:84], v[85:86], v[103:104], v[83:84]
	s_waitcnt lgkmcnt(0)
	v_fma_f64 v[87:88], v[87:88], v[105:106], v[83:84]
	scratch_load_b128 v[83:86], off, off offset:184
	s_waitcnt vmcnt(4)
	v_fma_f64 v[105:106], v[89:90], v[107:108], v[87:88]
	ds_load_b128 v[87:90], v1 offset:432
	ds_load_b128 v[101:104], v1 offset:448
	s_waitcnt lgkmcnt(1)
	v_fma_f64 v[87:88], v[91:92], v[87:88], v[105:106]
	scratch_load_b128 v[105:108], off, off offset:200
	s_waitcnt vmcnt(4)
	v_fma_f64 v[87:88], v[93:94], v[89:90], v[87:88]
	s_waitcnt lgkmcnt(0)
	s_delay_alu instid0(VALU_DEP_1)
	v_fma_f64 v[91:92], v[95:96], v[101:102], v[87:88]
	scratch_load_b128 v[87:90], off, off offset:216
	s_waitcnt vmcnt(4)
	v_fma_f64 v[101:102], v[97:98], v[103:104], v[91:92]
	ds_load_b128 v[91:94], v1 offset:464
	ds_load_b128 v[95:98], v1 offset:480
	s_waitcnt lgkmcnt(1)
	v_fma_f64 v[91:92], v[99:100], v[91:92], v[101:102]
	scratch_load_b128 v[99:102], off, off offset:232
	s_waitcnt vmcnt(4)
	v_fma_f64 v[91:92], v[109:110], v[93:94], v[91:92]
	s_waitcnt lgkmcnt(0)
	s_delay_alu instid0(VALU_DEP_1)
	;; [unrolled: 13-line block ×3, first 2 shown]
	v_fma_f64 v[103:104], v[107:108], v[109:110], v[95:96]
	scratch_load_b128 v[95:98], off, off offset:280
	s_waitcnt vmcnt(4)
	v_fma_f64 v[87:88], v[87:88], v[111:112], v[103:104]
	ds_load_b128 v[103:106], v1 offset:528
	ds_load_b128 v[107:110], v1 offset:544
	s_waitcnt lgkmcnt(1)
	v_fma_f64 v[87:88], v[89:90], v[103:104], v[87:88]
	scratch_load_b64 v[103:104], off, off offset:296
	s_waitcnt vmcnt(4)
	v_fma_f64 v[87:88], v[99:100], v[105:106], v[87:88]
	s_waitcnt lgkmcnt(0)
	s_delay_alu instid0(VALU_DEP_1) | instskip(SKIP_1) | instid1(VALU_DEP_1)
	v_fma_f64 v[87:88], v[101:102], v[107:108], v[87:88]
	s_waitcnt vmcnt(3)
	v_fma_f64 v[91:92], v[91:92], v[109:110], v[87:88]
	ds_load_b128 v[87:90], v1 offset:560
	ds_load_b128 v[99:102], v1 offset:576
	s_waitcnt lgkmcnt(1)
	v_fma_f64 v[87:88], v[93:94], v[87:88], v[91:92]
	s_waitcnt vmcnt(2)
	s_delay_alu instid0(VALU_DEP_1) | instskip(SKIP_1) | instid1(VALU_DEP_1)
	v_fma_f64 v[83:84], v[83:84], v[89:90], v[87:88]
	s_waitcnt lgkmcnt(0)
	v_fma_f64 v[83:84], v[85:86], v[99:100], v[83:84]
	s_waitcnt vmcnt(1)
	s_delay_alu instid0(VALU_DEP_1) | instskip(SKIP_4) | instid1(VALU_DEP_1)
	v_fma_f64 v[87:88], v[95:96], v[101:102], v[83:84]
	ds_load_b128 v[83:86], v1 offset:592
	s_waitcnt lgkmcnt(0)
	v_fma_f64 v[1:2], v[97:98], v[83:84], v[87:88]
	s_waitcnt vmcnt(0)
	v_fma_f64 v[1:2], v[103:104], v[85:86], v[1:2]
	s_delay_alu instid0(VALU_DEP_1)
	v_add_f64 v[1:2], v[81:82], -v[1:2]
	scratch_store_b64 off, v[1:2], off offset:88
	v_cmpx_lt_u32_e32 10, v0
	s_cbranch_execz .LBB37_217
; %bb.216:
	scratch_load_b64 v[1:2], off, off offset:80
	v_mov_b32_e32 v81, 0
	s_delay_alu instid0(VALU_DEP_1)
	v_mov_b32_e32 v82, v81
	scratch_store_b64 off, v[81:82], off offset:80
	s_waitcnt vmcnt(0)
	ds_store_b64 v3, v[1:2]
.LBB37_217:
	s_or_b32 exec_lo, exec_lo, s0
	s_waitcnt lgkmcnt(0)
	s_waitcnt_vscnt null, 0x0
	s_barrier
	buffer_gl0_inv
	s_clause 0x4
	scratch_load_b128 v[81:84], off, off offset:80
	scratch_load_b128 v[85:88], off, off offset:96
	;; [unrolled: 1-line block ×5, first 2 shown]
	v_mov_b32_e32 v1, 0
	ds_load_2addr_b64 v[101:104], v1 offset0:49 offset1:50
	ds_load_2addr_b64 v[105:108], v1 offset0:51 offset1:52
	scratch_load_b128 v[109:112], off, off offset:160
	s_mov_b32 s0, exec_lo
	s_waitcnt vmcnt(5) lgkmcnt(1)
	v_fma_f64 v[83:84], v[83:84], v[101:102], 0
	s_waitcnt vmcnt(4)
	s_delay_alu instid0(VALU_DEP_1) | instskip(SKIP_1) | instid1(VALU_DEP_1)
	v_fma_f64 v[83:84], v[85:86], v[103:104], v[83:84]
	s_waitcnt lgkmcnt(0)
	v_fma_f64 v[87:88], v[87:88], v[105:106], v[83:84]
	scratch_load_b128 v[83:86], off, off offset:176
	s_waitcnt vmcnt(4)
	v_fma_f64 v[105:106], v[89:90], v[107:108], v[87:88]
	ds_load_2addr_b64 v[87:90], v1 offset0:53 offset1:54
	ds_load_2addr_b64 v[101:104], v1 offset0:55 offset1:56
	s_waitcnt lgkmcnt(1)
	v_fma_f64 v[87:88], v[91:92], v[87:88], v[105:106]
	scratch_load_b128 v[105:108], off, off offset:192
	s_waitcnt vmcnt(4)
	v_fma_f64 v[87:88], v[93:94], v[89:90], v[87:88]
	s_waitcnt lgkmcnt(0)
	s_delay_alu instid0(VALU_DEP_1)
	v_fma_f64 v[91:92], v[95:96], v[101:102], v[87:88]
	scratch_load_b128 v[87:90], off, off offset:208
	s_waitcnt vmcnt(4)
	v_fma_f64 v[101:102], v[97:98], v[103:104], v[91:92]
	ds_load_2addr_b64 v[91:94], v1 offset0:57 offset1:58
	ds_load_2addr_b64 v[95:98], v1 offset0:59 offset1:60
	s_waitcnt lgkmcnt(1)
	v_fma_f64 v[91:92], v[99:100], v[91:92], v[101:102]
	scratch_load_b128 v[99:102], off, off offset:224
	s_waitcnt vmcnt(4)
	v_fma_f64 v[91:92], v[109:110], v[93:94], v[91:92]
	s_waitcnt lgkmcnt(0)
	s_delay_alu instid0(VALU_DEP_1)
	;; [unrolled: 13-line block ×3, first 2 shown]
	v_fma_f64 v[103:104], v[107:108], v[109:110], v[95:96]
	scratch_load_b128 v[95:98], off, off offset:272
	s_waitcnt vmcnt(4)
	v_fma_f64 v[87:88], v[87:88], v[111:112], v[103:104]
	ds_load_2addr_b64 v[103:106], v1 offset0:65 offset1:66
	ds_load_2addr_b64 v[107:110], v1 offset0:67 offset1:68
	s_waitcnt lgkmcnt(1)
	v_fma_f64 v[103:104], v[89:90], v[103:104], v[87:88]
	scratch_load_b128 v[87:90], off, off offset:288
	s_waitcnt vmcnt(4)
	v_fma_f64 v[99:100], v[99:100], v[105:106], v[103:104]
	s_waitcnt lgkmcnt(0)
	s_delay_alu instid0(VALU_DEP_1) | instskip(SKIP_1) | instid1(VALU_DEP_1)
	v_fma_f64 v[99:100], v[101:102], v[107:108], v[99:100]
	s_waitcnt vmcnt(3)
	v_fma_f64 v[91:92], v[91:92], v[109:110], v[99:100]
	ds_load_2addr_b64 v[99:102], v1 offset0:69 offset1:70
	ds_load_2addr_b64 v[103:106], v1 offset0:71 offset1:72
	s_waitcnt lgkmcnt(1)
	v_fma_f64 v[91:92], v[93:94], v[99:100], v[91:92]
	s_waitcnt vmcnt(2)
	s_delay_alu instid0(VALU_DEP_1) | instskip(SKIP_1) | instid1(VALU_DEP_1)
	v_fma_f64 v[83:84], v[83:84], v[101:102], v[91:92]
	s_waitcnt lgkmcnt(0)
	v_fma_f64 v[83:84], v[85:86], v[103:104], v[83:84]
	s_waitcnt vmcnt(1)
	s_delay_alu instid0(VALU_DEP_1)
	v_fma_f64 v[91:92], v[95:96], v[105:106], v[83:84]
	ds_load_2addr_b64 v[83:86], v1 offset0:73 offset1:74
	ds_load_b64 v[93:94], v1 offset:600
	s_waitcnt lgkmcnt(1)
	v_fma_f64 v[83:84], v[97:98], v[83:84], v[91:92]
	s_waitcnt vmcnt(0)
	s_delay_alu instid0(VALU_DEP_1) | instskip(SKIP_1) | instid1(VALU_DEP_1)
	v_fma_f64 v[83:84], v[87:88], v[85:86], v[83:84]
	s_waitcnt lgkmcnt(0)
	v_fma_f64 v[83:84], v[89:90], v[93:94], v[83:84]
	s_delay_alu instid0(VALU_DEP_1)
	v_add_f64 v[81:82], v[81:82], -v[83:84]
	scratch_store_b64 off, v[81:82], off offset:80
	v_cmpx_lt_u32_e32 9, v0
	s_cbranch_execz .LBB37_219
; %bb.218:
	scratch_load_b64 v[81:82], off, off offset:72
	v_mov_b32_e32 v2, v1
	scratch_store_b64 off, v[1:2], off offset:72
	s_waitcnt vmcnt(0)
	ds_store_b64 v3, v[81:82]
.LBB37_219:
	s_or_b32 exec_lo, exec_lo, s0
	s_waitcnt lgkmcnt(0)
	s_waitcnt_vscnt null, 0x0
	s_barrier
	buffer_gl0_inv
	s_clause 0x4
	scratch_load_b128 v[81:84], off, off offset:72
	scratch_load_b128 v[85:88], off, off offset:88
	;; [unrolled: 1-line block ×5, first 2 shown]
	ds_load_b128 v[101:104], v1 offset:384
	ds_load_b128 v[105:108], v1 offset:400
	scratch_load_b128 v[109:112], off, off offset:152
	s_mov_b32 s0, exec_lo
	s_waitcnt vmcnt(5) lgkmcnt(1)
	v_fma_f64 v[83:84], v[83:84], v[101:102], 0
	s_waitcnt vmcnt(4)
	s_delay_alu instid0(VALU_DEP_1) | instskip(SKIP_1) | instid1(VALU_DEP_1)
	v_fma_f64 v[83:84], v[85:86], v[103:104], v[83:84]
	s_waitcnt lgkmcnt(0)
	v_fma_f64 v[87:88], v[87:88], v[105:106], v[83:84]
	scratch_load_b128 v[83:86], off, off offset:168
	s_waitcnt vmcnt(4)
	v_fma_f64 v[105:106], v[89:90], v[107:108], v[87:88]
	ds_load_b128 v[87:90], v1 offset:416
	ds_load_b128 v[101:104], v1 offset:432
	s_waitcnt lgkmcnt(1)
	v_fma_f64 v[87:88], v[91:92], v[87:88], v[105:106]
	scratch_load_b128 v[105:108], off, off offset:184
	s_waitcnt vmcnt(4)
	v_fma_f64 v[87:88], v[93:94], v[89:90], v[87:88]
	s_waitcnt lgkmcnt(0)
	s_delay_alu instid0(VALU_DEP_1)
	v_fma_f64 v[91:92], v[95:96], v[101:102], v[87:88]
	scratch_load_b128 v[87:90], off, off offset:200
	s_waitcnt vmcnt(4)
	v_fma_f64 v[101:102], v[97:98], v[103:104], v[91:92]
	ds_load_b128 v[91:94], v1 offset:448
	ds_load_b128 v[95:98], v1 offset:464
	s_waitcnt lgkmcnt(1)
	v_fma_f64 v[91:92], v[99:100], v[91:92], v[101:102]
	scratch_load_b128 v[99:102], off, off offset:216
	s_waitcnt vmcnt(4)
	v_fma_f64 v[91:92], v[109:110], v[93:94], v[91:92]
	s_waitcnt lgkmcnt(0)
	s_delay_alu instid0(VALU_DEP_1)
	;; [unrolled: 13-line block ×4, first 2 shown]
	v_fma_f64 v[99:100], v[101:102], v[107:108], v[99:100]
	scratch_load_b64 v[107:108], off, off offset:296
	s_waitcnt vmcnt(4)
	v_fma_f64 v[91:92], v[91:92], v[109:110], v[99:100]
	ds_load_b128 v[99:102], v1 offset:544
	ds_load_b128 v[103:106], v1 offset:560
	s_waitcnt lgkmcnt(1)
	v_fma_f64 v[91:92], v[93:94], v[99:100], v[91:92]
	s_waitcnt vmcnt(3)
	s_delay_alu instid0(VALU_DEP_1) | instskip(SKIP_1) | instid1(VALU_DEP_1)
	v_fma_f64 v[83:84], v[83:84], v[101:102], v[91:92]
	s_waitcnt lgkmcnt(0)
	v_fma_f64 v[83:84], v[85:86], v[103:104], v[83:84]
	s_waitcnt vmcnt(2)
	s_delay_alu instid0(VALU_DEP_1)
	v_fma_f64 v[95:96], v[95:96], v[105:106], v[83:84]
	ds_load_b128 v[83:86], v1 offset:576
	ds_load_b128 v[91:94], v1 offset:592
	s_waitcnt lgkmcnt(1)
	v_fma_f64 v[1:2], v[97:98], v[83:84], v[95:96]
	s_waitcnt vmcnt(1)
	s_delay_alu instid0(VALU_DEP_1) | instskip(SKIP_1) | instid1(VALU_DEP_1)
	v_fma_f64 v[1:2], v[87:88], v[85:86], v[1:2]
	s_waitcnt lgkmcnt(0)
	v_fma_f64 v[1:2], v[89:90], v[91:92], v[1:2]
	s_waitcnt vmcnt(0)
	s_delay_alu instid0(VALU_DEP_1) | instskip(NEXT) | instid1(VALU_DEP_1)
	v_fma_f64 v[1:2], v[107:108], v[93:94], v[1:2]
	v_add_f64 v[1:2], v[81:82], -v[1:2]
	scratch_store_b64 off, v[1:2], off offset:72
	v_cmpx_lt_u32_e32 8, v0
	s_cbranch_execz .LBB37_221
; %bb.220:
	scratch_load_b64 v[1:2], off, off offset:64
	v_mov_b32_e32 v81, 0
	s_delay_alu instid0(VALU_DEP_1)
	v_mov_b32_e32 v82, v81
	scratch_store_b64 off, v[81:82], off offset:64
	s_waitcnt vmcnt(0)
	ds_store_b64 v3, v[1:2]
.LBB37_221:
	s_or_b32 exec_lo, exec_lo, s0
	s_waitcnt lgkmcnt(0)
	s_waitcnt_vscnt null, 0x0
	s_barrier
	buffer_gl0_inv
	s_clause 0x4
	scratch_load_b128 v[81:84], off, off offset:64
	scratch_load_b128 v[85:88], off, off offset:80
	;; [unrolled: 1-line block ×5, first 2 shown]
	v_mov_b32_e32 v1, 0
	ds_load_2addr_b64 v[101:104], v1 offset0:47 offset1:48
	ds_load_2addr_b64 v[105:108], v1 offset0:49 offset1:50
	scratch_load_b128 v[109:112], off, off offset:144
	s_mov_b32 s0, exec_lo
	s_waitcnt vmcnt(5) lgkmcnt(1)
	v_fma_f64 v[83:84], v[83:84], v[101:102], 0
	s_waitcnt vmcnt(4)
	s_delay_alu instid0(VALU_DEP_1) | instskip(SKIP_1) | instid1(VALU_DEP_1)
	v_fma_f64 v[83:84], v[85:86], v[103:104], v[83:84]
	s_waitcnt lgkmcnt(0)
	v_fma_f64 v[87:88], v[87:88], v[105:106], v[83:84]
	scratch_load_b128 v[83:86], off, off offset:160
	s_waitcnt vmcnt(4)
	v_fma_f64 v[105:106], v[89:90], v[107:108], v[87:88]
	ds_load_2addr_b64 v[87:90], v1 offset0:51 offset1:52
	ds_load_2addr_b64 v[101:104], v1 offset0:53 offset1:54
	s_waitcnt lgkmcnt(1)
	v_fma_f64 v[87:88], v[91:92], v[87:88], v[105:106]
	scratch_load_b128 v[105:108], off, off offset:176
	s_waitcnt vmcnt(4)
	v_fma_f64 v[87:88], v[93:94], v[89:90], v[87:88]
	s_waitcnt lgkmcnt(0)
	s_delay_alu instid0(VALU_DEP_1)
	v_fma_f64 v[91:92], v[95:96], v[101:102], v[87:88]
	scratch_load_b128 v[87:90], off, off offset:192
	s_waitcnt vmcnt(4)
	v_fma_f64 v[101:102], v[97:98], v[103:104], v[91:92]
	ds_load_2addr_b64 v[91:94], v1 offset0:55 offset1:56
	ds_load_2addr_b64 v[95:98], v1 offset0:57 offset1:58
	s_waitcnt lgkmcnt(1)
	v_fma_f64 v[91:92], v[99:100], v[91:92], v[101:102]
	scratch_load_b128 v[99:102], off, off offset:208
	s_waitcnt vmcnt(4)
	v_fma_f64 v[91:92], v[109:110], v[93:94], v[91:92]
	s_waitcnt lgkmcnt(0)
	s_delay_alu instid0(VALU_DEP_1)
	;; [unrolled: 13-line block ×4, first 2 shown]
	v_fma_f64 v[103:104], v[101:102], v[107:108], v[99:100]
	scratch_load_b128 v[99:102], off, off offset:288
	s_waitcnt vmcnt(4)
	v_fma_f64 v[91:92], v[91:92], v[109:110], v[103:104]
	ds_load_2addr_b64 v[103:106], v1 offset0:67 offset1:68
	ds_load_2addr_b64 v[107:110], v1 offset0:69 offset1:70
	s_waitcnt lgkmcnt(1)
	v_fma_f64 v[91:92], v[93:94], v[103:104], v[91:92]
	s_waitcnt vmcnt(3)
	s_delay_alu instid0(VALU_DEP_1) | instskip(SKIP_1) | instid1(VALU_DEP_1)
	v_fma_f64 v[83:84], v[83:84], v[105:106], v[91:92]
	s_waitcnt lgkmcnt(0)
	v_fma_f64 v[83:84], v[85:86], v[107:108], v[83:84]
	s_waitcnt vmcnt(2)
	s_delay_alu instid0(VALU_DEP_1)
	v_fma_f64 v[95:96], v[95:96], v[109:110], v[83:84]
	ds_load_2addr_b64 v[83:86], v1 offset0:71 offset1:72
	ds_load_2addr_b64 v[91:94], v1 offset0:73 offset1:74
	s_waitcnt lgkmcnt(1)
	v_fma_f64 v[83:84], v[97:98], v[83:84], v[95:96]
	s_waitcnt vmcnt(1)
	s_delay_alu instid0(VALU_DEP_1) | instskip(SKIP_4) | instid1(VALU_DEP_1)
	v_fma_f64 v[83:84], v[87:88], v[85:86], v[83:84]
	ds_load_b64 v[85:86], v1 offset:600
	s_waitcnt lgkmcnt(1)
	v_fma_f64 v[83:84], v[89:90], v[91:92], v[83:84]
	s_waitcnt vmcnt(0)
	v_fma_f64 v[83:84], v[99:100], v[93:94], v[83:84]
	s_waitcnt lgkmcnt(0)
	s_delay_alu instid0(VALU_DEP_1) | instskip(NEXT) | instid1(VALU_DEP_1)
	v_fma_f64 v[83:84], v[101:102], v[85:86], v[83:84]
	v_add_f64 v[81:82], v[81:82], -v[83:84]
	scratch_store_b64 off, v[81:82], off offset:64
	v_cmpx_lt_u32_e32 7, v0
	s_cbranch_execz .LBB37_223
; %bb.222:
	scratch_load_b64 v[81:82], off, off offset:56
	v_mov_b32_e32 v2, v1
	scratch_store_b64 off, v[1:2], off offset:56
	s_waitcnt vmcnt(0)
	ds_store_b64 v3, v[81:82]
.LBB37_223:
	s_or_b32 exec_lo, exec_lo, s0
	s_waitcnt lgkmcnt(0)
	s_waitcnt_vscnt null, 0x0
	s_barrier
	buffer_gl0_inv
	s_clause 0x4
	scratch_load_b128 v[81:84], off, off offset:56
	scratch_load_b128 v[85:88], off, off offset:72
	;; [unrolled: 1-line block ×5, first 2 shown]
	ds_load_b128 v[101:104], v1 offset:368
	ds_load_b128 v[105:108], v1 offset:384
	scratch_load_b128 v[109:112], off, off offset:136
	s_mov_b32 s0, exec_lo
	s_waitcnt vmcnt(5) lgkmcnt(1)
	v_fma_f64 v[83:84], v[83:84], v[101:102], 0
	s_waitcnt vmcnt(4)
	s_delay_alu instid0(VALU_DEP_1) | instskip(SKIP_1) | instid1(VALU_DEP_1)
	v_fma_f64 v[83:84], v[85:86], v[103:104], v[83:84]
	s_waitcnt lgkmcnt(0)
	v_fma_f64 v[87:88], v[87:88], v[105:106], v[83:84]
	scratch_load_b128 v[83:86], off, off offset:152
	s_waitcnt vmcnt(4)
	v_fma_f64 v[105:106], v[89:90], v[107:108], v[87:88]
	ds_load_b128 v[87:90], v1 offset:400
	ds_load_b128 v[101:104], v1 offset:416
	s_waitcnt lgkmcnt(1)
	v_fma_f64 v[87:88], v[91:92], v[87:88], v[105:106]
	scratch_load_b128 v[105:108], off, off offset:168
	s_waitcnt vmcnt(4)
	v_fma_f64 v[87:88], v[93:94], v[89:90], v[87:88]
	s_waitcnt lgkmcnt(0)
	s_delay_alu instid0(VALU_DEP_1)
	v_fma_f64 v[91:92], v[95:96], v[101:102], v[87:88]
	scratch_load_b128 v[87:90], off, off offset:184
	s_waitcnt vmcnt(4)
	v_fma_f64 v[101:102], v[97:98], v[103:104], v[91:92]
	ds_load_b128 v[91:94], v1 offset:432
	ds_load_b128 v[95:98], v1 offset:448
	s_waitcnt lgkmcnt(1)
	v_fma_f64 v[91:92], v[99:100], v[91:92], v[101:102]
	scratch_load_b128 v[99:102], off, off offset:200
	s_waitcnt vmcnt(4)
	v_fma_f64 v[91:92], v[109:110], v[93:94], v[91:92]
	s_waitcnt lgkmcnt(0)
	s_delay_alu instid0(VALU_DEP_1)
	;; [unrolled: 13-line block ×4, first 2 shown]
	v_fma_f64 v[103:104], v[101:102], v[107:108], v[99:100]
	scratch_load_b128 v[99:102], off, off offset:280
	s_waitcnt vmcnt(4)
	v_fma_f64 v[91:92], v[91:92], v[109:110], v[103:104]
	ds_load_b128 v[103:106], v1 offset:528
	ds_load_b128 v[107:110], v1 offset:544
	s_waitcnt lgkmcnt(1)
	v_fma_f64 v[91:92], v[93:94], v[103:104], v[91:92]
	scratch_load_b64 v[103:104], off, off offset:296
	s_waitcnt vmcnt(4)
	v_fma_f64 v[83:84], v[83:84], v[105:106], v[91:92]
	s_waitcnt lgkmcnt(0)
	s_delay_alu instid0(VALU_DEP_1) | instskip(SKIP_1) | instid1(VALU_DEP_1)
	v_fma_f64 v[83:84], v[85:86], v[107:108], v[83:84]
	s_waitcnt vmcnt(3)
	v_fma_f64 v[95:96], v[95:96], v[109:110], v[83:84]
	ds_load_b128 v[83:86], v1 offset:560
	ds_load_b128 v[91:94], v1 offset:576
	s_waitcnt lgkmcnt(1)
	v_fma_f64 v[83:84], v[97:98], v[83:84], v[95:96]
	s_waitcnt vmcnt(2)
	s_delay_alu instid0(VALU_DEP_1) | instskip(SKIP_1) | instid1(VALU_DEP_1)
	v_fma_f64 v[83:84], v[87:88], v[85:86], v[83:84]
	s_waitcnt lgkmcnt(0)
	v_fma_f64 v[83:84], v[89:90], v[91:92], v[83:84]
	s_waitcnt vmcnt(1)
	s_delay_alu instid0(VALU_DEP_1) | instskip(SKIP_4) | instid1(VALU_DEP_1)
	v_fma_f64 v[87:88], v[99:100], v[93:94], v[83:84]
	ds_load_b128 v[83:86], v1 offset:592
	s_waitcnt lgkmcnt(0)
	v_fma_f64 v[1:2], v[101:102], v[83:84], v[87:88]
	s_waitcnt vmcnt(0)
	v_fma_f64 v[1:2], v[103:104], v[85:86], v[1:2]
	s_delay_alu instid0(VALU_DEP_1)
	v_add_f64 v[1:2], v[81:82], -v[1:2]
	scratch_store_b64 off, v[1:2], off offset:56
	v_cmpx_lt_u32_e32 6, v0
	s_cbranch_execz .LBB37_225
; %bb.224:
	scratch_load_b64 v[1:2], off, off offset:48
	v_mov_b32_e32 v81, 0
	s_delay_alu instid0(VALU_DEP_1)
	v_mov_b32_e32 v82, v81
	scratch_store_b64 off, v[81:82], off offset:48
	s_waitcnt vmcnt(0)
	ds_store_b64 v3, v[1:2]
.LBB37_225:
	s_or_b32 exec_lo, exec_lo, s0
	s_waitcnt lgkmcnt(0)
	s_waitcnt_vscnt null, 0x0
	s_barrier
	buffer_gl0_inv
	s_clause 0x4
	scratch_load_b128 v[81:84], off, off offset:48
	scratch_load_b128 v[85:88], off, off offset:64
	;; [unrolled: 1-line block ×5, first 2 shown]
	v_mov_b32_e32 v1, 0
	ds_load_2addr_b64 v[101:104], v1 offset0:45 offset1:46
	ds_load_2addr_b64 v[105:108], v1 offset0:47 offset1:48
	scratch_load_b128 v[109:112], off, off offset:128
	s_mov_b32 s0, exec_lo
	s_waitcnt vmcnt(5) lgkmcnt(1)
	v_fma_f64 v[83:84], v[83:84], v[101:102], 0
	s_waitcnt vmcnt(4)
	s_delay_alu instid0(VALU_DEP_1) | instskip(SKIP_1) | instid1(VALU_DEP_1)
	v_fma_f64 v[83:84], v[85:86], v[103:104], v[83:84]
	s_waitcnt lgkmcnt(0)
	v_fma_f64 v[87:88], v[87:88], v[105:106], v[83:84]
	scratch_load_b128 v[83:86], off, off offset:144
	s_waitcnt vmcnt(4)
	v_fma_f64 v[105:106], v[89:90], v[107:108], v[87:88]
	ds_load_2addr_b64 v[87:90], v1 offset0:49 offset1:50
	ds_load_2addr_b64 v[101:104], v1 offset0:51 offset1:52
	s_waitcnt lgkmcnt(1)
	v_fma_f64 v[87:88], v[91:92], v[87:88], v[105:106]
	scratch_load_b128 v[105:108], off, off offset:160
	s_waitcnt vmcnt(4)
	v_fma_f64 v[87:88], v[93:94], v[89:90], v[87:88]
	s_waitcnt lgkmcnt(0)
	s_delay_alu instid0(VALU_DEP_1)
	v_fma_f64 v[91:92], v[95:96], v[101:102], v[87:88]
	scratch_load_b128 v[87:90], off, off offset:176
	s_waitcnt vmcnt(4)
	v_fma_f64 v[101:102], v[97:98], v[103:104], v[91:92]
	ds_load_2addr_b64 v[91:94], v1 offset0:53 offset1:54
	ds_load_2addr_b64 v[95:98], v1 offset0:55 offset1:56
	s_waitcnt lgkmcnt(1)
	v_fma_f64 v[91:92], v[99:100], v[91:92], v[101:102]
	scratch_load_b128 v[99:102], off, off offset:192
	s_waitcnt vmcnt(4)
	v_fma_f64 v[91:92], v[109:110], v[93:94], v[91:92]
	s_waitcnt lgkmcnt(0)
	s_delay_alu instid0(VALU_DEP_1)
	;; [unrolled: 13-line block ×4, first 2 shown]
	v_fma_f64 v[103:104], v[101:102], v[107:108], v[99:100]
	scratch_load_b128 v[99:102], off, off offset:272
	s_waitcnt vmcnt(4)
	v_fma_f64 v[91:92], v[91:92], v[109:110], v[103:104]
	ds_load_2addr_b64 v[103:106], v1 offset0:65 offset1:66
	ds_load_2addr_b64 v[107:110], v1 offset0:67 offset1:68
	s_waitcnt lgkmcnt(1)
	v_fma_f64 v[103:104], v[93:94], v[103:104], v[91:92]
	scratch_load_b128 v[91:94], off, off offset:288
	s_waitcnt vmcnt(4)
	v_fma_f64 v[83:84], v[83:84], v[105:106], v[103:104]
	s_waitcnt lgkmcnt(0)
	s_delay_alu instid0(VALU_DEP_1) | instskip(SKIP_1) | instid1(VALU_DEP_1)
	v_fma_f64 v[83:84], v[85:86], v[107:108], v[83:84]
	s_waitcnt vmcnt(3)
	v_fma_f64 v[95:96], v[95:96], v[109:110], v[83:84]
	ds_load_2addr_b64 v[83:86], v1 offset0:69 offset1:70
	ds_load_2addr_b64 v[103:106], v1 offset0:71 offset1:72
	s_waitcnt lgkmcnt(1)
	v_fma_f64 v[83:84], v[97:98], v[83:84], v[95:96]
	s_waitcnt vmcnt(2)
	s_delay_alu instid0(VALU_DEP_1) | instskip(SKIP_1) | instid1(VALU_DEP_1)
	v_fma_f64 v[83:84], v[87:88], v[85:86], v[83:84]
	s_waitcnt lgkmcnt(0)
	v_fma_f64 v[83:84], v[89:90], v[103:104], v[83:84]
	s_waitcnt vmcnt(1)
	s_delay_alu instid0(VALU_DEP_1)
	v_fma_f64 v[87:88], v[99:100], v[105:106], v[83:84]
	ds_load_2addr_b64 v[83:86], v1 offset0:73 offset1:74
	ds_load_b64 v[89:90], v1 offset:600
	s_waitcnt lgkmcnt(1)
	v_fma_f64 v[83:84], v[101:102], v[83:84], v[87:88]
	s_waitcnt vmcnt(0)
	s_delay_alu instid0(VALU_DEP_1) | instskip(SKIP_1) | instid1(VALU_DEP_1)
	v_fma_f64 v[83:84], v[91:92], v[85:86], v[83:84]
	s_waitcnt lgkmcnt(0)
	v_fma_f64 v[83:84], v[93:94], v[89:90], v[83:84]
	s_delay_alu instid0(VALU_DEP_1)
	v_add_f64 v[81:82], v[81:82], -v[83:84]
	scratch_store_b64 off, v[81:82], off offset:48
	v_cmpx_lt_u32_e32 5, v0
	s_cbranch_execz .LBB37_227
; %bb.226:
	scratch_load_b64 v[81:82], off, off offset:40
	v_mov_b32_e32 v2, v1
	scratch_store_b64 off, v[1:2], off offset:40
	s_waitcnt vmcnt(0)
	ds_store_b64 v3, v[81:82]
.LBB37_227:
	s_or_b32 exec_lo, exec_lo, s0
	s_waitcnt lgkmcnt(0)
	s_waitcnt_vscnt null, 0x0
	s_barrier
	buffer_gl0_inv
	s_clause 0x4
	scratch_load_b128 v[81:84], off, off offset:40
	scratch_load_b128 v[85:88], off, off offset:56
	;; [unrolled: 1-line block ×5, first 2 shown]
	ds_load_b128 v[101:104], v1 offset:352
	ds_load_b128 v[105:108], v1 offset:368
	scratch_load_b128 v[109:112], off, off offset:120
	s_mov_b32 s0, exec_lo
	s_waitcnt vmcnt(5) lgkmcnt(1)
	v_fma_f64 v[83:84], v[83:84], v[101:102], 0
	s_waitcnt vmcnt(4)
	s_delay_alu instid0(VALU_DEP_1) | instskip(SKIP_1) | instid1(VALU_DEP_1)
	v_fma_f64 v[83:84], v[85:86], v[103:104], v[83:84]
	s_waitcnt lgkmcnt(0)
	v_fma_f64 v[87:88], v[87:88], v[105:106], v[83:84]
	scratch_load_b128 v[83:86], off, off offset:136
	s_waitcnt vmcnt(4)
	v_fma_f64 v[105:106], v[89:90], v[107:108], v[87:88]
	ds_load_b128 v[87:90], v1 offset:384
	ds_load_b128 v[101:104], v1 offset:400
	s_waitcnt lgkmcnt(1)
	v_fma_f64 v[87:88], v[91:92], v[87:88], v[105:106]
	scratch_load_b128 v[105:108], off, off offset:152
	s_waitcnt vmcnt(4)
	v_fma_f64 v[87:88], v[93:94], v[89:90], v[87:88]
	s_waitcnt lgkmcnt(0)
	s_delay_alu instid0(VALU_DEP_1)
	v_fma_f64 v[91:92], v[95:96], v[101:102], v[87:88]
	scratch_load_b128 v[87:90], off, off offset:168
	s_waitcnt vmcnt(4)
	v_fma_f64 v[101:102], v[97:98], v[103:104], v[91:92]
	ds_load_b128 v[91:94], v1 offset:416
	ds_load_b128 v[95:98], v1 offset:432
	s_waitcnt lgkmcnt(1)
	v_fma_f64 v[91:92], v[99:100], v[91:92], v[101:102]
	scratch_load_b128 v[99:102], off, off offset:184
	s_waitcnt vmcnt(4)
	v_fma_f64 v[91:92], v[109:110], v[93:94], v[91:92]
	s_waitcnt lgkmcnt(0)
	s_delay_alu instid0(VALU_DEP_1)
	;; [unrolled: 13-line block ×5, first 2 shown]
	v_fma_f64 v[83:84], v[85:86], v[107:108], v[83:84]
	scratch_load_b64 v[107:108], off, off offset:296
	s_waitcnt vmcnt(4)
	v_fma_f64 v[95:96], v[95:96], v[109:110], v[83:84]
	ds_load_b128 v[83:86], v1 offset:544
	ds_load_b128 v[103:106], v1 offset:560
	s_waitcnt lgkmcnt(1)
	v_fma_f64 v[83:84], v[97:98], v[83:84], v[95:96]
	s_waitcnt vmcnt(3)
	s_delay_alu instid0(VALU_DEP_1) | instskip(SKIP_1) | instid1(VALU_DEP_1)
	v_fma_f64 v[83:84], v[87:88], v[85:86], v[83:84]
	s_waitcnt lgkmcnt(0)
	v_fma_f64 v[83:84], v[89:90], v[103:104], v[83:84]
	s_waitcnt vmcnt(2)
	s_delay_alu instid0(VALU_DEP_1)
	v_fma_f64 v[95:96], v[99:100], v[105:106], v[83:84]
	ds_load_b128 v[83:86], v1 offset:576
	ds_load_b128 v[87:90], v1 offset:592
	s_waitcnt lgkmcnt(1)
	v_fma_f64 v[1:2], v[101:102], v[83:84], v[95:96]
	s_waitcnt vmcnt(1)
	s_delay_alu instid0(VALU_DEP_1) | instskip(SKIP_1) | instid1(VALU_DEP_1)
	v_fma_f64 v[1:2], v[91:92], v[85:86], v[1:2]
	s_waitcnt lgkmcnt(0)
	v_fma_f64 v[1:2], v[93:94], v[87:88], v[1:2]
	s_waitcnt vmcnt(0)
	s_delay_alu instid0(VALU_DEP_1) | instskip(NEXT) | instid1(VALU_DEP_1)
	v_fma_f64 v[1:2], v[107:108], v[89:90], v[1:2]
	v_add_f64 v[1:2], v[81:82], -v[1:2]
	scratch_store_b64 off, v[1:2], off offset:40
	v_cmpx_lt_u32_e32 4, v0
	s_cbranch_execz .LBB37_229
; %bb.228:
	scratch_load_b64 v[1:2], off, off offset:32
	v_mov_b32_e32 v81, 0
	s_delay_alu instid0(VALU_DEP_1)
	v_mov_b32_e32 v82, v81
	scratch_store_b64 off, v[81:82], off offset:32
	s_waitcnt vmcnt(0)
	ds_store_b64 v3, v[1:2]
.LBB37_229:
	s_or_b32 exec_lo, exec_lo, s0
	s_waitcnt lgkmcnt(0)
	s_waitcnt_vscnt null, 0x0
	s_barrier
	buffer_gl0_inv
	s_clause 0x4
	scratch_load_b128 v[81:84], off, off offset:32
	scratch_load_b128 v[85:88], off, off offset:48
	;; [unrolled: 1-line block ×5, first 2 shown]
	v_mov_b32_e32 v1, 0
	ds_load_2addr_b64 v[101:104], v1 offset0:43 offset1:44
	ds_load_2addr_b64 v[105:108], v1 offset0:45 offset1:46
	scratch_load_b128 v[109:112], off, off offset:112
	s_mov_b32 s0, exec_lo
	s_waitcnt vmcnt(5) lgkmcnt(1)
	v_fma_f64 v[83:84], v[83:84], v[101:102], 0
	s_waitcnt vmcnt(4)
	s_delay_alu instid0(VALU_DEP_1) | instskip(SKIP_1) | instid1(VALU_DEP_1)
	v_fma_f64 v[83:84], v[85:86], v[103:104], v[83:84]
	s_waitcnt lgkmcnt(0)
	v_fma_f64 v[87:88], v[87:88], v[105:106], v[83:84]
	scratch_load_b128 v[83:86], off, off offset:128
	s_waitcnt vmcnt(4)
	v_fma_f64 v[105:106], v[89:90], v[107:108], v[87:88]
	ds_load_2addr_b64 v[87:90], v1 offset0:47 offset1:48
	ds_load_2addr_b64 v[101:104], v1 offset0:49 offset1:50
	s_waitcnt lgkmcnt(1)
	v_fma_f64 v[87:88], v[91:92], v[87:88], v[105:106]
	scratch_load_b128 v[105:108], off, off offset:144
	s_waitcnt vmcnt(4)
	v_fma_f64 v[87:88], v[93:94], v[89:90], v[87:88]
	s_waitcnt lgkmcnt(0)
	s_delay_alu instid0(VALU_DEP_1)
	v_fma_f64 v[91:92], v[95:96], v[101:102], v[87:88]
	scratch_load_b128 v[87:90], off, off offset:160
	s_waitcnt vmcnt(4)
	v_fma_f64 v[101:102], v[97:98], v[103:104], v[91:92]
	ds_load_2addr_b64 v[91:94], v1 offset0:51 offset1:52
	ds_load_2addr_b64 v[95:98], v1 offset0:53 offset1:54
	s_waitcnt lgkmcnt(1)
	v_fma_f64 v[91:92], v[99:100], v[91:92], v[101:102]
	scratch_load_b128 v[99:102], off, off offset:176
	s_waitcnt vmcnt(4)
	v_fma_f64 v[91:92], v[109:110], v[93:94], v[91:92]
	s_waitcnt lgkmcnt(0)
	s_delay_alu instid0(VALU_DEP_1)
	;; [unrolled: 13-line block ×5, first 2 shown]
	v_fma_f64 v[103:104], v[85:86], v[107:108], v[83:84]
	scratch_load_b128 v[83:86], off, off offset:288
	s_waitcnt vmcnt(4)
	v_fma_f64 v[95:96], v[95:96], v[109:110], v[103:104]
	ds_load_2addr_b64 v[103:106], v1 offset0:67 offset1:68
	ds_load_2addr_b64 v[107:110], v1 offset0:69 offset1:70
	s_waitcnt lgkmcnt(1)
	v_fma_f64 v[95:96], v[97:98], v[103:104], v[95:96]
	s_waitcnt vmcnt(3)
	s_delay_alu instid0(VALU_DEP_1) | instskip(SKIP_1) | instid1(VALU_DEP_1)
	v_fma_f64 v[87:88], v[87:88], v[105:106], v[95:96]
	s_waitcnt lgkmcnt(0)
	v_fma_f64 v[87:88], v[89:90], v[107:108], v[87:88]
	s_waitcnt vmcnt(2)
	s_delay_alu instid0(VALU_DEP_1)
	v_fma_f64 v[99:100], v[99:100], v[109:110], v[87:88]
	ds_load_2addr_b64 v[87:90], v1 offset0:71 offset1:72
	ds_load_2addr_b64 v[95:98], v1 offset0:73 offset1:74
	s_waitcnt lgkmcnt(1)
	v_fma_f64 v[87:88], v[101:102], v[87:88], v[99:100]
	s_waitcnt vmcnt(1)
	s_delay_alu instid0(VALU_DEP_1) | instskip(SKIP_1) | instid1(VALU_DEP_1)
	v_fma_f64 v[87:88], v[91:92], v[89:90], v[87:88]
	s_waitcnt lgkmcnt(0)
	v_fma_f64 v[87:88], v[93:94], v[95:96], v[87:88]
	s_waitcnt vmcnt(0)
	s_delay_alu instid0(VALU_DEP_1) | instskip(SKIP_3) | instid1(VALU_DEP_1)
	v_fma_f64 v[83:84], v[83:84], v[97:98], v[87:88]
	ds_load_b64 v[87:88], v1 offset:600
	s_waitcnt lgkmcnt(0)
	v_fma_f64 v[83:84], v[85:86], v[87:88], v[83:84]
	v_add_f64 v[81:82], v[81:82], -v[83:84]
	scratch_store_b64 off, v[81:82], off offset:32
	v_cmpx_lt_u32_e32 3, v0
	s_cbranch_execz .LBB37_231
; %bb.230:
	scratch_load_b64 v[81:82], off, off offset:24
	v_mov_b32_e32 v2, v1
	scratch_store_b64 off, v[1:2], off offset:24
	s_waitcnt vmcnt(0)
	ds_store_b64 v3, v[81:82]
.LBB37_231:
	s_or_b32 exec_lo, exec_lo, s0
	s_waitcnt lgkmcnt(0)
	s_waitcnt_vscnt null, 0x0
	s_barrier
	buffer_gl0_inv
	s_clause 0x4
	scratch_load_b128 v[81:84], off, off offset:24
	scratch_load_b128 v[85:88], off, off offset:40
	;; [unrolled: 1-line block ×5, first 2 shown]
	ds_load_b128 v[101:104], v1 offset:336
	ds_load_b128 v[105:108], v1 offset:352
	scratch_load_b128 v[109:112], off, off offset:104
	s_mov_b32 s0, exec_lo
	s_waitcnt vmcnt(5) lgkmcnt(1)
	v_fma_f64 v[83:84], v[83:84], v[101:102], 0
	s_waitcnt vmcnt(4)
	s_delay_alu instid0(VALU_DEP_1) | instskip(SKIP_1) | instid1(VALU_DEP_1)
	v_fma_f64 v[83:84], v[85:86], v[103:104], v[83:84]
	s_waitcnt lgkmcnt(0)
	v_fma_f64 v[87:88], v[87:88], v[105:106], v[83:84]
	scratch_load_b128 v[83:86], off, off offset:120
	s_waitcnt vmcnt(4)
	v_fma_f64 v[105:106], v[89:90], v[107:108], v[87:88]
	ds_load_b128 v[87:90], v1 offset:368
	ds_load_b128 v[101:104], v1 offset:384
	s_waitcnt lgkmcnt(1)
	v_fma_f64 v[87:88], v[91:92], v[87:88], v[105:106]
	scratch_load_b128 v[105:108], off, off offset:136
	s_waitcnt vmcnt(4)
	v_fma_f64 v[87:88], v[93:94], v[89:90], v[87:88]
	s_waitcnt lgkmcnt(0)
	s_delay_alu instid0(VALU_DEP_1)
	v_fma_f64 v[91:92], v[95:96], v[101:102], v[87:88]
	scratch_load_b128 v[87:90], off, off offset:152
	s_waitcnt vmcnt(4)
	v_fma_f64 v[101:102], v[97:98], v[103:104], v[91:92]
	ds_load_b128 v[91:94], v1 offset:400
	ds_load_b128 v[95:98], v1 offset:416
	s_waitcnt lgkmcnt(1)
	v_fma_f64 v[91:92], v[99:100], v[91:92], v[101:102]
	scratch_load_b128 v[99:102], off, off offset:168
	s_waitcnt vmcnt(4)
	v_fma_f64 v[91:92], v[109:110], v[93:94], v[91:92]
	s_waitcnt lgkmcnt(0)
	s_delay_alu instid0(VALU_DEP_1)
	;; [unrolled: 13-line block ×5, first 2 shown]
	v_fma_f64 v[103:104], v[85:86], v[107:108], v[83:84]
	scratch_load_b128 v[83:86], off, off offset:280
	s_waitcnt vmcnt(4)
	v_fma_f64 v[95:96], v[95:96], v[109:110], v[103:104]
	ds_load_b128 v[103:106], v1 offset:528
	ds_load_b128 v[107:110], v1 offset:544
	s_waitcnt lgkmcnt(1)
	v_fma_f64 v[95:96], v[97:98], v[103:104], v[95:96]
	scratch_load_b64 v[103:104], off, off offset:296
	s_waitcnt vmcnt(4)
	v_fma_f64 v[87:88], v[87:88], v[105:106], v[95:96]
	s_waitcnt lgkmcnt(0)
	s_delay_alu instid0(VALU_DEP_1) | instskip(SKIP_1) | instid1(VALU_DEP_1)
	v_fma_f64 v[87:88], v[89:90], v[107:108], v[87:88]
	s_waitcnt vmcnt(3)
	v_fma_f64 v[99:100], v[99:100], v[109:110], v[87:88]
	ds_load_b128 v[87:90], v1 offset:560
	ds_load_b128 v[95:98], v1 offset:576
	s_waitcnt lgkmcnt(1)
	v_fma_f64 v[87:88], v[101:102], v[87:88], v[99:100]
	s_waitcnt vmcnt(2)
	s_delay_alu instid0(VALU_DEP_1) | instskip(SKIP_1) | instid1(VALU_DEP_1)
	v_fma_f64 v[87:88], v[91:92], v[89:90], v[87:88]
	s_waitcnt lgkmcnt(0)
	v_fma_f64 v[87:88], v[93:94], v[95:96], v[87:88]
	s_waitcnt vmcnt(1)
	s_delay_alu instid0(VALU_DEP_1) | instskip(SKIP_4) | instid1(VALU_DEP_1)
	v_fma_f64 v[83:84], v[83:84], v[97:98], v[87:88]
	ds_load_b128 v[87:90], v1 offset:592
	s_waitcnt lgkmcnt(0)
	v_fma_f64 v[1:2], v[85:86], v[87:88], v[83:84]
	s_waitcnt vmcnt(0)
	v_fma_f64 v[1:2], v[103:104], v[89:90], v[1:2]
	s_delay_alu instid0(VALU_DEP_1)
	v_add_f64 v[1:2], v[81:82], -v[1:2]
	scratch_store_b64 off, v[1:2], off offset:24
	v_cmpx_lt_u32_e32 2, v0
	s_cbranch_execz .LBB37_233
; %bb.232:
	scratch_load_b64 v[1:2], off, off offset:16
	v_mov_b32_e32 v81, 0
	s_delay_alu instid0(VALU_DEP_1)
	v_mov_b32_e32 v82, v81
	scratch_store_b64 off, v[81:82], off offset:16
	s_waitcnt vmcnt(0)
	ds_store_b64 v3, v[1:2]
.LBB37_233:
	s_or_b32 exec_lo, exec_lo, s0
	s_waitcnt lgkmcnt(0)
	s_waitcnt_vscnt null, 0x0
	s_barrier
	buffer_gl0_inv
	s_clause 0x4
	scratch_load_b128 v[81:84], off, off offset:16
	scratch_load_b128 v[85:88], off, off offset:32
	;; [unrolled: 1-line block ×5, first 2 shown]
	v_mov_b32_e32 v1, 0
	ds_load_2addr_b64 v[101:104], v1 offset0:41 offset1:42
	ds_load_2addr_b64 v[105:108], v1 offset0:43 offset1:44
	scratch_load_b128 v[109:112], off, off offset:96
	s_mov_b32 s0, exec_lo
	s_waitcnt vmcnt(5) lgkmcnt(1)
	v_fma_f64 v[83:84], v[83:84], v[101:102], 0
	s_waitcnt vmcnt(4)
	s_delay_alu instid0(VALU_DEP_1) | instskip(SKIP_1) | instid1(VALU_DEP_1)
	v_fma_f64 v[83:84], v[85:86], v[103:104], v[83:84]
	s_waitcnt lgkmcnt(0)
	v_fma_f64 v[87:88], v[87:88], v[105:106], v[83:84]
	scratch_load_b128 v[83:86], off, off offset:112
	s_waitcnt vmcnt(4)
	v_fma_f64 v[105:106], v[89:90], v[107:108], v[87:88]
	ds_load_2addr_b64 v[87:90], v1 offset0:45 offset1:46
	ds_load_2addr_b64 v[101:104], v1 offset0:47 offset1:48
	s_waitcnt lgkmcnt(1)
	v_fma_f64 v[87:88], v[91:92], v[87:88], v[105:106]
	scratch_load_b128 v[105:108], off, off offset:128
	s_waitcnt vmcnt(4)
	v_fma_f64 v[87:88], v[93:94], v[89:90], v[87:88]
	s_waitcnt lgkmcnt(0)
	s_delay_alu instid0(VALU_DEP_1)
	v_fma_f64 v[91:92], v[95:96], v[101:102], v[87:88]
	scratch_load_b128 v[87:90], off, off offset:144
	s_waitcnt vmcnt(4)
	v_fma_f64 v[101:102], v[97:98], v[103:104], v[91:92]
	ds_load_2addr_b64 v[91:94], v1 offset0:49 offset1:50
	ds_load_2addr_b64 v[95:98], v1 offset0:51 offset1:52
	s_waitcnt lgkmcnt(1)
	v_fma_f64 v[91:92], v[99:100], v[91:92], v[101:102]
	scratch_load_b128 v[99:102], off, off offset:160
	s_waitcnt vmcnt(4)
	v_fma_f64 v[91:92], v[109:110], v[93:94], v[91:92]
	s_waitcnt lgkmcnt(0)
	s_delay_alu instid0(VALU_DEP_1)
	;; [unrolled: 13-line block ×5, first 2 shown]
	v_fma_f64 v[103:104], v[85:86], v[107:108], v[83:84]
	scratch_load_b128 v[83:86], off, off offset:272
	s_waitcnt vmcnt(4)
	v_fma_f64 v[95:96], v[95:96], v[109:110], v[103:104]
	ds_load_2addr_b64 v[103:106], v1 offset0:65 offset1:66
	ds_load_2addr_b64 v[107:110], v1 offset0:67 offset1:68
	s_waitcnt lgkmcnt(1)
	v_fma_f64 v[103:104], v[97:98], v[103:104], v[95:96]
	scratch_load_b128 v[95:98], off, off offset:288
	s_waitcnt vmcnt(4)
	v_fma_f64 v[87:88], v[87:88], v[105:106], v[103:104]
	s_waitcnt lgkmcnt(0)
	s_delay_alu instid0(VALU_DEP_1) | instskip(SKIP_1) | instid1(VALU_DEP_1)
	v_fma_f64 v[87:88], v[89:90], v[107:108], v[87:88]
	s_waitcnt vmcnt(3)
	v_fma_f64 v[99:100], v[99:100], v[109:110], v[87:88]
	ds_load_2addr_b64 v[87:90], v1 offset0:69 offset1:70
	ds_load_2addr_b64 v[103:106], v1 offset0:71 offset1:72
	s_waitcnt lgkmcnt(1)
	v_fma_f64 v[87:88], v[101:102], v[87:88], v[99:100]
	s_waitcnt vmcnt(2)
	s_delay_alu instid0(VALU_DEP_1) | instskip(SKIP_1) | instid1(VALU_DEP_1)
	v_fma_f64 v[87:88], v[91:92], v[89:90], v[87:88]
	s_waitcnt lgkmcnt(0)
	v_fma_f64 v[87:88], v[93:94], v[103:104], v[87:88]
	s_waitcnt vmcnt(1)
	s_delay_alu instid0(VALU_DEP_1)
	v_fma_f64 v[83:84], v[83:84], v[105:106], v[87:88]
	ds_load_2addr_b64 v[87:90], v1 offset0:73 offset1:74
	ds_load_b64 v[91:92], v1 offset:600
	s_waitcnt lgkmcnt(1)
	v_fma_f64 v[83:84], v[85:86], v[87:88], v[83:84]
	s_waitcnt vmcnt(0)
	s_delay_alu instid0(VALU_DEP_1) | instskip(SKIP_1) | instid1(VALU_DEP_1)
	v_fma_f64 v[83:84], v[95:96], v[89:90], v[83:84]
	s_waitcnt lgkmcnt(0)
	v_fma_f64 v[83:84], v[97:98], v[91:92], v[83:84]
	s_delay_alu instid0(VALU_DEP_1)
	v_add_f64 v[81:82], v[81:82], -v[83:84]
	scratch_store_b64 off, v[81:82], off offset:16
	v_cmpx_lt_u32_e32 1, v0
	s_cbranch_execz .LBB37_235
; %bb.234:
	scratch_load_b64 v[81:82], off, off offset:8
	v_mov_b32_e32 v2, v1
	scratch_store_b64 off, v[1:2], off offset:8
	s_waitcnt vmcnt(0)
	ds_store_b64 v3, v[81:82]
.LBB37_235:
	s_or_b32 exec_lo, exec_lo, s0
	s_waitcnt lgkmcnt(0)
	s_waitcnt_vscnt null, 0x0
	s_barrier
	buffer_gl0_inv
	s_clause 0x4
	scratch_load_b128 v[81:84], off, off offset:8
	scratch_load_b128 v[85:88], off, off offset:24
	;; [unrolled: 1-line block ×5, first 2 shown]
	ds_load_b128 v[101:104], v1 offset:320
	ds_load_b128 v[105:108], v1 offset:336
	scratch_load_b128 v[109:112], off, off offset:88
	s_mov_b32 s0, exec_lo
	s_waitcnt vmcnt(5) lgkmcnt(1)
	v_fma_f64 v[83:84], v[83:84], v[101:102], 0
	s_waitcnt vmcnt(4)
	s_delay_alu instid0(VALU_DEP_1) | instskip(SKIP_1) | instid1(VALU_DEP_1)
	v_fma_f64 v[83:84], v[85:86], v[103:104], v[83:84]
	s_waitcnt lgkmcnt(0)
	v_fma_f64 v[87:88], v[87:88], v[105:106], v[83:84]
	scratch_load_b128 v[83:86], off, off offset:104
	s_waitcnt vmcnt(4)
	v_fma_f64 v[105:106], v[89:90], v[107:108], v[87:88]
	ds_load_b128 v[87:90], v1 offset:352
	ds_load_b128 v[101:104], v1 offset:368
	s_waitcnt lgkmcnt(1)
	v_fma_f64 v[87:88], v[91:92], v[87:88], v[105:106]
	scratch_load_b128 v[105:108], off, off offset:120
	s_waitcnt vmcnt(4)
	v_fma_f64 v[87:88], v[93:94], v[89:90], v[87:88]
	s_waitcnt lgkmcnt(0)
	s_delay_alu instid0(VALU_DEP_1)
	v_fma_f64 v[91:92], v[95:96], v[101:102], v[87:88]
	scratch_load_b128 v[87:90], off, off offset:136
	s_waitcnt vmcnt(4)
	v_fma_f64 v[101:102], v[97:98], v[103:104], v[91:92]
	ds_load_b128 v[91:94], v1 offset:384
	ds_load_b128 v[95:98], v1 offset:400
	s_waitcnt lgkmcnt(1)
	v_fma_f64 v[91:92], v[99:100], v[91:92], v[101:102]
	scratch_load_b128 v[99:102], off, off offset:152
	s_waitcnt vmcnt(4)
	v_fma_f64 v[91:92], v[109:110], v[93:94], v[91:92]
	s_waitcnt lgkmcnt(0)
	s_delay_alu instid0(VALU_DEP_1)
	;; [unrolled: 13-line block ×6, first 2 shown]
	v_fma_f64 v[87:88], v[89:90], v[107:108], v[87:88]
	scratch_load_b64 v[107:108], off, off offset:296
	s_waitcnt vmcnt(4)
	v_fma_f64 v[99:100], v[99:100], v[109:110], v[87:88]
	ds_load_b128 v[87:90], v1 offset:544
	ds_load_b128 v[103:106], v1 offset:560
	s_waitcnt lgkmcnt(1)
	v_fma_f64 v[87:88], v[101:102], v[87:88], v[99:100]
	s_waitcnt vmcnt(3)
	s_delay_alu instid0(VALU_DEP_1) | instskip(SKIP_1) | instid1(VALU_DEP_1)
	v_fma_f64 v[87:88], v[91:92], v[89:90], v[87:88]
	s_waitcnt lgkmcnt(0)
	v_fma_f64 v[87:88], v[93:94], v[103:104], v[87:88]
	s_waitcnt vmcnt(2)
	s_delay_alu instid0(VALU_DEP_1)
	v_fma_f64 v[83:84], v[83:84], v[105:106], v[87:88]
	ds_load_b128 v[87:90], v1 offset:576
	ds_load_b128 v[91:94], v1 offset:592
	s_waitcnt lgkmcnt(1)
	v_fma_f64 v[1:2], v[85:86], v[87:88], v[83:84]
	s_waitcnt vmcnt(1)
	s_delay_alu instid0(VALU_DEP_1) | instskip(SKIP_1) | instid1(VALU_DEP_1)
	v_fma_f64 v[1:2], v[95:96], v[89:90], v[1:2]
	s_waitcnt lgkmcnt(0)
	v_fma_f64 v[1:2], v[97:98], v[91:92], v[1:2]
	s_waitcnt vmcnt(0)
	s_delay_alu instid0(VALU_DEP_1) | instskip(NEXT) | instid1(VALU_DEP_1)
	v_fma_f64 v[1:2], v[107:108], v[93:94], v[1:2]
	v_add_f64 v[1:2], v[81:82], -v[1:2]
	scratch_store_b64 off, v[1:2], off offset:8
	v_cmpx_ne_u32_e32 0, v0
	s_cbranch_execz .LBB37_237
; %bb.236:
	scratch_load_b64 v[0:1], off, off
	v_mov_b32_e32 v81, 0
	s_delay_alu instid0(VALU_DEP_1)
	v_mov_b32_e32 v82, v81
	scratch_store_b64 off, v[81:82], off
	s_waitcnt vmcnt(0)
	ds_store_b64 v3, v[0:1]
.LBB37_237:
	s_or_b32 exec_lo, exec_lo, s0
	s_waitcnt lgkmcnt(0)
	s_waitcnt_vscnt null, 0x0
	s_barrier
	buffer_gl0_inv
	s_clause 0x4
	scratch_load_b128 v[81:84], off, off
	scratch_load_b128 v[0:3], off, off offset:16
	scratch_load_b128 v[85:88], off, off offset:32
	;; [unrolled: 1-line block ×4, first 2 shown]
	v_mov_b32_e32 v8, 0
	ds_load_2addr_b64 v[97:100], v8 offset0:39 offset1:40
	ds_load_2addr_b64 v[101:104], v8 offset0:41 offset1:42
	scratch_load_b128 v[105:108], off, off offset:80
	s_and_b32 vcc_lo, exec_lo, s16
	s_waitcnt vmcnt(5) lgkmcnt(1)
	v_fma_f64 v[83:84], v[83:84], v[97:98], 0
	s_waitcnt vmcnt(4)
	s_delay_alu instid0(VALU_DEP_1) | instskip(SKIP_1) | instid1(VALU_DEP_1)
	v_fma_f64 v[0:1], v[0:1], v[99:100], v[83:84]
	s_waitcnt lgkmcnt(0)
	v_fma_f64 v[83:84], v[2:3], v[101:102], v[0:1]
	scratch_load_b128 v[0:3], off, off offset:96
	s_waitcnt vmcnt(4)
	v_fma_f64 v[101:102], v[85:86], v[103:104], v[83:84]
	ds_load_2addr_b64 v[83:86], v8 offset0:43 offset1:44
	ds_load_2addr_b64 v[97:100], v8 offset0:45 offset1:46
	s_waitcnt lgkmcnt(1)
	v_fma_f64 v[83:84], v[87:88], v[83:84], v[101:102]
	scratch_load_b128 v[101:104], off, off offset:112
	s_waitcnt vmcnt(4)
	v_fma_f64 v[83:84], v[89:90], v[85:86], v[83:84]
	s_waitcnt lgkmcnt(0)
	s_delay_alu instid0(VALU_DEP_1)
	v_fma_f64 v[87:88], v[91:92], v[97:98], v[83:84]
	scratch_load_b128 v[83:86], off, off offset:128
	s_waitcnt vmcnt(4)
	v_fma_f64 v[97:98], v[93:94], v[99:100], v[87:88]
	ds_load_2addr_b64 v[87:90], v8 offset0:47 offset1:48
	ds_load_2addr_b64 v[91:94], v8 offset0:49 offset1:50
	s_waitcnt lgkmcnt(1)
	v_fma_f64 v[87:88], v[95:96], v[87:88], v[97:98]
	scratch_load_b128 v[95:98], off, off offset:144
	s_waitcnt vmcnt(4)
	v_fma_f64 v[87:88], v[105:106], v[89:90], v[87:88]
	s_waitcnt lgkmcnt(0)
	s_delay_alu instid0(VALU_DEP_1)
	;; [unrolled: 13-line block ×4, first 2 shown]
	v_fma_f64 v[99:100], v[97:98], v[103:104], v[95:96]
	scratch_load_b128 v[95:98], off, off offset:224
	s_waitcnt vmcnt(4)
	v_fma_f64 v[87:88], v[87:88], v[105:106], v[99:100]
	ds_load_2addr_b64 v[99:102], v8 offset0:59 offset1:60
	ds_load_2addr_b64 v[103:106], v8 offset0:61 offset1:62
	s_waitcnt lgkmcnt(1)
	v_fma_f64 v[99:100], v[89:90], v[99:100], v[87:88]
	scratch_load_b128 v[87:90], off, off offset:240
	s_waitcnt vmcnt(4)
	v_fma_f64 v[0:1], v[0:1], v[101:102], v[99:100]
	scratch_load_b128 v[99:102], off, off offset:256
	s_waitcnt lgkmcnt(0)
	v_fma_f64 v[0:1], v[2:3], v[103:104], v[0:1]
	s_waitcnt vmcnt(4)
	s_delay_alu instid0(VALU_DEP_1)
	v_fma_f64 v[91:92], v[91:92], v[105:106], v[0:1]
	ds_load_2addr_b64 v[0:3], v8 offset0:63 offset1:64
	ds_load_2addr_b64 v[103:106], v8 offset0:65 offset1:66
	s_waitcnt lgkmcnt(1)
	v_fma_f64 v[0:1], v[93:94], v[0:1], v[91:92]
	scratch_load_b128 v[91:94], off, off offset:272
	s_waitcnt vmcnt(4)
	v_fma_f64 v[0:1], v[83:84], v[2:3], v[0:1]
	s_waitcnt lgkmcnt(0)
	s_delay_alu instid0(VALU_DEP_1)
	v_fma_f64 v[83:84], v[85:86], v[103:104], v[0:1]
	scratch_load_b128 v[0:3], off, off offset:288
	s_waitcnt vmcnt(4)
	v_fma_f64 v[95:96], v[95:96], v[105:106], v[83:84]
	ds_load_2addr_b64 v[83:86], v8 offset0:67 offset1:68
	ds_load_2addr_b64 v[103:106], v8 offset0:69 offset1:70
	s_waitcnt lgkmcnt(1)
	v_fma_f64 v[83:84], v[97:98], v[83:84], v[95:96]
	s_waitcnt vmcnt(3)
	s_delay_alu instid0(VALU_DEP_1) | instskip(SKIP_1) | instid1(VALU_DEP_1)
	v_fma_f64 v[83:84], v[87:88], v[85:86], v[83:84]
	s_waitcnt lgkmcnt(0)
	v_fma_f64 v[83:84], v[89:90], v[103:104], v[83:84]
	s_waitcnt vmcnt(2)
	s_delay_alu instid0(VALU_DEP_1)
	v_fma_f64 v[95:96], v[99:100], v[105:106], v[83:84]
	ds_load_2addr_b64 v[83:86], v8 offset0:71 offset1:72
	ds_load_2addr_b64 v[87:90], v8 offset0:73 offset1:74
	s_waitcnt lgkmcnt(1)
	v_fma_f64 v[83:84], v[101:102], v[83:84], v[95:96]
	s_waitcnt vmcnt(1)
	s_delay_alu instid0(VALU_DEP_1) | instskip(SKIP_4) | instid1(VALU_DEP_1)
	v_fma_f64 v[83:84], v[91:92], v[85:86], v[83:84]
	ds_load_b64 v[85:86], v8 offset:600
	s_waitcnt lgkmcnt(1)
	v_fma_f64 v[83:84], v[93:94], v[87:88], v[83:84]
	s_waitcnt vmcnt(0)
	v_fma_f64 v[83:84], v[0:1], v[89:90], v[83:84]
	s_waitcnt lgkmcnt(0)
	s_delay_alu instid0(VALU_DEP_1) | instskip(NEXT) | instid1(VALU_DEP_1)
	v_fma_f64 v[2:3], v[2:3], v[85:86], v[83:84]
	v_add_f64 v[2:3], v[81:82], -v[2:3]
	scratch_store_b64 off, v[2:3], off
	s_cbranch_vccz .LBB37_313
; %bb.238:
	v_dual_mov_b32 v2, s12 :: v_dual_mov_b32 v3, s13
	s_mov_b32 s0, exec_lo
	flat_load_b32 v2, v[2:3] offset:144
	s_waitcnt vmcnt(0) lgkmcnt(0)
	v_cmpx_ne_u32_e32 37, v2
	s_cbranch_execz .LBB37_240
; %bb.239:
	v_lshl_add_u32 v8, v2, 3, 0
	scratch_load_b64 v[2:3], v8, off offset:-8
	s_waitcnt vmcnt(0)
	scratch_store_b64 off, v[2:3], off offset:288
	scratch_store_b64 v8, v[0:1], off offset:-8
.LBB37_240:
	s_or_b32 exec_lo, exec_lo, s0
	v_dual_mov_b32 v0, s12 :: v_dual_mov_b32 v1, s13
	s_mov_b32 s0, exec_lo
	flat_load_b32 v0, v[0:1] offset:140
	s_waitcnt vmcnt(0) lgkmcnt(0)
	v_cmpx_ne_u32_e32 36, v0
	s_cbranch_execz .LBB37_242
; %bb.241:
	v_lshl_add_u32 v8, v0, 3, 0
	scratch_load_b64 v[0:1], v8, off offset:-8
	scratch_load_b64 v[2:3], off, off offset:280
	s_waitcnt vmcnt(1)
	scratch_store_b64 off, v[0:1], off offset:280
	s_waitcnt vmcnt(0)
	scratch_store_b64 v8, v[2:3], off offset:-8
.LBB37_242:
	s_or_b32 exec_lo, exec_lo, s0
	v_dual_mov_b32 v0, s12 :: v_dual_mov_b32 v1, s13
	s_mov_b32 s0, exec_lo
	flat_load_b32 v0, v[0:1] offset:136
	s_waitcnt vmcnt(0) lgkmcnt(0)
	v_cmpx_ne_u32_e32 35, v0
	s_cbranch_execz .LBB37_244
; %bb.243:
	v_lshl_add_u32 v8, v0, 3, 0
	scratch_load_b64 v[0:1], v8, off offset:-8
	scratch_load_b64 v[2:3], off, off offset:272
	s_waitcnt vmcnt(1)
	scratch_store_b64 off, v[0:1], off offset:272
	s_waitcnt vmcnt(0)
	scratch_store_b64 v8, v[2:3], off offset:-8
.LBB37_244:
	;; [unrolled: 16-line block ×35, first 2 shown]
	s_or_b32 exec_lo, exec_lo, s0
	v_dual_mov_b32 v0, s12 :: v_dual_mov_b32 v1, s13
	s_mov_b32 s0, exec_lo
	flat_load_b32 v0, v[0:1]
	scratch_load_b64 v[2:3], off, off
	s_waitcnt vmcnt(1) lgkmcnt(0)
	v_cmpx_ne_u32_e32 1, v0
	s_cbranch_execz .LBB37_312
; %bb.311:
	v_lshl_add_u32 v8, v0, 3, 0
	scratch_load_b64 v[0:1], v8, off offset:-8
	s_waitcnt vmcnt(0)
	scratch_store_b64 off, v[0:1], off
	scratch_store_b64 v8, v[2:3], off offset:-8
	scratch_load_b64 v[2:3], off, off
.LBB37_312:
	s_or_b32 exec_lo, exec_lo, s0
.LBB37_313:
	s_clause 0x8
	scratch_load_b128 v[81:84], off, off offset:8
	scratch_load_b128 v[85:88], off, off offset:24
	;; [unrolled: 1-line block ×9, first 2 shown]
	s_waitcnt vmcnt(9)
	global_store_b64 v[11:12], v[2:3], off
	s_clause 0x1
	scratch_load_b128 v[0:3], off, off offset:152
	scratch_load_b128 v[117:120], off, off offset:232
	s_waitcnt vmcnt(10)
	global_store_b64 v[9:10], v[81:82], off
	scratch_load_b128 v[8:11], off, off offset:168
	global_store_b64 v[13:14], v[83:84], off
	s_waitcnt vmcnt(10)
	s_clause 0x1
	global_store_b64 v[15:16], v[85:86], off
	global_store_b64 v[31:32], v[87:88], off
	s_waitcnt vmcnt(9)
	s_clause 0x1
	global_store_b64 v[23:24], v[89:90], off
	;; [unrolled: 4-line block ×3, first 2 shown]
	global_store_b64 v[21:22], v[95:96], off
	s_clause 0x6
	scratch_load_b128 v[81:84], off, off offset:184
	scratch_load_b128 v[12:15], off, off offset:200
	;; [unrolled: 1-line block ×6, first 2 shown]
	scratch_load_b64 v[21:22], off, off offset:296
	s_waitcnt vmcnt(14)
	s_clause 0x1
	global_store_b64 v[17:18], v[97:98], off
	global_store_b64 v[19:20], v[99:100], off
	s_waitcnt vmcnt(13)
	s_clause 0x1
	global_store_b64 v[27:28], v[101:102], off
	global_store_b64 v[33:34], v[103:104], off
	;; [unrolled: 4-line block ×10, first 2 shown]
	global_store_b64 v[65:66], v[117:118], off
	global_store_b64 v[67:68], v[119:120], off
	s_waitcnt vmcnt(3)
	s_clause 0x1
	global_store_b64 v[69:70], v[29:30], off
	global_store_b64 v[71:72], v[31:32], off
	s_waitcnt vmcnt(2)
	s_clause 0x1
	;; [unrolled: 4-line block ×3, first 2 shown]
	global_store_b64 v[77:78], v[89:90], off
	global_store_b64 v[79:80], v[91:92], off
	s_waitcnt vmcnt(0)
	global_store_b64 v[37:38], v[21:22], off
	s_endpgm
	.section	.rodata,"a",@progbits
	.p2align	6, 0x0
	.amdhsa_kernel _ZN9rocsolver6v33100L18getri_kernel_smallILi38EdPdEEvT1_iilPiilS4_bb
		.amdhsa_group_segment_fixed_size 616
		.amdhsa_private_segment_fixed_size 320
		.amdhsa_kernarg_size 60
		.amdhsa_user_sgpr_count 15
		.amdhsa_user_sgpr_dispatch_ptr 0
		.amdhsa_user_sgpr_queue_ptr 0
		.amdhsa_user_sgpr_kernarg_segment_ptr 1
		.amdhsa_user_sgpr_dispatch_id 0
		.amdhsa_user_sgpr_private_segment_size 0
		.amdhsa_wavefront_size32 1
		.amdhsa_uses_dynamic_stack 0
		.amdhsa_enable_private_segment 1
		.amdhsa_system_sgpr_workgroup_id_x 1
		.amdhsa_system_sgpr_workgroup_id_y 0
		.amdhsa_system_sgpr_workgroup_id_z 0
		.amdhsa_system_sgpr_workgroup_info 0
		.amdhsa_system_vgpr_workitem_id 0
		.amdhsa_next_free_vgpr 124
		.amdhsa_next_free_sgpr 18
		.amdhsa_reserve_vcc 1
		.amdhsa_float_round_mode_32 0
		.amdhsa_float_round_mode_16_64 0
		.amdhsa_float_denorm_mode_32 3
		.amdhsa_float_denorm_mode_16_64 3
		.amdhsa_dx10_clamp 1
		.amdhsa_ieee_mode 1
		.amdhsa_fp16_overflow 0
		.amdhsa_workgroup_processor_mode 1
		.amdhsa_memory_ordered 1
		.amdhsa_forward_progress 0
		.amdhsa_shared_vgpr_count 0
		.amdhsa_exception_fp_ieee_invalid_op 0
		.amdhsa_exception_fp_denorm_src 0
		.amdhsa_exception_fp_ieee_div_zero 0
		.amdhsa_exception_fp_ieee_overflow 0
		.amdhsa_exception_fp_ieee_underflow 0
		.amdhsa_exception_fp_ieee_inexact 0
		.amdhsa_exception_int_div_zero 0
	.end_amdhsa_kernel
	.section	.text._ZN9rocsolver6v33100L18getri_kernel_smallILi38EdPdEEvT1_iilPiilS4_bb,"axG",@progbits,_ZN9rocsolver6v33100L18getri_kernel_smallILi38EdPdEEvT1_iilPiilS4_bb,comdat
.Lfunc_end37:
	.size	_ZN9rocsolver6v33100L18getri_kernel_smallILi38EdPdEEvT1_iilPiilS4_bb, .Lfunc_end37-_ZN9rocsolver6v33100L18getri_kernel_smallILi38EdPdEEvT1_iilPiilS4_bb
                                        ; -- End function
	.section	.AMDGPU.csdata,"",@progbits
; Kernel info:
; codeLenInByte = 31976
; NumSgprs: 20
; NumVgprs: 124
; ScratchSize: 320
; MemoryBound: 0
; FloatMode: 240
; IeeeMode: 1
; LDSByteSize: 616 bytes/workgroup (compile time only)
; SGPRBlocks: 2
; VGPRBlocks: 15
; NumSGPRsForWavesPerEU: 20
; NumVGPRsForWavesPerEU: 124
; Occupancy: 10
; WaveLimiterHint : 1
; COMPUTE_PGM_RSRC2:SCRATCH_EN: 1
; COMPUTE_PGM_RSRC2:USER_SGPR: 15
; COMPUTE_PGM_RSRC2:TRAP_HANDLER: 0
; COMPUTE_PGM_RSRC2:TGID_X_EN: 1
; COMPUTE_PGM_RSRC2:TGID_Y_EN: 0
; COMPUTE_PGM_RSRC2:TGID_Z_EN: 0
; COMPUTE_PGM_RSRC2:TIDIG_COMP_CNT: 0
	.section	.text._ZN9rocsolver6v33100L18getri_kernel_smallILi39EdPdEEvT1_iilPiilS4_bb,"axG",@progbits,_ZN9rocsolver6v33100L18getri_kernel_smallILi39EdPdEEvT1_iilPiilS4_bb,comdat
	.globl	_ZN9rocsolver6v33100L18getri_kernel_smallILi39EdPdEEvT1_iilPiilS4_bb ; -- Begin function _ZN9rocsolver6v33100L18getri_kernel_smallILi39EdPdEEvT1_iilPiilS4_bb
	.p2align	8
	.type	_ZN9rocsolver6v33100L18getri_kernel_smallILi39EdPdEEvT1_iilPiilS4_bb,@function
_ZN9rocsolver6v33100L18getri_kernel_smallILi39EdPdEEvT1_iilPiilS4_bb: ; @_ZN9rocsolver6v33100L18getri_kernel_smallILi39EdPdEEvT1_iilPiilS4_bb
; %bb.0:
	s_mov_b32 s2, exec_lo
	v_cmpx_gt_u32_e32 39, v0
	s_cbranch_execz .LBB38_166
; %bb.1:
	s_clause 0x2
	s_load_b32 s17, s[0:1], 0x38
	s_load_b128 s[8:11], s[0:1], 0x10
	s_load_b128 s[4:7], s[0:1], 0x28
	s_mov_b32 s14, s15
                                        ; implicit-def: $sgpr12_sgpr13
	s_waitcnt lgkmcnt(0)
	s_bitcmp1_b32 s17, 8
	s_cselect_b32 s16, -1, 0
	s_bfe_u32 s2, s17, 0x10008
	s_ashr_i32 s15, s15, 31
	s_cmp_eq_u32 s2, 0
	s_cbranch_scc1 .LBB38_3
; %bb.2:
	s_load_b32 s2, s[0:1], 0x20
	s_mul_i32 s3, s14, s5
	s_mul_hi_u32 s5, s14, s4
	s_mul_i32 s12, s15, s4
	s_add_i32 s3, s5, s3
	s_mul_i32 s4, s14, s4
	s_add_i32 s5, s3, s12
	s_delay_alu instid0(SALU_CYCLE_1)
	s_lshl_b64 s[4:5], s[4:5], 2
	s_waitcnt lgkmcnt(0)
	s_ashr_i32 s3, s2, 31
	s_add_u32 s4, s10, s4
	s_addc_u32 s5, s11, s5
	s_lshl_b64 s[2:3], s[2:3], 2
	s_delay_alu instid0(SALU_CYCLE_1)
	s_add_u32 s12, s4, s2
	s_addc_u32 s13, s5, s3
.LBB38_3:
	s_load_b128 s[0:3], s[0:1], 0x0
	s_mul_i32 s4, s14, s9
	s_mul_hi_u32 s5, s14, s8
	s_mul_i32 s9, s15, s8
	s_add_i32 s5, s5, s4
	s_mul_i32 s4, s14, s8
	s_add_i32 s5, s5, s9
	v_lshlrev_b32_e32 v3, 3, v0
	s_lshl_b64 s[4:5], s[4:5], 3
	s_waitcnt lgkmcnt(0)
	s_ashr_i32 s9, s2, 31
	s_mov_b32 s8, s2
	v_add3_u32 v1, s3, s3, v0
	s_add_u32 s2, s0, s4
	s_addc_u32 s5, s1, s5
	s_lshl_b64 s[0:1], s[8:9], 3
	s_mov_b32 s4, s3
	s_add_u32 s0, s2, s0
	s_addc_u32 s1, s5, s1
	v_add_nc_u32_e32 v8, s3, v1
	v_add_co_u32 v6, s2, s0, v3
	s_ashr_i32 s5, s3, 31
	v_add_co_ci_u32_e64 v7, null, s1, 0, s2
	s_lshl_b64 s[4:5], s[4:5], 3
	v_ashrrev_i32_e32 v2, 31, v1
	v_add_co_u32 v4, vcc_lo, v6, s4
	v_add_nc_u32_e32 v10, s3, v8
	v_add_co_ci_u32_e32 v5, vcc_lo, s5, v7, vcc_lo
	v_ashrrev_i32_e32 v9, 31, v8
	v_lshlrev_b64 v[1:2], 3, v[1:2]
	s_delay_alu instid0(VALU_DEP_4)
	v_add_nc_u32_e32 v18, s3, v10
	s_clause 0x1
	global_load_b64 v[42:43], v3, s[0:1]
	global_load_b64 v[44:45], v[4:5], off
	v_lshlrev_b64 v[8:9], 3, v[8:9]
	v_ashrrev_i32_e32 v11, 31, v10
	v_add_co_u32 v14, vcc_lo, s0, v1
	v_ashrrev_i32_e32 v19, 31, v18
	v_add_co_ci_u32_e32 v15, vcc_lo, s1, v2, vcc_lo
	s_delay_alu instid0(VALU_DEP_4) | instskip(SKIP_3) | instid1(VALU_DEP_4)
	v_lshlrev_b64 v[1:2], 3, v[10:11]
	v_add_co_u32 v12, vcc_lo, s0, v8
	v_add_co_ci_u32_e32 v13, vcc_lo, s1, v9, vcc_lo
	v_lshlrev_b64 v[8:9], 3, v[18:19]
	v_add_co_u32 v16, vcc_lo, s0, v1
	v_add_co_ci_u32_e32 v17, vcc_lo, s1, v2, vcc_lo
	v_add_nc_u32_e32 v1, s3, v18
	s_delay_alu instid0(VALU_DEP_4)
	v_add_co_u32 v8, vcc_lo, s0, v8
	v_add_co_ci_u32_e32 v9, vcc_lo, s1, v9, vcc_lo
	s_clause 0x3
	global_load_b64 v[50:51], v[14:15], off
	global_load_b64 v[52:53], v[12:13], off
	global_load_b64 v[54:55], v[16:17], off
	global_load_b64 v[56:57], v[8:9], off
	v_add_nc_u32_e32 v10, s3, v1
	v_ashrrev_i32_e32 v2, 31, v1
	s_bitcmp0_b32 s17, 0
	s_delay_alu instid0(VALU_DEP_2) | instskip(SKIP_1) | instid1(VALU_DEP_3)
	v_add_nc_u32_e32 v18, s3, v10
	v_ashrrev_i32_e32 v11, 31, v10
	v_lshlrev_b64 v[1:2], 3, v[1:2]
	s_delay_alu instid0(VALU_DEP_3) | instskip(SKIP_1) | instid1(VALU_DEP_4)
	v_add_nc_u32_e32 v22, s3, v18
	v_ashrrev_i32_e32 v19, 31, v18
	v_lshlrev_b64 v[10:11], 3, v[10:11]
	s_delay_alu instid0(VALU_DEP_4) | instskip(NEXT) | instid1(VALU_DEP_4)
	v_add_co_u32 v28, vcc_lo, s0, v1
	v_add_nc_u32_e32 v26, s3, v22
	v_add_co_ci_u32_e32 v29, vcc_lo, s1, v2, vcc_lo
	v_lshlrev_b64 v[1:2], 3, v[18:19]
	v_ashrrev_i32_e32 v23, 31, v22
	s_delay_alu instid0(VALU_DEP_4) | instskip(SKIP_3) | instid1(VALU_DEP_4)
	v_add_nc_u32_e32 v30, s3, v26
	v_add_co_u32 v20, vcc_lo, s0, v10
	v_ashrrev_i32_e32 v27, 31, v26
	v_add_co_ci_u32_e32 v21, vcc_lo, s1, v11, vcc_lo
	v_add_nc_u32_e32 v32, s3, v30
	v_lshlrev_b64 v[10:11], 3, v[22:23]
	v_add_co_u32 v24, vcc_lo, s0, v1
	v_add_co_ci_u32_e32 v25, vcc_lo, s1, v2, vcc_lo
	s_delay_alu instid0(VALU_DEP_4) | instskip(SKIP_3) | instid1(VALU_DEP_4)
	v_add_nc_u32_e32 v34, s3, v32
	v_ashrrev_i32_e32 v31, 31, v30
	v_lshlrev_b64 v[1:2], 3, v[26:27]
	v_add_co_u32 v10, vcc_lo, s0, v10
	v_add_nc_u32_e32 v36, s3, v34
	v_ashrrev_i32_e32 v33, 31, v32
	v_add_co_ci_u32_e32 v11, vcc_lo, s1, v11, vcc_lo
	v_lshlrev_b64 v[22:23], 3, v[30:31]
	s_delay_alu instid0(VALU_DEP_4) | instskip(SKIP_2) | instid1(VALU_DEP_3)
	v_add_nc_u32_e32 v38, s3, v36
	v_add_co_u32 v18, vcc_lo, s0, v1
	v_add_co_ci_u32_e32 v19, vcc_lo, s1, v2, vcc_lo
	v_add_nc_u32_e32 v40, s3, v38
	v_lshlrev_b64 v[1:2], 3, v[32:33]
	v_ashrrev_i32_e32 v35, 31, v34
	v_add_co_u32 v22, vcc_lo, s0, v22
	s_delay_alu instid0(VALU_DEP_4) | instskip(SKIP_3) | instid1(VALU_DEP_4)
	v_add_nc_u32_e32 v46, s3, v40
	v_ashrrev_i32_e32 v37, 31, v36
	v_ashrrev_i32_e32 v39, 31, v38
	v_add_co_ci_u32_e32 v23, vcc_lo, s1, v23, vcc_lo
	v_add_nc_u32_e32 v48, s3, v46
	v_lshlrev_b64 v[30:31], 3, v[34:35]
	v_add_co_u32 v26, vcc_lo, s0, v1
	s_clause 0x2
	global_load_b64 v[58:59], v[28:29], off
	global_load_b64 v[60:61], v[20:21], off
	;; [unrolled: 1-line block ×3, first 2 shown]
	v_add_nc_u32_e32 v82, s3, v48
	v_add_co_ci_u32_e32 v27, vcc_lo, s1, v2, vcc_lo
	v_lshlrev_b64 v[1:2], 3, v[36:37]
	global_load_b64 v[64:65], v[10:11], off
	v_add_nc_u32_e32 v84, s3, v82
	v_lshlrev_b64 v[32:33], 3, v[38:39]
	v_add_co_u32 v30, vcc_lo, s0, v30
	v_ashrrev_i32_e32 v41, 31, v40
	s_delay_alu instid0(VALU_DEP_4) | instskip(SKIP_2) | instid1(VALU_DEP_3)
	v_add_nc_u32_e32 v86, s3, v84
	v_add_co_ci_u32_e32 v31, vcc_lo, s1, v31, vcc_lo
	v_add_co_u32 v34, vcc_lo, s0, v1
	v_add_nc_u32_e32 v90, s3, v86
	v_add_co_ci_u32_e32 v35, vcc_lo, s1, v2, vcc_lo
	v_lshlrev_b64 v[1:2], 3, v[40:41]
	v_ashrrev_i32_e32 v47, 31, v46
	s_delay_alu instid0(VALU_DEP_4) | instskip(SKIP_2) | instid1(VALU_DEP_3)
	v_add_nc_u32_e32 v92, s3, v90
	v_add_co_u32 v36, vcc_lo, s0, v32
	v_add_co_ci_u32_e32 v37, vcc_lo, s1, v33, vcc_lo
	v_add_nc_u32_e32 v94, s3, v92
	s_clause 0x3
	global_load_b64 v[66:67], v[18:19], off
	global_load_b64 v[68:69], v[22:23], off
	;; [unrolled: 1-line block ×4, first 2 shown]
	v_lshlrev_b64 v[40:41], 3, v[46:47]
	v_ashrrev_i32_e32 v49, 31, v48
	v_add_nc_u32_e32 v96, s3, v94
	v_ashrrev_i32_e32 v83, 31, v82
	v_ashrrev_i32_e32 v85, 31, v84
	;; [unrolled: 1-line block ×4, first 2 shown]
	v_add_nc_u32_e32 v98, s3, v96
	v_ashrrev_i32_e32 v93, 31, v92
	v_lshlrev_b64 v[46:47], 3, v[84:85]
	v_ashrrev_i32_e32 v95, 31, v94
	v_ashrrev_i32_e32 v97, 31, v96
	v_add_nc_u32_e32 v100, s3, v98
	v_ashrrev_i32_e32 v99, 31, v98
	s_delay_alu instid0(VALU_DEP_2) | instskip(SKIP_1) | instid1(VALU_DEP_2)
	v_add_nc_u32_e32 v102, s3, v100
	v_ashrrev_i32_e32 v101, 31, v100
	v_add_nc_u32_e32 v104, s3, v102
	v_ashrrev_i32_e32 v103, 31, v102
	s_delay_alu instid0(VALU_DEP_2) | instskip(SKIP_1) | instid1(VALU_DEP_2)
	v_add_nc_u32_e32 v106, s3, v104
	v_ashrrev_i32_e32 v105, 31, v104
	v_add_nc_u32_e32 v108, s3, v106
	v_ashrrev_i32_e32 v107, 31, v106
	s_delay_alu instid0(VALU_DEP_2) | instskip(SKIP_1) | instid1(VALU_DEP_2)
	v_add_nc_u32_e32 v110, s3, v108
	v_ashrrev_i32_e32 v109, 31, v108
	v_add_nc_u32_e32 v112, s3, v110
	v_ashrrev_i32_e32 v111, 31, v110
	s_delay_alu instid0(VALU_DEP_2) | instskip(SKIP_1) | instid1(VALU_DEP_2)
	v_add_nc_u32_e32 v114, s3, v112
	v_ashrrev_i32_e32 v113, 31, v112
	v_add_nc_u32_e32 v116, s3, v114
	v_ashrrev_i32_e32 v115, 31, v114
	s_delay_alu instid0(VALU_DEP_2) | instskip(SKIP_1) | instid1(VALU_DEP_2)
	v_add_nc_u32_e32 v118, s3, v116
	v_ashrrev_i32_e32 v117, 31, v116
	v_add_nc_u32_e32 v120, s3, v118
	v_ashrrev_i32_e32 v119, 31, v118
	s_delay_alu instid0(VALU_DEP_2) | instskip(SKIP_1) | instid1(VALU_DEP_2)
	v_add_nc_u32_e32 v38, s3, v120
	v_ashrrev_i32_e32 v121, 31, v120
	v_ashrrev_i32_e32 v39, 31, v38
	s_delay_alu instid0(VALU_DEP_1) | instskip(SKIP_2) | instid1(VALU_DEP_3)
	v_lshlrev_b64 v[32:33], 3, v[38:39]
	v_add_co_u32 v38, vcc_lo, s0, v1
	v_add_co_ci_u32_e32 v39, vcc_lo, s1, v2, vcc_lo
	v_add_co_u32 v32, vcc_lo, s0, v32
	s_delay_alu instid0(VALU_DEP_4)
	v_add_co_ci_u32_e32 v33, vcc_lo, s1, v33, vcc_lo
	v_add_co_u32 v40, vcc_lo, s0, v40
	v_add_co_ci_u32_e32 v41, vcc_lo, s1, v41, vcc_lo
	global_load_b64 v[1:2], v[32:33], off
	s_waitcnt vmcnt(13)
	scratch_store_b128 off, v[42:45], off
	v_lshlrev_b64 v[42:43], 3, v[48:49]
	s_clause 0x3
	global_load_b64 v[74:75], v[34:35], off
	global_load_b64 v[76:77], v[36:37], off
	;; [unrolled: 1-line block ×4, first 2 shown]
	v_lshlrev_b64 v[44:45], 3, v[82:83]
	v_lshlrev_b64 v[48:49], 3, v[86:87]
	s_waitcnt vmcnt(15)
	scratch_store_b128 off, v[50:53], off offset:16
	s_waitcnt vmcnt(13)
	scratch_store_b128 off, v[54:57], off offset:32
	v_add_co_u32 v42, vcc_lo, s0, v42
	v_add_co_ci_u32_e32 v43, vcc_lo, s1, v43, vcc_lo
	v_add_co_u32 v44, vcc_lo, s0, v44
	v_add_co_ci_u32_e32 v45, vcc_lo, s1, v45, vcc_lo
	;; [unrolled: 2-line block ×4, first 2 shown]
	s_clause 0x3
	global_load_b64 v[82:83], v[42:43], off
	global_load_b64 v[84:85], v[44:45], off
	;; [unrolled: 1-line block ×4, first 2 shown]
	v_lshlrev_b64 v[50:51], 3, v[90:91]
	v_lshlrev_b64 v[52:53], 3, v[92:93]
	v_lshlrev_b64 v[54:55], 3, v[94:95]
	v_lshlrev_b64 v[56:57], 3, v[96:97]
	v_lshlrev_b64 v[96:97], 3, v[98:99]
	s_waitcnt vmcnt(15)
	scratch_store_b128 off, v[58:61], off offset:48
	s_waitcnt vmcnt(13)
	scratch_store_b128 off, v[62:65], off offset:64
	v_add_co_u32 v50, vcc_lo, s0, v50
	v_add_co_ci_u32_e32 v51, vcc_lo, s1, v51, vcc_lo
	v_add_co_u32 v52, vcc_lo, s0, v52
	v_add_co_ci_u32_e32 v53, vcc_lo, s1, v53, vcc_lo
	;; [unrolled: 2-line block ×3, first 2 shown]
	v_add_co_u32 v56, vcc_lo, s0, v56
	v_lshlrev_b64 v[60:61], 3, v[100:101]
	v_add_co_ci_u32_e32 v57, vcc_lo, s1, v57, vcc_lo
	v_add_co_u32 v58, vcc_lo, s0, v96
	v_lshlrev_b64 v[62:63], 3, v[102:103]
	v_add_co_ci_u32_e32 v59, vcc_lo, s1, v97, vcc_lo
	;; [unrolled: 3-line block ×4, first 2 shown]
	s_clause 0x2
	global_load_b64 v[90:91], v[50:51], off
	global_load_b64 v[92:93], v[52:53], off
	;; [unrolled: 1-line block ×3, first 2 shown]
	s_waitcnt vmcnt(14)
	scratch_store_b128 off, v[66:69], off offset:80
	s_waitcnt vmcnt(12)
	scratch_store_b128 off, v[70:73], off offset:96
	v_add_co_u32 v64, vcc_lo, s0, v64
	v_lshlrev_b64 v[68:69], 3, v[108:109]
	v_add_co_ci_u32_e32 v65, vcc_lo, s1, v65, vcc_lo
	v_add_co_u32 v66, vcc_lo, s0, v104
	v_lshlrev_b64 v[70:71], 3, v[110:111]
	v_add_co_ci_u32_e32 v67, vcc_lo, s1, v105, vcc_lo
	;; [unrolled: 3-line block ×4, first 2 shown]
	s_clause 0x3
	global_load_b64 v[96:97], v[56:57], off
	global_load_b64 v[98:99], v[58:59], off
	global_load_b64 v[100:101], v[60:61], off
	global_load_b64 v[102:103], v[62:63], off
	v_add_co_u32 v72, vcc_lo, s0, v72
	v_add_co_ci_u32_e32 v73, vcc_lo, s1, v73, vcc_lo
	s_waitcnt vmcnt(13)
	scratch_store_b128 off, v[74:77], off offset:112
	s_waitcnt vmcnt(11)
	scratch_store_b128 off, v[78:81], off offset:128
	v_lshlrev_b64 v[76:77], 3, v[116:117]
	v_add_co_u32 v74, vcc_lo, s0, v112
	v_add_co_ci_u32_e32 v75, vcc_lo, s1, v113, vcc_lo
	v_lshlrev_b64 v[80:81], 3, v[118:119]
	s_delay_alu instid0(VALU_DEP_4) | instskip(SKIP_2) | instid1(VALU_DEP_4)
	v_add_co_u32 v78, vcc_lo, s0, v76
	v_add_co_ci_u32_e32 v79, vcc_lo, s1, v77, vcc_lo
	v_lshlrev_b64 v[76:77], 3, v[120:121]
	v_add_co_u32 v80, vcc_lo, s0, v80
	v_add_co_ci_u32_e32 v81, vcc_lo, s1, v81, vcc_lo
	s_clause 0x3
	global_load_b64 v[104:105], v[64:65], off
	global_load_b64 v[106:107], v[66:67], off
	;; [unrolled: 1-line block ×4, first 2 shown]
	v_add_co_u32 v76, vcc_lo, s0, v76
	v_add_co_ci_u32_e32 v77, vcc_lo, s1, v77, vcc_lo
	s_waitcnt vmcnt(13)
	scratch_store_b128 off, v[82:85], off offset:144
	s_waitcnt vmcnt(11)
	scratch_store_b128 off, v[86:89], off offset:160
	s_clause 0x4
	global_load_b64 v[112:113], v[72:73], off
	global_load_b64 v[82:83], v[74:75], off
	;; [unrolled: 1-line block ×5, first 2 shown]
	s_mov_b32 s1, -1
	s_waitcnt vmcnt(14)
	scratch_store_b128 off, v[90:93], off offset:176
	s_waitcnt vmcnt(12)
	scratch_store_b128 off, v[94:97], off offset:192
	;; [unrolled: 2-line block ×7, first 2 shown]
	s_waitcnt vmcnt(0)
	s_clause 0x1
	scratch_store_b128 off, v[86:89], off offset:288
	scratch_store_b64 off, v[1:2], off offset:304
	s_cbranch_scc1 .LBB38_164
; %bb.4:
	v_cmp_eq_u32_e64 s0, 0, v0
	s_delay_alu instid0(VALU_DEP_1)
	s_and_saveexec_b32 s1, s0
	s_cbranch_execz .LBB38_6
; %bb.5:
	v_mov_b32_e32 v1, 0
	ds_store_b32 v1, v1 offset:312
.LBB38_6:
	s_or_b32 exec_lo, exec_lo, s1
	s_waitcnt lgkmcnt(0)
	s_waitcnt_vscnt null, 0x0
	s_barrier
	buffer_gl0_inv
	scratch_load_b64 v[1:2], v3, off
	s_mov_b32 s2, exec_lo
	s_waitcnt vmcnt(0)
	v_cmpx_eq_f64_e32 0, v[1:2]
	s_cbranch_execz .LBB38_10
; %bb.7:
	v_mov_b32_e32 v1, 0
	s_mov_b32 s3, 0
	ds_load_b32 v2, v1 offset:312
	s_waitcnt lgkmcnt(0)
	v_readfirstlane_b32 s1, v2
	v_add_nc_u32_e32 v2, 1, v0
	s_delay_alu instid0(VALU_DEP_2) | instskip(NEXT) | instid1(VALU_DEP_1)
	s_cmp_eq_u32 s1, 0
	v_cmp_gt_i32_e32 vcc_lo, s1, v2
	s_cselect_b32 s4, -1, 0
	s_delay_alu instid0(SALU_CYCLE_1) | instskip(NEXT) | instid1(SALU_CYCLE_1)
	s_or_b32 s4, s4, vcc_lo
	s_and_b32 exec_lo, exec_lo, s4
	s_cbranch_execz .LBB38_10
; %bb.8:
	v_mov_b32_e32 v82, s1
.LBB38_9:                               ; =>This Inner Loop Header: Depth=1
	ds_cmpstore_rtn_b32 v82, v1, v2, v82 offset:312
	s_waitcnt lgkmcnt(0)
	v_cmp_ne_u32_e32 vcc_lo, 0, v82
	v_cmp_le_i32_e64 s1, v82, v2
	s_delay_alu instid0(VALU_DEP_1) | instskip(NEXT) | instid1(SALU_CYCLE_1)
	s_and_b32 s1, vcc_lo, s1
	s_and_b32 s1, exec_lo, s1
	s_delay_alu instid0(SALU_CYCLE_1) | instskip(NEXT) | instid1(SALU_CYCLE_1)
	s_or_b32 s3, s1, s3
	s_and_not1_b32 exec_lo, exec_lo, s3
	s_cbranch_execnz .LBB38_9
.LBB38_10:
	s_or_b32 exec_lo, exec_lo, s2
	v_mov_b32_e32 v1, 0
	s_barrier
	buffer_gl0_inv
	ds_load_b32 v2, v1 offset:312
	s_and_saveexec_b32 s1, s0
	s_cbranch_execz .LBB38_12
; %bb.11:
	s_lshl_b64 s[2:3], s[14:15], 2
	s_delay_alu instid0(SALU_CYCLE_1)
	s_add_u32 s2, s6, s2
	s_addc_u32 s3, s7, s3
	s_waitcnt lgkmcnt(0)
	global_store_b32 v1, v2, s[2:3]
.LBB38_12:
	s_or_b32 exec_lo, exec_lo, s1
	s_waitcnt lgkmcnt(0)
	v_cmp_ne_u32_e32 vcc_lo, 0, v2
	s_mov_b32 s1, 0
	s_cbranch_vccnz .LBB38_164
; %bb.13:
	v_add_nc_u32_e32 v82, 0, v3
	scratch_load_b64 v[1:2], v82, off
	s_waitcnt vmcnt(0)
	v_div_scale_f64 v[83:84], null, v[1:2], v[1:2], 1.0
	v_div_scale_f64 v[89:90], vcc_lo, 1.0, v[1:2], 1.0
	s_delay_alu instid0(VALU_DEP_2) | instskip(SKIP_2) | instid1(VALU_DEP_1)
	v_rcp_f64_e32 v[85:86], v[83:84]
	s_waitcnt_depctr 0xfff
	v_fma_f64 v[87:88], -v[83:84], v[85:86], 1.0
	v_fma_f64 v[85:86], v[85:86], v[87:88], v[85:86]
	s_delay_alu instid0(VALU_DEP_1) | instskip(NEXT) | instid1(VALU_DEP_1)
	v_fma_f64 v[87:88], -v[83:84], v[85:86], 1.0
	v_fma_f64 v[85:86], v[85:86], v[87:88], v[85:86]
	s_delay_alu instid0(VALU_DEP_1) | instskip(NEXT) | instid1(VALU_DEP_1)
	v_mul_f64 v[87:88], v[89:90], v[85:86]
	v_fma_f64 v[83:84], -v[83:84], v[87:88], v[89:90]
	s_delay_alu instid0(VALU_DEP_1) | instskip(NEXT) | instid1(VALU_DEP_1)
	v_div_fmas_f64 v[83:84], v[83:84], v[85:86], v[87:88]
	v_div_fixup_f64 v[1:2], v[83:84], v[1:2], 1.0
	v_add_nc_u32_e32 v83, 0x140, v3
	scratch_store_b64 v82, v[1:2], off
	scratch_load_b64 v[84:85], off, off offset:8
	v_xor_b32_e32 v2, 0x80000000, v2
	s_waitcnt vmcnt(0)
	ds_store_2addr_b64 v3, v[1:2], v[84:85] offset1:40
	s_waitcnt lgkmcnt(0)
	s_waitcnt_vscnt null, 0x0
	s_barrier
	buffer_gl0_inv
	s_and_saveexec_b32 s1, s0
	s_cbranch_execz .LBB38_15
; %bb.14:
	scratch_load_b64 v[1:2], v82, off
	ds_load_b64 v[84:85], v83
	s_waitcnt vmcnt(0) lgkmcnt(0)
	v_fma_f64 v[1:2], v[1:2], v[84:85], 0
	v_mov_b32_e32 v84, 0
	ds_load_b64 v[84:85], v84 offset:8
	s_waitcnt lgkmcnt(0)
	v_mul_f64 v[1:2], v[1:2], v[84:85]
	scratch_store_b64 off, v[1:2], off offset:8
.LBB38_15:
	s_or_b32 exec_lo, exec_lo, s1
	s_waitcnt_vscnt null, 0x0
	s_barrier
	buffer_gl0_inv
	scratch_load_b64 v[1:2], off, off offset:16
	s_mov_b32 s1, exec_lo
	s_waitcnt vmcnt(0)
	ds_store_b64 v83, v[1:2]
	s_waitcnt lgkmcnt(0)
	s_barrier
	buffer_gl0_inv
	v_cmpx_gt_u32_e32 2, v0
	s_cbranch_execz .LBB38_19
; %bb.16:
	scratch_load_b64 v[1:2], v82, off
	ds_load_b64 v[84:85], v83
	s_waitcnt vmcnt(0) lgkmcnt(0)
	v_fma_f64 v[1:2], v[1:2], v[84:85], 0
	s_and_saveexec_b32 s2, s0
	s_cbranch_execz .LBB38_18
; %bb.17:
	scratch_load_b64 v[84:85], off, off offset:8
	v_mov_b32_e32 v86, 0
	ds_load_b64 v[86:87], v86 offset:328
	s_waitcnt vmcnt(0) lgkmcnt(0)
	v_fma_f64 v[1:2], v[84:85], v[86:87], v[1:2]
.LBB38_18:
	s_or_b32 exec_lo, exec_lo, s2
	v_mov_b32_e32 v84, 0
	ds_load_b64 v[84:85], v84 offset:16
	s_waitcnt lgkmcnt(0)
	v_mul_f64 v[1:2], v[1:2], v[84:85]
	scratch_store_b64 off, v[1:2], off offset:16
.LBB38_19:
	s_or_b32 exec_lo, exec_lo, s1
	s_waitcnt_vscnt null, 0x0
	s_barrier
	buffer_gl0_inv
	scratch_load_b64 v[1:2], off, off offset:24
	v_add_nc_u32_e32 v84, -1, v0
	s_mov_b32 s0, exec_lo
	s_waitcnt vmcnt(0)
	ds_store_b64 v83, v[1:2]
	s_waitcnt lgkmcnt(0)
	s_barrier
	buffer_gl0_inv
	v_cmpx_gt_u32_e32 3, v0
	s_cbranch_execz .LBB38_23
; %bb.20:
	v_dual_mov_b32 v1, 0 :: v_dual_add_nc_u32 v86, 0x140, v3
	v_dual_mov_b32 v2, 0 :: v_dual_add_nc_u32 v85, -1, v0
	v_add_nc_u32_e32 v87, 0, v3
	s_mov_b32 s1, 0
.LBB38_21:                              ; =>This Inner Loop Header: Depth=1
	scratch_load_b64 v[88:89], v87, off
	ds_load_b64 v[90:91], v86
	v_add_nc_u32_e32 v85, 1, v85
	v_add_nc_u32_e32 v86, 8, v86
	v_add_nc_u32_e32 v87, 8, v87
	s_delay_alu instid0(VALU_DEP_3)
	v_cmp_lt_u32_e32 vcc_lo, 1, v85
	s_or_b32 s1, vcc_lo, s1
	s_waitcnt vmcnt(0) lgkmcnt(0)
	v_fma_f64 v[1:2], v[88:89], v[90:91], v[1:2]
	s_and_not1_b32 exec_lo, exec_lo, s1
	s_cbranch_execnz .LBB38_21
; %bb.22:
	s_or_b32 exec_lo, exec_lo, s1
	v_mov_b32_e32 v85, 0
	ds_load_b64 v[85:86], v85 offset:24
	s_waitcnt lgkmcnt(0)
	v_mul_f64 v[1:2], v[1:2], v[85:86]
	scratch_store_b64 off, v[1:2], off offset:24
.LBB38_23:
	s_or_b32 exec_lo, exec_lo, s0
	s_waitcnt_vscnt null, 0x0
	s_barrier
	buffer_gl0_inv
	scratch_load_b64 v[1:2], off, off offset:32
	s_mov_b32 s0, exec_lo
	s_waitcnt vmcnt(0)
	ds_store_b64 v83, v[1:2]
	s_waitcnt lgkmcnt(0)
	s_barrier
	buffer_gl0_inv
	v_cmpx_gt_u32_e32 4, v0
	s_cbranch_execz .LBB38_27
; %bb.24:
	v_dual_mov_b32 v1, 0 :: v_dual_add_nc_u32 v86, 0x140, v3
	v_dual_mov_b32 v2, 0 :: v_dual_add_nc_u32 v85, -1, v0
	v_add_nc_u32_e32 v87, 0, v3
	s_mov_b32 s1, 0
.LBB38_25:                              ; =>This Inner Loop Header: Depth=1
	scratch_load_b64 v[88:89], v87, off
	ds_load_b64 v[90:91], v86
	v_add_nc_u32_e32 v85, 1, v85
	v_add_nc_u32_e32 v86, 8, v86
	v_add_nc_u32_e32 v87, 8, v87
	s_delay_alu instid0(VALU_DEP_3)
	v_cmp_lt_u32_e32 vcc_lo, 2, v85
	s_or_b32 s1, vcc_lo, s1
	s_waitcnt vmcnt(0) lgkmcnt(0)
	v_fma_f64 v[1:2], v[88:89], v[90:91], v[1:2]
	s_and_not1_b32 exec_lo, exec_lo, s1
	s_cbranch_execnz .LBB38_25
; %bb.26:
	s_or_b32 exec_lo, exec_lo, s1
	v_mov_b32_e32 v85, 0
	ds_load_b64 v[85:86], v85 offset:32
	s_waitcnt lgkmcnt(0)
	v_mul_f64 v[1:2], v[1:2], v[85:86]
	scratch_store_b64 off, v[1:2], off offset:32
.LBB38_27:
	s_or_b32 exec_lo, exec_lo, s0
	s_waitcnt_vscnt null, 0x0
	s_barrier
	buffer_gl0_inv
	scratch_load_b64 v[1:2], off, off offset:40
	;; [unrolled: 39-line block ×20, first 2 shown]
	s_mov_b32 s0, exec_lo
	s_waitcnt vmcnt(0)
	ds_store_b64 v83, v[1:2]
	s_waitcnt lgkmcnt(0)
	s_barrier
	buffer_gl0_inv
	v_cmpx_gt_u32_e32 23, v0
	s_cbranch_execz .LBB38_103
; %bb.100:
	v_dual_mov_b32 v1, 0 :: v_dual_add_nc_u32 v86, 0x140, v3
	v_dual_mov_b32 v2, 0 :: v_dual_add_nc_u32 v85, -1, v0
	v_add_nc_u32_e32 v87, 0, v3
	s_mov_b32 s1, 0
.LBB38_101:                             ; =>This Inner Loop Header: Depth=1
	scratch_load_b64 v[88:89], v87, off
	ds_load_b64 v[90:91], v86
	v_add_nc_u32_e32 v85, 1, v85
	v_add_nc_u32_e32 v86, 8, v86
	v_add_nc_u32_e32 v87, 8, v87
	s_delay_alu instid0(VALU_DEP_3)
	v_cmp_lt_u32_e32 vcc_lo, 21, v85
	s_or_b32 s1, vcc_lo, s1
	s_waitcnt vmcnt(0) lgkmcnt(0)
	v_fma_f64 v[1:2], v[88:89], v[90:91], v[1:2]
	s_and_not1_b32 exec_lo, exec_lo, s1
	s_cbranch_execnz .LBB38_101
; %bb.102:
	s_or_b32 exec_lo, exec_lo, s1
	v_mov_b32_e32 v85, 0
	ds_load_b64 v[85:86], v85 offset:184
	s_waitcnt lgkmcnt(0)
	v_mul_f64 v[1:2], v[1:2], v[85:86]
	scratch_store_b64 off, v[1:2], off offset:184
.LBB38_103:
	s_or_b32 exec_lo, exec_lo, s0
	s_waitcnt_vscnt null, 0x0
	s_barrier
	buffer_gl0_inv
	scratch_load_b64 v[1:2], off, off offset:192
	s_mov_b32 s0, exec_lo
	s_waitcnt vmcnt(0)
	ds_store_b64 v83, v[1:2]
	s_waitcnt lgkmcnt(0)
	s_barrier
	buffer_gl0_inv
	v_cmpx_gt_u32_e32 24, v0
	s_cbranch_execz .LBB38_107
; %bb.104:
	v_dual_mov_b32 v1, 0 :: v_dual_add_nc_u32 v86, 0x140, v3
	v_dual_mov_b32 v2, 0 :: v_dual_add_nc_u32 v85, -1, v0
	v_add_nc_u32_e32 v87, 0, v3
	s_mov_b32 s1, 0
.LBB38_105:                             ; =>This Inner Loop Header: Depth=1
	scratch_load_b64 v[88:89], v87, off
	ds_load_b64 v[90:91], v86
	v_add_nc_u32_e32 v85, 1, v85
	v_add_nc_u32_e32 v86, 8, v86
	v_add_nc_u32_e32 v87, 8, v87
	s_delay_alu instid0(VALU_DEP_3)
	v_cmp_lt_u32_e32 vcc_lo, 22, v85
	s_or_b32 s1, vcc_lo, s1
	s_waitcnt vmcnt(0) lgkmcnt(0)
	v_fma_f64 v[1:2], v[88:89], v[90:91], v[1:2]
	s_and_not1_b32 exec_lo, exec_lo, s1
	s_cbranch_execnz .LBB38_105
; %bb.106:
	s_or_b32 exec_lo, exec_lo, s1
	v_mov_b32_e32 v85, 0
	ds_load_b64 v[85:86], v85 offset:192
	s_waitcnt lgkmcnt(0)
	v_mul_f64 v[1:2], v[1:2], v[85:86]
	scratch_store_b64 off, v[1:2], off offset:192
.LBB38_107:
	s_or_b32 exec_lo, exec_lo, s0
	s_waitcnt_vscnt null, 0x0
	s_barrier
	buffer_gl0_inv
	scratch_load_b64 v[1:2], off, off offset:200
	;; [unrolled: 39-line block ×15, first 2 shown]
	s_mov_b32 s0, exec_lo
	s_waitcnt vmcnt(0)
	ds_store_b64 v83, v[1:2]
	s_waitcnt lgkmcnt(0)
	s_barrier
	buffer_gl0_inv
	v_cmpx_ne_u32_e32 38, v0
	s_cbranch_execz .LBB38_163
; %bb.160:
	v_mov_b32_e32 v1, 0
	v_mov_b32_e32 v2, 0
	s_mov_b32 s1, 0
.LBB38_161:                             ; =>This Inner Loop Header: Depth=1
	scratch_load_b64 v[85:86], v82, off
	ds_load_b64 v[87:88], v83
	v_add_nc_u32_e32 v84, 1, v84
	v_add_nc_u32_e32 v83, 8, v83
	;; [unrolled: 1-line block ×3, first 2 shown]
	s_delay_alu instid0(VALU_DEP_3)
	v_cmp_lt_u32_e32 vcc_lo, 36, v84
	s_or_b32 s1, vcc_lo, s1
	s_waitcnt vmcnt(0) lgkmcnt(0)
	v_fma_f64 v[1:2], v[85:86], v[87:88], v[1:2]
	s_and_not1_b32 exec_lo, exec_lo, s1
	s_cbranch_execnz .LBB38_161
; %bb.162:
	s_or_b32 exec_lo, exec_lo, s1
	v_mov_b32_e32 v3, 0
	ds_load_b64 v[82:83], v3 offset:304
	s_waitcnt lgkmcnt(0)
	v_mul_f64 v[1:2], v[1:2], v[82:83]
	scratch_store_b64 off, v[1:2], off offset:304
.LBB38_163:
	s_or_b32 exec_lo, exec_lo, s0
	s_mov_b32 s1, -1
	s_waitcnt_vscnt null, 0x0
	s_barrier
	buffer_gl0_inv
.LBB38_164:
	s_and_b32 vcc_lo, exec_lo, s1
	s_cbranch_vccz .LBB38_166
; %bb.165:
	s_lshl_b64 s[0:1], s[14:15], 2
	v_mov_b32_e32 v1, 0
	s_add_u32 s0, s6, s0
	s_addc_u32 s1, s7, s1
	global_load_b32 v1, v1, s[0:1]
	s_waitcnt vmcnt(0)
	v_cmp_ne_u32_e32 vcc_lo, 0, v1
	s_cbranch_vccz .LBB38_167
.LBB38_166:
	s_endpgm
.LBB38_167:
	v_lshl_add_u32 v3, v0, 3, 0x140
	s_mov_b32 s0, exec_lo
	v_cmpx_eq_u32_e32 38, v0
	s_cbranch_execz .LBB38_169
; %bb.168:
	scratch_load_b64 v[1:2], off, off offset:296
	v_mov_b32_e32 v82, 0
	s_delay_alu instid0(VALU_DEP_1)
	v_mov_b32_e32 v83, v82
	scratch_store_b64 off, v[82:83], off offset:296
	s_waitcnt vmcnt(0)
	ds_store_b64 v3, v[1:2]
.LBB38_169:
	s_or_b32 exec_lo, exec_lo, s0
	s_waitcnt lgkmcnt(0)
	s_waitcnt_vscnt null, 0x0
	s_barrier
	buffer_gl0_inv
	scratch_load_b128 v[82:85], off, off offset:296
	v_mov_b32_e32 v1, 0
	s_mov_b32 s0, exec_lo
	ds_load_b64 v[86:87], v1 offset:624
	s_waitcnt vmcnt(0) lgkmcnt(0)
	v_fma_f64 v[84:85], v[84:85], v[86:87], 0
	s_delay_alu instid0(VALU_DEP_1)
	v_add_f64 v[82:83], v[82:83], -v[84:85]
	scratch_store_b64 off, v[82:83], off offset:296
	v_cmpx_lt_u32_e32 36, v0
	s_cbranch_execz .LBB38_171
; %bb.170:
	scratch_load_b64 v[82:83], off, off offset:288
	v_mov_b32_e32 v2, v1
	scratch_store_b64 off, v[1:2], off offset:288
	s_waitcnt vmcnt(0)
	ds_store_b64 v3, v[82:83]
.LBB38_171:
	s_or_b32 exec_lo, exec_lo, s0
	s_waitcnt lgkmcnt(0)
	s_waitcnt_vscnt null, 0x0
	s_barrier
	buffer_gl0_inv
	s_clause 0x1
	scratch_load_b128 v[82:85], off, off offset:288
	scratch_load_b64 v[90:91], off, off offset:304
	ds_load_2addr_b64 v[86:89], v1 offset0:77 offset1:78
	s_mov_b32 s0, exec_lo
	s_waitcnt vmcnt(1) lgkmcnt(0)
	v_fma_f64 v[1:2], v[84:85], v[86:87], 0
	s_waitcnt vmcnt(0)
	s_delay_alu instid0(VALU_DEP_1) | instskip(NEXT) | instid1(VALU_DEP_1)
	v_fma_f64 v[1:2], v[90:91], v[88:89], v[1:2]
	v_add_f64 v[1:2], v[82:83], -v[1:2]
	scratch_store_b64 off, v[1:2], off offset:288
	v_cmpx_lt_u32_e32 35, v0
	s_cbranch_execz .LBB38_173
; %bb.172:
	scratch_load_b64 v[1:2], off, off offset:280
	v_mov_b32_e32 v82, 0
	s_delay_alu instid0(VALU_DEP_1)
	v_mov_b32_e32 v83, v82
	scratch_store_b64 off, v[82:83], off offset:280
	s_waitcnt vmcnt(0)
	ds_store_b64 v3, v[1:2]
.LBB38_173:
	s_or_b32 exec_lo, exec_lo, s0
	s_waitcnt lgkmcnt(0)
	s_waitcnt_vscnt null, 0x0
	s_barrier
	buffer_gl0_inv
	s_clause 0x1
	scratch_load_b128 v[82:85], off, off offset:280
	scratch_load_b128 v[86:89], off, off offset:296
	v_mov_b32_e32 v1, 0
	s_mov_b32 s0, exec_lo
	ds_load_b128 v[90:93], v1 offset:608
	s_waitcnt vmcnt(1) lgkmcnt(0)
	v_fma_f64 v[84:85], v[84:85], v[90:91], 0
	s_waitcnt vmcnt(0)
	s_delay_alu instid0(VALU_DEP_1) | instskip(SKIP_3) | instid1(VALU_DEP_1)
	v_fma_f64 v[84:85], v[86:87], v[92:93], v[84:85]
	ds_load_b64 v[86:87], v1 offset:624
	s_waitcnt lgkmcnt(0)
	v_fma_f64 v[84:85], v[88:89], v[86:87], v[84:85]
	v_add_f64 v[82:83], v[82:83], -v[84:85]
	scratch_store_b64 off, v[82:83], off offset:280
	v_cmpx_lt_u32_e32 34, v0
	s_cbranch_execz .LBB38_175
; %bb.174:
	scratch_load_b64 v[82:83], off, off offset:272
	v_mov_b32_e32 v2, v1
	scratch_store_b64 off, v[1:2], off offset:272
	s_waitcnt vmcnt(0)
	ds_store_b64 v3, v[82:83]
.LBB38_175:
	s_or_b32 exec_lo, exec_lo, s0
	s_waitcnt lgkmcnt(0)
	s_waitcnt_vscnt null, 0x0
	s_barrier
	buffer_gl0_inv
	s_clause 0x2
	scratch_load_b128 v[82:85], off, off offset:272
	scratch_load_b128 v[86:89], off, off offset:288
	scratch_load_b64 v[94:95], off, off offset:304
	ds_load_2addr_b64 v[90:93], v1 offset0:75 offset1:76
	s_mov_b32 s0, exec_lo
	s_waitcnt vmcnt(2) lgkmcnt(0)
	v_fma_f64 v[84:85], v[84:85], v[90:91], 0
	s_waitcnt vmcnt(1)
	s_delay_alu instid0(VALU_DEP_1) | instskip(SKIP_4) | instid1(VALU_DEP_1)
	v_fma_f64 v[90:91], v[86:87], v[92:93], v[84:85]
	ds_load_2addr_b64 v[84:87], v1 offset0:77 offset1:78
	s_waitcnt lgkmcnt(0)
	v_fma_f64 v[1:2], v[88:89], v[84:85], v[90:91]
	s_waitcnt vmcnt(0)
	v_fma_f64 v[1:2], v[94:95], v[86:87], v[1:2]
	s_delay_alu instid0(VALU_DEP_1)
	v_add_f64 v[1:2], v[82:83], -v[1:2]
	scratch_store_b64 off, v[1:2], off offset:272
	v_cmpx_lt_u32_e32 33, v0
	s_cbranch_execz .LBB38_177
; %bb.176:
	scratch_load_b64 v[1:2], off, off offset:264
	v_mov_b32_e32 v82, 0
	s_delay_alu instid0(VALU_DEP_1)
	v_mov_b32_e32 v83, v82
	scratch_store_b64 off, v[82:83], off offset:264
	s_waitcnt vmcnt(0)
	ds_store_b64 v3, v[1:2]
.LBB38_177:
	s_or_b32 exec_lo, exec_lo, s0
	s_waitcnt lgkmcnt(0)
	s_waitcnt_vscnt null, 0x0
	s_barrier
	buffer_gl0_inv
	s_clause 0x2
	scratch_load_b128 v[82:85], off, off offset:264
	scratch_load_b128 v[86:89], off, off offset:280
	;; [unrolled: 1-line block ×3, first 2 shown]
	v_mov_b32_e32 v1, 0
	ds_load_b128 v[94:97], v1 offset:592
	ds_load_b128 v[98:101], v1 offset:608
	s_mov_b32 s0, exec_lo
	s_waitcnt vmcnt(2) lgkmcnt(1)
	v_fma_f64 v[84:85], v[84:85], v[94:95], 0
	s_waitcnt vmcnt(1)
	s_delay_alu instid0(VALU_DEP_1) | instskip(SKIP_4) | instid1(VALU_DEP_1)
	v_fma_f64 v[84:85], v[86:87], v[96:97], v[84:85]
	ds_load_b64 v[86:87], v1 offset:624
	s_waitcnt lgkmcnt(1)
	v_fma_f64 v[84:85], v[88:89], v[98:99], v[84:85]
	s_waitcnt vmcnt(0)
	v_fma_f64 v[84:85], v[90:91], v[100:101], v[84:85]
	s_waitcnt lgkmcnt(0)
	s_delay_alu instid0(VALU_DEP_1) | instskip(NEXT) | instid1(VALU_DEP_1)
	v_fma_f64 v[84:85], v[92:93], v[86:87], v[84:85]
	v_add_f64 v[82:83], v[82:83], -v[84:85]
	scratch_store_b64 off, v[82:83], off offset:264
	v_cmpx_lt_u32_e32 32, v0
	s_cbranch_execz .LBB38_179
; %bb.178:
	scratch_load_b64 v[82:83], off, off offset:256
	v_mov_b32_e32 v2, v1
	scratch_store_b64 off, v[1:2], off offset:256
	s_waitcnt vmcnt(0)
	ds_store_b64 v3, v[82:83]
.LBB38_179:
	s_or_b32 exec_lo, exec_lo, s0
	s_waitcnt lgkmcnt(0)
	s_waitcnt_vscnt null, 0x0
	s_barrier
	buffer_gl0_inv
	s_clause 0x3
	scratch_load_b128 v[82:85], off, off offset:256
	scratch_load_b128 v[86:89], off, off offset:272
	;; [unrolled: 1-line block ×3, first 2 shown]
	scratch_load_b64 v[102:103], off, off offset:304
	ds_load_2addr_b64 v[94:97], v1 offset0:73 offset1:74
	ds_load_2addr_b64 v[98:101], v1 offset0:75 offset1:76
	s_mov_b32 s0, exec_lo
	s_waitcnt vmcnt(3) lgkmcnt(1)
	v_fma_f64 v[84:85], v[84:85], v[94:95], 0
	s_waitcnt vmcnt(2)
	s_delay_alu instid0(VALU_DEP_1) | instskip(SKIP_1) | instid1(VALU_DEP_1)
	v_fma_f64 v[84:85], v[86:87], v[96:97], v[84:85]
	s_waitcnt lgkmcnt(0)
	v_fma_f64 v[84:85], v[88:89], v[98:99], v[84:85]
	s_waitcnt vmcnt(1)
	s_delay_alu instid0(VALU_DEP_1) | instskip(SKIP_4) | instid1(VALU_DEP_1)
	v_fma_f64 v[88:89], v[90:91], v[100:101], v[84:85]
	ds_load_2addr_b64 v[84:87], v1 offset0:77 offset1:78
	s_waitcnt lgkmcnt(0)
	v_fma_f64 v[1:2], v[92:93], v[84:85], v[88:89]
	s_waitcnt vmcnt(0)
	v_fma_f64 v[1:2], v[102:103], v[86:87], v[1:2]
	s_delay_alu instid0(VALU_DEP_1)
	v_add_f64 v[1:2], v[82:83], -v[1:2]
	scratch_store_b64 off, v[1:2], off offset:256
	v_cmpx_lt_u32_e32 31, v0
	s_cbranch_execz .LBB38_181
; %bb.180:
	scratch_load_b64 v[1:2], off, off offset:248
	v_mov_b32_e32 v82, 0
	s_delay_alu instid0(VALU_DEP_1)
	v_mov_b32_e32 v83, v82
	scratch_store_b64 off, v[82:83], off offset:248
	s_waitcnt vmcnt(0)
	ds_store_b64 v3, v[1:2]
.LBB38_181:
	s_or_b32 exec_lo, exec_lo, s0
	s_waitcnt lgkmcnt(0)
	s_waitcnt_vscnt null, 0x0
	s_barrier
	buffer_gl0_inv
	s_clause 0x3
	scratch_load_b128 v[82:85], off, off offset:248
	scratch_load_b128 v[86:89], off, off offset:264
	scratch_load_b128 v[90:93], off, off offset:280
	scratch_load_b128 v[94:97], off, off offset:296
	v_mov_b32_e32 v1, 0
	ds_load_b128 v[98:101], v1 offset:576
	ds_load_b128 v[102:105], v1 offset:592
	s_mov_b32 s0, exec_lo
	s_waitcnt vmcnt(3) lgkmcnt(1)
	v_fma_f64 v[84:85], v[84:85], v[98:99], 0
	s_waitcnt vmcnt(2)
	s_delay_alu instid0(VALU_DEP_1) | instskip(SKIP_1) | instid1(VALU_DEP_1)
	v_fma_f64 v[84:85], v[86:87], v[100:101], v[84:85]
	s_waitcnt lgkmcnt(0)
	v_fma_f64 v[84:85], v[88:89], v[102:103], v[84:85]
	s_waitcnt vmcnt(1)
	s_delay_alu instid0(VALU_DEP_1)
	v_fma_f64 v[88:89], v[90:91], v[104:105], v[84:85]
	ds_load_b128 v[84:87], v1 offset:608
	ds_load_b64 v[90:91], v1 offset:624
	s_waitcnt lgkmcnt(1)
	v_fma_f64 v[84:85], v[92:93], v[84:85], v[88:89]
	s_waitcnt vmcnt(0)
	s_delay_alu instid0(VALU_DEP_1) | instskip(SKIP_1) | instid1(VALU_DEP_1)
	v_fma_f64 v[84:85], v[94:95], v[86:87], v[84:85]
	s_waitcnt lgkmcnt(0)
	v_fma_f64 v[84:85], v[96:97], v[90:91], v[84:85]
	s_delay_alu instid0(VALU_DEP_1)
	v_add_f64 v[82:83], v[82:83], -v[84:85]
	scratch_store_b64 off, v[82:83], off offset:248
	v_cmpx_lt_u32_e32 30, v0
	s_cbranch_execz .LBB38_183
; %bb.182:
	scratch_load_b64 v[82:83], off, off offset:240
	v_mov_b32_e32 v2, v1
	scratch_store_b64 off, v[1:2], off offset:240
	s_waitcnt vmcnt(0)
	ds_store_b64 v3, v[82:83]
.LBB38_183:
	s_or_b32 exec_lo, exec_lo, s0
	s_waitcnt lgkmcnt(0)
	s_waitcnt_vscnt null, 0x0
	s_barrier
	buffer_gl0_inv
	s_clause 0x4
	scratch_load_b128 v[82:85], off, off offset:240
	scratch_load_b128 v[86:89], off, off offset:256
	;; [unrolled: 1-line block ×4, first 2 shown]
	scratch_load_b64 v[106:107], off, off offset:304
	ds_load_2addr_b64 v[98:101], v1 offset0:71 offset1:72
	ds_load_2addr_b64 v[102:105], v1 offset0:73 offset1:74
	s_mov_b32 s0, exec_lo
	s_waitcnt vmcnt(4) lgkmcnt(1)
	v_fma_f64 v[84:85], v[84:85], v[98:99], 0
	s_waitcnt vmcnt(3)
	s_delay_alu instid0(VALU_DEP_1) | instskip(SKIP_1) | instid1(VALU_DEP_1)
	v_fma_f64 v[84:85], v[86:87], v[100:101], v[84:85]
	s_waitcnt lgkmcnt(0)
	v_fma_f64 v[84:85], v[88:89], v[102:103], v[84:85]
	s_waitcnt vmcnt(2)
	s_delay_alu instid0(VALU_DEP_1)
	v_fma_f64 v[98:99], v[90:91], v[104:105], v[84:85]
	ds_load_2addr_b64 v[84:87], v1 offset0:75 offset1:76
	ds_load_2addr_b64 v[88:91], v1 offset0:77 offset1:78
	s_waitcnt lgkmcnt(1)
	v_fma_f64 v[1:2], v[92:93], v[84:85], v[98:99]
	s_waitcnt vmcnt(1)
	s_delay_alu instid0(VALU_DEP_1) | instskip(SKIP_1) | instid1(VALU_DEP_1)
	v_fma_f64 v[1:2], v[94:95], v[86:87], v[1:2]
	s_waitcnt lgkmcnt(0)
	v_fma_f64 v[1:2], v[96:97], v[88:89], v[1:2]
	s_waitcnt vmcnt(0)
	s_delay_alu instid0(VALU_DEP_1) | instskip(NEXT) | instid1(VALU_DEP_1)
	v_fma_f64 v[1:2], v[106:107], v[90:91], v[1:2]
	v_add_f64 v[1:2], v[82:83], -v[1:2]
	scratch_store_b64 off, v[1:2], off offset:240
	v_cmpx_lt_u32_e32 29, v0
	s_cbranch_execz .LBB38_185
; %bb.184:
	scratch_load_b64 v[1:2], off, off offset:232
	v_mov_b32_e32 v82, 0
	s_delay_alu instid0(VALU_DEP_1)
	v_mov_b32_e32 v83, v82
	scratch_store_b64 off, v[82:83], off offset:232
	s_waitcnt vmcnt(0)
	ds_store_b64 v3, v[1:2]
.LBB38_185:
	s_or_b32 exec_lo, exec_lo, s0
	s_waitcnt lgkmcnt(0)
	s_waitcnt_vscnt null, 0x0
	s_barrier
	buffer_gl0_inv
	s_clause 0x4
	scratch_load_b128 v[82:85], off, off offset:232
	scratch_load_b128 v[86:89], off, off offset:248
	scratch_load_b128 v[90:93], off, off offset:264
	scratch_load_b128 v[94:97], off, off offset:280
	scratch_load_b128 v[98:101], off, off offset:296
	v_mov_b32_e32 v1, 0
	ds_load_b128 v[102:105], v1 offset:560
	ds_load_b128 v[106:109], v1 offset:576
	s_mov_b32 s0, exec_lo
	s_waitcnt vmcnt(4) lgkmcnt(1)
	v_fma_f64 v[84:85], v[84:85], v[102:103], 0
	s_waitcnt vmcnt(3)
	s_delay_alu instid0(VALU_DEP_1) | instskip(SKIP_1) | instid1(VALU_DEP_1)
	v_fma_f64 v[84:85], v[86:87], v[104:105], v[84:85]
	s_waitcnt lgkmcnt(0)
	v_fma_f64 v[84:85], v[88:89], v[106:107], v[84:85]
	s_waitcnt vmcnt(2)
	s_delay_alu instid0(VALU_DEP_1)
	v_fma_f64 v[102:103], v[90:91], v[108:109], v[84:85]
	ds_load_b128 v[84:87], v1 offset:592
	ds_load_b128 v[88:91], v1 offset:608
	s_waitcnt lgkmcnt(1)
	v_fma_f64 v[84:85], v[92:93], v[84:85], v[102:103]
	s_waitcnt vmcnt(1)
	s_delay_alu instid0(VALU_DEP_1) | instskip(SKIP_4) | instid1(VALU_DEP_1)
	v_fma_f64 v[84:85], v[94:95], v[86:87], v[84:85]
	ds_load_b64 v[86:87], v1 offset:624
	s_waitcnt lgkmcnt(1)
	v_fma_f64 v[84:85], v[96:97], v[88:89], v[84:85]
	s_waitcnt vmcnt(0)
	v_fma_f64 v[84:85], v[98:99], v[90:91], v[84:85]
	s_waitcnt lgkmcnt(0)
	s_delay_alu instid0(VALU_DEP_1) | instskip(NEXT) | instid1(VALU_DEP_1)
	v_fma_f64 v[84:85], v[100:101], v[86:87], v[84:85]
	v_add_f64 v[82:83], v[82:83], -v[84:85]
	scratch_store_b64 off, v[82:83], off offset:232
	v_cmpx_lt_u32_e32 28, v0
	s_cbranch_execz .LBB38_187
; %bb.186:
	scratch_load_b64 v[82:83], off, off offset:224
	v_mov_b32_e32 v2, v1
	scratch_store_b64 off, v[1:2], off offset:224
	s_waitcnt vmcnt(0)
	ds_store_b64 v3, v[82:83]
.LBB38_187:
	s_or_b32 exec_lo, exec_lo, s0
	s_waitcnt lgkmcnt(0)
	s_waitcnt_vscnt null, 0x0
	s_barrier
	buffer_gl0_inv
	s_clause 0x4
	scratch_load_b128 v[82:85], off, off offset:224
	scratch_load_b128 v[86:89], off, off offset:240
	;; [unrolled: 1-line block ×5, first 2 shown]
	ds_load_2addr_b64 v[102:105], v1 offset0:69 offset1:70
	ds_load_2addr_b64 v[106:109], v1 offset0:71 offset1:72
	s_mov_b32 s0, exec_lo
	s_waitcnt vmcnt(4) lgkmcnt(1)
	v_fma_f64 v[84:85], v[84:85], v[102:103], 0
	scratch_load_b64 v[102:103], off, off offset:304
	s_waitcnt vmcnt(4)
	v_fma_f64 v[84:85], v[86:87], v[104:105], v[84:85]
	s_waitcnt lgkmcnt(0)
	s_delay_alu instid0(VALU_DEP_1) | instskip(SKIP_1) | instid1(VALU_DEP_1)
	v_fma_f64 v[84:85], v[88:89], v[106:107], v[84:85]
	s_waitcnt vmcnt(3)
	v_fma_f64 v[104:105], v[90:91], v[108:109], v[84:85]
	ds_load_2addr_b64 v[84:87], v1 offset0:73 offset1:74
	ds_load_2addr_b64 v[88:91], v1 offset0:75 offset1:76
	s_waitcnt lgkmcnt(1)
	v_fma_f64 v[84:85], v[92:93], v[84:85], v[104:105]
	s_waitcnt vmcnt(2)
	s_delay_alu instid0(VALU_DEP_1) | instskip(SKIP_1) | instid1(VALU_DEP_1)
	v_fma_f64 v[84:85], v[94:95], v[86:87], v[84:85]
	s_waitcnt lgkmcnt(0)
	v_fma_f64 v[84:85], v[96:97], v[88:89], v[84:85]
	s_waitcnt vmcnt(1)
	s_delay_alu instid0(VALU_DEP_1) | instskip(SKIP_4) | instid1(VALU_DEP_1)
	v_fma_f64 v[88:89], v[98:99], v[90:91], v[84:85]
	ds_load_2addr_b64 v[84:87], v1 offset0:77 offset1:78
	s_waitcnt lgkmcnt(0)
	v_fma_f64 v[1:2], v[100:101], v[84:85], v[88:89]
	s_waitcnt vmcnt(0)
	v_fma_f64 v[1:2], v[102:103], v[86:87], v[1:2]
	s_delay_alu instid0(VALU_DEP_1)
	v_add_f64 v[1:2], v[82:83], -v[1:2]
	scratch_store_b64 off, v[1:2], off offset:224
	v_cmpx_lt_u32_e32 27, v0
	s_cbranch_execz .LBB38_189
; %bb.188:
	scratch_load_b64 v[1:2], off, off offset:216
	v_mov_b32_e32 v82, 0
	s_delay_alu instid0(VALU_DEP_1)
	v_mov_b32_e32 v83, v82
	scratch_store_b64 off, v[82:83], off offset:216
	s_waitcnt vmcnt(0)
	ds_store_b64 v3, v[1:2]
.LBB38_189:
	s_or_b32 exec_lo, exec_lo, s0
	s_waitcnt lgkmcnt(0)
	s_waitcnt_vscnt null, 0x0
	s_barrier
	buffer_gl0_inv
	s_clause 0x4
	scratch_load_b128 v[82:85], off, off offset:216
	scratch_load_b128 v[86:89], off, off offset:232
	;; [unrolled: 1-line block ×5, first 2 shown]
	v_mov_b32_e32 v1, 0
	ds_load_b128 v[102:105], v1 offset:544
	ds_load_b128 v[106:109], v1 offset:560
	scratch_load_b128 v[110:113], off, off offset:296
	s_mov_b32 s0, exec_lo
	s_waitcnt vmcnt(5) lgkmcnt(1)
	v_fma_f64 v[84:85], v[84:85], v[102:103], 0
	s_waitcnt vmcnt(4)
	s_delay_alu instid0(VALU_DEP_1) | instskip(SKIP_1) | instid1(VALU_DEP_1)
	v_fma_f64 v[84:85], v[86:87], v[104:105], v[84:85]
	s_waitcnt lgkmcnt(0)
	v_fma_f64 v[84:85], v[88:89], v[106:107], v[84:85]
	s_waitcnt vmcnt(3)
	s_delay_alu instid0(VALU_DEP_1)
	v_fma_f64 v[102:103], v[90:91], v[108:109], v[84:85]
	ds_load_b128 v[84:87], v1 offset:576
	ds_load_b128 v[88:91], v1 offset:592
	s_waitcnt lgkmcnt(1)
	v_fma_f64 v[84:85], v[92:93], v[84:85], v[102:103]
	s_waitcnt vmcnt(2)
	s_delay_alu instid0(VALU_DEP_1) | instskip(SKIP_1) | instid1(VALU_DEP_1)
	v_fma_f64 v[84:85], v[94:95], v[86:87], v[84:85]
	s_waitcnt lgkmcnt(0)
	v_fma_f64 v[84:85], v[96:97], v[88:89], v[84:85]
	s_waitcnt vmcnt(1)
	s_delay_alu instid0(VALU_DEP_1)
	v_fma_f64 v[88:89], v[98:99], v[90:91], v[84:85]
	ds_load_b128 v[84:87], v1 offset:608
	ds_load_b64 v[90:91], v1 offset:624
	s_waitcnt lgkmcnt(1)
	v_fma_f64 v[84:85], v[100:101], v[84:85], v[88:89]
	s_waitcnt vmcnt(0)
	s_delay_alu instid0(VALU_DEP_1) | instskip(SKIP_1) | instid1(VALU_DEP_1)
	v_fma_f64 v[84:85], v[110:111], v[86:87], v[84:85]
	s_waitcnt lgkmcnt(0)
	v_fma_f64 v[84:85], v[112:113], v[90:91], v[84:85]
	s_delay_alu instid0(VALU_DEP_1)
	v_add_f64 v[82:83], v[82:83], -v[84:85]
	scratch_store_b64 off, v[82:83], off offset:216
	v_cmpx_lt_u32_e32 26, v0
	s_cbranch_execz .LBB38_191
; %bb.190:
	scratch_load_b64 v[82:83], off, off offset:208
	v_mov_b32_e32 v2, v1
	scratch_store_b64 off, v[1:2], off offset:208
	s_waitcnt vmcnt(0)
	ds_store_b64 v3, v[82:83]
.LBB38_191:
	s_or_b32 exec_lo, exec_lo, s0
	s_waitcnt lgkmcnt(0)
	s_waitcnt_vscnt null, 0x0
	s_barrier
	buffer_gl0_inv
	s_clause 0x4
	scratch_load_b128 v[82:85], off, off offset:208
	scratch_load_b128 v[86:89], off, off offset:224
	;; [unrolled: 1-line block ×5, first 2 shown]
	ds_load_2addr_b64 v[102:105], v1 offset0:67 offset1:68
	ds_load_2addr_b64 v[106:109], v1 offset0:69 offset1:70
	scratch_load_b128 v[110:113], off, off offset:288
	s_mov_b32 s0, exec_lo
	s_waitcnt vmcnt(5) lgkmcnt(1)
	v_fma_f64 v[84:85], v[84:85], v[102:103], 0
	scratch_load_b64 v[102:103], off, off offset:304
	s_waitcnt vmcnt(5)
	v_fma_f64 v[84:85], v[86:87], v[104:105], v[84:85]
	s_waitcnt lgkmcnt(0)
	s_delay_alu instid0(VALU_DEP_1) | instskip(SKIP_1) | instid1(VALU_DEP_1)
	v_fma_f64 v[84:85], v[88:89], v[106:107], v[84:85]
	s_waitcnt vmcnt(4)
	v_fma_f64 v[104:105], v[90:91], v[108:109], v[84:85]
	ds_load_2addr_b64 v[84:87], v1 offset0:71 offset1:72
	ds_load_2addr_b64 v[88:91], v1 offset0:73 offset1:74
	s_waitcnt lgkmcnt(1)
	v_fma_f64 v[84:85], v[92:93], v[84:85], v[104:105]
	s_waitcnt vmcnt(3)
	s_delay_alu instid0(VALU_DEP_1) | instskip(SKIP_1) | instid1(VALU_DEP_1)
	v_fma_f64 v[84:85], v[94:95], v[86:87], v[84:85]
	s_waitcnt lgkmcnt(0)
	v_fma_f64 v[84:85], v[96:97], v[88:89], v[84:85]
	s_waitcnt vmcnt(2)
	s_delay_alu instid0(VALU_DEP_1)
	v_fma_f64 v[92:93], v[98:99], v[90:91], v[84:85]
	ds_load_2addr_b64 v[84:87], v1 offset0:75 offset1:76
	ds_load_2addr_b64 v[88:91], v1 offset0:77 offset1:78
	s_waitcnt lgkmcnt(1)
	v_fma_f64 v[1:2], v[100:101], v[84:85], v[92:93]
	s_waitcnt vmcnt(1)
	s_delay_alu instid0(VALU_DEP_1) | instskip(SKIP_1) | instid1(VALU_DEP_1)
	v_fma_f64 v[1:2], v[110:111], v[86:87], v[1:2]
	s_waitcnt lgkmcnt(0)
	v_fma_f64 v[1:2], v[112:113], v[88:89], v[1:2]
	s_waitcnt vmcnt(0)
	s_delay_alu instid0(VALU_DEP_1) | instskip(NEXT) | instid1(VALU_DEP_1)
	v_fma_f64 v[1:2], v[102:103], v[90:91], v[1:2]
	v_add_f64 v[1:2], v[82:83], -v[1:2]
	scratch_store_b64 off, v[1:2], off offset:208
	v_cmpx_lt_u32_e32 25, v0
	s_cbranch_execz .LBB38_193
; %bb.192:
	scratch_load_b64 v[1:2], off, off offset:200
	v_mov_b32_e32 v82, 0
	s_delay_alu instid0(VALU_DEP_1)
	v_mov_b32_e32 v83, v82
	scratch_store_b64 off, v[82:83], off offset:200
	s_waitcnt vmcnt(0)
	ds_store_b64 v3, v[1:2]
.LBB38_193:
	s_or_b32 exec_lo, exec_lo, s0
	s_waitcnt lgkmcnt(0)
	s_waitcnt_vscnt null, 0x0
	s_barrier
	buffer_gl0_inv
	s_clause 0x4
	scratch_load_b128 v[82:85], off, off offset:200
	scratch_load_b128 v[86:89], off, off offset:216
	;; [unrolled: 1-line block ×5, first 2 shown]
	v_mov_b32_e32 v1, 0
	ds_load_b128 v[102:105], v1 offset:528
	ds_load_b128 v[106:109], v1 offset:544
	scratch_load_b128 v[110:113], off, off offset:280
	s_mov_b32 s0, exec_lo
	s_waitcnt vmcnt(5) lgkmcnt(1)
	v_fma_f64 v[84:85], v[84:85], v[102:103], 0
	s_waitcnt vmcnt(4)
	s_delay_alu instid0(VALU_DEP_1) | instskip(SKIP_1) | instid1(VALU_DEP_1)
	v_fma_f64 v[84:85], v[86:87], v[104:105], v[84:85]
	s_waitcnt lgkmcnt(0)
	v_fma_f64 v[88:89], v[88:89], v[106:107], v[84:85]
	scratch_load_b128 v[84:87], off, off offset:296
	s_waitcnt vmcnt(4)
	v_fma_f64 v[106:107], v[90:91], v[108:109], v[88:89]
	ds_load_b128 v[88:91], v1 offset:560
	ds_load_b128 v[102:105], v1 offset:576
	s_waitcnt lgkmcnt(1)
	v_fma_f64 v[88:89], v[92:93], v[88:89], v[106:107]
	s_waitcnt vmcnt(3)
	s_delay_alu instid0(VALU_DEP_1) | instskip(SKIP_1) | instid1(VALU_DEP_1)
	v_fma_f64 v[88:89], v[94:95], v[90:91], v[88:89]
	s_waitcnt lgkmcnt(0)
	v_fma_f64 v[88:89], v[96:97], v[102:103], v[88:89]
	s_waitcnt vmcnt(2)
	s_delay_alu instid0(VALU_DEP_1)
	v_fma_f64 v[96:97], v[98:99], v[104:105], v[88:89]
	ds_load_b128 v[88:91], v1 offset:592
	ds_load_b128 v[92:95], v1 offset:608
	s_waitcnt lgkmcnt(1)
	v_fma_f64 v[88:89], v[100:101], v[88:89], v[96:97]
	s_waitcnt vmcnt(1)
	s_delay_alu instid0(VALU_DEP_1) | instskip(SKIP_1) | instid1(VALU_DEP_1)
	v_fma_f64 v[88:89], v[110:111], v[90:91], v[88:89]
	s_waitcnt lgkmcnt(0)
	v_fma_f64 v[88:89], v[112:113], v[92:93], v[88:89]
	s_waitcnt vmcnt(0)
	s_delay_alu instid0(VALU_DEP_1) | instskip(SKIP_3) | instid1(VALU_DEP_1)
	v_fma_f64 v[84:85], v[84:85], v[94:95], v[88:89]
	ds_load_b64 v[88:89], v1 offset:624
	s_waitcnt lgkmcnt(0)
	v_fma_f64 v[84:85], v[86:87], v[88:89], v[84:85]
	v_add_f64 v[82:83], v[82:83], -v[84:85]
	scratch_store_b64 off, v[82:83], off offset:200
	v_cmpx_lt_u32_e32 24, v0
	s_cbranch_execz .LBB38_195
; %bb.194:
	scratch_load_b64 v[82:83], off, off offset:192
	v_mov_b32_e32 v2, v1
	scratch_store_b64 off, v[1:2], off offset:192
	s_waitcnt vmcnt(0)
	ds_store_b64 v3, v[82:83]
.LBB38_195:
	s_or_b32 exec_lo, exec_lo, s0
	s_waitcnt lgkmcnt(0)
	s_waitcnt_vscnt null, 0x0
	s_barrier
	buffer_gl0_inv
	s_clause 0x4
	scratch_load_b128 v[82:85], off, off offset:192
	scratch_load_b128 v[86:89], off, off offset:208
	;; [unrolled: 1-line block ×5, first 2 shown]
	ds_load_2addr_b64 v[102:105], v1 offset0:65 offset1:66
	ds_load_2addr_b64 v[106:109], v1 offset0:67 offset1:68
	scratch_load_b128 v[110:113], off, off offset:272
	s_mov_b32 s0, exec_lo
	s_waitcnt vmcnt(5) lgkmcnt(1)
	v_fma_f64 v[84:85], v[84:85], v[102:103], 0
	s_waitcnt vmcnt(4)
	s_delay_alu instid0(VALU_DEP_1) | instskip(SKIP_1) | instid1(VALU_DEP_1)
	v_fma_f64 v[84:85], v[86:87], v[104:105], v[84:85]
	s_waitcnt lgkmcnt(0)
	v_fma_f64 v[88:89], v[88:89], v[106:107], v[84:85]
	scratch_load_b128 v[84:87], off, off offset:288
	s_waitcnt vmcnt(4)
	v_fma_f64 v[106:107], v[90:91], v[108:109], v[88:89]
	ds_load_2addr_b64 v[88:91], v1 offset0:69 offset1:70
	ds_load_2addr_b64 v[102:105], v1 offset0:71 offset1:72
	s_waitcnt lgkmcnt(1)
	v_fma_f64 v[88:89], v[92:93], v[88:89], v[106:107]
	scratch_load_b64 v[106:107], off, off offset:304
	s_waitcnt vmcnt(4)
	v_fma_f64 v[88:89], v[94:95], v[90:91], v[88:89]
	s_waitcnt lgkmcnt(0)
	s_delay_alu instid0(VALU_DEP_1) | instskip(SKIP_1) | instid1(VALU_DEP_1)
	v_fma_f64 v[88:89], v[96:97], v[102:103], v[88:89]
	s_waitcnt vmcnt(3)
	v_fma_f64 v[96:97], v[98:99], v[104:105], v[88:89]
	ds_load_2addr_b64 v[88:91], v1 offset0:73 offset1:74
	ds_load_2addr_b64 v[92:95], v1 offset0:75 offset1:76
	s_waitcnt lgkmcnt(1)
	v_fma_f64 v[88:89], v[100:101], v[88:89], v[96:97]
	s_waitcnt vmcnt(2)
	s_delay_alu instid0(VALU_DEP_1) | instskip(SKIP_1) | instid1(VALU_DEP_1)
	v_fma_f64 v[88:89], v[110:111], v[90:91], v[88:89]
	s_waitcnt lgkmcnt(0)
	v_fma_f64 v[88:89], v[112:113], v[92:93], v[88:89]
	s_waitcnt vmcnt(1)
	s_delay_alu instid0(VALU_DEP_1) | instskip(SKIP_4) | instid1(VALU_DEP_1)
	v_fma_f64 v[84:85], v[84:85], v[94:95], v[88:89]
	ds_load_2addr_b64 v[88:91], v1 offset0:77 offset1:78
	s_waitcnt lgkmcnt(0)
	v_fma_f64 v[1:2], v[86:87], v[88:89], v[84:85]
	s_waitcnt vmcnt(0)
	v_fma_f64 v[1:2], v[106:107], v[90:91], v[1:2]
	s_delay_alu instid0(VALU_DEP_1)
	v_add_f64 v[1:2], v[82:83], -v[1:2]
	scratch_store_b64 off, v[1:2], off offset:192
	v_cmpx_lt_u32_e32 23, v0
	s_cbranch_execz .LBB38_197
; %bb.196:
	scratch_load_b64 v[1:2], off, off offset:184
	v_mov_b32_e32 v82, 0
	s_delay_alu instid0(VALU_DEP_1)
	v_mov_b32_e32 v83, v82
	scratch_store_b64 off, v[82:83], off offset:184
	s_waitcnt vmcnt(0)
	ds_store_b64 v3, v[1:2]
.LBB38_197:
	s_or_b32 exec_lo, exec_lo, s0
	s_waitcnt lgkmcnt(0)
	s_waitcnt_vscnt null, 0x0
	s_barrier
	buffer_gl0_inv
	s_clause 0x4
	scratch_load_b128 v[82:85], off, off offset:184
	scratch_load_b128 v[86:89], off, off offset:200
	;; [unrolled: 1-line block ×5, first 2 shown]
	v_mov_b32_e32 v1, 0
	ds_load_b128 v[102:105], v1 offset:512
	ds_load_b128 v[106:109], v1 offset:528
	scratch_load_b128 v[110:113], off, off offset:264
	s_mov_b32 s0, exec_lo
	s_waitcnt vmcnt(5) lgkmcnt(1)
	v_fma_f64 v[84:85], v[84:85], v[102:103], 0
	s_waitcnt vmcnt(4)
	s_delay_alu instid0(VALU_DEP_1) | instskip(SKIP_1) | instid1(VALU_DEP_1)
	v_fma_f64 v[84:85], v[86:87], v[104:105], v[84:85]
	s_waitcnt lgkmcnt(0)
	v_fma_f64 v[88:89], v[88:89], v[106:107], v[84:85]
	scratch_load_b128 v[84:87], off, off offset:280
	s_waitcnt vmcnt(4)
	v_fma_f64 v[106:107], v[90:91], v[108:109], v[88:89]
	ds_load_b128 v[88:91], v1 offset:544
	ds_load_b128 v[102:105], v1 offset:560
	s_waitcnt lgkmcnt(1)
	v_fma_f64 v[88:89], v[92:93], v[88:89], v[106:107]
	scratch_load_b128 v[106:109], off, off offset:296
	s_waitcnt vmcnt(4)
	v_fma_f64 v[88:89], v[94:95], v[90:91], v[88:89]
	s_waitcnt lgkmcnt(0)
	s_delay_alu instid0(VALU_DEP_1) | instskip(SKIP_1) | instid1(VALU_DEP_1)
	v_fma_f64 v[88:89], v[96:97], v[102:103], v[88:89]
	s_waitcnt vmcnt(3)
	v_fma_f64 v[96:97], v[98:99], v[104:105], v[88:89]
	ds_load_b128 v[88:91], v1 offset:576
	ds_load_b128 v[92:95], v1 offset:592
	s_waitcnt lgkmcnt(1)
	v_fma_f64 v[88:89], v[100:101], v[88:89], v[96:97]
	s_waitcnt vmcnt(2)
	s_delay_alu instid0(VALU_DEP_1) | instskip(SKIP_1) | instid1(VALU_DEP_1)
	v_fma_f64 v[88:89], v[110:111], v[90:91], v[88:89]
	s_waitcnt lgkmcnt(0)
	v_fma_f64 v[88:89], v[112:113], v[92:93], v[88:89]
	s_waitcnt vmcnt(1)
	s_delay_alu instid0(VALU_DEP_1)
	v_fma_f64 v[84:85], v[84:85], v[94:95], v[88:89]
	ds_load_b128 v[88:91], v1 offset:608
	ds_load_b64 v[92:93], v1 offset:624
	s_waitcnt lgkmcnt(1)
	v_fma_f64 v[84:85], v[86:87], v[88:89], v[84:85]
	s_waitcnt vmcnt(0)
	s_delay_alu instid0(VALU_DEP_1) | instskip(SKIP_1) | instid1(VALU_DEP_1)
	v_fma_f64 v[84:85], v[106:107], v[90:91], v[84:85]
	s_waitcnt lgkmcnt(0)
	v_fma_f64 v[84:85], v[108:109], v[92:93], v[84:85]
	s_delay_alu instid0(VALU_DEP_1)
	v_add_f64 v[82:83], v[82:83], -v[84:85]
	scratch_store_b64 off, v[82:83], off offset:184
	v_cmpx_lt_u32_e32 22, v0
	s_cbranch_execz .LBB38_199
; %bb.198:
	scratch_load_b64 v[82:83], off, off offset:176
	v_mov_b32_e32 v2, v1
	scratch_store_b64 off, v[1:2], off offset:176
	s_waitcnt vmcnt(0)
	ds_store_b64 v3, v[82:83]
.LBB38_199:
	s_or_b32 exec_lo, exec_lo, s0
	s_waitcnt lgkmcnt(0)
	s_waitcnt_vscnt null, 0x0
	s_barrier
	buffer_gl0_inv
	s_clause 0x4
	scratch_load_b128 v[82:85], off, off offset:176
	scratch_load_b128 v[86:89], off, off offset:192
	;; [unrolled: 1-line block ×5, first 2 shown]
	ds_load_2addr_b64 v[102:105], v1 offset0:63 offset1:64
	ds_load_2addr_b64 v[106:109], v1 offset0:65 offset1:66
	scratch_load_b128 v[110:113], off, off offset:256
	s_mov_b32 s0, exec_lo
	s_waitcnt vmcnt(5) lgkmcnt(1)
	v_fma_f64 v[84:85], v[84:85], v[102:103], 0
	s_waitcnt vmcnt(4)
	s_delay_alu instid0(VALU_DEP_1) | instskip(SKIP_1) | instid1(VALU_DEP_1)
	v_fma_f64 v[84:85], v[86:87], v[104:105], v[84:85]
	s_waitcnt lgkmcnt(0)
	v_fma_f64 v[88:89], v[88:89], v[106:107], v[84:85]
	scratch_load_b128 v[84:87], off, off offset:272
	s_waitcnt vmcnt(4)
	v_fma_f64 v[106:107], v[90:91], v[108:109], v[88:89]
	ds_load_2addr_b64 v[88:91], v1 offset0:67 offset1:68
	ds_load_2addr_b64 v[102:105], v1 offset0:69 offset1:70
	s_waitcnt lgkmcnt(1)
	v_fma_f64 v[88:89], v[92:93], v[88:89], v[106:107]
	scratch_load_b128 v[106:109], off, off offset:288
	s_waitcnt vmcnt(4)
	v_fma_f64 v[88:89], v[94:95], v[90:91], v[88:89]
	s_waitcnt lgkmcnt(0)
	s_delay_alu instid0(VALU_DEP_1)
	v_fma_f64 v[88:89], v[96:97], v[102:103], v[88:89]
	scratch_load_b64 v[96:97], off, off offset:304
	s_waitcnt vmcnt(4)
	v_fma_f64 v[98:99], v[98:99], v[104:105], v[88:89]
	ds_load_2addr_b64 v[88:91], v1 offset0:71 offset1:72
	ds_load_2addr_b64 v[92:95], v1 offset0:73 offset1:74
	s_waitcnt lgkmcnt(1)
	v_fma_f64 v[88:89], v[100:101], v[88:89], v[98:99]
	s_waitcnt vmcnt(3)
	s_delay_alu instid0(VALU_DEP_1) | instskip(SKIP_1) | instid1(VALU_DEP_1)
	v_fma_f64 v[88:89], v[110:111], v[90:91], v[88:89]
	s_waitcnt lgkmcnt(0)
	v_fma_f64 v[88:89], v[112:113], v[92:93], v[88:89]
	s_waitcnt vmcnt(2)
	s_delay_alu instid0(VALU_DEP_1)
	v_fma_f64 v[84:85], v[84:85], v[94:95], v[88:89]
	ds_load_2addr_b64 v[88:91], v1 offset0:75 offset1:76
	ds_load_2addr_b64 v[92:95], v1 offset0:77 offset1:78
	s_waitcnt lgkmcnt(1)
	v_fma_f64 v[1:2], v[86:87], v[88:89], v[84:85]
	s_waitcnt vmcnt(1)
	s_delay_alu instid0(VALU_DEP_1) | instskip(SKIP_1) | instid1(VALU_DEP_1)
	v_fma_f64 v[1:2], v[106:107], v[90:91], v[1:2]
	s_waitcnt lgkmcnt(0)
	v_fma_f64 v[1:2], v[108:109], v[92:93], v[1:2]
	s_waitcnt vmcnt(0)
	s_delay_alu instid0(VALU_DEP_1) | instskip(NEXT) | instid1(VALU_DEP_1)
	v_fma_f64 v[1:2], v[96:97], v[94:95], v[1:2]
	v_add_f64 v[1:2], v[82:83], -v[1:2]
	scratch_store_b64 off, v[1:2], off offset:176
	v_cmpx_lt_u32_e32 21, v0
	s_cbranch_execz .LBB38_201
; %bb.200:
	scratch_load_b64 v[1:2], off, off offset:168
	v_mov_b32_e32 v82, 0
	s_delay_alu instid0(VALU_DEP_1)
	v_mov_b32_e32 v83, v82
	scratch_store_b64 off, v[82:83], off offset:168
	s_waitcnt vmcnt(0)
	ds_store_b64 v3, v[1:2]
.LBB38_201:
	s_or_b32 exec_lo, exec_lo, s0
	s_waitcnt lgkmcnt(0)
	s_waitcnt_vscnt null, 0x0
	s_barrier
	buffer_gl0_inv
	s_clause 0x4
	scratch_load_b128 v[82:85], off, off offset:168
	scratch_load_b128 v[86:89], off, off offset:184
	;; [unrolled: 1-line block ×5, first 2 shown]
	v_mov_b32_e32 v1, 0
	ds_load_b128 v[102:105], v1 offset:496
	ds_load_b128 v[106:109], v1 offset:512
	scratch_load_b128 v[110:113], off, off offset:248
	s_mov_b32 s0, exec_lo
	s_waitcnt vmcnt(5) lgkmcnt(1)
	v_fma_f64 v[84:85], v[84:85], v[102:103], 0
	s_waitcnt vmcnt(4)
	s_delay_alu instid0(VALU_DEP_1) | instskip(SKIP_1) | instid1(VALU_DEP_1)
	v_fma_f64 v[84:85], v[86:87], v[104:105], v[84:85]
	s_waitcnt lgkmcnt(0)
	v_fma_f64 v[88:89], v[88:89], v[106:107], v[84:85]
	scratch_load_b128 v[84:87], off, off offset:264
	s_waitcnt vmcnt(4)
	v_fma_f64 v[106:107], v[90:91], v[108:109], v[88:89]
	ds_load_b128 v[88:91], v1 offset:528
	ds_load_b128 v[102:105], v1 offset:544
	s_waitcnt lgkmcnt(1)
	v_fma_f64 v[88:89], v[92:93], v[88:89], v[106:107]
	scratch_load_b128 v[106:109], off, off offset:280
	s_waitcnt vmcnt(4)
	v_fma_f64 v[88:89], v[94:95], v[90:91], v[88:89]
	s_waitcnt lgkmcnt(0)
	s_delay_alu instid0(VALU_DEP_1)
	v_fma_f64 v[92:93], v[96:97], v[102:103], v[88:89]
	scratch_load_b128 v[88:91], off, off offset:296
	s_waitcnt vmcnt(4)
	v_fma_f64 v[102:103], v[98:99], v[104:105], v[92:93]
	ds_load_b128 v[92:95], v1 offset:560
	ds_load_b128 v[96:99], v1 offset:576
	s_waitcnt lgkmcnt(1)
	v_fma_f64 v[92:93], v[100:101], v[92:93], v[102:103]
	s_waitcnt vmcnt(3)
	s_delay_alu instid0(VALU_DEP_1) | instskip(SKIP_1) | instid1(VALU_DEP_1)
	v_fma_f64 v[92:93], v[110:111], v[94:95], v[92:93]
	s_waitcnt lgkmcnt(0)
	v_fma_f64 v[92:93], v[112:113], v[96:97], v[92:93]
	s_waitcnt vmcnt(2)
	s_delay_alu instid0(VALU_DEP_1)
	v_fma_f64 v[84:85], v[84:85], v[98:99], v[92:93]
	ds_load_b128 v[92:95], v1 offset:592
	ds_load_b128 v[96:99], v1 offset:608
	s_waitcnt lgkmcnt(1)
	v_fma_f64 v[84:85], v[86:87], v[92:93], v[84:85]
	ds_load_b64 v[86:87], v1 offset:624
	s_waitcnt vmcnt(1)
	v_fma_f64 v[84:85], v[106:107], v[94:95], v[84:85]
	s_waitcnt lgkmcnt(1)
	s_delay_alu instid0(VALU_DEP_1) | instskip(SKIP_1) | instid1(VALU_DEP_1)
	v_fma_f64 v[84:85], v[108:109], v[96:97], v[84:85]
	s_waitcnt vmcnt(0)
	v_fma_f64 v[84:85], v[88:89], v[98:99], v[84:85]
	s_waitcnt lgkmcnt(0)
	s_delay_alu instid0(VALU_DEP_1) | instskip(NEXT) | instid1(VALU_DEP_1)
	v_fma_f64 v[84:85], v[90:91], v[86:87], v[84:85]
	v_add_f64 v[82:83], v[82:83], -v[84:85]
	scratch_store_b64 off, v[82:83], off offset:168
	v_cmpx_lt_u32_e32 20, v0
	s_cbranch_execz .LBB38_203
; %bb.202:
	scratch_load_b64 v[82:83], off, off offset:160
	v_mov_b32_e32 v2, v1
	scratch_store_b64 off, v[1:2], off offset:160
	s_waitcnt vmcnt(0)
	ds_store_b64 v3, v[82:83]
.LBB38_203:
	s_or_b32 exec_lo, exec_lo, s0
	s_waitcnt lgkmcnt(0)
	s_waitcnt_vscnt null, 0x0
	s_barrier
	buffer_gl0_inv
	s_clause 0x4
	scratch_load_b128 v[82:85], off, off offset:160
	scratch_load_b128 v[86:89], off, off offset:176
	;; [unrolled: 1-line block ×5, first 2 shown]
	ds_load_2addr_b64 v[102:105], v1 offset0:61 offset1:62
	ds_load_2addr_b64 v[106:109], v1 offset0:63 offset1:64
	scratch_load_b128 v[110:113], off, off offset:240
	s_mov_b32 s0, exec_lo
	s_waitcnt vmcnt(5) lgkmcnt(1)
	v_fma_f64 v[84:85], v[84:85], v[102:103], 0
	s_waitcnt vmcnt(4)
	s_delay_alu instid0(VALU_DEP_1) | instskip(SKIP_1) | instid1(VALU_DEP_1)
	v_fma_f64 v[84:85], v[86:87], v[104:105], v[84:85]
	s_waitcnt lgkmcnt(0)
	v_fma_f64 v[88:89], v[88:89], v[106:107], v[84:85]
	scratch_load_b128 v[84:87], off, off offset:256
	s_waitcnt vmcnt(4)
	v_fma_f64 v[106:107], v[90:91], v[108:109], v[88:89]
	ds_load_2addr_b64 v[88:91], v1 offset0:65 offset1:66
	ds_load_2addr_b64 v[102:105], v1 offset0:67 offset1:68
	s_waitcnt lgkmcnt(1)
	v_fma_f64 v[88:89], v[92:93], v[88:89], v[106:107]
	scratch_load_b128 v[106:109], off, off offset:272
	s_waitcnt vmcnt(4)
	v_fma_f64 v[88:89], v[94:95], v[90:91], v[88:89]
	s_waitcnt lgkmcnt(0)
	s_delay_alu instid0(VALU_DEP_1)
	v_fma_f64 v[92:93], v[96:97], v[102:103], v[88:89]
	scratch_load_b128 v[88:91], off, off offset:288
	s_waitcnt vmcnt(4)
	v_fma_f64 v[102:103], v[98:99], v[104:105], v[92:93]
	ds_load_2addr_b64 v[92:95], v1 offset0:69 offset1:70
	ds_load_2addr_b64 v[96:99], v1 offset0:71 offset1:72
	s_waitcnt lgkmcnt(1)
	v_fma_f64 v[92:93], v[100:101], v[92:93], v[102:103]
	scratch_load_b64 v[100:101], off, off offset:304
	s_waitcnt vmcnt(4)
	v_fma_f64 v[92:93], v[110:111], v[94:95], v[92:93]
	s_waitcnt lgkmcnt(0)
	s_delay_alu instid0(VALU_DEP_1) | instskip(SKIP_1) | instid1(VALU_DEP_1)
	v_fma_f64 v[92:93], v[112:113], v[96:97], v[92:93]
	s_waitcnt vmcnt(3)
	v_fma_f64 v[84:85], v[84:85], v[98:99], v[92:93]
	ds_load_2addr_b64 v[92:95], v1 offset0:73 offset1:74
	ds_load_2addr_b64 v[96:99], v1 offset0:75 offset1:76
	s_waitcnt lgkmcnt(1)
	v_fma_f64 v[84:85], v[86:87], v[92:93], v[84:85]
	s_waitcnt vmcnt(2)
	s_delay_alu instid0(VALU_DEP_1) | instskip(SKIP_1) | instid1(VALU_DEP_1)
	v_fma_f64 v[84:85], v[106:107], v[94:95], v[84:85]
	s_waitcnt lgkmcnt(0)
	v_fma_f64 v[84:85], v[108:109], v[96:97], v[84:85]
	s_waitcnt vmcnt(1)
	s_delay_alu instid0(VALU_DEP_1) | instskip(SKIP_4) | instid1(VALU_DEP_1)
	v_fma_f64 v[88:89], v[88:89], v[98:99], v[84:85]
	ds_load_2addr_b64 v[84:87], v1 offset0:77 offset1:78
	s_waitcnt lgkmcnt(0)
	v_fma_f64 v[1:2], v[90:91], v[84:85], v[88:89]
	s_waitcnt vmcnt(0)
	v_fma_f64 v[1:2], v[100:101], v[86:87], v[1:2]
	s_delay_alu instid0(VALU_DEP_1)
	v_add_f64 v[1:2], v[82:83], -v[1:2]
	scratch_store_b64 off, v[1:2], off offset:160
	v_cmpx_lt_u32_e32 19, v0
	s_cbranch_execz .LBB38_205
; %bb.204:
	scratch_load_b64 v[1:2], off, off offset:152
	v_mov_b32_e32 v82, 0
	s_delay_alu instid0(VALU_DEP_1)
	v_mov_b32_e32 v83, v82
	scratch_store_b64 off, v[82:83], off offset:152
	s_waitcnt vmcnt(0)
	ds_store_b64 v3, v[1:2]
.LBB38_205:
	s_or_b32 exec_lo, exec_lo, s0
	s_waitcnt lgkmcnt(0)
	s_waitcnt_vscnt null, 0x0
	s_barrier
	buffer_gl0_inv
	s_clause 0x4
	scratch_load_b128 v[82:85], off, off offset:152
	scratch_load_b128 v[86:89], off, off offset:168
	;; [unrolled: 1-line block ×5, first 2 shown]
	v_mov_b32_e32 v1, 0
	ds_load_b128 v[102:105], v1 offset:480
	ds_load_b128 v[106:109], v1 offset:496
	scratch_load_b128 v[110:113], off, off offset:232
	s_mov_b32 s0, exec_lo
	s_waitcnt vmcnt(5) lgkmcnt(1)
	v_fma_f64 v[84:85], v[84:85], v[102:103], 0
	s_waitcnt vmcnt(4)
	s_delay_alu instid0(VALU_DEP_1) | instskip(SKIP_1) | instid1(VALU_DEP_1)
	v_fma_f64 v[84:85], v[86:87], v[104:105], v[84:85]
	s_waitcnt lgkmcnt(0)
	v_fma_f64 v[88:89], v[88:89], v[106:107], v[84:85]
	scratch_load_b128 v[84:87], off, off offset:248
	s_waitcnt vmcnt(4)
	v_fma_f64 v[106:107], v[90:91], v[108:109], v[88:89]
	ds_load_b128 v[88:91], v1 offset:512
	ds_load_b128 v[102:105], v1 offset:528
	s_waitcnt lgkmcnt(1)
	v_fma_f64 v[88:89], v[92:93], v[88:89], v[106:107]
	scratch_load_b128 v[106:109], off, off offset:264
	s_waitcnt vmcnt(4)
	v_fma_f64 v[88:89], v[94:95], v[90:91], v[88:89]
	s_waitcnt lgkmcnt(0)
	s_delay_alu instid0(VALU_DEP_1)
	v_fma_f64 v[92:93], v[96:97], v[102:103], v[88:89]
	scratch_load_b128 v[88:91], off, off offset:280
	s_waitcnt vmcnt(4)
	v_fma_f64 v[102:103], v[98:99], v[104:105], v[92:93]
	ds_load_b128 v[92:95], v1 offset:544
	ds_load_b128 v[96:99], v1 offset:560
	s_waitcnt lgkmcnt(1)
	v_fma_f64 v[92:93], v[100:101], v[92:93], v[102:103]
	scratch_load_b128 v[100:103], off, off offset:296
	s_waitcnt vmcnt(4)
	v_fma_f64 v[92:93], v[110:111], v[94:95], v[92:93]
	s_waitcnt lgkmcnt(0)
	s_delay_alu instid0(VALU_DEP_1) | instskip(SKIP_1) | instid1(VALU_DEP_1)
	v_fma_f64 v[92:93], v[112:113], v[96:97], v[92:93]
	s_waitcnt vmcnt(3)
	v_fma_f64 v[84:85], v[84:85], v[98:99], v[92:93]
	ds_load_b128 v[92:95], v1 offset:576
	ds_load_b128 v[96:99], v1 offset:592
	s_waitcnt lgkmcnt(1)
	v_fma_f64 v[84:85], v[86:87], v[92:93], v[84:85]
	s_waitcnt vmcnt(2)
	s_delay_alu instid0(VALU_DEP_1) | instskip(SKIP_1) | instid1(VALU_DEP_1)
	v_fma_f64 v[84:85], v[106:107], v[94:95], v[84:85]
	s_waitcnt lgkmcnt(0)
	v_fma_f64 v[84:85], v[108:109], v[96:97], v[84:85]
	s_waitcnt vmcnt(1)
	s_delay_alu instid0(VALU_DEP_1)
	v_fma_f64 v[88:89], v[88:89], v[98:99], v[84:85]
	ds_load_b128 v[84:87], v1 offset:608
	ds_load_b64 v[92:93], v1 offset:624
	s_waitcnt lgkmcnt(1)
	v_fma_f64 v[84:85], v[90:91], v[84:85], v[88:89]
	s_waitcnt vmcnt(0)
	s_delay_alu instid0(VALU_DEP_1) | instskip(SKIP_1) | instid1(VALU_DEP_1)
	v_fma_f64 v[84:85], v[100:101], v[86:87], v[84:85]
	s_waitcnt lgkmcnt(0)
	v_fma_f64 v[84:85], v[102:103], v[92:93], v[84:85]
	s_delay_alu instid0(VALU_DEP_1)
	v_add_f64 v[82:83], v[82:83], -v[84:85]
	scratch_store_b64 off, v[82:83], off offset:152
	v_cmpx_lt_u32_e32 18, v0
	s_cbranch_execz .LBB38_207
; %bb.206:
	scratch_load_b64 v[82:83], off, off offset:144
	v_mov_b32_e32 v2, v1
	scratch_store_b64 off, v[1:2], off offset:144
	s_waitcnt vmcnt(0)
	ds_store_b64 v3, v[82:83]
.LBB38_207:
	s_or_b32 exec_lo, exec_lo, s0
	s_waitcnt lgkmcnt(0)
	s_waitcnt_vscnt null, 0x0
	s_barrier
	buffer_gl0_inv
	s_clause 0x4
	scratch_load_b128 v[82:85], off, off offset:144
	scratch_load_b128 v[86:89], off, off offset:160
	;; [unrolled: 1-line block ×5, first 2 shown]
	ds_load_2addr_b64 v[102:105], v1 offset0:59 offset1:60
	ds_load_2addr_b64 v[106:109], v1 offset0:61 offset1:62
	scratch_load_b128 v[110:113], off, off offset:224
	s_mov_b32 s0, exec_lo
	s_waitcnt vmcnt(5) lgkmcnt(1)
	v_fma_f64 v[84:85], v[84:85], v[102:103], 0
	s_waitcnt vmcnt(4)
	s_delay_alu instid0(VALU_DEP_1) | instskip(SKIP_1) | instid1(VALU_DEP_1)
	v_fma_f64 v[84:85], v[86:87], v[104:105], v[84:85]
	s_waitcnt lgkmcnt(0)
	v_fma_f64 v[88:89], v[88:89], v[106:107], v[84:85]
	scratch_load_b128 v[84:87], off, off offset:240
	s_waitcnt vmcnt(4)
	v_fma_f64 v[106:107], v[90:91], v[108:109], v[88:89]
	ds_load_2addr_b64 v[88:91], v1 offset0:63 offset1:64
	ds_load_2addr_b64 v[102:105], v1 offset0:65 offset1:66
	s_waitcnt lgkmcnt(1)
	v_fma_f64 v[88:89], v[92:93], v[88:89], v[106:107]
	scratch_load_b128 v[106:109], off, off offset:256
	s_waitcnt vmcnt(4)
	v_fma_f64 v[88:89], v[94:95], v[90:91], v[88:89]
	s_waitcnt lgkmcnt(0)
	s_delay_alu instid0(VALU_DEP_1)
	v_fma_f64 v[92:93], v[96:97], v[102:103], v[88:89]
	scratch_load_b128 v[88:91], off, off offset:272
	s_waitcnt vmcnt(4)
	v_fma_f64 v[102:103], v[98:99], v[104:105], v[92:93]
	ds_load_2addr_b64 v[92:95], v1 offset0:67 offset1:68
	ds_load_2addr_b64 v[96:99], v1 offset0:69 offset1:70
	scratch_load_b64 v[104:105], off, off offset:304
	s_waitcnt lgkmcnt(1)
	v_fma_f64 v[92:93], v[100:101], v[92:93], v[102:103]
	scratch_load_b128 v[100:103], off, off offset:288
	s_waitcnt vmcnt(5)
	v_fma_f64 v[92:93], v[110:111], v[94:95], v[92:93]
	s_waitcnt lgkmcnt(0)
	s_delay_alu instid0(VALU_DEP_1) | instskip(SKIP_1) | instid1(VALU_DEP_1)
	v_fma_f64 v[92:93], v[112:113], v[96:97], v[92:93]
	s_waitcnt vmcnt(4)
	v_fma_f64 v[84:85], v[84:85], v[98:99], v[92:93]
	ds_load_2addr_b64 v[92:95], v1 offset0:71 offset1:72
	ds_load_2addr_b64 v[96:99], v1 offset0:73 offset1:74
	s_waitcnt lgkmcnt(1)
	v_fma_f64 v[84:85], v[86:87], v[92:93], v[84:85]
	s_waitcnt vmcnt(3)
	s_delay_alu instid0(VALU_DEP_1) | instskip(SKIP_1) | instid1(VALU_DEP_1)
	v_fma_f64 v[84:85], v[106:107], v[94:95], v[84:85]
	s_waitcnt lgkmcnt(0)
	v_fma_f64 v[84:85], v[108:109], v[96:97], v[84:85]
	s_waitcnt vmcnt(2)
	s_delay_alu instid0(VALU_DEP_1)
	v_fma_f64 v[88:89], v[88:89], v[98:99], v[84:85]
	ds_load_2addr_b64 v[84:87], v1 offset0:75 offset1:76
	ds_load_2addr_b64 v[92:95], v1 offset0:77 offset1:78
	s_waitcnt lgkmcnt(1)
	v_fma_f64 v[1:2], v[90:91], v[84:85], v[88:89]
	s_waitcnt vmcnt(0)
	s_delay_alu instid0(VALU_DEP_1) | instskip(SKIP_1) | instid1(VALU_DEP_1)
	v_fma_f64 v[1:2], v[100:101], v[86:87], v[1:2]
	s_waitcnt lgkmcnt(0)
	v_fma_f64 v[1:2], v[102:103], v[92:93], v[1:2]
	s_delay_alu instid0(VALU_DEP_1) | instskip(NEXT) | instid1(VALU_DEP_1)
	v_fma_f64 v[1:2], v[104:105], v[94:95], v[1:2]
	v_add_f64 v[1:2], v[82:83], -v[1:2]
	scratch_store_b64 off, v[1:2], off offset:144
	v_cmpx_lt_u32_e32 17, v0
	s_cbranch_execz .LBB38_209
; %bb.208:
	scratch_load_b64 v[1:2], off, off offset:136
	v_mov_b32_e32 v82, 0
	s_delay_alu instid0(VALU_DEP_1)
	v_mov_b32_e32 v83, v82
	scratch_store_b64 off, v[82:83], off offset:136
	s_waitcnt vmcnt(0)
	ds_store_b64 v3, v[1:2]
.LBB38_209:
	s_or_b32 exec_lo, exec_lo, s0
	s_waitcnt lgkmcnt(0)
	s_waitcnt_vscnt null, 0x0
	s_barrier
	buffer_gl0_inv
	s_clause 0x4
	scratch_load_b128 v[82:85], off, off offset:136
	scratch_load_b128 v[86:89], off, off offset:152
	;; [unrolled: 1-line block ×5, first 2 shown]
	v_mov_b32_e32 v1, 0
	ds_load_b128 v[102:105], v1 offset:464
	ds_load_b128 v[106:109], v1 offset:480
	scratch_load_b128 v[110:113], off, off offset:216
	s_mov_b32 s0, exec_lo
	s_waitcnt vmcnt(5) lgkmcnt(1)
	v_fma_f64 v[84:85], v[84:85], v[102:103], 0
	s_waitcnt vmcnt(4)
	s_delay_alu instid0(VALU_DEP_1) | instskip(SKIP_1) | instid1(VALU_DEP_1)
	v_fma_f64 v[84:85], v[86:87], v[104:105], v[84:85]
	s_waitcnt lgkmcnt(0)
	v_fma_f64 v[88:89], v[88:89], v[106:107], v[84:85]
	scratch_load_b128 v[84:87], off, off offset:232
	s_waitcnt vmcnt(4)
	v_fma_f64 v[106:107], v[90:91], v[108:109], v[88:89]
	ds_load_b128 v[88:91], v1 offset:496
	ds_load_b128 v[102:105], v1 offset:512
	s_waitcnt lgkmcnt(1)
	v_fma_f64 v[88:89], v[92:93], v[88:89], v[106:107]
	scratch_load_b128 v[106:109], off, off offset:248
	s_waitcnt vmcnt(4)
	v_fma_f64 v[88:89], v[94:95], v[90:91], v[88:89]
	s_waitcnt lgkmcnt(0)
	s_delay_alu instid0(VALU_DEP_1)
	v_fma_f64 v[92:93], v[96:97], v[102:103], v[88:89]
	scratch_load_b128 v[88:91], off, off offset:264
	s_waitcnt vmcnt(4)
	v_fma_f64 v[102:103], v[98:99], v[104:105], v[92:93]
	ds_load_b128 v[92:95], v1 offset:528
	ds_load_b128 v[96:99], v1 offset:544
	s_waitcnt lgkmcnt(1)
	v_fma_f64 v[92:93], v[100:101], v[92:93], v[102:103]
	scratch_load_b128 v[100:103], off, off offset:280
	s_waitcnt vmcnt(4)
	v_fma_f64 v[92:93], v[110:111], v[94:95], v[92:93]
	s_waitcnt lgkmcnt(0)
	s_delay_alu instid0(VALU_DEP_1)
	v_fma_f64 v[96:97], v[112:113], v[96:97], v[92:93]
	scratch_load_b128 v[92:95], off, off offset:296
	s_waitcnt vmcnt(4)
	v_fma_f64 v[84:85], v[84:85], v[98:99], v[96:97]
	ds_load_b128 v[96:99], v1 offset:560
	ds_load_b128 v[110:113], v1 offset:576
	s_waitcnt lgkmcnt(1)
	v_fma_f64 v[84:85], v[86:87], v[96:97], v[84:85]
	s_waitcnt vmcnt(3)
	s_delay_alu instid0(VALU_DEP_1) | instskip(SKIP_1) | instid1(VALU_DEP_1)
	v_fma_f64 v[84:85], v[106:107], v[98:99], v[84:85]
	s_waitcnt lgkmcnt(0)
	v_fma_f64 v[84:85], v[108:109], v[110:111], v[84:85]
	s_waitcnt vmcnt(2)
	s_delay_alu instid0(VALU_DEP_1)
	v_fma_f64 v[88:89], v[88:89], v[112:113], v[84:85]
	ds_load_b128 v[84:87], v1 offset:592
	ds_load_b128 v[96:99], v1 offset:608
	s_waitcnt lgkmcnt(1)
	v_fma_f64 v[84:85], v[90:91], v[84:85], v[88:89]
	s_waitcnt vmcnt(1)
	s_delay_alu instid0(VALU_DEP_1) | instskip(SKIP_4) | instid1(VALU_DEP_1)
	v_fma_f64 v[84:85], v[100:101], v[86:87], v[84:85]
	ds_load_b64 v[86:87], v1 offset:624
	s_waitcnt lgkmcnt(1)
	v_fma_f64 v[84:85], v[102:103], v[96:97], v[84:85]
	s_waitcnt vmcnt(0)
	v_fma_f64 v[84:85], v[92:93], v[98:99], v[84:85]
	s_waitcnt lgkmcnt(0)
	s_delay_alu instid0(VALU_DEP_1) | instskip(NEXT) | instid1(VALU_DEP_1)
	v_fma_f64 v[84:85], v[94:95], v[86:87], v[84:85]
	v_add_f64 v[82:83], v[82:83], -v[84:85]
	scratch_store_b64 off, v[82:83], off offset:136
	v_cmpx_lt_u32_e32 16, v0
	s_cbranch_execz .LBB38_211
; %bb.210:
	scratch_load_b64 v[82:83], off, off offset:128
	v_mov_b32_e32 v2, v1
	scratch_store_b64 off, v[1:2], off offset:128
	s_waitcnt vmcnt(0)
	ds_store_b64 v3, v[82:83]
.LBB38_211:
	s_or_b32 exec_lo, exec_lo, s0
	s_waitcnt lgkmcnt(0)
	s_waitcnt_vscnt null, 0x0
	s_barrier
	buffer_gl0_inv
	s_clause 0x4
	scratch_load_b128 v[82:85], off, off offset:128
	scratch_load_b128 v[86:89], off, off offset:144
	;; [unrolled: 1-line block ×5, first 2 shown]
	ds_load_2addr_b64 v[102:105], v1 offset0:57 offset1:58
	ds_load_2addr_b64 v[106:109], v1 offset0:59 offset1:60
	scratch_load_b128 v[110:113], off, off offset:208
	s_mov_b32 s0, exec_lo
	s_waitcnt vmcnt(5) lgkmcnt(1)
	v_fma_f64 v[84:85], v[84:85], v[102:103], 0
	s_waitcnt vmcnt(4)
	s_delay_alu instid0(VALU_DEP_1) | instskip(SKIP_1) | instid1(VALU_DEP_1)
	v_fma_f64 v[84:85], v[86:87], v[104:105], v[84:85]
	s_waitcnt lgkmcnt(0)
	v_fma_f64 v[88:89], v[88:89], v[106:107], v[84:85]
	scratch_load_b128 v[84:87], off, off offset:224
	s_waitcnt vmcnt(4)
	v_fma_f64 v[106:107], v[90:91], v[108:109], v[88:89]
	ds_load_2addr_b64 v[88:91], v1 offset0:61 offset1:62
	ds_load_2addr_b64 v[102:105], v1 offset0:63 offset1:64
	s_waitcnt lgkmcnt(1)
	v_fma_f64 v[88:89], v[92:93], v[88:89], v[106:107]
	scratch_load_b128 v[106:109], off, off offset:240
	s_waitcnt vmcnt(4)
	v_fma_f64 v[88:89], v[94:95], v[90:91], v[88:89]
	s_waitcnt lgkmcnt(0)
	s_delay_alu instid0(VALU_DEP_1)
	v_fma_f64 v[92:93], v[96:97], v[102:103], v[88:89]
	scratch_load_b128 v[88:91], off, off offset:256
	s_waitcnt vmcnt(4)
	v_fma_f64 v[102:103], v[98:99], v[104:105], v[92:93]
	ds_load_2addr_b64 v[92:95], v1 offset0:65 offset1:66
	ds_load_2addr_b64 v[96:99], v1 offset0:67 offset1:68
	s_waitcnt lgkmcnt(1)
	v_fma_f64 v[92:93], v[100:101], v[92:93], v[102:103]
	scratch_load_b128 v[100:103], off, off offset:272
	s_waitcnt vmcnt(4)
	v_fma_f64 v[92:93], v[110:111], v[94:95], v[92:93]
	s_waitcnt lgkmcnt(0)
	s_delay_alu instid0(VALU_DEP_1)
	v_fma_f64 v[96:97], v[112:113], v[96:97], v[92:93]
	scratch_load_b128 v[92:95], off, off offset:288
	s_waitcnt vmcnt(4)
	v_fma_f64 v[84:85], v[84:85], v[98:99], v[96:97]
	ds_load_2addr_b64 v[96:99], v1 offset0:69 offset1:70
	ds_load_2addr_b64 v[110:113], v1 offset0:71 offset1:72
	scratch_load_b64 v[104:105], off, off offset:304
	s_waitcnt lgkmcnt(1)
	v_fma_f64 v[84:85], v[86:87], v[96:97], v[84:85]
	s_waitcnt vmcnt(4)
	s_delay_alu instid0(VALU_DEP_1) | instskip(SKIP_1) | instid1(VALU_DEP_1)
	v_fma_f64 v[84:85], v[106:107], v[98:99], v[84:85]
	s_waitcnt lgkmcnt(0)
	v_fma_f64 v[84:85], v[108:109], v[110:111], v[84:85]
	s_waitcnt vmcnt(3)
	s_delay_alu instid0(VALU_DEP_1)
	v_fma_f64 v[88:89], v[88:89], v[112:113], v[84:85]
	ds_load_2addr_b64 v[84:87], v1 offset0:73 offset1:74
	ds_load_2addr_b64 v[96:99], v1 offset0:75 offset1:76
	s_waitcnt lgkmcnt(1)
	v_fma_f64 v[84:85], v[90:91], v[84:85], v[88:89]
	s_waitcnt vmcnt(2)
	s_delay_alu instid0(VALU_DEP_1) | instskip(SKIP_1) | instid1(VALU_DEP_1)
	v_fma_f64 v[84:85], v[100:101], v[86:87], v[84:85]
	s_waitcnt lgkmcnt(0)
	v_fma_f64 v[84:85], v[102:103], v[96:97], v[84:85]
	s_waitcnt vmcnt(1)
	s_delay_alu instid0(VALU_DEP_1) | instskip(SKIP_4) | instid1(VALU_DEP_1)
	v_fma_f64 v[88:89], v[92:93], v[98:99], v[84:85]
	ds_load_2addr_b64 v[84:87], v1 offset0:77 offset1:78
	s_waitcnt lgkmcnt(0)
	v_fma_f64 v[1:2], v[94:95], v[84:85], v[88:89]
	s_waitcnt vmcnt(0)
	v_fma_f64 v[1:2], v[104:105], v[86:87], v[1:2]
	s_delay_alu instid0(VALU_DEP_1)
	v_add_f64 v[1:2], v[82:83], -v[1:2]
	scratch_store_b64 off, v[1:2], off offset:128
	v_cmpx_lt_u32_e32 15, v0
	s_cbranch_execz .LBB38_213
; %bb.212:
	scratch_load_b64 v[1:2], off, off offset:120
	v_mov_b32_e32 v82, 0
	s_delay_alu instid0(VALU_DEP_1)
	v_mov_b32_e32 v83, v82
	scratch_store_b64 off, v[82:83], off offset:120
	s_waitcnt vmcnt(0)
	ds_store_b64 v3, v[1:2]
.LBB38_213:
	s_or_b32 exec_lo, exec_lo, s0
	s_waitcnt lgkmcnt(0)
	s_waitcnt_vscnt null, 0x0
	s_barrier
	buffer_gl0_inv
	s_clause 0x4
	scratch_load_b128 v[82:85], off, off offset:120
	scratch_load_b128 v[86:89], off, off offset:136
	;; [unrolled: 1-line block ×5, first 2 shown]
	v_mov_b32_e32 v1, 0
	ds_load_b128 v[102:105], v1 offset:448
	ds_load_b128 v[106:109], v1 offset:464
	scratch_load_b128 v[110:113], off, off offset:200
	s_mov_b32 s0, exec_lo
	s_waitcnt vmcnt(5) lgkmcnt(1)
	v_fma_f64 v[84:85], v[84:85], v[102:103], 0
	s_waitcnt vmcnt(4)
	s_delay_alu instid0(VALU_DEP_1) | instskip(SKIP_1) | instid1(VALU_DEP_1)
	v_fma_f64 v[84:85], v[86:87], v[104:105], v[84:85]
	s_waitcnt lgkmcnt(0)
	v_fma_f64 v[88:89], v[88:89], v[106:107], v[84:85]
	scratch_load_b128 v[84:87], off, off offset:216
	s_waitcnt vmcnt(4)
	v_fma_f64 v[106:107], v[90:91], v[108:109], v[88:89]
	ds_load_b128 v[88:91], v1 offset:480
	ds_load_b128 v[102:105], v1 offset:496
	s_waitcnt lgkmcnt(1)
	v_fma_f64 v[88:89], v[92:93], v[88:89], v[106:107]
	scratch_load_b128 v[106:109], off, off offset:232
	s_waitcnt vmcnt(4)
	v_fma_f64 v[88:89], v[94:95], v[90:91], v[88:89]
	s_waitcnt lgkmcnt(0)
	s_delay_alu instid0(VALU_DEP_1)
	v_fma_f64 v[92:93], v[96:97], v[102:103], v[88:89]
	scratch_load_b128 v[88:91], off, off offset:248
	s_waitcnt vmcnt(4)
	v_fma_f64 v[102:103], v[98:99], v[104:105], v[92:93]
	ds_load_b128 v[92:95], v1 offset:512
	ds_load_b128 v[96:99], v1 offset:528
	s_waitcnt lgkmcnt(1)
	v_fma_f64 v[92:93], v[100:101], v[92:93], v[102:103]
	scratch_load_b128 v[100:103], off, off offset:264
	s_waitcnt vmcnt(4)
	v_fma_f64 v[92:93], v[110:111], v[94:95], v[92:93]
	s_waitcnt lgkmcnt(0)
	s_delay_alu instid0(VALU_DEP_1)
	v_fma_f64 v[96:97], v[112:113], v[96:97], v[92:93]
	scratch_load_b128 v[92:95], off, off offset:280
	s_waitcnt vmcnt(4)
	v_fma_f64 v[84:85], v[84:85], v[98:99], v[96:97]
	ds_load_b128 v[96:99], v1 offset:544
	ds_load_b128 v[110:113], v1 offset:560
	s_waitcnt lgkmcnt(1)
	v_fma_f64 v[96:97], v[86:87], v[96:97], v[84:85]
	scratch_load_b128 v[84:87], off, off offset:296
	s_waitcnt vmcnt(4)
	v_fma_f64 v[96:97], v[106:107], v[98:99], v[96:97]
	s_waitcnt lgkmcnt(0)
	s_delay_alu instid0(VALU_DEP_1) | instskip(SKIP_1) | instid1(VALU_DEP_1)
	v_fma_f64 v[96:97], v[108:109], v[110:111], v[96:97]
	s_waitcnt vmcnt(3)
	v_fma_f64 v[88:89], v[88:89], v[112:113], v[96:97]
	ds_load_b128 v[96:99], v1 offset:576
	ds_load_b128 v[104:107], v1 offset:592
	s_waitcnt lgkmcnt(1)
	v_fma_f64 v[88:89], v[90:91], v[96:97], v[88:89]
	s_waitcnt vmcnt(2)
	s_delay_alu instid0(VALU_DEP_1) | instskip(SKIP_1) | instid1(VALU_DEP_1)
	v_fma_f64 v[88:89], v[100:101], v[98:99], v[88:89]
	s_waitcnt lgkmcnt(0)
	v_fma_f64 v[88:89], v[102:103], v[104:105], v[88:89]
	s_waitcnt vmcnt(1)
	s_delay_alu instid0(VALU_DEP_1)
	v_fma_f64 v[92:93], v[92:93], v[106:107], v[88:89]
	ds_load_b128 v[88:91], v1 offset:608
	ds_load_b64 v[96:97], v1 offset:624
	s_waitcnt lgkmcnt(1)
	v_fma_f64 v[88:89], v[94:95], v[88:89], v[92:93]
	s_waitcnt vmcnt(0)
	s_delay_alu instid0(VALU_DEP_1) | instskip(SKIP_1) | instid1(VALU_DEP_1)
	v_fma_f64 v[84:85], v[84:85], v[90:91], v[88:89]
	s_waitcnt lgkmcnt(0)
	v_fma_f64 v[84:85], v[86:87], v[96:97], v[84:85]
	s_delay_alu instid0(VALU_DEP_1)
	v_add_f64 v[82:83], v[82:83], -v[84:85]
	scratch_store_b64 off, v[82:83], off offset:120
	v_cmpx_lt_u32_e32 14, v0
	s_cbranch_execz .LBB38_215
; %bb.214:
	scratch_load_b64 v[82:83], off, off offset:112
	v_mov_b32_e32 v2, v1
	scratch_store_b64 off, v[1:2], off offset:112
	s_waitcnt vmcnt(0)
	ds_store_b64 v3, v[82:83]
.LBB38_215:
	s_or_b32 exec_lo, exec_lo, s0
	s_waitcnt lgkmcnt(0)
	s_waitcnt_vscnt null, 0x0
	s_barrier
	buffer_gl0_inv
	s_clause 0x4
	scratch_load_b128 v[82:85], off, off offset:112
	scratch_load_b128 v[86:89], off, off offset:128
	;; [unrolled: 1-line block ×5, first 2 shown]
	ds_load_2addr_b64 v[102:105], v1 offset0:55 offset1:56
	ds_load_2addr_b64 v[106:109], v1 offset0:57 offset1:58
	scratch_load_b128 v[110:113], off, off offset:192
	s_mov_b32 s0, exec_lo
	s_waitcnt vmcnt(5) lgkmcnt(1)
	v_fma_f64 v[84:85], v[84:85], v[102:103], 0
	s_waitcnt vmcnt(4)
	s_delay_alu instid0(VALU_DEP_1) | instskip(SKIP_1) | instid1(VALU_DEP_1)
	v_fma_f64 v[84:85], v[86:87], v[104:105], v[84:85]
	s_waitcnt lgkmcnt(0)
	v_fma_f64 v[88:89], v[88:89], v[106:107], v[84:85]
	scratch_load_b128 v[84:87], off, off offset:208
	s_waitcnt vmcnt(4)
	v_fma_f64 v[106:107], v[90:91], v[108:109], v[88:89]
	ds_load_2addr_b64 v[88:91], v1 offset0:59 offset1:60
	ds_load_2addr_b64 v[102:105], v1 offset0:61 offset1:62
	s_waitcnt lgkmcnt(1)
	v_fma_f64 v[88:89], v[92:93], v[88:89], v[106:107]
	scratch_load_b128 v[106:109], off, off offset:224
	s_waitcnt vmcnt(4)
	v_fma_f64 v[88:89], v[94:95], v[90:91], v[88:89]
	s_waitcnt lgkmcnt(0)
	s_delay_alu instid0(VALU_DEP_1)
	v_fma_f64 v[92:93], v[96:97], v[102:103], v[88:89]
	scratch_load_b128 v[88:91], off, off offset:240
	s_waitcnt vmcnt(4)
	v_fma_f64 v[102:103], v[98:99], v[104:105], v[92:93]
	ds_load_2addr_b64 v[92:95], v1 offset0:63 offset1:64
	ds_load_2addr_b64 v[96:99], v1 offset0:65 offset1:66
	s_waitcnt lgkmcnt(1)
	v_fma_f64 v[92:93], v[100:101], v[92:93], v[102:103]
	scratch_load_b128 v[100:103], off, off offset:256
	s_waitcnt vmcnt(4)
	v_fma_f64 v[92:93], v[110:111], v[94:95], v[92:93]
	s_waitcnt lgkmcnt(0)
	s_delay_alu instid0(VALU_DEP_1)
	;; [unrolled: 13-line block ×3, first 2 shown]
	v_fma_f64 v[96:97], v[108:109], v[110:111], v[96:97]
	scratch_load_b64 v[108:109], off, off offset:304
	s_waitcnt vmcnt(4)
	v_fma_f64 v[88:89], v[88:89], v[112:113], v[96:97]
	ds_load_2addr_b64 v[96:99], v1 offset0:71 offset1:72
	ds_load_2addr_b64 v[104:107], v1 offset0:73 offset1:74
	s_waitcnt lgkmcnt(1)
	v_fma_f64 v[88:89], v[90:91], v[96:97], v[88:89]
	s_waitcnt vmcnt(3)
	s_delay_alu instid0(VALU_DEP_1) | instskip(SKIP_1) | instid1(VALU_DEP_1)
	v_fma_f64 v[88:89], v[100:101], v[98:99], v[88:89]
	s_waitcnt lgkmcnt(0)
	v_fma_f64 v[88:89], v[102:103], v[104:105], v[88:89]
	s_waitcnt vmcnt(2)
	s_delay_alu instid0(VALU_DEP_1)
	v_fma_f64 v[92:93], v[92:93], v[106:107], v[88:89]
	ds_load_2addr_b64 v[88:91], v1 offset0:75 offset1:76
	ds_load_2addr_b64 v[96:99], v1 offset0:77 offset1:78
	s_waitcnt lgkmcnt(1)
	v_fma_f64 v[1:2], v[94:95], v[88:89], v[92:93]
	s_waitcnt vmcnt(1)
	s_delay_alu instid0(VALU_DEP_1) | instskip(SKIP_1) | instid1(VALU_DEP_1)
	v_fma_f64 v[1:2], v[84:85], v[90:91], v[1:2]
	s_waitcnt lgkmcnt(0)
	v_fma_f64 v[1:2], v[86:87], v[96:97], v[1:2]
	s_waitcnt vmcnt(0)
	s_delay_alu instid0(VALU_DEP_1) | instskip(NEXT) | instid1(VALU_DEP_1)
	v_fma_f64 v[1:2], v[108:109], v[98:99], v[1:2]
	v_add_f64 v[1:2], v[82:83], -v[1:2]
	scratch_store_b64 off, v[1:2], off offset:112
	v_cmpx_lt_u32_e32 13, v0
	s_cbranch_execz .LBB38_217
; %bb.216:
	scratch_load_b64 v[1:2], off, off offset:104
	v_mov_b32_e32 v82, 0
	s_delay_alu instid0(VALU_DEP_1)
	v_mov_b32_e32 v83, v82
	scratch_store_b64 off, v[82:83], off offset:104
	s_waitcnt vmcnt(0)
	ds_store_b64 v3, v[1:2]
.LBB38_217:
	s_or_b32 exec_lo, exec_lo, s0
	s_waitcnt lgkmcnt(0)
	s_waitcnt_vscnt null, 0x0
	s_barrier
	buffer_gl0_inv
	s_clause 0x4
	scratch_load_b128 v[82:85], off, off offset:104
	scratch_load_b128 v[86:89], off, off offset:120
	;; [unrolled: 1-line block ×5, first 2 shown]
	v_mov_b32_e32 v1, 0
	ds_load_b128 v[102:105], v1 offset:432
	ds_load_b128 v[106:109], v1 offset:448
	scratch_load_b128 v[110:113], off, off offset:184
	s_mov_b32 s0, exec_lo
	s_waitcnt vmcnt(5) lgkmcnt(1)
	v_fma_f64 v[84:85], v[84:85], v[102:103], 0
	s_waitcnt vmcnt(4)
	s_delay_alu instid0(VALU_DEP_1) | instskip(SKIP_1) | instid1(VALU_DEP_1)
	v_fma_f64 v[84:85], v[86:87], v[104:105], v[84:85]
	s_waitcnt lgkmcnt(0)
	v_fma_f64 v[88:89], v[88:89], v[106:107], v[84:85]
	scratch_load_b128 v[84:87], off, off offset:200
	s_waitcnt vmcnt(4)
	v_fma_f64 v[106:107], v[90:91], v[108:109], v[88:89]
	ds_load_b128 v[88:91], v1 offset:464
	ds_load_b128 v[102:105], v1 offset:480
	s_waitcnt lgkmcnt(1)
	v_fma_f64 v[88:89], v[92:93], v[88:89], v[106:107]
	scratch_load_b128 v[106:109], off, off offset:216
	s_waitcnt vmcnt(4)
	v_fma_f64 v[88:89], v[94:95], v[90:91], v[88:89]
	s_waitcnt lgkmcnt(0)
	s_delay_alu instid0(VALU_DEP_1)
	v_fma_f64 v[92:93], v[96:97], v[102:103], v[88:89]
	scratch_load_b128 v[88:91], off, off offset:232
	s_waitcnt vmcnt(4)
	v_fma_f64 v[102:103], v[98:99], v[104:105], v[92:93]
	ds_load_b128 v[92:95], v1 offset:496
	ds_load_b128 v[96:99], v1 offset:512
	s_waitcnt lgkmcnt(1)
	v_fma_f64 v[92:93], v[100:101], v[92:93], v[102:103]
	scratch_load_b128 v[100:103], off, off offset:248
	s_waitcnt vmcnt(4)
	v_fma_f64 v[92:93], v[110:111], v[94:95], v[92:93]
	s_waitcnt lgkmcnt(0)
	s_delay_alu instid0(VALU_DEP_1)
	;; [unrolled: 13-line block ×3, first 2 shown]
	v_fma_f64 v[104:105], v[108:109], v[110:111], v[96:97]
	scratch_load_b128 v[96:99], off, off offset:296
	s_waitcnt vmcnt(4)
	v_fma_f64 v[88:89], v[88:89], v[112:113], v[104:105]
	ds_load_b128 v[104:107], v1 offset:560
	ds_load_b128 v[108:111], v1 offset:576
	s_waitcnt lgkmcnt(1)
	v_fma_f64 v[88:89], v[90:91], v[104:105], v[88:89]
	s_waitcnt vmcnt(3)
	s_delay_alu instid0(VALU_DEP_1) | instskip(SKIP_1) | instid1(VALU_DEP_1)
	v_fma_f64 v[88:89], v[100:101], v[106:107], v[88:89]
	s_waitcnt lgkmcnt(0)
	v_fma_f64 v[88:89], v[102:103], v[108:109], v[88:89]
	s_waitcnt vmcnt(2)
	s_delay_alu instid0(VALU_DEP_1)
	v_fma_f64 v[92:93], v[92:93], v[110:111], v[88:89]
	ds_load_b128 v[88:91], v1 offset:592
	ds_load_b128 v[100:103], v1 offset:608
	s_waitcnt lgkmcnt(1)
	v_fma_f64 v[88:89], v[94:95], v[88:89], v[92:93]
	s_waitcnt vmcnt(1)
	s_delay_alu instid0(VALU_DEP_1) | instskip(SKIP_1) | instid1(VALU_DEP_1)
	v_fma_f64 v[84:85], v[84:85], v[90:91], v[88:89]
	s_waitcnt lgkmcnt(0)
	v_fma_f64 v[84:85], v[86:87], v[100:101], v[84:85]
	ds_load_b64 v[86:87], v1 offset:624
	s_waitcnt vmcnt(0)
	v_fma_f64 v[84:85], v[96:97], v[102:103], v[84:85]
	s_waitcnt lgkmcnt(0)
	s_delay_alu instid0(VALU_DEP_1) | instskip(NEXT) | instid1(VALU_DEP_1)
	v_fma_f64 v[84:85], v[98:99], v[86:87], v[84:85]
	v_add_f64 v[82:83], v[82:83], -v[84:85]
	scratch_store_b64 off, v[82:83], off offset:104
	v_cmpx_lt_u32_e32 12, v0
	s_cbranch_execz .LBB38_219
; %bb.218:
	scratch_load_b64 v[82:83], off, off offset:96
	v_mov_b32_e32 v2, v1
	scratch_store_b64 off, v[1:2], off offset:96
	s_waitcnt vmcnt(0)
	ds_store_b64 v3, v[82:83]
.LBB38_219:
	s_or_b32 exec_lo, exec_lo, s0
	s_waitcnt lgkmcnt(0)
	s_waitcnt_vscnt null, 0x0
	s_barrier
	buffer_gl0_inv
	s_clause 0x4
	scratch_load_b128 v[82:85], off, off offset:96
	scratch_load_b128 v[86:89], off, off offset:112
	;; [unrolled: 1-line block ×5, first 2 shown]
	ds_load_2addr_b64 v[102:105], v1 offset0:53 offset1:54
	ds_load_2addr_b64 v[106:109], v1 offset0:55 offset1:56
	scratch_load_b128 v[110:113], off, off offset:176
	s_mov_b32 s0, exec_lo
	s_waitcnt vmcnt(5) lgkmcnt(1)
	v_fma_f64 v[84:85], v[84:85], v[102:103], 0
	s_waitcnt vmcnt(4)
	s_delay_alu instid0(VALU_DEP_1) | instskip(SKIP_1) | instid1(VALU_DEP_1)
	v_fma_f64 v[84:85], v[86:87], v[104:105], v[84:85]
	s_waitcnt lgkmcnt(0)
	v_fma_f64 v[88:89], v[88:89], v[106:107], v[84:85]
	scratch_load_b128 v[84:87], off, off offset:192
	s_waitcnt vmcnt(4)
	v_fma_f64 v[106:107], v[90:91], v[108:109], v[88:89]
	ds_load_2addr_b64 v[88:91], v1 offset0:57 offset1:58
	ds_load_2addr_b64 v[102:105], v1 offset0:59 offset1:60
	s_waitcnt lgkmcnt(1)
	v_fma_f64 v[88:89], v[92:93], v[88:89], v[106:107]
	scratch_load_b128 v[106:109], off, off offset:208
	s_waitcnt vmcnt(4)
	v_fma_f64 v[88:89], v[94:95], v[90:91], v[88:89]
	s_waitcnt lgkmcnt(0)
	s_delay_alu instid0(VALU_DEP_1)
	v_fma_f64 v[92:93], v[96:97], v[102:103], v[88:89]
	scratch_load_b128 v[88:91], off, off offset:224
	s_waitcnt vmcnt(4)
	v_fma_f64 v[102:103], v[98:99], v[104:105], v[92:93]
	ds_load_2addr_b64 v[92:95], v1 offset0:61 offset1:62
	ds_load_2addr_b64 v[96:99], v1 offset0:63 offset1:64
	s_waitcnt lgkmcnt(1)
	v_fma_f64 v[92:93], v[100:101], v[92:93], v[102:103]
	scratch_load_b128 v[100:103], off, off offset:240
	s_waitcnt vmcnt(4)
	v_fma_f64 v[92:93], v[110:111], v[94:95], v[92:93]
	s_waitcnt lgkmcnt(0)
	s_delay_alu instid0(VALU_DEP_1)
	;; [unrolled: 13-line block ×3, first 2 shown]
	v_fma_f64 v[104:105], v[108:109], v[110:111], v[96:97]
	scratch_load_b128 v[96:99], off, off offset:288
	s_waitcnt vmcnt(4)
	v_fma_f64 v[88:89], v[88:89], v[112:113], v[104:105]
	ds_load_2addr_b64 v[104:107], v1 offset0:69 offset1:70
	ds_load_2addr_b64 v[108:111], v1 offset0:71 offset1:72
	s_waitcnt lgkmcnt(1)
	v_fma_f64 v[88:89], v[90:91], v[104:105], v[88:89]
	scratch_load_b64 v[104:105], off, off offset:304
	s_waitcnt vmcnt(4)
	v_fma_f64 v[88:89], v[100:101], v[106:107], v[88:89]
	s_waitcnt lgkmcnt(0)
	s_delay_alu instid0(VALU_DEP_1) | instskip(SKIP_1) | instid1(VALU_DEP_1)
	v_fma_f64 v[88:89], v[102:103], v[108:109], v[88:89]
	s_waitcnt vmcnt(3)
	v_fma_f64 v[92:93], v[92:93], v[110:111], v[88:89]
	ds_load_2addr_b64 v[88:91], v1 offset0:73 offset1:74
	ds_load_2addr_b64 v[100:103], v1 offset0:75 offset1:76
	s_waitcnt lgkmcnt(1)
	v_fma_f64 v[88:89], v[94:95], v[88:89], v[92:93]
	s_waitcnt vmcnt(2)
	s_delay_alu instid0(VALU_DEP_1) | instskip(SKIP_1) | instid1(VALU_DEP_1)
	v_fma_f64 v[84:85], v[84:85], v[90:91], v[88:89]
	s_waitcnt lgkmcnt(0)
	v_fma_f64 v[84:85], v[86:87], v[100:101], v[84:85]
	s_waitcnt vmcnt(1)
	s_delay_alu instid0(VALU_DEP_1) | instskip(SKIP_4) | instid1(VALU_DEP_1)
	v_fma_f64 v[88:89], v[96:97], v[102:103], v[84:85]
	ds_load_2addr_b64 v[84:87], v1 offset0:77 offset1:78
	s_waitcnt lgkmcnt(0)
	v_fma_f64 v[1:2], v[98:99], v[84:85], v[88:89]
	s_waitcnt vmcnt(0)
	v_fma_f64 v[1:2], v[104:105], v[86:87], v[1:2]
	s_delay_alu instid0(VALU_DEP_1)
	v_add_f64 v[1:2], v[82:83], -v[1:2]
	scratch_store_b64 off, v[1:2], off offset:96
	v_cmpx_lt_u32_e32 11, v0
	s_cbranch_execz .LBB38_221
; %bb.220:
	scratch_load_b64 v[1:2], off, off offset:88
	v_mov_b32_e32 v82, 0
	s_delay_alu instid0(VALU_DEP_1)
	v_mov_b32_e32 v83, v82
	scratch_store_b64 off, v[82:83], off offset:88
	s_waitcnt vmcnt(0)
	ds_store_b64 v3, v[1:2]
.LBB38_221:
	s_or_b32 exec_lo, exec_lo, s0
	s_waitcnt lgkmcnt(0)
	s_waitcnt_vscnt null, 0x0
	s_barrier
	buffer_gl0_inv
	s_clause 0x4
	scratch_load_b128 v[82:85], off, off offset:88
	scratch_load_b128 v[86:89], off, off offset:104
	;; [unrolled: 1-line block ×5, first 2 shown]
	v_mov_b32_e32 v1, 0
	ds_load_b128 v[102:105], v1 offset:416
	ds_load_b128 v[106:109], v1 offset:432
	scratch_load_b128 v[110:113], off, off offset:168
	s_mov_b32 s0, exec_lo
	s_waitcnt vmcnt(5) lgkmcnt(1)
	v_fma_f64 v[84:85], v[84:85], v[102:103], 0
	s_waitcnt vmcnt(4)
	s_delay_alu instid0(VALU_DEP_1) | instskip(SKIP_1) | instid1(VALU_DEP_1)
	v_fma_f64 v[84:85], v[86:87], v[104:105], v[84:85]
	s_waitcnt lgkmcnt(0)
	v_fma_f64 v[88:89], v[88:89], v[106:107], v[84:85]
	scratch_load_b128 v[84:87], off, off offset:184
	s_waitcnt vmcnt(4)
	v_fma_f64 v[106:107], v[90:91], v[108:109], v[88:89]
	ds_load_b128 v[88:91], v1 offset:448
	ds_load_b128 v[102:105], v1 offset:464
	s_waitcnt lgkmcnt(1)
	v_fma_f64 v[88:89], v[92:93], v[88:89], v[106:107]
	scratch_load_b128 v[106:109], off, off offset:200
	s_waitcnt vmcnt(4)
	v_fma_f64 v[88:89], v[94:95], v[90:91], v[88:89]
	s_waitcnt lgkmcnt(0)
	s_delay_alu instid0(VALU_DEP_1)
	v_fma_f64 v[92:93], v[96:97], v[102:103], v[88:89]
	scratch_load_b128 v[88:91], off, off offset:216
	s_waitcnt vmcnt(4)
	v_fma_f64 v[102:103], v[98:99], v[104:105], v[92:93]
	ds_load_b128 v[92:95], v1 offset:480
	ds_load_b128 v[96:99], v1 offset:496
	s_waitcnt lgkmcnt(1)
	v_fma_f64 v[92:93], v[100:101], v[92:93], v[102:103]
	scratch_load_b128 v[100:103], off, off offset:232
	s_waitcnt vmcnt(4)
	v_fma_f64 v[92:93], v[110:111], v[94:95], v[92:93]
	s_waitcnt lgkmcnt(0)
	s_delay_alu instid0(VALU_DEP_1)
	;; [unrolled: 13-line block ×3, first 2 shown]
	v_fma_f64 v[104:105], v[108:109], v[110:111], v[96:97]
	scratch_load_b128 v[96:99], off, off offset:280
	s_waitcnt vmcnt(4)
	v_fma_f64 v[88:89], v[88:89], v[112:113], v[104:105]
	ds_load_b128 v[104:107], v1 offset:544
	ds_load_b128 v[108:111], v1 offset:560
	s_waitcnt lgkmcnt(1)
	v_fma_f64 v[104:105], v[90:91], v[104:105], v[88:89]
	scratch_load_b128 v[88:91], off, off offset:296
	s_waitcnt vmcnt(4)
	v_fma_f64 v[100:101], v[100:101], v[106:107], v[104:105]
	s_waitcnt lgkmcnt(0)
	s_delay_alu instid0(VALU_DEP_1) | instskip(SKIP_1) | instid1(VALU_DEP_1)
	v_fma_f64 v[100:101], v[102:103], v[108:109], v[100:101]
	s_waitcnt vmcnt(3)
	v_fma_f64 v[92:93], v[92:93], v[110:111], v[100:101]
	ds_load_b128 v[100:103], v1 offset:576
	ds_load_b128 v[104:107], v1 offset:592
	s_waitcnt lgkmcnt(1)
	v_fma_f64 v[92:93], v[94:95], v[100:101], v[92:93]
	s_waitcnt vmcnt(2)
	s_delay_alu instid0(VALU_DEP_1) | instskip(SKIP_1) | instid1(VALU_DEP_1)
	v_fma_f64 v[84:85], v[84:85], v[102:103], v[92:93]
	s_waitcnt lgkmcnt(0)
	v_fma_f64 v[84:85], v[86:87], v[104:105], v[84:85]
	s_waitcnt vmcnt(1)
	s_delay_alu instid0(VALU_DEP_1)
	v_fma_f64 v[92:93], v[96:97], v[106:107], v[84:85]
	ds_load_b128 v[84:87], v1 offset:608
	ds_load_b64 v[94:95], v1 offset:624
	s_waitcnt lgkmcnt(1)
	v_fma_f64 v[84:85], v[98:99], v[84:85], v[92:93]
	s_waitcnt vmcnt(0)
	s_delay_alu instid0(VALU_DEP_1) | instskip(SKIP_1) | instid1(VALU_DEP_1)
	v_fma_f64 v[84:85], v[88:89], v[86:87], v[84:85]
	s_waitcnt lgkmcnt(0)
	v_fma_f64 v[84:85], v[90:91], v[94:95], v[84:85]
	s_delay_alu instid0(VALU_DEP_1)
	v_add_f64 v[82:83], v[82:83], -v[84:85]
	scratch_store_b64 off, v[82:83], off offset:88
	v_cmpx_lt_u32_e32 10, v0
	s_cbranch_execz .LBB38_223
; %bb.222:
	scratch_load_b64 v[82:83], off, off offset:80
	v_mov_b32_e32 v2, v1
	scratch_store_b64 off, v[1:2], off offset:80
	s_waitcnt vmcnt(0)
	ds_store_b64 v3, v[82:83]
.LBB38_223:
	s_or_b32 exec_lo, exec_lo, s0
	s_waitcnt lgkmcnt(0)
	s_waitcnt_vscnt null, 0x0
	s_barrier
	buffer_gl0_inv
	s_clause 0x4
	scratch_load_b128 v[82:85], off, off offset:80
	scratch_load_b128 v[86:89], off, off offset:96
	;; [unrolled: 1-line block ×5, first 2 shown]
	ds_load_2addr_b64 v[102:105], v1 offset0:51 offset1:52
	ds_load_2addr_b64 v[106:109], v1 offset0:53 offset1:54
	scratch_load_b128 v[110:113], off, off offset:160
	s_mov_b32 s0, exec_lo
	s_waitcnt vmcnt(5) lgkmcnt(1)
	v_fma_f64 v[84:85], v[84:85], v[102:103], 0
	s_waitcnt vmcnt(4)
	s_delay_alu instid0(VALU_DEP_1) | instskip(SKIP_1) | instid1(VALU_DEP_1)
	v_fma_f64 v[84:85], v[86:87], v[104:105], v[84:85]
	s_waitcnt lgkmcnt(0)
	v_fma_f64 v[88:89], v[88:89], v[106:107], v[84:85]
	scratch_load_b128 v[84:87], off, off offset:176
	s_waitcnt vmcnt(4)
	v_fma_f64 v[106:107], v[90:91], v[108:109], v[88:89]
	ds_load_2addr_b64 v[88:91], v1 offset0:55 offset1:56
	ds_load_2addr_b64 v[102:105], v1 offset0:57 offset1:58
	s_waitcnt lgkmcnt(1)
	v_fma_f64 v[88:89], v[92:93], v[88:89], v[106:107]
	scratch_load_b128 v[106:109], off, off offset:192
	s_waitcnt vmcnt(4)
	v_fma_f64 v[88:89], v[94:95], v[90:91], v[88:89]
	s_waitcnt lgkmcnt(0)
	s_delay_alu instid0(VALU_DEP_1)
	v_fma_f64 v[92:93], v[96:97], v[102:103], v[88:89]
	scratch_load_b128 v[88:91], off, off offset:208
	s_waitcnt vmcnt(4)
	v_fma_f64 v[102:103], v[98:99], v[104:105], v[92:93]
	ds_load_2addr_b64 v[92:95], v1 offset0:59 offset1:60
	ds_load_2addr_b64 v[96:99], v1 offset0:61 offset1:62
	s_waitcnt lgkmcnt(1)
	v_fma_f64 v[92:93], v[100:101], v[92:93], v[102:103]
	scratch_load_b128 v[100:103], off, off offset:224
	s_waitcnt vmcnt(4)
	v_fma_f64 v[92:93], v[110:111], v[94:95], v[92:93]
	s_waitcnt lgkmcnt(0)
	s_delay_alu instid0(VALU_DEP_1)
	;; [unrolled: 13-line block ×4, first 2 shown]
	v_fma_f64 v[100:101], v[102:103], v[108:109], v[100:101]
	scratch_load_b64 v[108:109], off, off offset:304
	s_waitcnt vmcnt(4)
	v_fma_f64 v[92:93], v[92:93], v[110:111], v[100:101]
	ds_load_2addr_b64 v[100:103], v1 offset0:71 offset1:72
	ds_load_2addr_b64 v[104:107], v1 offset0:73 offset1:74
	s_waitcnt lgkmcnt(1)
	v_fma_f64 v[92:93], v[94:95], v[100:101], v[92:93]
	s_waitcnt vmcnt(3)
	s_delay_alu instid0(VALU_DEP_1) | instskip(SKIP_1) | instid1(VALU_DEP_1)
	v_fma_f64 v[84:85], v[84:85], v[102:103], v[92:93]
	s_waitcnt lgkmcnt(0)
	v_fma_f64 v[84:85], v[86:87], v[104:105], v[84:85]
	s_waitcnt vmcnt(2)
	s_delay_alu instid0(VALU_DEP_1)
	v_fma_f64 v[96:97], v[96:97], v[106:107], v[84:85]
	ds_load_2addr_b64 v[84:87], v1 offset0:75 offset1:76
	ds_load_2addr_b64 v[92:95], v1 offset0:77 offset1:78
	s_waitcnt lgkmcnt(1)
	v_fma_f64 v[1:2], v[98:99], v[84:85], v[96:97]
	s_waitcnt vmcnt(1)
	s_delay_alu instid0(VALU_DEP_1) | instskip(SKIP_1) | instid1(VALU_DEP_1)
	v_fma_f64 v[1:2], v[88:89], v[86:87], v[1:2]
	s_waitcnt lgkmcnt(0)
	v_fma_f64 v[1:2], v[90:91], v[92:93], v[1:2]
	s_waitcnt vmcnt(0)
	s_delay_alu instid0(VALU_DEP_1) | instskip(NEXT) | instid1(VALU_DEP_1)
	v_fma_f64 v[1:2], v[108:109], v[94:95], v[1:2]
	v_add_f64 v[1:2], v[82:83], -v[1:2]
	scratch_store_b64 off, v[1:2], off offset:80
	v_cmpx_lt_u32_e32 9, v0
	s_cbranch_execz .LBB38_225
; %bb.224:
	scratch_load_b64 v[1:2], off, off offset:72
	v_mov_b32_e32 v82, 0
	s_delay_alu instid0(VALU_DEP_1)
	v_mov_b32_e32 v83, v82
	scratch_store_b64 off, v[82:83], off offset:72
	s_waitcnt vmcnt(0)
	ds_store_b64 v3, v[1:2]
.LBB38_225:
	s_or_b32 exec_lo, exec_lo, s0
	s_waitcnt lgkmcnt(0)
	s_waitcnt_vscnt null, 0x0
	s_barrier
	buffer_gl0_inv
	s_clause 0x4
	scratch_load_b128 v[82:85], off, off offset:72
	scratch_load_b128 v[86:89], off, off offset:88
	;; [unrolled: 1-line block ×5, first 2 shown]
	v_mov_b32_e32 v1, 0
	ds_load_b128 v[102:105], v1 offset:400
	ds_load_b128 v[106:109], v1 offset:416
	scratch_load_b128 v[110:113], off, off offset:152
	s_mov_b32 s0, exec_lo
	s_waitcnt vmcnt(5) lgkmcnt(1)
	v_fma_f64 v[84:85], v[84:85], v[102:103], 0
	s_waitcnt vmcnt(4)
	s_delay_alu instid0(VALU_DEP_1) | instskip(SKIP_1) | instid1(VALU_DEP_1)
	v_fma_f64 v[84:85], v[86:87], v[104:105], v[84:85]
	s_waitcnt lgkmcnt(0)
	v_fma_f64 v[88:89], v[88:89], v[106:107], v[84:85]
	scratch_load_b128 v[84:87], off, off offset:168
	s_waitcnt vmcnt(4)
	v_fma_f64 v[106:107], v[90:91], v[108:109], v[88:89]
	ds_load_b128 v[88:91], v1 offset:432
	ds_load_b128 v[102:105], v1 offset:448
	s_waitcnt lgkmcnt(1)
	v_fma_f64 v[88:89], v[92:93], v[88:89], v[106:107]
	scratch_load_b128 v[106:109], off, off offset:184
	s_waitcnt vmcnt(4)
	v_fma_f64 v[88:89], v[94:95], v[90:91], v[88:89]
	s_waitcnt lgkmcnt(0)
	s_delay_alu instid0(VALU_DEP_1)
	v_fma_f64 v[92:93], v[96:97], v[102:103], v[88:89]
	scratch_load_b128 v[88:91], off, off offset:200
	s_waitcnt vmcnt(4)
	v_fma_f64 v[102:103], v[98:99], v[104:105], v[92:93]
	ds_load_b128 v[92:95], v1 offset:464
	ds_load_b128 v[96:99], v1 offset:480
	s_waitcnt lgkmcnt(1)
	v_fma_f64 v[92:93], v[100:101], v[92:93], v[102:103]
	scratch_load_b128 v[100:103], off, off offset:216
	s_waitcnt vmcnt(4)
	v_fma_f64 v[92:93], v[110:111], v[94:95], v[92:93]
	s_waitcnt lgkmcnt(0)
	s_delay_alu instid0(VALU_DEP_1)
	;; [unrolled: 13-line block ×4, first 2 shown]
	v_fma_f64 v[104:105], v[102:103], v[108:109], v[100:101]
	scratch_load_b128 v[100:103], off, off offset:296
	s_waitcnt vmcnt(4)
	v_fma_f64 v[92:93], v[92:93], v[110:111], v[104:105]
	ds_load_b128 v[104:107], v1 offset:560
	ds_load_b128 v[108:111], v1 offset:576
	s_waitcnt lgkmcnt(1)
	v_fma_f64 v[92:93], v[94:95], v[104:105], v[92:93]
	s_waitcnt vmcnt(3)
	s_delay_alu instid0(VALU_DEP_1) | instskip(SKIP_1) | instid1(VALU_DEP_1)
	v_fma_f64 v[84:85], v[84:85], v[106:107], v[92:93]
	s_waitcnt lgkmcnt(0)
	v_fma_f64 v[84:85], v[86:87], v[108:109], v[84:85]
	s_waitcnt vmcnt(2)
	s_delay_alu instid0(VALU_DEP_1)
	v_fma_f64 v[96:97], v[96:97], v[110:111], v[84:85]
	ds_load_b128 v[84:87], v1 offset:592
	ds_load_b128 v[92:95], v1 offset:608
	s_waitcnt lgkmcnt(1)
	v_fma_f64 v[84:85], v[98:99], v[84:85], v[96:97]
	s_waitcnt vmcnt(1)
	s_delay_alu instid0(VALU_DEP_1) | instskip(SKIP_4) | instid1(VALU_DEP_1)
	v_fma_f64 v[84:85], v[88:89], v[86:87], v[84:85]
	ds_load_b64 v[86:87], v1 offset:624
	s_waitcnt lgkmcnt(1)
	v_fma_f64 v[84:85], v[90:91], v[92:93], v[84:85]
	s_waitcnt vmcnt(0)
	v_fma_f64 v[84:85], v[100:101], v[94:95], v[84:85]
	s_waitcnt lgkmcnt(0)
	s_delay_alu instid0(VALU_DEP_1) | instskip(NEXT) | instid1(VALU_DEP_1)
	v_fma_f64 v[84:85], v[102:103], v[86:87], v[84:85]
	v_add_f64 v[82:83], v[82:83], -v[84:85]
	scratch_store_b64 off, v[82:83], off offset:72
	v_cmpx_lt_u32_e32 8, v0
	s_cbranch_execz .LBB38_227
; %bb.226:
	scratch_load_b64 v[82:83], off, off offset:64
	v_mov_b32_e32 v2, v1
	scratch_store_b64 off, v[1:2], off offset:64
	s_waitcnt vmcnt(0)
	ds_store_b64 v3, v[82:83]
.LBB38_227:
	s_or_b32 exec_lo, exec_lo, s0
	s_waitcnt lgkmcnt(0)
	s_waitcnt_vscnt null, 0x0
	s_barrier
	buffer_gl0_inv
	s_clause 0x4
	scratch_load_b128 v[82:85], off, off offset:64
	scratch_load_b128 v[86:89], off, off offset:80
	;; [unrolled: 1-line block ×5, first 2 shown]
	ds_load_2addr_b64 v[102:105], v1 offset0:49 offset1:50
	ds_load_2addr_b64 v[106:109], v1 offset0:51 offset1:52
	scratch_load_b128 v[110:113], off, off offset:144
	s_mov_b32 s0, exec_lo
	s_waitcnt vmcnt(5) lgkmcnt(1)
	v_fma_f64 v[84:85], v[84:85], v[102:103], 0
	s_waitcnt vmcnt(4)
	s_delay_alu instid0(VALU_DEP_1) | instskip(SKIP_1) | instid1(VALU_DEP_1)
	v_fma_f64 v[84:85], v[86:87], v[104:105], v[84:85]
	s_waitcnt lgkmcnt(0)
	v_fma_f64 v[88:89], v[88:89], v[106:107], v[84:85]
	scratch_load_b128 v[84:87], off, off offset:160
	s_waitcnt vmcnt(4)
	v_fma_f64 v[106:107], v[90:91], v[108:109], v[88:89]
	ds_load_2addr_b64 v[88:91], v1 offset0:53 offset1:54
	ds_load_2addr_b64 v[102:105], v1 offset0:55 offset1:56
	s_waitcnt lgkmcnt(1)
	v_fma_f64 v[88:89], v[92:93], v[88:89], v[106:107]
	scratch_load_b128 v[106:109], off, off offset:176
	s_waitcnt vmcnt(4)
	v_fma_f64 v[88:89], v[94:95], v[90:91], v[88:89]
	s_waitcnt lgkmcnt(0)
	s_delay_alu instid0(VALU_DEP_1)
	v_fma_f64 v[92:93], v[96:97], v[102:103], v[88:89]
	scratch_load_b128 v[88:91], off, off offset:192
	s_waitcnt vmcnt(4)
	v_fma_f64 v[102:103], v[98:99], v[104:105], v[92:93]
	ds_load_2addr_b64 v[92:95], v1 offset0:57 offset1:58
	ds_load_2addr_b64 v[96:99], v1 offset0:59 offset1:60
	s_waitcnt lgkmcnt(1)
	v_fma_f64 v[92:93], v[100:101], v[92:93], v[102:103]
	scratch_load_b128 v[100:103], off, off offset:208
	s_waitcnt vmcnt(4)
	v_fma_f64 v[92:93], v[110:111], v[94:95], v[92:93]
	s_waitcnt lgkmcnt(0)
	s_delay_alu instid0(VALU_DEP_1)
	;; [unrolled: 13-line block ×4, first 2 shown]
	v_fma_f64 v[104:105], v[102:103], v[108:109], v[100:101]
	scratch_load_b128 v[100:103], off, off offset:288
	s_waitcnt vmcnt(4)
	v_fma_f64 v[92:93], v[92:93], v[110:111], v[104:105]
	ds_load_2addr_b64 v[104:107], v1 offset0:69 offset1:70
	ds_load_2addr_b64 v[108:111], v1 offset0:71 offset1:72
	s_waitcnt lgkmcnt(1)
	v_fma_f64 v[92:93], v[94:95], v[104:105], v[92:93]
	scratch_load_b64 v[104:105], off, off offset:304
	s_waitcnt vmcnt(4)
	v_fma_f64 v[84:85], v[84:85], v[106:107], v[92:93]
	s_waitcnt lgkmcnt(0)
	s_delay_alu instid0(VALU_DEP_1) | instskip(SKIP_1) | instid1(VALU_DEP_1)
	v_fma_f64 v[84:85], v[86:87], v[108:109], v[84:85]
	s_waitcnt vmcnt(3)
	v_fma_f64 v[96:97], v[96:97], v[110:111], v[84:85]
	ds_load_2addr_b64 v[84:87], v1 offset0:73 offset1:74
	ds_load_2addr_b64 v[92:95], v1 offset0:75 offset1:76
	s_waitcnt lgkmcnt(1)
	v_fma_f64 v[84:85], v[98:99], v[84:85], v[96:97]
	s_waitcnt vmcnt(2)
	s_delay_alu instid0(VALU_DEP_1) | instskip(SKIP_1) | instid1(VALU_DEP_1)
	v_fma_f64 v[84:85], v[88:89], v[86:87], v[84:85]
	s_waitcnt lgkmcnt(0)
	v_fma_f64 v[84:85], v[90:91], v[92:93], v[84:85]
	s_waitcnt vmcnt(1)
	s_delay_alu instid0(VALU_DEP_1) | instskip(SKIP_4) | instid1(VALU_DEP_1)
	v_fma_f64 v[88:89], v[100:101], v[94:95], v[84:85]
	ds_load_2addr_b64 v[84:87], v1 offset0:77 offset1:78
	s_waitcnt lgkmcnt(0)
	v_fma_f64 v[1:2], v[102:103], v[84:85], v[88:89]
	s_waitcnt vmcnt(0)
	v_fma_f64 v[1:2], v[104:105], v[86:87], v[1:2]
	s_delay_alu instid0(VALU_DEP_1)
	v_add_f64 v[1:2], v[82:83], -v[1:2]
	scratch_store_b64 off, v[1:2], off offset:64
	v_cmpx_lt_u32_e32 7, v0
	s_cbranch_execz .LBB38_229
; %bb.228:
	scratch_load_b64 v[1:2], off, off offset:56
	v_mov_b32_e32 v82, 0
	s_delay_alu instid0(VALU_DEP_1)
	v_mov_b32_e32 v83, v82
	scratch_store_b64 off, v[82:83], off offset:56
	s_waitcnt vmcnt(0)
	ds_store_b64 v3, v[1:2]
.LBB38_229:
	s_or_b32 exec_lo, exec_lo, s0
	s_waitcnt lgkmcnt(0)
	s_waitcnt_vscnt null, 0x0
	s_barrier
	buffer_gl0_inv
	s_clause 0x4
	scratch_load_b128 v[82:85], off, off offset:56
	scratch_load_b128 v[86:89], off, off offset:72
	;; [unrolled: 1-line block ×5, first 2 shown]
	v_mov_b32_e32 v1, 0
	ds_load_b128 v[102:105], v1 offset:384
	ds_load_b128 v[106:109], v1 offset:400
	scratch_load_b128 v[110:113], off, off offset:136
	s_mov_b32 s0, exec_lo
	s_waitcnt vmcnt(5) lgkmcnt(1)
	v_fma_f64 v[84:85], v[84:85], v[102:103], 0
	s_waitcnt vmcnt(4)
	s_delay_alu instid0(VALU_DEP_1) | instskip(SKIP_1) | instid1(VALU_DEP_1)
	v_fma_f64 v[84:85], v[86:87], v[104:105], v[84:85]
	s_waitcnt lgkmcnt(0)
	v_fma_f64 v[88:89], v[88:89], v[106:107], v[84:85]
	scratch_load_b128 v[84:87], off, off offset:152
	s_waitcnt vmcnt(4)
	v_fma_f64 v[106:107], v[90:91], v[108:109], v[88:89]
	ds_load_b128 v[88:91], v1 offset:416
	ds_load_b128 v[102:105], v1 offset:432
	s_waitcnt lgkmcnt(1)
	v_fma_f64 v[88:89], v[92:93], v[88:89], v[106:107]
	scratch_load_b128 v[106:109], off, off offset:168
	s_waitcnt vmcnt(4)
	v_fma_f64 v[88:89], v[94:95], v[90:91], v[88:89]
	s_waitcnt lgkmcnt(0)
	s_delay_alu instid0(VALU_DEP_1)
	v_fma_f64 v[92:93], v[96:97], v[102:103], v[88:89]
	scratch_load_b128 v[88:91], off, off offset:184
	s_waitcnt vmcnt(4)
	v_fma_f64 v[102:103], v[98:99], v[104:105], v[92:93]
	ds_load_b128 v[92:95], v1 offset:448
	ds_load_b128 v[96:99], v1 offset:464
	s_waitcnt lgkmcnt(1)
	v_fma_f64 v[92:93], v[100:101], v[92:93], v[102:103]
	scratch_load_b128 v[100:103], off, off offset:200
	s_waitcnt vmcnt(4)
	v_fma_f64 v[92:93], v[110:111], v[94:95], v[92:93]
	s_waitcnt lgkmcnt(0)
	s_delay_alu instid0(VALU_DEP_1)
	;; [unrolled: 13-line block ×4, first 2 shown]
	v_fma_f64 v[104:105], v[102:103], v[108:109], v[100:101]
	scratch_load_b128 v[100:103], off, off offset:280
	s_waitcnt vmcnt(4)
	v_fma_f64 v[92:93], v[92:93], v[110:111], v[104:105]
	ds_load_b128 v[104:107], v1 offset:544
	ds_load_b128 v[108:111], v1 offset:560
	s_waitcnt lgkmcnt(1)
	v_fma_f64 v[104:105], v[94:95], v[104:105], v[92:93]
	scratch_load_b128 v[92:95], off, off offset:296
	s_waitcnt vmcnt(4)
	v_fma_f64 v[84:85], v[84:85], v[106:107], v[104:105]
	s_waitcnt lgkmcnt(0)
	s_delay_alu instid0(VALU_DEP_1) | instskip(SKIP_1) | instid1(VALU_DEP_1)
	v_fma_f64 v[84:85], v[86:87], v[108:109], v[84:85]
	s_waitcnt vmcnt(3)
	v_fma_f64 v[96:97], v[96:97], v[110:111], v[84:85]
	ds_load_b128 v[84:87], v1 offset:576
	ds_load_b128 v[104:107], v1 offset:592
	s_waitcnt lgkmcnt(1)
	v_fma_f64 v[84:85], v[98:99], v[84:85], v[96:97]
	s_waitcnt vmcnt(2)
	s_delay_alu instid0(VALU_DEP_1) | instskip(SKIP_1) | instid1(VALU_DEP_1)
	v_fma_f64 v[84:85], v[88:89], v[86:87], v[84:85]
	s_waitcnt lgkmcnt(0)
	v_fma_f64 v[84:85], v[90:91], v[104:105], v[84:85]
	s_waitcnt vmcnt(1)
	s_delay_alu instid0(VALU_DEP_1)
	v_fma_f64 v[88:89], v[100:101], v[106:107], v[84:85]
	ds_load_b128 v[84:87], v1 offset:608
	ds_load_b64 v[90:91], v1 offset:624
	s_waitcnt lgkmcnt(1)
	v_fma_f64 v[84:85], v[102:103], v[84:85], v[88:89]
	s_waitcnt vmcnt(0)
	s_delay_alu instid0(VALU_DEP_1) | instskip(SKIP_1) | instid1(VALU_DEP_1)
	v_fma_f64 v[84:85], v[92:93], v[86:87], v[84:85]
	s_waitcnt lgkmcnt(0)
	v_fma_f64 v[84:85], v[94:95], v[90:91], v[84:85]
	s_delay_alu instid0(VALU_DEP_1)
	v_add_f64 v[82:83], v[82:83], -v[84:85]
	scratch_store_b64 off, v[82:83], off offset:56
	v_cmpx_lt_u32_e32 6, v0
	s_cbranch_execz .LBB38_231
; %bb.230:
	scratch_load_b64 v[82:83], off, off offset:48
	v_mov_b32_e32 v2, v1
	scratch_store_b64 off, v[1:2], off offset:48
	s_waitcnt vmcnt(0)
	ds_store_b64 v3, v[82:83]
.LBB38_231:
	s_or_b32 exec_lo, exec_lo, s0
	s_waitcnt lgkmcnt(0)
	s_waitcnt_vscnt null, 0x0
	s_barrier
	buffer_gl0_inv
	s_clause 0x4
	scratch_load_b128 v[82:85], off, off offset:48
	scratch_load_b128 v[86:89], off, off offset:64
	;; [unrolled: 1-line block ×5, first 2 shown]
	ds_load_2addr_b64 v[102:105], v1 offset0:47 offset1:48
	ds_load_2addr_b64 v[106:109], v1 offset0:49 offset1:50
	scratch_load_b128 v[110:113], off, off offset:128
	s_mov_b32 s0, exec_lo
	s_waitcnt vmcnt(5) lgkmcnt(1)
	v_fma_f64 v[84:85], v[84:85], v[102:103], 0
	s_waitcnt vmcnt(4)
	s_delay_alu instid0(VALU_DEP_1) | instskip(SKIP_1) | instid1(VALU_DEP_1)
	v_fma_f64 v[84:85], v[86:87], v[104:105], v[84:85]
	s_waitcnt lgkmcnt(0)
	v_fma_f64 v[88:89], v[88:89], v[106:107], v[84:85]
	scratch_load_b128 v[84:87], off, off offset:144
	s_waitcnt vmcnt(4)
	v_fma_f64 v[106:107], v[90:91], v[108:109], v[88:89]
	ds_load_2addr_b64 v[88:91], v1 offset0:51 offset1:52
	ds_load_2addr_b64 v[102:105], v1 offset0:53 offset1:54
	s_waitcnt lgkmcnt(1)
	v_fma_f64 v[88:89], v[92:93], v[88:89], v[106:107]
	scratch_load_b128 v[106:109], off, off offset:160
	s_waitcnt vmcnt(4)
	v_fma_f64 v[88:89], v[94:95], v[90:91], v[88:89]
	s_waitcnt lgkmcnt(0)
	s_delay_alu instid0(VALU_DEP_1)
	v_fma_f64 v[92:93], v[96:97], v[102:103], v[88:89]
	scratch_load_b128 v[88:91], off, off offset:176
	s_waitcnt vmcnt(4)
	v_fma_f64 v[102:103], v[98:99], v[104:105], v[92:93]
	ds_load_2addr_b64 v[92:95], v1 offset0:55 offset1:56
	ds_load_2addr_b64 v[96:99], v1 offset0:57 offset1:58
	s_waitcnt lgkmcnt(1)
	v_fma_f64 v[92:93], v[100:101], v[92:93], v[102:103]
	scratch_load_b128 v[100:103], off, off offset:192
	s_waitcnt vmcnt(4)
	v_fma_f64 v[92:93], v[110:111], v[94:95], v[92:93]
	s_waitcnt lgkmcnt(0)
	s_delay_alu instid0(VALU_DEP_1)
	;; [unrolled: 13-line block ×5, first 2 shown]
	v_fma_f64 v[84:85], v[86:87], v[108:109], v[84:85]
	scratch_load_b64 v[108:109], off, off offset:304
	s_waitcnt vmcnt(4)
	v_fma_f64 v[96:97], v[96:97], v[110:111], v[84:85]
	ds_load_2addr_b64 v[84:87], v1 offset0:71 offset1:72
	ds_load_2addr_b64 v[104:107], v1 offset0:73 offset1:74
	s_waitcnt lgkmcnt(1)
	v_fma_f64 v[84:85], v[98:99], v[84:85], v[96:97]
	s_waitcnt vmcnt(3)
	s_delay_alu instid0(VALU_DEP_1) | instskip(SKIP_1) | instid1(VALU_DEP_1)
	v_fma_f64 v[84:85], v[88:89], v[86:87], v[84:85]
	s_waitcnt lgkmcnt(0)
	v_fma_f64 v[84:85], v[90:91], v[104:105], v[84:85]
	s_waitcnt vmcnt(2)
	s_delay_alu instid0(VALU_DEP_1)
	v_fma_f64 v[96:97], v[100:101], v[106:107], v[84:85]
	ds_load_2addr_b64 v[84:87], v1 offset0:75 offset1:76
	ds_load_2addr_b64 v[88:91], v1 offset0:77 offset1:78
	s_waitcnt lgkmcnt(1)
	v_fma_f64 v[1:2], v[102:103], v[84:85], v[96:97]
	s_waitcnt vmcnt(1)
	s_delay_alu instid0(VALU_DEP_1) | instskip(SKIP_1) | instid1(VALU_DEP_1)
	v_fma_f64 v[1:2], v[92:93], v[86:87], v[1:2]
	s_waitcnt lgkmcnt(0)
	v_fma_f64 v[1:2], v[94:95], v[88:89], v[1:2]
	s_waitcnt vmcnt(0)
	s_delay_alu instid0(VALU_DEP_1) | instskip(NEXT) | instid1(VALU_DEP_1)
	v_fma_f64 v[1:2], v[108:109], v[90:91], v[1:2]
	v_add_f64 v[1:2], v[82:83], -v[1:2]
	scratch_store_b64 off, v[1:2], off offset:48
	v_cmpx_lt_u32_e32 5, v0
	s_cbranch_execz .LBB38_233
; %bb.232:
	scratch_load_b64 v[1:2], off, off offset:40
	v_mov_b32_e32 v82, 0
	s_delay_alu instid0(VALU_DEP_1)
	v_mov_b32_e32 v83, v82
	scratch_store_b64 off, v[82:83], off offset:40
	s_waitcnt vmcnt(0)
	ds_store_b64 v3, v[1:2]
.LBB38_233:
	s_or_b32 exec_lo, exec_lo, s0
	s_waitcnt lgkmcnt(0)
	s_waitcnt_vscnt null, 0x0
	s_barrier
	buffer_gl0_inv
	s_clause 0x4
	scratch_load_b128 v[82:85], off, off offset:40
	scratch_load_b128 v[86:89], off, off offset:56
	scratch_load_b128 v[90:93], off, off offset:72
	scratch_load_b128 v[94:97], off, off offset:88
	scratch_load_b128 v[98:101], off, off offset:104
	v_mov_b32_e32 v1, 0
	ds_load_b128 v[102:105], v1 offset:368
	ds_load_b128 v[106:109], v1 offset:384
	scratch_load_b128 v[110:113], off, off offset:120
	s_mov_b32 s0, exec_lo
	s_waitcnt vmcnt(5) lgkmcnt(1)
	v_fma_f64 v[84:85], v[84:85], v[102:103], 0
	s_waitcnt vmcnt(4)
	s_delay_alu instid0(VALU_DEP_1) | instskip(SKIP_1) | instid1(VALU_DEP_1)
	v_fma_f64 v[84:85], v[86:87], v[104:105], v[84:85]
	s_waitcnt lgkmcnt(0)
	v_fma_f64 v[88:89], v[88:89], v[106:107], v[84:85]
	scratch_load_b128 v[84:87], off, off offset:136
	s_waitcnt vmcnt(4)
	v_fma_f64 v[106:107], v[90:91], v[108:109], v[88:89]
	ds_load_b128 v[88:91], v1 offset:400
	ds_load_b128 v[102:105], v1 offset:416
	s_waitcnt lgkmcnt(1)
	v_fma_f64 v[88:89], v[92:93], v[88:89], v[106:107]
	scratch_load_b128 v[106:109], off, off offset:152
	s_waitcnt vmcnt(4)
	v_fma_f64 v[88:89], v[94:95], v[90:91], v[88:89]
	s_waitcnt lgkmcnt(0)
	s_delay_alu instid0(VALU_DEP_1)
	v_fma_f64 v[92:93], v[96:97], v[102:103], v[88:89]
	scratch_load_b128 v[88:91], off, off offset:168
	s_waitcnt vmcnt(4)
	v_fma_f64 v[102:103], v[98:99], v[104:105], v[92:93]
	ds_load_b128 v[92:95], v1 offset:432
	ds_load_b128 v[96:99], v1 offset:448
	s_waitcnt lgkmcnt(1)
	v_fma_f64 v[92:93], v[100:101], v[92:93], v[102:103]
	scratch_load_b128 v[100:103], off, off offset:184
	s_waitcnt vmcnt(4)
	v_fma_f64 v[92:93], v[110:111], v[94:95], v[92:93]
	s_waitcnt lgkmcnt(0)
	s_delay_alu instid0(VALU_DEP_1)
	;; [unrolled: 13-line block ×5, first 2 shown]
	v_fma_f64 v[104:105], v[86:87], v[108:109], v[84:85]
	scratch_load_b128 v[84:87], off, off offset:296
	s_waitcnt vmcnt(4)
	v_fma_f64 v[96:97], v[96:97], v[110:111], v[104:105]
	ds_load_b128 v[104:107], v1 offset:560
	ds_load_b128 v[108:111], v1 offset:576
	s_waitcnt lgkmcnt(1)
	v_fma_f64 v[96:97], v[98:99], v[104:105], v[96:97]
	s_waitcnt vmcnt(3)
	s_delay_alu instid0(VALU_DEP_1) | instskip(SKIP_1) | instid1(VALU_DEP_1)
	v_fma_f64 v[88:89], v[88:89], v[106:107], v[96:97]
	s_waitcnt lgkmcnt(0)
	v_fma_f64 v[88:89], v[90:91], v[108:109], v[88:89]
	s_waitcnt vmcnt(2)
	s_delay_alu instid0(VALU_DEP_1)
	v_fma_f64 v[100:101], v[100:101], v[110:111], v[88:89]
	ds_load_b128 v[88:91], v1 offset:592
	ds_load_b128 v[96:99], v1 offset:608
	s_waitcnt lgkmcnt(1)
	v_fma_f64 v[88:89], v[102:103], v[88:89], v[100:101]
	s_waitcnt vmcnt(1)
	s_delay_alu instid0(VALU_DEP_1) | instskip(SKIP_1) | instid1(VALU_DEP_1)
	v_fma_f64 v[88:89], v[92:93], v[90:91], v[88:89]
	s_waitcnt lgkmcnt(0)
	v_fma_f64 v[88:89], v[94:95], v[96:97], v[88:89]
	s_waitcnt vmcnt(0)
	s_delay_alu instid0(VALU_DEP_1) | instskip(SKIP_3) | instid1(VALU_DEP_1)
	v_fma_f64 v[84:85], v[84:85], v[98:99], v[88:89]
	ds_load_b64 v[88:89], v1 offset:624
	s_waitcnt lgkmcnt(0)
	v_fma_f64 v[84:85], v[86:87], v[88:89], v[84:85]
	v_add_f64 v[82:83], v[82:83], -v[84:85]
	scratch_store_b64 off, v[82:83], off offset:40
	v_cmpx_lt_u32_e32 4, v0
	s_cbranch_execz .LBB38_235
; %bb.234:
	scratch_load_b64 v[82:83], off, off offset:32
	v_mov_b32_e32 v2, v1
	scratch_store_b64 off, v[1:2], off offset:32
	s_waitcnt vmcnt(0)
	ds_store_b64 v3, v[82:83]
.LBB38_235:
	s_or_b32 exec_lo, exec_lo, s0
	s_waitcnt lgkmcnt(0)
	s_waitcnt_vscnt null, 0x0
	s_barrier
	buffer_gl0_inv
	s_clause 0x4
	scratch_load_b128 v[82:85], off, off offset:32
	scratch_load_b128 v[86:89], off, off offset:48
	;; [unrolled: 1-line block ×5, first 2 shown]
	ds_load_2addr_b64 v[102:105], v1 offset0:45 offset1:46
	ds_load_2addr_b64 v[106:109], v1 offset0:47 offset1:48
	scratch_load_b128 v[110:113], off, off offset:112
	s_mov_b32 s0, exec_lo
	s_waitcnt vmcnt(5) lgkmcnt(1)
	v_fma_f64 v[84:85], v[84:85], v[102:103], 0
	s_waitcnt vmcnt(4)
	s_delay_alu instid0(VALU_DEP_1) | instskip(SKIP_1) | instid1(VALU_DEP_1)
	v_fma_f64 v[84:85], v[86:87], v[104:105], v[84:85]
	s_waitcnt lgkmcnt(0)
	v_fma_f64 v[88:89], v[88:89], v[106:107], v[84:85]
	scratch_load_b128 v[84:87], off, off offset:128
	s_waitcnt vmcnt(4)
	v_fma_f64 v[106:107], v[90:91], v[108:109], v[88:89]
	ds_load_2addr_b64 v[88:91], v1 offset0:49 offset1:50
	ds_load_2addr_b64 v[102:105], v1 offset0:51 offset1:52
	s_waitcnt lgkmcnt(1)
	v_fma_f64 v[88:89], v[92:93], v[88:89], v[106:107]
	scratch_load_b128 v[106:109], off, off offset:144
	s_waitcnt vmcnt(4)
	v_fma_f64 v[88:89], v[94:95], v[90:91], v[88:89]
	s_waitcnt lgkmcnt(0)
	s_delay_alu instid0(VALU_DEP_1)
	v_fma_f64 v[92:93], v[96:97], v[102:103], v[88:89]
	scratch_load_b128 v[88:91], off, off offset:160
	s_waitcnt vmcnt(4)
	v_fma_f64 v[102:103], v[98:99], v[104:105], v[92:93]
	ds_load_2addr_b64 v[92:95], v1 offset0:53 offset1:54
	ds_load_2addr_b64 v[96:99], v1 offset0:55 offset1:56
	s_waitcnt lgkmcnt(1)
	v_fma_f64 v[92:93], v[100:101], v[92:93], v[102:103]
	scratch_load_b128 v[100:103], off, off offset:176
	s_waitcnt vmcnt(4)
	v_fma_f64 v[92:93], v[110:111], v[94:95], v[92:93]
	s_waitcnt lgkmcnt(0)
	s_delay_alu instid0(VALU_DEP_1)
	;; [unrolled: 13-line block ×5, first 2 shown]
	v_fma_f64 v[104:105], v[86:87], v[108:109], v[84:85]
	scratch_load_b128 v[84:87], off, off offset:288
	s_waitcnt vmcnt(4)
	v_fma_f64 v[96:97], v[96:97], v[110:111], v[104:105]
	ds_load_2addr_b64 v[104:107], v1 offset0:69 offset1:70
	ds_load_2addr_b64 v[108:111], v1 offset0:71 offset1:72
	s_waitcnt lgkmcnt(1)
	v_fma_f64 v[96:97], v[98:99], v[104:105], v[96:97]
	scratch_load_b64 v[104:105], off, off offset:304
	s_waitcnt vmcnt(4)
	v_fma_f64 v[88:89], v[88:89], v[106:107], v[96:97]
	s_waitcnt lgkmcnt(0)
	s_delay_alu instid0(VALU_DEP_1) | instskip(SKIP_1) | instid1(VALU_DEP_1)
	v_fma_f64 v[88:89], v[90:91], v[108:109], v[88:89]
	s_waitcnt vmcnt(3)
	v_fma_f64 v[100:101], v[100:101], v[110:111], v[88:89]
	ds_load_2addr_b64 v[88:91], v1 offset0:73 offset1:74
	ds_load_2addr_b64 v[96:99], v1 offset0:75 offset1:76
	s_waitcnt lgkmcnt(1)
	v_fma_f64 v[88:89], v[102:103], v[88:89], v[100:101]
	s_waitcnt vmcnt(2)
	s_delay_alu instid0(VALU_DEP_1) | instskip(SKIP_1) | instid1(VALU_DEP_1)
	v_fma_f64 v[88:89], v[92:93], v[90:91], v[88:89]
	s_waitcnt lgkmcnt(0)
	v_fma_f64 v[88:89], v[94:95], v[96:97], v[88:89]
	s_waitcnt vmcnt(1)
	s_delay_alu instid0(VALU_DEP_1) | instskip(SKIP_4) | instid1(VALU_DEP_1)
	v_fma_f64 v[84:85], v[84:85], v[98:99], v[88:89]
	ds_load_2addr_b64 v[88:91], v1 offset0:77 offset1:78
	s_waitcnt lgkmcnt(0)
	v_fma_f64 v[1:2], v[86:87], v[88:89], v[84:85]
	s_waitcnt vmcnt(0)
	v_fma_f64 v[1:2], v[104:105], v[90:91], v[1:2]
	s_delay_alu instid0(VALU_DEP_1)
	v_add_f64 v[1:2], v[82:83], -v[1:2]
	scratch_store_b64 off, v[1:2], off offset:32
	v_cmpx_lt_u32_e32 3, v0
	s_cbranch_execz .LBB38_237
; %bb.236:
	scratch_load_b64 v[1:2], off, off offset:24
	v_mov_b32_e32 v82, 0
	s_delay_alu instid0(VALU_DEP_1)
	v_mov_b32_e32 v83, v82
	scratch_store_b64 off, v[82:83], off offset:24
	s_waitcnt vmcnt(0)
	ds_store_b64 v3, v[1:2]
.LBB38_237:
	s_or_b32 exec_lo, exec_lo, s0
	s_waitcnt lgkmcnt(0)
	s_waitcnt_vscnt null, 0x0
	s_barrier
	buffer_gl0_inv
	s_clause 0x4
	scratch_load_b128 v[82:85], off, off offset:24
	scratch_load_b128 v[86:89], off, off offset:40
	;; [unrolled: 1-line block ×5, first 2 shown]
	v_mov_b32_e32 v1, 0
	ds_load_b128 v[102:105], v1 offset:352
	ds_load_b128 v[106:109], v1 offset:368
	scratch_load_b128 v[110:113], off, off offset:104
	s_mov_b32 s0, exec_lo
	s_waitcnt vmcnt(5) lgkmcnt(1)
	v_fma_f64 v[84:85], v[84:85], v[102:103], 0
	s_waitcnt vmcnt(4)
	s_delay_alu instid0(VALU_DEP_1) | instskip(SKIP_1) | instid1(VALU_DEP_1)
	v_fma_f64 v[84:85], v[86:87], v[104:105], v[84:85]
	s_waitcnt lgkmcnt(0)
	v_fma_f64 v[88:89], v[88:89], v[106:107], v[84:85]
	scratch_load_b128 v[84:87], off, off offset:120
	s_waitcnt vmcnt(4)
	v_fma_f64 v[106:107], v[90:91], v[108:109], v[88:89]
	ds_load_b128 v[88:91], v1 offset:384
	ds_load_b128 v[102:105], v1 offset:400
	s_waitcnt lgkmcnt(1)
	v_fma_f64 v[88:89], v[92:93], v[88:89], v[106:107]
	scratch_load_b128 v[106:109], off, off offset:136
	s_waitcnt vmcnt(4)
	v_fma_f64 v[88:89], v[94:95], v[90:91], v[88:89]
	s_waitcnt lgkmcnt(0)
	s_delay_alu instid0(VALU_DEP_1)
	v_fma_f64 v[92:93], v[96:97], v[102:103], v[88:89]
	scratch_load_b128 v[88:91], off, off offset:152
	s_waitcnt vmcnt(4)
	v_fma_f64 v[102:103], v[98:99], v[104:105], v[92:93]
	ds_load_b128 v[92:95], v1 offset:416
	ds_load_b128 v[96:99], v1 offset:432
	s_waitcnt lgkmcnt(1)
	v_fma_f64 v[92:93], v[100:101], v[92:93], v[102:103]
	scratch_load_b128 v[100:103], off, off offset:168
	s_waitcnt vmcnt(4)
	v_fma_f64 v[92:93], v[110:111], v[94:95], v[92:93]
	s_waitcnt lgkmcnt(0)
	s_delay_alu instid0(VALU_DEP_1)
	;; [unrolled: 13-line block ×5, first 2 shown]
	v_fma_f64 v[104:105], v[86:87], v[108:109], v[84:85]
	scratch_load_b128 v[84:87], off, off offset:280
	s_waitcnt vmcnt(4)
	v_fma_f64 v[96:97], v[96:97], v[110:111], v[104:105]
	ds_load_b128 v[104:107], v1 offset:544
	ds_load_b128 v[108:111], v1 offset:560
	s_waitcnt lgkmcnt(1)
	v_fma_f64 v[104:105], v[98:99], v[104:105], v[96:97]
	scratch_load_b128 v[96:99], off, off offset:296
	s_waitcnt vmcnt(4)
	v_fma_f64 v[88:89], v[88:89], v[106:107], v[104:105]
	s_waitcnt lgkmcnt(0)
	s_delay_alu instid0(VALU_DEP_1) | instskip(SKIP_1) | instid1(VALU_DEP_1)
	v_fma_f64 v[88:89], v[90:91], v[108:109], v[88:89]
	s_waitcnt vmcnt(3)
	v_fma_f64 v[100:101], v[100:101], v[110:111], v[88:89]
	ds_load_b128 v[88:91], v1 offset:576
	ds_load_b128 v[104:107], v1 offset:592
	s_waitcnt lgkmcnt(1)
	v_fma_f64 v[88:89], v[102:103], v[88:89], v[100:101]
	s_waitcnt vmcnt(2)
	s_delay_alu instid0(VALU_DEP_1) | instskip(SKIP_1) | instid1(VALU_DEP_1)
	v_fma_f64 v[88:89], v[92:93], v[90:91], v[88:89]
	s_waitcnt lgkmcnt(0)
	v_fma_f64 v[88:89], v[94:95], v[104:105], v[88:89]
	s_waitcnt vmcnt(1)
	s_delay_alu instid0(VALU_DEP_1)
	v_fma_f64 v[84:85], v[84:85], v[106:107], v[88:89]
	ds_load_b128 v[88:91], v1 offset:608
	ds_load_b64 v[92:93], v1 offset:624
	s_waitcnt lgkmcnt(1)
	v_fma_f64 v[84:85], v[86:87], v[88:89], v[84:85]
	s_waitcnt vmcnt(0)
	s_delay_alu instid0(VALU_DEP_1) | instskip(SKIP_1) | instid1(VALU_DEP_1)
	v_fma_f64 v[84:85], v[96:97], v[90:91], v[84:85]
	s_waitcnt lgkmcnt(0)
	v_fma_f64 v[84:85], v[98:99], v[92:93], v[84:85]
	s_delay_alu instid0(VALU_DEP_1)
	v_add_f64 v[82:83], v[82:83], -v[84:85]
	scratch_store_b64 off, v[82:83], off offset:24
	v_cmpx_lt_u32_e32 2, v0
	s_cbranch_execz .LBB38_239
; %bb.238:
	scratch_load_b64 v[82:83], off, off offset:16
	v_mov_b32_e32 v2, v1
	scratch_store_b64 off, v[1:2], off offset:16
	s_waitcnt vmcnt(0)
	ds_store_b64 v3, v[82:83]
.LBB38_239:
	s_or_b32 exec_lo, exec_lo, s0
	s_waitcnt lgkmcnt(0)
	s_waitcnt_vscnt null, 0x0
	s_barrier
	buffer_gl0_inv
	s_clause 0x4
	scratch_load_b128 v[82:85], off, off offset:16
	scratch_load_b128 v[86:89], off, off offset:32
	;; [unrolled: 1-line block ×5, first 2 shown]
	ds_load_2addr_b64 v[102:105], v1 offset0:43 offset1:44
	ds_load_2addr_b64 v[106:109], v1 offset0:45 offset1:46
	scratch_load_b128 v[110:113], off, off offset:96
	s_mov_b32 s0, exec_lo
	s_waitcnt vmcnt(5) lgkmcnt(1)
	v_fma_f64 v[84:85], v[84:85], v[102:103], 0
	s_waitcnt vmcnt(4)
	s_delay_alu instid0(VALU_DEP_1) | instskip(SKIP_1) | instid1(VALU_DEP_1)
	v_fma_f64 v[84:85], v[86:87], v[104:105], v[84:85]
	s_waitcnt lgkmcnt(0)
	v_fma_f64 v[88:89], v[88:89], v[106:107], v[84:85]
	scratch_load_b128 v[84:87], off, off offset:112
	s_waitcnt vmcnt(4)
	v_fma_f64 v[106:107], v[90:91], v[108:109], v[88:89]
	ds_load_2addr_b64 v[88:91], v1 offset0:47 offset1:48
	ds_load_2addr_b64 v[102:105], v1 offset0:49 offset1:50
	s_waitcnt lgkmcnt(1)
	v_fma_f64 v[88:89], v[92:93], v[88:89], v[106:107]
	scratch_load_b128 v[106:109], off, off offset:128
	s_waitcnt vmcnt(4)
	v_fma_f64 v[88:89], v[94:95], v[90:91], v[88:89]
	s_waitcnt lgkmcnt(0)
	s_delay_alu instid0(VALU_DEP_1)
	v_fma_f64 v[92:93], v[96:97], v[102:103], v[88:89]
	scratch_load_b128 v[88:91], off, off offset:144
	s_waitcnt vmcnt(4)
	v_fma_f64 v[102:103], v[98:99], v[104:105], v[92:93]
	ds_load_2addr_b64 v[92:95], v1 offset0:51 offset1:52
	ds_load_2addr_b64 v[96:99], v1 offset0:53 offset1:54
	s_waitcnt lgkmcnt(1)
	v_fma_f64 v[92:93], v[100:101], v[92:93], v[102:103]
	scratch_load_b128 v[100:103], off, off offset:160
	s_waitcnt vmcnt(4)
	v_fma_f64 v[92:93], v[110:111], v[94:95], v[92:93]
	s_waitcnt lgkmcnt(0)
	s_delay_alu instid0(VALU_DEP_1)
	;; [unrolled: 13-line block ×6, first 2 shown]
	v_fma_f64 v[88:89], v[90:91], v[108:109], v[88:89]
	scratch_load_b64 v[108:109], off, off offset:304
	s_waitcnt vmcnt(4)
	v_fma_f64 v[100:101], v[100:101], v[110:111], v[88:89]
	ds_load_2addr_b64 v[88:91], v1 offset0:71 offset1:72
	ds_load_2addr_b64 v[104:107], v1 offset0:73 offset1:74
	s_waitcnt lgkmcnt(1)
	v_fma_f64 v[88:89], v[102:103], v[88:89], v[100:101]
	s_waitcnt vmcnt(3)
	s_delay_alu instid0(VALU_DEP_1) | instskip(SKIP_1) | instid1(VALU_DEP_1)
	v_fma_f64 v[88:89], v[92:93], v[90:91], v[88:89]
	s_waitcnt lgkmcnt(0)
	v_fma_f64 v[88:89], v[94:95], v[104:105], v[88:89]
	s_waitcnt vmcnt(2)
	s_delay_alu instid0(VALU_DEP_1)
	v_fma_f64 v[84:85], v[84:85], v[106:107], v[88:89]
	ds_load_2addr_b64 v[88:91], v1 offset0:75 offset1:76
	ds_load_2addr_b64 v[92:95], v1 offset0:77 offset1:78
	s_waitcnt lgkmcnt(1)
	v_fma_f64 v[1:2], v[86:87], v[88:89], v[84:85]
	s_waitcnt vmcnt(1)
	s_delay_alu instid0(VALU_DEP_1) | instskip(SKIP_1) | instid1(VALU_DEP_1)
	v_fma_f64 v[1:2], v[96:97], v[90:91], v[1:2]
	s_waitcnt lgkmcnt(0)
	v_fma_f64 v[1:2], v[98:99], v[92:93], v[1:2]
	s_waitcnt vmcnt(0)
	s_delay_alu instid0(VALU_DEP_1) | instskip(NEXT) | instid1(VALU_DEP_1)
	v_fma_f64 v[1:2], v[108:109], v[94:95], v[1:2]
	v_add_f64 v[1:2], v[82:83], -v[1:2]
	scratch_store_b64 off, v[1:2], off offset:16
	v_cmpx_lt_u32_e32 1, v0
	s_cbranch_execz .LBB38_241
; %bb.240:
	scratch_load_b64 v[1:2], off, off offset:8
	v_mov_b32_e32 v82, 0
	s_delay_alu instid0(VALU_DEP_1)
	v_mov_b32_e32 v83, v82
	scratch_store_b64 off, v[82:83], off offset:8
	s_waitcnt vmcnt(0)
	ds_store_b64 v3, v[1:2]
.LBB38_241:
	s_or_b32 exec_lo, exec_lo, s0
	s_waitcnt lgkmcnt(0)
	s_waitcnt_vscnt null, 0x0
	s_barrier
	buffer_gl0_inv
	s_clause 0x4
	scratch_load_b128 v[83:86], off, off offset:8
	scratch_load_b128 v[87:90], off, off offset:24
	;; [unrolled: 1-line block ×5, first 2 shown]
	v_mov_b32_e32 v82, 0
	ds_load_b128 v[103:106], v82 offset:336
	ds_load_b128 v[107:110], v82 offset:352
	scratch_load_b128 v[111:114], off, off offset:88
	s_mov_b32 s0, exec_lo
	s_waitcnt vmcnt(5) lgkmcnt(1)
	v_fma_f64 v[1:2], v[85:86], v[103:104], 0
	s_waitcnt vmcnt(4)
	s_delay_alu instid0(VALU_DEP_1) | instskip(SKIP_4) | instid1(VALU_DEP_1)
	v_fma_f64 v[1:2], v[87:88], v[105:106], v[1:2]
	scratch_load_b128 v[85:88], off, off offset:104
	s_waitcnt lgkmcnt(0)
	v_fma_f64 v[1:2], v[89:90], v[107:108], v[1:2]
	s_waitcnt vmcnt(4)
	v_fma_f64 v[1:2], v[91:92], v[109:110], v[1:2]
	ds_load_b128 v[89:92], v82 offset:368
	ds_load_b128 v[103:106], v82 offset:384
	scratch_load_b128 v[107:110], off, off offset:120
	s_waitcnt lgkmcnt(1)
	v_fma_f64 v[1:2], v[93:94], v[89:90], v[1:2]
	s_waitcnt vmcnt(4)
	s_delay_alu instid0(VALU_DEP_1) | instskip(SKIP_4) | instid1(VALU_DEP_1)
	v_fma_f64 v[1:2], v[95:96], v[91:92], v[1:2]
	scratch_load_b128 v[89:92], off, off offset:136
	s_waitcnt lgkmcnt(0)
	v_fma_f64 v[1:2], v[97:98], v[103:104], v[1:2]
	s_waitcnt vmcnt(4)
	v_fma_f64 v[1:2], v[99:100], v[105:106], v[1:2]
	ds_load_b128 v[93:96], v82 offset:400
	ds_load_b128 v[97:100], v82 offset:416
	s_waitcnt lgkmcnt(1)
	v_fma_f64 v[1:2], v[101:102], v[93:94], v[1:2]
	scratch_load_b128 v[101:104], off, off offset:152
	s_waitcnt vmcnt(4)
	v_fma_f64 v[1:2], v[111:112], v[95:96], v[1:2]
	scratch_load_b128 v[93:96], off, off offset:168
	s_waitcnt lgkmcnt(0)
	v_fma_f64 v[1:2], v[113:114], v[97:98], v[1:2]
	s_waitcnt vmcnt(4)
	s_delay_alu instid0(VALU_DEP_1)
	v_fma_f64 v[1:2], v[85:86], v[99:100], v[1:2]
	ds_load_b128 v[97:100], v82 offset:432
	ds_load_b128 v[111:114], v82 offset:448
	s_waitcnt lgkmcnt(1)
	v_fma_f64 v[1:2], v[87:88], v[97:98], v[1:2]
	scratch_load_b128 v[85:88], off, off offset:184
	s_waitcnt vmcnt(4)
	v_fma_f64 v[1:2], v[107:108], v[99:100], v[1:2]
	scratch_load_b128 v[97:100], off, off offset:200
	s_waitcnt lgkmcnt(0)
	v_fma_f64 v[1:2], v[109:110], v[111:112], v[1:2]
	ds_load_b128 v[105:108], v82 offset:464
	ds_load_b128 v[109:112], v82 offset:480
	s_waitcnt vmcnt(4)
	v_fma_f64 v[1:2], v[89:90], v[113:114], v[1:2]
	s_waitcnt lgkmcnt(1)
	s_delay_alu instid0(VALU_DEP_1) | instskip(SKIP_4) | instid1(VALU_DEP_1)
	v_fma_f64 v[1:2], v[91:92], v[105:106], v[1:2]
	scratch_load_b128 v[89:92], off, off offset:216
	s_waitcnt vmcnt(4)
	v_fma_f64 v[1:2], v[101:102], v[107:108], v[1:2]
	s_waitcnt lgkmcnt(0)
	v_fma_f64 v[1:2], v[103:104], v[109:110], v[1:2]
	scratch_load_b128 v[101:104], off, off offset:232
	s_waitcnt vmcnt(4)
	v_fma_f64 v[1:2], v[93:94], v[111:112], v[1:2]
	ds_load_b128 v[105:108], v82 offset:496
	ds_load_b128 v[109:112], v82 offset:512
	s_waitcnt lgkmcnt(1)
	v_fma_f64 v[1:2], v[95:96], v[105:106], v[1:2]
	scratch_load_b128 v[93:96], off, off offset:248
	s_waitcnt vmcnt(4)
	v_fma_f64 v[1:2], v[85:86], v[107:108], v[1:2]
	s_waitcnt lgkmcnt(0)
	s_delay_alu instid0(VALU_DEP_1)
	v_fma_f64 v[1:2], v[87:88], v[109:110], v[1:2]
	scratch_load_b128 v[85:88], off, off offset:264
	s_waitcnt vmcnt(4)
	v_fma_f64 v[1:2], v[97:98], v[111:112], v[1:2]
	ds_load_b128 v[105:108], v82 offset:528
	ds_load_b128 v[109:112], v82 offset:544
	s_waitcnt lgkmcnt(1)
	v_fma_f64 v[1:2], v[99:100], v[105:106], v[1:2]
	scratch_load_b128 v[97:100], off, off offset:280
	s_waitcnt vmcnt(4)
	v_fma_f64 v[1:2], v[89:90], v[107:108], v[1:2]
	s_waitcnt lgkmcnt(0)
	s_delay_alu instid0(VALU_DEP_1)
	v_fma_f64 v[1:2], v[91:92], v[109:110], v[1:2]
	scratch_load_b128 v[89:92], off, off offset:296
	s_waitcnt vmcnt(4)
	v_fma_f64 v[1:2], v[101:102], v[111:112], v[1:2]
	ds_load_b128 v[105:108], v82 offset:560
	ds_load_b128 v[109:112], v82 offset:576
	s_waitcnt lgkmcnt(1)
	v_fma_f64 v[1:2], v[103:104], v[105:106], v[1:2]
	s_waitcnt vmcnt(3)
	s_delay_alu instid0(VALU_DEP_1) | instskip(SKIP_1) | instid1(VALU_DEP_1)
	v_fma_f64 v[1:2], v[93:94], v[107:108], v[1:2]
	s_waitcnt lgkmcnt(0)
	v_fma_f64 v[1:2], v[95:96], v[109:110], v[1:2]
	ds_load_b128 v[93:96], v82 offset:592
	ds_load_b128 v[101:104], v82 offset:608
	s_waitcnt vmcnt(2)
	v_fma_f64 v[1:2], v[85:86], v[111:112], v[1:2]
	ds_load_b64 v[85:86], v82 offset:624
	s_waitcnt lgkmcnt(2)
	v_fma_f64 v[1:2], v[87:88], v[93:94], v[1:2]
	s_waitcnt vmcnt(1)
	s_delay_alu instid0(VALU_DEP_1) | instskip(SKIP_1) | instid1(VALU_DEP_1)
	v_fma_f64 v[1:2], v[97:98], v[95:96], v[1:2]
	s_waitcnt lgkmcnt(1)
	v_fma_f64 v[1:2], v[99:100], v[101:102], v[1:2]
	s_waitcnt vmcnt(0)
	s_delay_alu instid0(VALU_DEP_1) | instskip(SKIP_1) | instid1(VALU_DEP_1)
	v_fma_f64 v[1:2], v[89:90], v[103:104], v[1:2]
	s_waitcnt lgkmcnt(0)
	v_fma_f64 v[1:2], v[91:92], v[85:86], v[1:2]
	s_delay_alu instid0(VALU_DEP_1)
	v_add_f64 v[1:2], v[83:84], -v[1:2]
	scratch_store_b64 off, v[1:2], off offset:8
	v_cmpx_ne_u32_e32 0, v0
	s_cbranch_execz .LBB38_243
; %bb.242:
	scratch_load_b64 v[0:1], off, off
	v_mov_b32_e32 v83, v82
	scratch_store_b64 off, v[82:83], off
	s_waitcnt vmcnt(0)
	ds_store_b64 v3, v[0:1]
.LBB38_243:
	s_or_b32 exec_lo, exec_lo, s0
	s_waitcnt lgkmcnt(0)
	s_waitcnt_vscnt null, 0x0
	s_barrier
	buffer_gl0_inv
	s_clause 0x4
	scratch_load_b128 v[83:86], off, off
	scratch_load_b128 v[0:3], off, off offset:16
	scratch_load_b128 v[87:90], off, off offset:32
	;; [unrolled: 1-line block ×4, first 2 shown]
	ds_load_2addr_b64 v[99:102], v82 offset0:41 offset1:42
	ds_load_2addr_b64 v[103:106], v82 offset0:43 offset1:44
	scratch_load_b128 v[107:110], off, off offset:80
	s_and_b32 vcc_lo, exec_lo, s16
	s_waitcnt vmcnt(5) lgkmcnt(1)
	v_fma_f64 v[85:86], v[85:86], v[99:100], 0
	s_waitcnt vmcnt(4)
	s_delay_alu instid0(VALU_DEP_1) | instskip(SKIP_1) | instid1(VALU_DEP_1)
	v_fma_f64 v[0:1], v[0:1], v[101:102], v[85:86]
	s_waitcnt lgkmcnt(0)
	v_fma_f64 v[85:86], v[2:3], v[103:104], v[0:1]
	scratch_load_b128 v[0:3], off, off offset:96
	s_waitcnt vmcnt(4)
	v_fma_f64 v[103:104], v[87:88], v[105:106], v[85:86]
	ds_load_2addr_b64 v[85:88], v82 offset0:45 offset1:46
	ds_load_2addr_b64 v[99:102], v82 offset0:47 offset1:48
	s_waitcnt lgkmcnt(1)
	v_fma_f64 v[85:86], v[89:90], v[85:86], v[103:104]
	scratch_load_b128 v[103:106], off, off offset:112
	s_waitcnt vmcnt(4)
	v_fma_f64 v[85:86], v[91:92], v[87:88], v[85:86]
	s_waitcnt lgkmcnt(0)
	s_delay_alu instid0(VALU_DEP_1)
	v_fma_f64 v[89:90], v[93:94], v[99:100], v[85:86]
	scratch_load_b128 v[85:88], off, off offset:128
	s_waitcnt vmcnt(4)
	v_fma_f64 v[99:100], v[95:96], v[101:102], v[89:90]
	ds_load_2addr_b64 v[89:92], v82 offset0:49 offset1:50
	ds_load_2addr_b64 v[93:96], v82 offset0:51 offset1:52
	s_waitcnt lgkmcnt(1)
	v_fma_f64 v[89:90], v[97:98], v[89:90], v[99:100]
	scratch_load_b128 v[97:100], off, off offset:144
	s_waitcnt vmcnt(4)
	v_fma_f64 v[89:90], v[107:108], v[91:92], v[89:90]
	s_waitcnt lgkmcnt(0)
	s_delay_alu instid0(VALU_DEP_1)
	;; [unrolled: 13-line block ×4, first 2 shown]
	v_fma_f64 v[101:102], v[99:100], v[105:106], v[97:98]
	scratch_load_b128 v[97:100], off, off offset:224
	s_waitcnt vmcnt(4)
	v_fma_f64 v[89:90], v[89:90], v[107:108], v[101:102]
	ds_load_2addr_b64 v[101:104], v82 offset0:61 offset1:62
	ds_load_2addr_b64 v[105:108], v82 offset0:63 offset1:64
	s_waitcnt lgkmcnt(1)
	v_fma_f64 v[101:102], v[91:92], v[101:102], v[89:90]
	scratch_load_b128 v[89:92], off, off offset:240
	s_waitcnt vmcnt(4)
	v_fma_f64 v[0:1], v[0:1], v[103:104], v[101:102]
	scratch_load_b128 v[101:104], off, off offset:256
	s_waitcnt lgkmcnt(0)
	v_fma_f64 v[0:1], v[2:3], v[105:106], v[0:1]
	s_waitcnt vmcnt(4)
	s_delay_alu instid0(VALU_DEP_1)
	v_fma_f64 v[93:94], v[93:94], v[107:108], v[0:1]
	ds_load_2addr_b64 v[0:3], v82 offset0:65 offset1:66
	ds_load_2addr_b64 v[105:108], v82 offset0:67 offset1:68
	s_waitcnt lgkmcnt(1)
	v_fma_f64 v[0:1], v[95:96], v[0:1], v[93:94]
	scratch_load_b128 v[93:96], off, off offset:272
	s_waitcnt vmcnt(4)
	v_fma_f64 v[0:1], v[85:86], v[2:3], v[0:1]
	s_waitcnt lgkmcnt(0)
	s_delay_alu instid0(VALU_DEP_1)
	v_fma_f64 v[85:86], v[87:88], v[105:106], v[0:1]
	scratch_load_b128 v[0:3], off, off offset:288
	s_waitcnt vmcnt(4)
	v_fma_f64 v[97:98], v[97:98], v[107:108], v[85:86]
	ds_load_2addr_b64 v[85:88], v82 offset0:69 offset1:70
	ds_load_2addr_b64 v[105:108], v82 offset0:71 offset1:72
	s_waitcnt lgkmcnt(1)
	v_fma_f64 v[85:86], v[99:100], v[85:86], v[97:98]
	scratch_load_b64 v[97:98], off, off offset:304
	s_waitcnt vmcnt(4)
	v_fma_f64 v[85:86], v[89:90], v[87:88], v[85:86]
	s_waitcnt lgkmcnt(0)
	s_delay_alu instid0(VALU_DEP_1) | instskip(SKIP_1) | instid1(VALU_DEP_1)
	v_fma_f64 v[85:86], v[91:92], v[105:106], v[85:86]
	s_waitcnt vmcnt(3)
	v_fma_f64 v[99:100], v[101:102], v[107:108], v[85:86]
	ds_load_2addr_b64 v[85:88], v82 offset0:73 offset1:74
	ds_load_2addr_b64 v[89:92], v82 offset0:75 offset1:76
	s_waitcnt lgkmcnt(1)
	v_fma_f64 v[85:86], v[103:104], v[85:86], v[99:100]
	s_waitcnt vmcnt(2)
	s_delay_alu instid0(VALU_DEP_1) | instskip(SKIP_1) | instid1(VALU_DEP_1)
	v_fma_f64 v[85:86], v[93:94], v[87:88], v[85:86]
	s_waitcnt lgkmcnt(0)
	v_fma_f64 v[85:86], v[95:96], v[89:90], v[85:86]
	s_waitcnt vmcnt(1)
	s_delay_alu instid0(VALU_DEP_1) | instskip(SKIP_4) | instid1(VALU_DEP_1)
	v_fma_f64 v[0:1], v[0:1], v[91:92], v[85:86]
	ds_load_2addr_b64 v[85:88], v82 offset0:77 offset1:78
	s_waitcnt lgkmcnt(0)
	v_fma_f64 v[0:1], v[2:3], v[85:86], v[0:1]
	s_waitcnt vmcnt(0)
	v_fma_f64 v[0:1], v[97:98], v[87:88], v[0:1]
	s_delay_alu instid0(VALU_DEP_1)
	v_add_f64 v[0:1], v[83:84], -v[0:1]
	scratch_store_b64 off, v[0:1], off
	s_cbranch_vccz .LBB38_321
; %bb.244:
	v_dual_mov_b32 v0, s12 :: v_dual_mov_b32 v1, s13
	s_mov_b32 s0, exec_lo
	flat_load_b32 v0, v[0:1] offset:148
	s_waitcnt vmcnt(0) lgkmcnt(0)
	v_cmpx_ne_u32_e32 38, v0
	s_cbranch_execz .LBB38_246
; %bb.245:
	v_lshl_add_u32 v82, v0, 3, 0
	scratch_load_b64 v[0:1], v82, off offset:-8
	s_waitcnt vmcnt(0)
	scratch_store_b64 off, v[0:1], off offset:296
	scratch_store_b64 v82, v[2:3], off offset:-8
.LBB38_246:
	s_or_b32 exec_lo, exec_lo, s0
	v_dual_mov_b32 v0, s12 :: v_dual_mov_b32 v1, s13
	s_mov_b32 s0, exec_lo
	flat_load_b32 v0, v[0:1] offset:144
	s_waitcnt vmcnt(0) lgkmcnt(0)
	v_cmpx_ne_u32_e32 37, v0
	s_cbranch_execz .LBB38_248
; %bb.247:
	v_lshl_add_u32 v82, v0, 3, 0
	scratch_load_b64 v[0:1], v82, off offset:-8
	scratch_load_b64 v[2:3], off, off offset:288
	s_waitcnt vmcnt(1)
	scratch_store_b64 off, v[0:1], off offset:288
	s_waitcnt vmcnt(0)
	scratch_store_b64 v82, v[2:3], off offset:-8
.LBB38_248:
	s_or_b32 exec_lo, exec_lo, s0
	v_dual_mov_b32 v0, s12 :: v_dual_mov_b32 v1, s13
	s_mov_b32 s0, exec_lo
	flat_load_b32 v0, v[0:1] offset:140
	s_waitcnt vmcnt(0) lgkmcnt(0)
	v_cmpx_ne_u32_e32 36, v0
	s_cbranch_execz .LBB38_250
; %bb.249:
	v_lshl_add_u32 v82, v0, 3, 0
	scratch_load_b64 v[0:1], v82, off offset:-8
	scratch_load_b64 v[2:3], off, off offset:280
	s_waitcnt vmcnt(1)
	scratch_store_b64 off, v[0:1], off offset:280
	s_waitcnt vmcnt(0)
	scratch_store_b64 v82, v[2:3], off offset:-8
.LBB38_250:
	;; [unrolled: 16-line block ×36, first 2 shown]
	s_or_b32 exec_lo, exec_lo, s0
	v_dual_mov_b32 v0, s12 :: v_dual_mov_b32 v1, s13
	s_mov_b32 s0, exec_lo
	flat_load_b32 v2, v[0:1]
	scratch_load_b64 v[0:1], off, off
	s_waitcnt vmcnt(1) lgkmcnt(0)
	v_cmpx_ne_u32_e32 1, v2
	s_cbranch_execz .LBB38_320
; %bb.319:
	v_lshl_add_u32 v82, v2, 3, 0
	scratch_load_b64 v[2:3], v82, off offset:-8
	s_waitcnt vmcnt(0)
	scratch_store_b64 off, v[2:3], off
	scratch_store_b64 v82, v[0:1], off offset:-8
	scratch_load_b64 v[0:1], off, off
.LBB38_320:
	s_or_b32 exec_lo, exec_lo, s0
.LBB38_321:
	s_clause 0x7
	scratch_load_b128 v[82:85], off, off offset:8
	scratch_load_b128 v[86:89], off, off offset:24
	;; [unrolled: 1-line block ×8, first 2 shown]
	s_waitcnt vmcnt(8)
	global_store_b64 v[6:7], v[0:1], off
	s_clause 0x1
	scratch_load_b128 v[0:3], off, off offset:136
	scratch_load_b128 v[114:117], off, off offset:152
	s_waitcnt vmcnt(9)
	s_clause 0x1
	global_store_b64 v[4:5], v[82:83], off
	global_store_b64 v[14:15], v[84:85], off
	s_clause 0x1
	scratch_load_b128 v[4:7], off, off offset:168
	scratch_load_b128 v[82:85], off, off offset:184
	s_waitcnt vmcnt(10)
	s_clause 0x1
	global_store_b64 v[12:13], v[86:87], off
	;; [unrolled: 7-line block ×5, first 2 shown]
	global_store_b64 v[18:19], v[100:101], off
	scratch_load_b128 v[8:11], off, off offset:296
	s_waitcnt vmcnt(13)
	s_clause 0x1
	global_store_b64 v[22:23], v[102:103], off
	global_store_b64 v[26:27], v[104:105], off
	s_waitcnt vmcnt(12)
	s_clause 0x1
	global_store_b64 v[30:31], v[106:107], off
	global_store_b64 v[34:35], v[108:109], off
	;; [unrolled: 4-line block ×14, first 2 shown]
	s_endpgm
	.section	.rodata,"a",@progbits
	.p2align	6, 0x0
	.amdhsa_kernel _ZN9rocsolver6v33100L18getri_kernel_smallILi39EdPdEEvT1_iilPiilS4_bb
		.amdhsa_group_segment_fixed_size 632
		.amdhsa_private_segment_fixed_size 320
		.amdhsa_kernarg_size 60
		.amdhsa_user_sgpr_count 15
		.amdhsa_user_sgpr_dispatch_ptr 0
		.amdhsa_user_sgpr_queue_ptr 0
		.amdhsa_user_sgpr_kernarg_segment_ptr 1
		.amdhsa_user_sgpr_dispatch_id 0
		.amdhsa_user_sgpr_private_segment_size 0
		.amdhsa_wavefront_size32 1
		.amdhsa_uses_dynamic_stack 0
		.amdhsa_enable_private_segment 1
		.amdhsa_system_sgpr_workgroup_id_x 1
		.amdhsa_system_sgpr_workgroup_id_y 0
		.amdhsa_system_sgpr_workgroup_id_z 0
		.amdhsa_system_sgpr_workgroup_info 0
		.amdhsa_system_vgpr_workitem_id 0
		.amdhsa_next_free_vgpr 126
		.amdhsa_next_free_sgpr 18
		.amdhsa_reserve_vcc 1
		.amdhsa_float_round_mode_32 0
		.amdhsa_float_round_mode_16_64 0
		.amdhsa_float_denorm_mode_32 3
		.amdhsa_float_denorm_mode_16_64 3
		.amdhsa_dx10_clamp 1
		.amdhsa_ieee_mode 1
		.amdhsa_fp16_overflow 0
		.amdhsa_workgroup_processor_mode 1
		.amdhsa_memory_ordered 1
		.amdhsa_forward_progress 0
		.amdhsa_shared_vgpr_count 0
		.amdhsa_exception_fp_ieee_invalid_op 0
		.amdhsa_exception_fp_denorm_src 0
		.amdhsa_exception_fp_ieee_div_zero 0
		.amdhsa_exception_fp_ieee_overflow 0
		.amdhsa_exception_fp_ieee_underflow 0
		.amdhsa_exception_fp_ieee_inexact 0
		.amdhsa_exception_int_div_zero 0
	.end_amdhsa_kernel
	.section	.text._ZN9rocsolver6v33100L18getri_kernel_smallILi39EdPdEEvT1_iilPiilS4_bb,"axG",@progbits,_ZN9rocsolver6v33100L18getri_kernel_smallILi39EdPdEEvT1_iilPiilS4_bb,comdat
.Lfunc_end38:
	.size	_ZN9rocsolver6v33100L18getri_kernel_smallILi39EdPdEEvT1_iilPiilS4_bb, .Lfunc_end38-_ZN9rocsolver6v33100L18getri_kernel_smallILi39EdPdEEvT1_iilPiilS4_bb
                                        ; -- End function
	.section	.AMDGPU.csdata,"",@progbits
; Kernel info:
; codeLenInByte = 33208
; NumSgprs: 20
; NumVgprs: 126
; ScratchSize: 320
; MemoryBound: 0
; FloatMode: 240
; IeeeMode: 1
; LDSByteSize: 632 bytes/workgroup (compile time only)
; SGPRBlocks: 2
; VGPRBlocks: 15
; NumSGPRsForWavesPerEU: 20
; NumVGPRsForWavesPerEU: 126
; Occupancy: 10
; WaveLimiterHint : 1
; COMPUTE_PGM_RSRC2:SCRATCH_EN: 1
; COMPUTE_PGM_RSRC2:USER_SGPR: 15
; COMPUTE_PGM_RSRC2:TRAP_HANDLER: 0
; COMPUTE_PGM_RSRC2:TGID_X_EN: 1
; COMPUTE_PGM_RSRC2:TGID_Y_EN: 0
; COMPUTE_PGM_RSRC2:TGID_Z_EN: 0
; COMPUTE_PGM_RSRC2:TIDIG_COMP_CNT: 0
	.section	.text._ZN9rocsolver6v33100L18getri_kernel_smallILi40EdPdEEvT1_iilPiilS4_bb,"axG",@progbits,_ZN9rocsolver6v33100L18getri_kernel_smallILi40EdPdEEvT1_iilPiilS4_bb,comdat
	.globl	_ZN9rocsolver6v33100L18getri_kernel_smallILi40EdPdEEvT1_iilPiilS4_bb ; -- Begin function _ZN9rocsolver6v33100L18getri_kernel_smallILi40EdPdEEvT1_iilPiilS4_bb
	.p2align	8
	.type	_ZN9rocsolver6v33100L18getri_kernel_smallILi40EdPdEEvT1_iilPiilS4_bb,@function
_ZN9rocsolver6v33100L18getri_kernel_smallILi40EdPdEEvT1_iilPiilS4_bb: ; @_ZN9rocsolver6v33100L18getri_kernel_smallILi40EdPdEEvT1_iilPiilS4_bb
; %bb.0:
	s_mov_b32 s2, exec_lo
	v_cmpx_gt_u32_e32 40, v0
	s_cbranch_execz .LBB39_170
; %bb.1:
	s_clause 0x2
	s_load_b32 s17, s[0:1], 0x38
	s_load_b128 s[8:11], s[0:1], 0x10
	s_load_b128 s[4:7], s[0:1], 0x28
	s_mov_b32 s14, s15
                                        ; implicit-def: $sgpr12_sgpr13
	s_waitcnt lgkmcnt(0)
	s_bitcmp1_b32 s17, 8
	s_cselect_b32 s16, -1, 0
	s_bfe_u32 s2, s17, 0x10008
	s_ashr_i32 s15, s15, 31
	s_cmp_eq_u32 s2, 0
	s_cbranch_scc1 .LBB39_3
; %bb.2:
	s_load_b32 s2, s[0:1], 0x20
	s_mul_i32 s3, s14, s5
	s_mul_hi_u32 s5, s14, s4
	s_mul_i32 s12, s15, s4
	s_add_i32 s3, s5, s3
	s_mul_i32 s4, s14, s4
	s_add_i32 s5, s3, s12
	s_delay_alu instid0(SALU_CYCLE_1)
	s_lshl_b64 s[4:5], s[4:5], 2
	s_waitcnt lgkmcnt(0)
	s_ashr_i32 s3, s2, 31
	s_add_u32 s4, s10, s4
	s_addc_u32 s5, s11, s5
	s_lshl_b64 s[2:3], s[2:3], 2
	s_delay_alu instid0(SALU_CYCLE_1)
	s_add_u32 s12, s4, s2
	s_addc_u32 s13, s5, s3
.LBB39_3:
	s_load_b128 s[0:3], s[0:1], 0x0
	s_mul_i32 s4, s14, s9
	s_mul_hi_u32 s5, s14, s8
	s_mul_i32 s9, s15, s8
	s_add_i32 s5, s5, s4
	s_mul_i32 s4, s14, s8
	s_add_i32 s5, s5, s9
	v_lshlrev_b32_e32 v85, 3, v0
	s_lshl_b64 s[4:5], s[4:5], 3
	s_waitcnt lgkmcnt(0)
	v_add3_u32 v9, s3, s3, v0
	s_ashr_i32 s9, s2, 31
	s_mov_b32 s8, s2
	s_add_u32 s2, s0, s4
	s_addc_u32 s5, s1, s5
	v_add_nc_u32_e32 v13, s3, v9
	s_lshl_b64 s[0:1], s[8:9], 3
	v_ashrrev_i32_e32 v10, 31, v9
	s_add_u32 s0, s2, s0
	s_addc_u32 s1, s5, s1
	v_add_co_u32 v7, s2, s0, v85
	v_ashrrev_i32_e32 v14, 31, v13
	v_add_nc_u32_e32 v12, s3, v13
	s_mov_b32 s4, s3
	s_ashr_i32 s5, s3, 31
	v_add_co_ci_u32_e64 v8, null, s1, 0, s2
	v_lshlrev_b64 v[15:16], 3, v[9:10]
	s_lshl_b64 s[4:5], s[4:5], 3
	v_lshlrev_b64 v[9:10], 3, v[13:14]
	v_add_co_u32 v5, vcc_lo, v7, s4
	v_add_nc_u32_e32 v11, s3, v12
	v_ashrrev_i32_e32 v13, 31, v12
	v_add_co_ci_u32_e32 v6, vcc_lo, s5, v8, vcc_lo
	v_add_co_u32 v19, vcc_lo, s0, v15
	v_add_co_ci_u32_e32 v20, vcc_lo, s1, v16, vcc_lo
	s_delay_alu instid0(VALU_DEP_4) | instskip(SKIP_3) | instid1(VALU_DEP_3)
	v_lshlrev_b64 v[15:16], 3, v[12:13]
	v_ashrrev_i32_e32 v12, 31, v11
	v_add_co_u32 v25, vcc_lo, s0, v9
	v_add_co_ci_u32_e32 v26, vcc_lo, s1, v10, vcc_lo
	v_lshlrev_b64 v[9:10], 3, v[11:12]
	v_add_nc_u32_e32 v14, s3, v11
	v_add_co_u32 v17, vcc_lo, s0, v15
	v_add_co_ci_u32_e32 v18, vcc_lo, s1, v16, vcc_lo
	s_delay_alu instid0(VALU_DEP_4) | instskip(NEXT) | instid1(VALU_DEP_4)
	v_add_co_u32 v11, vcc_lo, s0, v9
	v_add_nc_u32_e32 v9, s3, v14
	s_clause 0x1
	global_load_b64 v[1:2], v85, s[0:1]
	global_load_b64 v[3:4], v[5:6], off
	v_ashrrev_i32_e32 v15, 31, v14
	v_add_co_ci_u32_e32 v12, vcc_lo, s1, v10, vcc_lo
	v_ashrrev_i32_e32 v10, 31, v9
	v_add_nc_u32_e32 v23, s3, v9
	s_delay_alu instid0(VALU_DEP_4)
	v_lshlrev_b64 v[13:14], 3, v[14:15]
	s_clause 0x3
	global_load_b64 v[47:48], v[19:20], off
	global_load_b64 v[49:50], v[25:26], off
	;; [unrolled: 1-line block ×4, first 2 shown]
	s_bitcmp0_b32 s17, 0
	v_lshlrev_b64 v[9:10], 3, v[9:10]
	v_add_nc_u32_e32 v27, s3, v23
	v_ashrrev_i32_e32 v24, 31, v23
	v_add_co_u32 v21, vcc_lo, s0, v13
	v_add_co_ci_u32_e32 v22, vcc_lo, s1, v14, vcc_lo
	v_add_co_u32 v13, vcc_lo, s0, v9
	v_ashrrev_i32_e32 v28, 31, v27
	v_add_co_ci_u32_e32 v14, vcc_lo, s1, v10, vcc_lo
	v_lshlrev_b64 v[9:10], 3, v[23:24]
	s_clause 0x1
	global_load_b64 v[55:56], v[21:22], off
	global_load_b64 v[57:58], v[13:14], off
	v_lshlrev_b64 v[23:24], 3, v[27:28]
	v_add_co_u32 v15, vcc_lo, s0, v9
	v_add_co_ci_u32_e32 v16, vcc_lo, s1, v10, vcc_lo
	s_delay_alu instid0(VALU_DEP_3) | instskip(NEXT) | instid1(VALU_DEP_4)
	v_add_co_u32 v9, vcc_lo, s0, v23
	v_add_co_ci_u32_e32 v10, vcc_lo, s1, v24, vcc_lo
	s_clause 0x1
	global_load_b64 v[59:60], v[15:16], off
	global_load_b64 v[61:62], v[9:10], off
	v_add_nc_u32_e32 v23, s3, v27
	s_delay_alu instid0(VALU_DEP_1) | instskip(SKIP_1) | instid1(VALU_DEP_2)
	v_add_nc_u32_e32 v27, s3, v23
	v_ashrrev_i32_e32 v24, 31, v23
	v_add_nc_u32_e32 v29, s3, v27
	v_ashrrev_i32_e32 v28, 31, v27
	s_delay_alu instid0(VALU_DEP_3) | instskip(NEXT) | instid1(VALU_DEP_3)
	v_lshlrev_b64 v[23:24], 3, v[23:24]
	v_add_nc_u32_e32 v31, s3, v29
	v_ashrrev_i32_e32 v30, 31, v29
	s_delay_alu instid0(VALU_DEP_4) | instskip(NEXT) | instid1(VALU_DEP_4)
	v_lshlrev_b64 v[27:28], 3, v[27:28]
	v_add_co_u32 v33, vcc_lo, s0, v23
	s_delay_alu instid0(VALU_DEP_4) | instskip(NEXT) | instid1(VALU_DEP_4)
	v_add_nc_u32_e32 v35, s3, v31
	v_lshlrev_b64 v[29:30], 3, v[29:30]
	v_add_co_ci_u32_e32 v34, vcc_lo, s1, v24, vcc_lo
	v_add_co_u32 v23, vcc_lo, s0, v27
	s_delay_alu instid0(VALU_DEP_4) | instskip(SKIP_3) | instid1(VALU_DEP_4)
	v_add_nc_u32_e32 v37, s3, v35
	v_ashrrev_i32_e32 v36, 31, v35
	v_add_co_ci_u32_e32 v24, vcc_lo, s1, v28, vcc_lo
	v_add_co_u32 v27, vcc_lo, s0, v29
	v_add_nc_u32_e32 v39, s3, v37
	v_ashrrev_i32_e32 v32, 31, v31
	v_add_co_ci_u32_e32 v28, vcc_lo, s1, v30, vcc_lo
	v_lshlrev_b64 v[29:30], 3, v[35:36]
	s_delay_alu instid0(VALU_DEP_4) | instskip(NEXT) | instid1(VALU_DEP_4)
	v_add_nc_u32_e32 v41, s3, v39
	v_lshlrev_b64 v[31:32], 3, v[31:32]
	v_ashrrev_i32_e32 v38, 31, v37
	v_ashrrev_i32_e32 v40, 31, v39
	s_clause 0x2
	global_load_b64 v[63:64], v[33:34], off
	global_load_b64 v[65:66], v[23:24], off
	;; [unrolled: 1-line block ×3, first 2 shown]
	v_add_nc_u32_e32 v43, s3, v41
	v_ashrrev_i32_e32 v42, 31, v41
	v_add_co_u32 v31, vcc_lo, s0, v31
	v_add_co_ci_u32_e32 v32, vcc_lo, s1, v32, vcc_lo
	s_delay_alu instid0(VALU_DEP_4)
	v_add_nc_u32_e32 v45, s3, v43
	v_lshlrev_b64 v[37:38], 3, v[37:38]
	v_lshlrev_b64 v[39:40], 3, v[39:40]
	v_ashrrev_i32_e32 v44, 31, v43
	v_lshlrev_b64 v[41:42], 3, v[41:42]
	v_add_nc_u32_e32 v71, s3, v45
	v_ashrrev_i32_e32 v46, 31, v45
	s_delay_alu instid0(VALU_DEP_4) | instskip(NEXT) | instid1(VALU_DEP_3)
	v_lshlrev_b64 v[43:44], 3, v[43:44]
	v_add_nc_u32_e32 v81, s3, v71
	s_delay_alu instid0(VALU_DEP_3) | instskip(SKIP_1) | instid1(VALU_DEP_3)
	v_lshlrev_b64 v[45:46], 3, v[45:46]
	v_ashrrev_i32_e32 v72, 31, v71
	v_add_nc_u32_e32 v83, s3, v81
	v_ashrrev_i32_e32 v82, 31, v81
	s_delay_alu instid0(VALU_DEP_2) | instskip(SKIP_1) | instid1(VALU_DEP_2)
	v_add_nc_u32_e32 v86, s3, v83
	v_ashrrev_i32_e32 v84, 31, v83
	v_add_nc_u32_e32 v98, s3, v86
	v_ashrrev_i32_e32 v87, 31, v86
	s_delay_alu instid0(VALU_DEP_2) | instskip(SKIP_1) | instid1(VALU_DEP_2)
	v_add_nc_u32_e32 v100, s3, v98
	;; [unrolled: 5-line block ×9, first 2 shown]
	v_ashrrev_i32_e32 v127, 31, v126
	v_ashrrev_i32_e32 v36, 31, v35
	s_delay_alu instid0(VALU_DEP_1) | instskip(SKIP_2) | instid1(VALU_DEP_3)
	v_lshlrev_b64 v[69:70], 3, v[35:36]
	v_add_co_u32 v35, vcc_lo, s0, v29
	v_add_co_ci_u32_e32 v36, vcc_lo, s1, v30, vcc_lo
	v_add_co_u32 v29, vcc_lo, s0, v69
	s_delay_alu instid0(VALU_DEP_4)
	v_add_co_ci_u32_e32 v30, vcc_lo, s1, v70, vcc_lo
	v_add_co_u32 v37, vcc_lo, s0, v37
	v_add_co_ci_u32_e32 v38, vcc_lo, s1, v38, vcc_lo
	v_add_co_u32 v39, vcc_lo, s0, v39
	global_load_b64 v[88:89], v[29:30], off
	v_add_co_ci_u32_e32 v40, vcc_lo, s1, v40, vcc_lo
	v_add_co_u32 v41, vcc_lo, s0, v41
	v_add_co_ci_u32_e32 v42, vcc_lo, s1, v42, vcc_lo
	v_add_co_u32 v43, vcc_lo, s0, v43
	;; [unrolled: 2-line block ×3, first 2 shown]
	v_add_co_ci_u32_e32 v46, vcc_lo, s1, v46, vcc_lo
	s_waitcnt vmcnt(12)
	scratch_store_b128 off, v[1:4], off
	s_clause 0x3
	global_load_b64 v[69:70], v[31:32], off
	global_load_b64 v[1:2], v[35:36], off
	;; [unrolled: 1-line block ×4, first 2 shown]
	s_waitcnt vmcnt(14)
	scratch_store_b128 off, v[47:50], off offset:16
	v_lshlrev_b64 v[47:48], 3, v[71:72]
	s_waitcnt vmcnt(12)
	scratch_store_b128 off, v[51:54], off offset:32
	s_clause 0x2
	global_load_b64 v[75:76], v[41:42], off
	global_load_b64 v[77:78], v[43:44], off
	;; [unrolled: 1-line block ×3, first 2 shown]
	v_lshlrev_b64 v[49:50], 3, v[81:82]
	v_lshlrev_b64 v[51:52], 3, v[83:84]
	;; [unrolled: 1-line block ×3, first 2 shown]
	v_add_co_u32 v47, vcc_lo, s0, v47
	v_add_co_ci_u32_e32 v48, vcc_lo, s1, v48, vcc_lo
	v_add_co_u32 v49, vcc_lo, s0, v49
	v_add_co_ci_u32_e32 v50, vcc_lo, s1, v50, vcc_lo
	;; [unrolled: 2-line block ×4, first 2 shown]
	s_waitcnt vmcnt(13)
	scratch_store_b128 off, v[55:58], off offset:48
	s_clause 0x1
	global_load_b64 v[90:91], v[47:48], off
	global_load_b64 v[92:93], v[49:50], off
	v_lshlrev_b64 v[55:56], 3, v[98:99]
	v_lshlrev_b64 v[57:58], 3, v[100:101]
	;; [unrolled: 1-line block ×5, first 2 shown]
	s_waitcnt vmcnt(13)
	scratch_store_b128 off, v[59:62], off offset:64
	s_clause 0x1
	global_load_b64 v[94:95], v[51:52], off
	global_load_b64 v[96:97], v[53:54], off
	v_add_co_u32 v55, vcc_lo, s0, v55
	v_lshlrev_b64 v[59:60], 3, v[102:103]
	v_add_co_ci_u32_e32 v56, vcc_lo, s1, v56, vcc_lo
	v_add_co_u32 v57, vcc_lo, s0, v57
	v_lshlrev_b64 v[61:62], 3, v[104:105]
	v_add_co_ci_u32_e32 v58, vcc_lo, s1, v58, vcc_lo
	v_add_co_u32 v59, vcc_lo, s0, v59
	v_add_co_ci_u32_e32 v60, vcc_lo, s1, v60, vcc_lo
	s_delay_alu instid0(VALU_DEP_4)
	v_add_co_u32 v61, vcc_lo, s0, v61
	v_add_co_ci_u32_e32 v62, vcc_lo, s1, v62, vcc_lo
	global_load_b64 v[98:99], v[55:56], off
	s_waitcnt vmcnt(14)
	scratch_store_b128 off, v[63:66], off offset:80
	v_lshlrev_b64 v[63:64], 3, v[106:107]
	v_lshlrev_b64 v[65:66], 3, v[108:109]
	s_waitcnt vmcnt(11)
	scratch_store_b128 off, v[67:70], off offset:96
	s_waitcnt vmcnt(9)
	scratch_store_b128 off, v[1:4], off offset:112
	v_add_co_u32 v63, vcc_lo, s0, v63
	v_add_co_ci_u32_e32 v64, vcc_lo, s1, v64, vcc_lo
	v_add_co_u32 v65, vcc_lo, s0, v65
	v_add_co_ci_u32_e32 v66, vcc_lo, s1, v66, vcc_lo
	v_lshlrev_b64 v[69:70], 3, v[112:113]
	v_add_co_u32 v67, vcc_lo, s0, v71
	v_add_co_ci_u32_e32 v68, vcc_lo, s1, v72, vcc_lo
	v_lshlrev_b64 v[71:72], 3, v[114:115]
	s_delay_alu instid0(VALU_DEP_4)
	v_add_co_u32 v69, vcc_lo, s0, v69
	v_add_co_ci_u32_e32 v70, vcc_lo, s1, v70, vcc_lo
	s_clause 0x3
	global_load_b64 v[100:101], v[57:58], off
	global_load_b64 v[1:2], v[59:60], off
	;; [unrolled: 1-line block ×4, first 2 shown]
	v_add_co_u32 v71, vcc_lo, s0, v71
	v_add_co_ci_u32_e32 v72, vcc_lo, s1, v72, vcc_lo
	s_waitcnt vmcnt(11)
	scratch_store_b128 off, v[73:76], off offset:128
	s_waitcnt vmcnt(9)
	scratch_store_b128 off, v[77:80], off offset:144
	v_add_co_u32 v73, vcc_lo, s0, v81
	v_lshlrev_b64 v[77:78], 3, v[120:121]
	v_add_co_ci_u32_e32 v74, vcc_lo, s1, v82, vcc_lo
	v_add_co_u32 v75, vcc_lo, s0, v83
	v_lshlrev_b64 v[79:80], 3, v[122:123]
	v_add_co_ci_u32_e32 v76, vcc_lo, s1, v84, vcc_lo
	;; [unrolled: 3-line block ×4, first 2 shown]
	v_add_co_u32 v81, vcc_lo, s0, v81
	v_add_co_ci_u32_e32 v82, vcc_lo, s1, v82, vcc_lo
	s_delay_alu instid0(VALU_DEP_4)
	v_add_co_u32 v83, vcc_lo, s0, v83
	v_add_co_ci_u32_e32 v84, vcc_lo, s1, v84, vcc_lo
	s_clause 0x3
	global_load_b64 v[104:105], v[65:66], off
	global_load_b64 v[106:107], v[67:68], off
	global_load_b64 v[108:109], v[69:70], off
	global_load_b64 v[110:111], v[71:72], off
	s_waitcnt vmcnt(11)
	scratch_store_b128 off, v[90:93], off offset:160
	s_clause 0x2
	global_load_b64 v[112:113], v[73:74], off
	global_load_b64 v[90:91], v[75:76], off
	;; [unrolled: 1-line block ×3, first 2 shown]
	s_waitcnt vmcnt(12)
	scratch_store_b128 off, v[94:97], off offset:176
	s_clause 0x2
	global_load_b64 v[94:95], v[79:80], off
	global_load_b64 v[96:97], v[81:82], off
	;; [unrolled: 1-line block ×3, first 2 shown]
	s_mov_b32 s1, -1
	s_waitcnt vmcnt(13)
	scratch_store_b128 off, v[98:101], off offset:192
	s_waitcnt vmcnt(11)
	scratch_store_b128 off, v[1:4], off offset:208
	;; [unrolled: 2-line block ×8, first 2 shown]
	s_cbranch_scc1 .LBB39_168
; %bb.4:
	v_cmp_eq_u32_e64 s0, 0, v0
	s_delay_alu instid0(VALU_DEP_1)
	s_and_saveexec_b32 s1, s0
	s_cbranch_execz .LBB39_6
; %bb.5:
	v_mov_b32_e32 v1, 0
	ds_store_b32 v1, v1 offset:640
.LBB39_6:
	s_or_b32 exec_lo, exec_lo, s1
	s_waitcnt lgkmcnt(0)
	s_waitcnt_vscnt null, 0x0
	s_barrier
	buffer_gl0_inv
	scratch_load_b64 v[1:2], v85, off
	s_mov_b32 s2, exec_lo
	s_waitcnt vmcnt(0)
	v_cmpx_eq_f64_e32 0, v[1:2]
	s_cbranch_execz .LBB39_10
; %bb.7:
	v_mov_b32_e32 v1, 0
	s_mov_b32 s3, 0
	ds_load_b32 v2, v1 offset:640
	s_waitcnt lgkmcnt(0)
	v_readfirstlane_b32 s1, v2
	v_add_nc_u32_e32 v2, 1, v0
	s_delay_alu instid0(VALU_DEP_2) | instskip(NEXT) | instid1(VALU_DEP_1)
	s_cmp_eq_u32 s1, 0
	v_cmp_gt_i32_e32 vcc_lo, s1, v2
	s_cselect_b32 s4, -1, 0
	s_delay_alu instid0(SALU_CYCLE_1) | instskip(NEXT) | instid1(SALU_CYCLE_1)
	s_or_b32 s4, s4, vcc_lo
	s_and_b32 exec_lo, exec_lo, s4
	s_cbranch_execz .LBB39_10
; %bb.8:
	v_mov_b32_e32 v3, s1
.LBB39_9:                               ; =>This Inner Loop Header: Depth=1
	ds_cmpstore_rtn_b32 v3, v1, v2, v3 offset:640
	s_waitcnt lgkmcnt(0)
	v_cmp_ne_u32_e32 vcc_lo, 0, v3
	v_cmp_le_i32_e64 s1, v3, v2
	s_delay_alu instid0(VALU_DEP_1) | instskip(NEXT) | instid1(SALU_CYCLE_1)
	s_and_b32 s1, vcc_lo, s1
	s_and_b32 s1, exec_lo, s1
	s_delay_alu instid0(SALU_CYCLE_1) | instskip(NEXT) | instid1(SALU_CYCLE_1)
	s_or_b32 s3, s1, s3
	s_and_not1_b32 exec_lo, exec_lo, s3
	s_cbranch_execnz .LBB39_9
.LBB39_10:
	s_or_b32 exec_lo, exec_lo, s2
	v_mov_b32_e32 v1, 0
	s_barrier
	buffer_gl0_inv
	ds_load_b32 v2, v1 offset:640
	s_and_saveexec_b32 s1, s0
	s_cbranch_execz .LBB39_12
; %bb.11:
	s_lshl_b64 s[2:3], s[14:15], 2
	s_delay_alu instid0(SALU_CYCLE_1)
	s_add_u32 s2, s6, s2
	s_addc_u32 s3, s7, s3
	s_waitcnt lgkmcnt(0)
	global_store_b32 v1, v2, s[2:3]
.LBB39_12:
	s_or_b32 exec_lo, exec_lo, s1
	s_waitcnt lgkmcnt(0)
	v_cmp_ne_u32_e32 vcc_lo, 0, v2
	s_mov_b32 s1, 0
	s_cbranch_vccnz .LBB39_168
; %bb.13:
	v_add_nc_u32_e32 v3, 0, v85
	v_add_nc_u32_e32 v4, 0x140, v85
	scratch_load_b64 v[1:2], v3, off
	s_waitcnt vmcnt(0)
	v_div_scale_f64 v[86:87], null, v[1:2], v[1:2], 1.0
	v_div_scale_f64 v[92:93], vcc_lo, 1.0, v[1:2], 1.0
	s_delay_alu instid0(VALU_DEP_2) | instskip(SKIP_2) | instid1(VALU_DEP_1)
	v_rcp_f64_e32 v[88:89], v[86:87]
	s_waitcnt_depctr 0xfff
	v_fma_f64 v[90:91], -v[86:87], v[88:89], 1.0
	v_fma_f64 v[88:89], v[88:89], v[90:91], v[88:89]
	s_delay_alu instid0(VALU_DEP_1) | instskip(NEXT) | instid1(VALU_DEP_1)
	v_fma_f64 v[90:91], -v[86:87], v[88:89], 1.0
	v_fma_f64 v[88:89], v[88:89], v[90:91], v[88:89]
	s_delay_alu instid0(VALU_DEP_1) | instskip(NEXT) | instid1(VALU_DEP_1)
	v_mul_f64 v[90:91], v[92:93], v[88:89]
	v_fma_f64 v[86:87], -v[86:87], v[90:91], v[92:93]
	s_delay_alu instid0(VALU_DEP_1) | instskip(NEXT) | instid1(VALU_DEP_1)
	v_div_fmas_f64 v[86:87], v[86:87], v[88:89], v[90:91]
	v_div_fixup_f64 v[1:2], v[86:87], v[1:2], 1.0
	scratch_store_b64 v3, v[1:2], off
	scratch_load_b64 v[86:87], off, off offset:8
	v_xor_b32_e32 v2, 0x80000000, v2
	s_waitcnt vmcnt(0)
	ds_store_2addr_b64 v85, v[1:2], v[86:87] offset1:40
	s_waitcnt lgkmcnt(0)
	s_waitcnt_vscnt null, 0x0
	s_barrier
	buffer_gl0_inv
	s_and_saveexec_b32 s1, s0
	s_cbranch_execz .LBB39_15
; %bb.14:
	scratch_load_b64 v[1:2], v3, off
	ds_load_b64 v[86:87], v4
	s_waitcnt vmcnt(0) lgkmcnt(0)
	v_fma_f64 v[1:2], v[1:2], v[86:87], 0
	v_mov_b32_e32 v86, 0
	ds_load_b64 v[86:87], v86 offset:8
	s_waitcnt lgkmcnt(0)
	v_mul_f64 v[1:2], v[1:2], v[86:87]
	scratch_store_b64 off, v[1:2], off offset:8
.LBB39_15:
	s_or_b32 exec_lo, exec_lo, s1
	s_waitcnt_vscnt null, 0x0
	s_barrier
	buffer_gl0_inv
	scratch_load_b64 v[1:2], off, off offset:16
	s_mov_b32 s1, exec_lo
	s_waitcnt vmcnt(0)
	ds_store_b64 v4, v[1:2]
	s_waitcnt lgkmcnt(0)
	s_barrier
	buffer_gl0_inv
	v_cmpx_gt_u32_e32 2, v0
	s_cbranch_execz .LBB39_19
; %bb.16:
	scratch_load_b64 v[1:2], v3, off
	ds_load_b64 v[86:87], v4
	s_waitcnt vmcnt(0) lgkmcnt(0)
	v_fma_f64 v[1:2], v[1:2], v[86:87], 0
	s_and_saveexec_b32 s2, s0
	s_cbranch_execz .LBB39_18
; %bb.17:
	scratch_load_b64 v[86:87], off, off offset:8
	v_mov_b32_e32 v88, 0
	ds_load_b64 v[88:89], v88 offset:328
	s_waitcnt vmcnt(0) lgkmcnt(0)
	v_fma_f64 v[1:2], v[86:87], v[88:89], v[1:2]
.LBB39_18:
	s_or_b32 exec_lo, exec_lo, s2
	v_mov_b32_e32 v86, 0
	ds_load_b64 v[86:87], v86 offset:16
	s_waitcnt lgkmcnt(0)
	v_mul_f64 v[1:2], v[1:2], v[86:87]
	scratch_store_b64 off, v[1:2], off offset:16
.LBB39_19:
	s_or_b32 exec_lo, exec_lo, s1
	s_waitcnt_vscnt null, 0x0
	s_barrier
	buffer_gl0_inv
	scratch_load_b64 v[1:2], off, off offset:24
	v_add_nc_u32_e32 v86, -1, v0
	s_mov_b32 s0, exec_lo
	s_waitcnt vmcnt(0)
	ds_store_b64 v4, v[1:2]
	s_waitcnt lgkmcnt(0)
	s_barrier
	buffer_gl0_inv
	v_cmpx_gt_u32_e32 3, v0
	s_cbranch_execz .LBB39_23
; %bb.20:
	v_dual_mov_b32 v1, 0 :: v_dual_add_nc_u32 v88, 0x140, v85
	v_dual_mov_b32 v2, 0 :: v_dual_add_nc_u32 v87, -1, v0
	v_add_nc_u32_e32 v89, 0, v85
	s_mov_b32 s1, 0
.LBB39_21:                              ; =>This Inner Loop Header: Depth=1
	scratch_load_b64 v[90:91], v89, off
	ds_load_b64 v[92:93], v88
	v_add_nc_u32_e32 v87, 1, v87
	v_add_nc_u32_e32 v88, 8, v88
	v_add_nc_u32_e32 v89, 8, v89
	s_delay_alu instid0(VALU_DEP_3)
	v_cmp_lt_u32_e32 vcc_lo, 1, v87
	s_or_b32 s1, vcc_lo, s1
	s_waitcnt vmcnt(0) lgkmcnt(0)
	v_fma_f64 v[1:2], v[90:91], v[92:93], v[1:2]
	s_and_not1_b32 exec_lo, exec_lo, s1
	s_cbranch_execnz .LBB39_21
; %bb.22:
	s_or_b32 exec_lo, exec_lo, s1
	v_mov_b32_e32 v87, 0
	ds_load_b64 v[87:88], v87 offset:24
	s_waitcnt lgkmcnt(0)
	v_mul_f64 v[1:2], v[1:2], v[87:88]
	scratch_store_b64 off, v[1:2], off offset:24
.LBB39_23:
	s_or_b32 exec_lo, exec_lo, s0
	s_waitcnt_vscnt null, 0x0
	s_barrier
	buffer_gl0_inv
	scratch_load_b64 v[1:2], off, off offset:32
	s_mov_b32 s0, exec_lo
	s_waitcnt vmcnt(0)
	ds_store_b64 v4, v[1:2]
	s_waitcnt lgkmcnt(0)
	s_barrier
	buffer_gl0_inv
	v_cmpx_gt_u32_e32 4, v0
	s_cbranch_execz .LBB39_27
; %bb.24:
	v_dual_mov_b32 v1, 0 :: v_dual_add_nc_u32 v88, 0x140, v85
	v_dual_mov_b32 v2, 0 :: v_dual_add_nc_u32 v87, -1, v0
	v_add_nc_u32_e32 v89, 0, v85
	s_mov_b32 s1, 0
.LBB39_25:                              ; =>This Inner Loop Header: Depth=1
	scratch_load_b64 v[90:91], v89, off
	ds_load_b64 v[92:93], v88
	v_add_nc_u32_e32 v87, 1, v87
	v_add_nc_u32_e32 v88, 8, v88
	v_add_nc_u32_e32 v89, 8, v89
	s_delay_alu instid0(VALU_DEP_3)
	v_cmp_lt_u32_e32 vcc_lo, 2, v87
	s_or_b32 s1, vcc_lo, s1
	s_waitcnt vmcnt(0) lgkmcnt(0)
	v_fma_f64 v[1:2], v[90:91], v[92:93], v[1:2]
	s_and_not1_b32 exec_lo, exec_lo, s1
	s_cbranch_execnz .LBB39_25
; %bb.26:
	s_or_b32 exec_lo, exec_lo, s1
	v_mov_b32_e32 v87, 0
	ds_load_b64 v[87:88], v87 offset:32
	s_waitcnt lgkmcnt(0)
	v_mul_f64 v[1:2], v[1:2], v[87:88]
	scratch_store_b64 off, v[1:2], off offset:32
.LBB39_27:
	s_or_b32 exec_lo, exec_lo, s0
	s_waitcnt_vscnt null, 0x0
	s_barrier
	buffer_gl0_inv
	scratch_load_b64 v[1:2], off, off offset:40
	;; [unrolled: 39-line block ×20, first 2 shown]
	s_mov_b32 s0, exec_lo
	s_waitcnt vmcnt(0)
	ds_store_b64 v4, v[1:2]
	s_waitcnt lgkmcnt(0)
	s_barrier
	buffer_gl0_inv
	v_cmpx_gt_u32_e32 23, v0
	s_cbranch_execz .LBB39_103
; %bb.100:
	v_dual_mov_b32 v1, 0 :: v_dual_add_nc_u32 v88, 0x140, v85
	v_dual_mov_b32 v2, 0 :: v_dual_add_nc_u32 v87, -1, v0
	v_add_nc_u32_e32 v89, 0, v85
	s_mov_b32 s1, 0
.LBB39_101:                             ; =>This Inner Loop Header: Depth=1
	scratch_load_b64 v[90:91], v89, off
	ds_load_b64 v[92:93], v88
	v_add_nc_u32_e32 v87, 1, v87
	v_add_nc_u32_e32 v88, 8, v88
	v_add_nc_u32_e32 v89, 8, v89
	s_delay_alu instid0(VALU_DEP_3)
	v_cmp_lt_u32_e32 vcc_lo, 21, v87
	s_or_b32 s1, vcc_lo, s1
	s_waitcnt vmcnt(0) lgkmcnt(0)
	v_fma_f64 v[1:2], v[90:91], v[92:93], v[1:2]
	s_and_not1_b32 exec_lo, exec_lo, s1
	s_cbranch_execnz .LBB39_101
; %bb.102:
	s_or_b32 exec_lo, exec_lo, s1
	v_mov_b32_e32 v87, 0
	ds_load_b64 v[87:88], v87 offset:184
	s_waitcnt lgkmcnt(0)
	v_mul_f64 v[1:2], v[1:2], v[87:88]
	scratch_store_b64 off, v[1:2], off offset:184
.LBB39_103:
	s_or_b32 exec_lo, exec_lo, s0
	s_waitcnt_vscnt null, 0x0
	s_barrier
	buffer_gl0_inv
	scratch_load_b64 v[1:2], off, off offset:192
	s_mov_b32 s0, exec_lo
	s_waitcnt vmcnt(0)
	ds_store_b64 v4, v[1:2]
	s_waitcnt lgkmcnt(0)
	s_barrier
	buffer_gl0_inv
	v_cmpx_gt_u32_e32 24, v0
	s_cbranch_execz .LBB39_107
; %bb.104:
	v_dual_mov_b32 v1, 0 :: v_dual_add_nc_u32 v88, 0x140, v85
	v_dual_mov_b32 v2, 0 :: v_dual_add_nc_u32 v87, -1, v0
	v_add_nc_u32_e32 v89, 0, v85
	s_mov_b32 s1, 0
.LBB39_105:                             ; =>This Inner Loop Header: Depth=1
	scratch_load_b64 v[90:91], v89, off
	ds_load_b64 v[92:93], v88
	v_add_nc_u32_e32 v87, 1, v87
	v_add_nc_u32_e32 v88, 8, v88
	v_add_nc_u32_e32 v89, 8, v89
	s_delay_alu instid0(VALU_DEP_3)
	v_cmp_lt_u32_e32 vcc_lo, 22, v87
	s_or_b32 s1, vcc_lo, s1
	s_waitcnt vmcnt(0) lgkmcnt(0)
	v_fma_f64 v[1:2], v[90:91], v[92:93], v[1:2]
	s_and_not1_b32 exec_lo, exec_lo, s1
	s_cbranch_execnz .LBB39_105
; %bb.106:
	s_or_b32 exec_lo, exec_lo, s1
	v_mov_b32_e32 v87, 0
	ds_load_b64 v[87:88], v87 offset:192
	s_waitcnt lgkmcnt(0)
	v_mul_f64 v[1:2], v[1:2], v[87:88]
	scratch_store_b64 off, v[1:2], off offset:192
.LBB39_107:
	s_or_b32 exec_lo, exec_lo, s0
	s_waitcnt_vscnt null, 0x0
	s_barrier
	buffer_gl0_inv
	scratch_load_b64 v[1:2], off, off offset:200
	;; [unrolled: 39-line block ×16, first 2 shown]
	s_mov_b32 s0, exec_lo
	s_waitcnt vmcnt(0)
	ds_store_b64 v4, v[1:2]
	s_waitcnt lgkmcnt(0)
	s_barrier
	buffer_gl0_inv
	v_cmpx_ne_u32_e32 39, v0
	s_cbranch_execz .LBB39_167
; %bb.164:
	v_mov_b32_e32 v1, 0
	v_mov_b32_e32 v2, 0
	s_mov_b32 s1, 0
.LBB39_165:                             ; =>This Inner Loop Header: Depth=1
	scratch_load_b64 v[87:88], v3, off
	ds_load_b64 v[89:90], v4
	v_add_nc_u32_e32 v86, 1, v86
	v_add_nc_u32_e32 v4, 8, v4
	;; [unrolled: 1-line block ×3, first 2 shown]
	s_delay_alu instid0(VALU_DEP_3)
	v_cmp_lt_u32_e32 vcc_lo, 37, v86
	s_or_b32 s1, vcc_lo, s1
	s_waitcnt vmcnt(0) lgkmcnt(0)
	v_fma_f64 v[1:2], v[87:88], v[89:90], v[1:2]
	s_and_not1_b32 exec_lo, exec_lo, s1
	s_cbranch_execnz .LBB39_165
; %bb.166:
	s_or_b32 exec_lo, exec_lo, s1
	v_mov_b32_e32 v3, 0
	ds_load_b64 v[3:4], v3 offset:312
	s_waitcnt lgkmcnt(0)
	v_mul_f64 v[1:2], v[1:2], v[3:4]
	scratch_store_b64 off, v[1:2], off offset:312
.LBB39_167:
	s_or_b32 exec_lo, exec_lo, s0
	s_mov_b32 s1, -1
	s_waitcnt_vscnt null, 0x0
	s_barrier
	buffer_gl0_inv
.LBB39_168:
	s_and_b32 vcc_lo, exec_lo, s1
	s_cbranch_vccz .LBB39_170
; %bb.169:
	s_lshl_b64 s[0:1], s[14:15], 2
	v_mov_b32_e32 v1, 0
	s_add_u32 s0, s6, s0
	s_addc_u32 s1, s7, s1
	global_load_b32 v1, v1, s[0:1]
	s_waitcnt vmcnt(0)
	v_cmp_ne_u32_e32 vcc_lo, 0, v1
	s_cbranch_vccz .LBB39_171
.LBB39_170:
	s_endpgm
.LBB39_171:
	v_lshl_add_u32 v3, v0, 3, 0x140
	s_mov_b32 s0, exec_lo
	v_cmpx_eq_u32_e32 39, v0
	s_cbranch_execz .LBB39_173
; %bb.172:
	scratch_load_b64 v[1:2], off, off offset:304
	v_mov_b32_e32 v85, 0
	s_delay_alu instid0(VALU_DEP_1)
	v_mov_b32_e32 v86, v85
	scratch_store_b64 off, v[85:86], off offset:304
	s_waitcnt vmcnt(0)
	ds_store_b64 v3, v[1:2]
.LBB39_173:
	s_or_b32 exec_lo, exec_lo, s0
	s_waitcnt lgkmcnt(0)
	s_waitcnt_vscnt null, 0x0
	s_barrier
	buffer_gl0_inv
	scratch_load_b128 v[85:88], off, off offset:304
	v_mov_b32_e32 v1, 0
	s_mov_b32 s0, exec_lo
	ds_load_b64 v[89:90], v1 offset:632
	s_waitcnt vmcnt(0) lgkmcnt(0)
	v_fma_f64 v[87:88], v[87:88], v[89:90], 0
	s_delay_alu instid0(VALU_DEP_1)
	v_add_f64 v[85:86], v[85:86], -v[87:88]
	scratch_store_b64 off, v[85:86], off offset:304
	v_cmpx_lt_u32_e32 37, v0
	s_cbranch_execz .LBB39_175
; %bb.174:
	scratch_load_b64 v[85:86], off, off offset:296
	v_mov_b32_e32 v2, v1
	scratch_store_b64 off, v[1:2], off offset:296
	s_waitcnt vmcnt(0)
	ds_store_b64 v3, v[85:86]
.LBB39_175:
	s_or_b32 exec_lo, exec_lo, s0
	s_waitcnt lgkmcnt(0)
	s_waitcnt_vscnt null, 0x0
	s_barrier
	buffer_gl0_inv
	s_clause 0x1
	scratch_load_b128 v[85:88], off, off offset:296
	scratch_load_b64 v[93:94], off, off offset:312
	ds_load_b128 v[89:92], v1 offset:624
	s_mov_b32 s0, exec_lo
	s_waitcnt vmcnt(1) lgkmcnt(0)
	v_fma_f64 v[1:2], v[87:88], v[89:90], 0
	s_waitcnt vmcnt(0)
	s_delay_alu instid0(VALU_DEP_1) | instskip(NEXT) | instid1(VALU_DEP_1)
	v_fma_f64 v[1:2], v[93:94], v[91:92], v[1:2]
	v_add_f64 v[1:2], v[85:86], -v[1:2]
	scratch_store_b64 off, v[1:2], off offset:296
	v_cmpx_lt_u32_e32 36, v0
	s_cbranch_execz .LBB39_177
; %bb.176:
	scratch_load_b64 v[1:2], off, off offset:288
	v_mov_b32_e32 v85, 0
	s_delay_alu instid0(VALU_DEP_1)
	v_mov_b32_e32 v86, v85
	scratch_store_b64 off, v[85:86], off offset:288
	s_waitcnt vmcnt(0)
	ds_store_b64 v3, v[1:2]
.LBB39_177:
	s_or_b32 exec_lo, exec_lo, s0
	s_waitcnt lgkmcnt(0)
	s_waitcnt_vscnt null, 0x0
	s_barrier
	buffer_gl0_inv
	s_clause 0x1
	scratch_load_b128 v[85:88], off, off offset:288
	scratch_load_b128 v[89:92], off, off offset:304
	v_mov_b32_e32 v1, 0
	s_mov_b32 s0, exec_lo
	ds_load_2addr_b64 v[93:96], v1 offset0:77 offset1:78
	s_waitcnt vmcnt(1) lgkmcnt(0)
	v_fma_f64 v[87:88], v[87:88], v[93:94], 0
	s_waitcnt vmcnt(0)
	s_delay_alu instid0(VALU_DEP_1) | instskip(SKIP_3) | instid1(VALU_DEP_1)
	v_fma_f64 v[87:88], v[89:90], v[95:96], v[87:88]
	ds_load_b64 v[89:90], v1 offset:632
	s_waitcnt lgkmcnt(0)
	v_fma_f64 v[87:88], v[91:92], v[89:90], v[87:88]
	v_add_f64 v[85:86], v[85:86], -v[87:88]
	scratch_store_b64 off, v[85:86], off offset:288
	v_cmpx_lt_u32_e32 35, v0
	s_cbranch_execz .LBB39_179
; %bb.178:
	scratch_load_b64 v[85:86], off, off offset:280
	v_mov_b32_e32 v2, v1
	scratch_store_b64 off, v[1:2], off offset:280
	s_waitcnt vmcnt(0)
	ds_store_b64 v3, v[85:86]
.LBB39_179:
	s_or_b32 exec_lo, exec_lo, s0
	s_waitcnt lgkmcnt(0)
	s_waitcnt_vscnt null, 0x0
	s_barrier
	buffer_gl0_inv
	s_clause 0x2
	scratch_load_b128 v[85:88], off, off offset:280
	scratch_load_b128 v[89:92], off, off offset:296
	scratch_load_b64 v[101:102], off, off offset:312
	ds_load_b128 v[93:96], v1 offset:608
	ds_load_b128 v[97:100], v1 offset:624
	s_mov_b32 s0, exec_lo
	s_waitcnt vmcnt(2) lgkmcnt(1)
	v_fma_f64 v[1:2], v[87:88], v[93:94], 0
	s_waitcnt vmcnt(1)
	s_delay_alu instid0(VALU_DEP_1) | instskip(SKIP_1) | instid1(VALU_DEP_1)
	v_fma_f64 v[1:2], v[89:90], v[95:96], v[1:2]
	s_waitcnt lgkmcnt(0)
	v_fma_f64 v[1:2], v[91:92], v[97:98], v[1:2]
	s_waitcnt vmcnt(0)
	s_delay_alu instid0(VALU_DEP_1) | instskip(NEXT) | instid1(VALU_DEP_1)
	v_fma_f64 v[1:2], v[101:102], v[99:100], v[1:2]
	v_add_f64 v[1:2], v[85:86], -v[1:2]
	scratch_store_b64 off, v[1:2], off offset:280
	v_cmpx_lt_u32_e32 34, v0
	s_cbranch_execz .LBB39_181
; %bb.180:
	scratch_load_b64 v[1:2], off, off offset:272
	v_mov_b32_e32 v85, 0
	s_delay_alu instid0(VALU_DEP_1)
	v_mov_b32_e32 v86, v85
	scratch_store_b64 off, v[85:86], off offset:272
	s_waitcnt vmcnt(0)
	ds_store_b64 v3, v[1:2]
.LBB39_181:
	s_or_b32 exec_lo, exec_lo, s0
	s_waitcnt lgkmcnt(0)
	s_waitcnt_vscnt null, 0x0
	s_barrier
	buffer_gl0_inv
	s_clause 0x2
	scratch_load_b128 v[85:88], off, off offset:272
	scratch_load_b128 v[89:92], off, off offset:288
	;; [unrolled: 1-line block ×3, first 2 shown]
	v_mov_b32_e32 v1, 0
	ds_load_2addr_b64 v[97:100], v1 offset0:75 offset1:76
	ds_load_2addr_b64 v[101:104], v1 offset0:77 offset1:78
	s_mov_b32 s0, exec_lo
	s_waitcnt vmcnt(2) lgkmcnt(1)
	v_fma_f64 v[87:88], v[87:88], v[97:98], 0
	s_waitcnt vmcnt(1)
	s_delay_alu instid0(VALU_DEP_1) | instskip(SKIP_4) | instid1(VALU_DEP_1)
	v_fma_f64 v[87:88], v[89:90], v[99:100], v[87:88]
	ds_load_b64 v[89:90], v1 offset:632
	s_waitcnt lgkmcnt(1)
	v_fma_f64 v[87:88], v[91:92], v[101:102], v[87:88]
	s_waitcnt vmcnt(0)
	v_fma_f64 v[87:88], v[93:94], v[103:104], v[87:88]
	s_waitcnt lgkmcnt(0)
	s_delay_alu instid0(VALU_DEP_1) | instskip(NEXT) | instid1(VALU_DEP_1)
	v_fma_f64 v[87:88], v[95:96], v[89:90], v[87:88]
	v_add_f64 v[85:86], v[85:86], -v[87:88]
	scratch_store_b64 off, v[85:86], off offset:272
	v_cmpx_lt_u32_e32 33, v0
	s_cbranch_execz .LBB39_183
; %bb.182:
	scratch_load_b64 v[85:86], off, off offset:264
	v_mov_b32_e32 v2, v1
	scratch_store_b64 off, v[1:2], off offset:264
	s_waitcnt vmcnt(0)
	ds_store_b64 v3, v[85:86]
.LBB39_183:
	s_or_b32 exec_lo, exec_lo, s0
	s_waitcnt lgkmcnt(0)
	s_waitcnt_vscnt null, 0x0
	s_barrier
	buffer_gl0_inv
	s_clause 0x3
	scratch_load_b128 v[85:88], off, off offset:264
	scratch_load_b128 v[89:92], off, off offset:280
	;; [unrolled: 1-line block ×3, first 2 shown]
	scratch_load_b64 v[105:106], off, off offset:312
	ds_load_b128 v[97:100], v1 offset:592
	ds_load_b128 v[101:104], v1 offset:608
	s_mov_b32 s0, exec_lo
	s_waitcnt vmcnt(3) lgkmcnt(1)
	v_fma_f64 v[87:88], v[87:88], v[97:98], 0
	s_waitcnt vmcnt(2)
	s_delay_alu instid0(VALU_DEP_1) | instskip(SKIP_1) | instid1(VALU_DEP_1)
	v_fma_f64 v[87:88], v[89:90], v[99:100], v[87:88]
	s_waitcnt lgkmcnt(0)
	v_fma_f64 v[87:88], v[91:92], v[101:102], v[87:88]
	s_waitcnt vmcnt(1)
	s_delay_alu instid0(VALU_DEP_1) | instskip(SKIP_4) | instid1(VALU_DEP_1)
	v_fma_f64 v[91:92], v[93:94], v[103:104], v[87:88]
	ds_load_b128 v[87:90], v1 offset:624
	s_waitcnt lgkmcnt(0)
	v_fma_f64 v[1:2], v[95:96], v[87:88], v[91:92]
	s_waitcnt vmcnt(0)
	v_fma_f64 v[1:2], v[105:106], v[89:90], v[1:2]
	s_delay_alu instid0(VALU_DEP_1)
	v_add_f64 v[1:2], v[85:86], -v[1:2]
	scratch_store_b64 off, v[1:2], off offset:264
	v_cmpx_lt_u32_e32 32, v0
	s_cbranch_execz .LBB39_185
; %bb.184:
	scratch_load_b64 v[1:2], off, off offset:256
	v_mov_b32_e32 v85, 0
	s_delay_alu instid0(VALU_DEP_1)
	v_mov_b32_e32 v86, v85
	scratch_store_b64 off, v[85:86], off offset:256
	s_waitcnt vmcnt(0)
	ds_store_b64 v3, v[1:2]
.LBB39_185:
	s_or_b32 exec_lo, exec_lo, s0
	s_waitcnt lgkmcnt(0)
	s_waitcnt_vscnt null, 0x0
	s_barrier
	buffer_gl0_inv
	s_clause 0x3
	scratch_load_b128 v[85:88], off, off offset:256
	scratch_load_b128 v[89:92], off, off offset:272
	;; [unrolled: 1-line block ×4, first 2 shown]
	v_mov_b32_e32 v1, 0
	ds_load_2addr_b64 v[101:104], v1 offset0:73 offset1:74
	ds_load_2addr_b64 v[105:108], v1 offset0:75 offset1:76
	s_mov_b32 s0, exec_lo
	s_waitcnt vmcnt(3) lgkmcnt(1)
	v_fma_f64 v[87:88], v[87:88], v[101:102], 0
	s_waitcnt vmcnt(2)
	s_delay_alu instid0(VALU_DEP_1) | instskip(SKIP_1) | instid1(VALU_DEP_1)
	v_fma_f64 v[87:88], v[89:90], v[103:104], v[87:88]
	s_waitcnt lgkmcnt(0)
	v_fma_f64 v[87:88], v[91:92], v[105:106], v[87:88]
	s_waitcnt vmcnt(1)
	s_delay_alu instid0(VALU_DEP_1)
	v_fma_f64 v[91:92], v[93:94], v[107:108], v[87:88]
	ds_load_2addr_b64 v[87:90], v1 offset0:77 offset1:78
	ds_load_b64 v[93:94], v1 offset:632
	s_waitcnt lgkmcnt(1)
	v_fma_f64 v[87:88], v[95:96], v[87:88], v[91:92]
	s_waitcnt vmcnt(0)
	s_delay_alu instid0(VALU_DEP_1) | instskip(SKIP_1) | instid1(VALU_DEP_1)
	v_fma_f64 v[87:88], v[97:98], v[89:90], v[87:88]
	s_waitcnt lgkmcnt(0)
	v_fma_f64 v[87:88], v[99:100], v[93:94], v[87:88]
	s_delay_alu instid0(VALU_DEP_1)
	v_add_f64 v[85:86], v[85:86], -v[87:88]
	scratch_store_b64 off, v[85:86], off offset:256
	v_cmpx_lt_u32_e32 31, v0
	s_cbranch_execz .LBB39_187
; %bb.186:
	scratch_load_b64 v[85:86], off, off offset:248
	v_mov_b32_e32 v2, v1
	scratch_store_b64 off, v[1:2], off offset:248
	s_waitcnt vmcnt(0)
	ds_store_b64 v3, v[85:86]
.LBB39_187:
	s_or_b32 exec_lo, exec_lo, s0
	s_waitcnt lgkmcnt(0)
	s_waitcnt_vscnt null, 0x0
	s_barrier
	buffer_gl0_inv
	s_clause 0x4
	scratch_load_b128 v[85:88], off, off offset:248
	scratch_load_b128 v[89:92], off, off offset:264
	;; [unrolled: 1-line block ×4, first 2 shown]
	scratch_load_b64 v[109:110], off, off offset:312
	ds_load_b128 v[101:104], v1 offset:576
	ds_load_b128 v[105:108], v1 offset:592
	s_mov_b32 s0, exec_lo
	s_waitcnt vmcnt(4) lgkmcnt(1)
	v_fma_f64 v[87:88], v[87:88], v[101:102], 0
	s_waitcnt vmcnt(3)
	s_delay_alu instid0(VALU_DEP_1) | instskip(SKIP_1) | instid1(VALU_DEP_1)
	v_fma_f64 v[87:88], v[89:90], v[103:104], v[87:88]
	s_waitcnt lgkmcnt(0)
	v_fma_f64 v[87:88], v[91:92], v[105:106], v[87:88]
	s_waitcnt vmcnt(2)
	s_delay_alu instid0(VALU_DEP_1)
	v_fma_f64 v[101:102], v[93:94], v[107:108], v[87:88]
	ds_load_b128 v[87:90], v1 offset:608
	ds_load_b128 v[91:94], v1 offset:624
	s_waitcnt lgkmcnt(1)
	v_fma_f64 v[1:2], v[95:96], v[87:88], v[101:102]
	s_waitcnt vmcnt(1)
	s_delay_alu instid0(VALU_DEP_1) | instskip(SKIP_1) | instid1(VALU_DEP_1)
	v_fma_f64 v[1:2], v[97:98], v[89:90], v[1:2]
	s_waitcnt lgkmcnt(0)
	v_fma_f64 v[1:2], v[99:100], v[91:92], v[1:2]
	s_waitcnt vmcnt(0)
	s_delay_alu instid0(VALU_DEP_1) | instskip(NEXT) | instid1(VALU_DEP_1)
	v_fma_f64 v[1:2], v[109:110], v[93:94], v[1:2]
	v_add_f64 v[1:2], v[85:86], -v[1:2]
	scratch_store_b64 off, v[1:2], off offset:248
	v_cmpx_lt_u32_e32 30, v0
	s_cbranch_execz .LBB39_189
; %bb.188:
	scratch_load_b64 v[1:2], off, off offset:240
	v_mov_b32_e32 v85, 0
	s_delay_alu instid0(VALU_DEP_1)
	v_mov_b32_e32 v86, v85
	scratch_store_b64 off, v[85:86], off offset:240
	s_waitcnt vmcnt(0)
	ds_store_b64 v3, v[1:2]
.LBB39_189:
	s_or_b32 exec_lo, exec_lo, s0
	s_waitcnt lgkmcnt(0)
	s_waitcnt_vscnt null, 0x0
	s_barrier
	buffer_gl0_inv
	s_clause 0x4
	scratch_load_b128 v[85:88], off, off offset:240
	scratch_load_b128 v[89:92], off, off offset:256
	;; [unrolled: 1-line block ×5, first 2 shown]
	v_mov_b32_e32 v1, 0
	ds_load_2addr_b64 v[105:108], v1 offset0:71 offset1:72
	ds_load_2addr_b64 v[109:112], v1 offset0:73 offset1:74
	s_mov_b32 s0, exec_lo
	s_waitcnt vmcnt(4) lgkmcnt(1)
	v_fma_f64 v[87:88], v[87:88], v[105:106], 0
	s_waitcnt vmcnt(3)
	s_delay_alu instid0(VALU_DEP_1) | instskip(SKIP_1) | instid1(VALU_DEP_1)
	v_fma_f64 v[87:88], v[89:90], v[107:108], v[87:88]
	s_waitcnt lgkmcnt(0)
	v_fma_f64 v[87:88], v[91:92], v[109:110], v[87:88]
	s_waitcnt vmcnt(2)
	s_delay_alu instid0(VALU_DEP_1)
	v_fma_f64 v[105:106], v[93:94], v[111:112], v[87:88]
	ds_load_2addr_b64 v[87:90], v1 offset0:75 offset1:76
	ds_load_2addr_b64 v[91:94], v1 offset0:77 offset1:78
	s_waitcnt lgkmcnt(1)
	v_fma_f64 v[87:88], v[95:96], v[87:88], v[105:106]
	s_waitcnt vmcnt(1)
	s_delay_alu instid0(VALU_DEP_1) | instskip(SKIP_4) | instid1(VALU_DEP_1)
	v_fma_f64 v[87:88], v[97:98], v[89:90], v[87:88]
	ds_load_b64 v[89:90], v1 offset:632
	s_waitcnt lgkmcnt(1)
	v_fma_f64 v[87:88], v[99:100], v[91:92], v[87:88]
	s_waitcnt vmcnt(0)
	v_fma_f64 v[87:88], v[101:102], v[93:94], v[87:88]
	s_waitcnt lgkmcnt(0)
	s_delay_alu instid0(VALU_DEP_1) | instskip(NEXT) | instid1(VALU_DEP_1)
	v_fma_f64 v[87:88], v[103:104], v[89:90], v[87:88]
	v_add_f64 v[85:86], v[85:86], -v[87:88]
	scratch_store_b64 off, v[85:86], off offset:240
	v_cmpx_lt_u32_e32 29, v0
	s_cbranch_execz .LBB39_191
; %bb.190:
	scratch_load_b64 v[85:86], off, off offset:232
	v_mov_b32_e32 v2, v1
	scratch_store_b64 off, v[1:2], off offset:232
	s_waitcnt vmcnt(0)
	ds_store_b64 v3, v[85:86]
.LBB39_191:
	s_or_b32 exec_lo, exec_lo, s0
	s_waitcnt lgkmcnt(0)
	s_waitcnt_vscnt null, 0x0
	s_barrier
	buffer_gl0_inv
	s_clause 0x4
	scratch_load_b128 v[85:88], off, off offset:232
	scratch_load_b128 v[89:92], off, off offset:248
	;; [unrolled: 1-line block ×5, first 2 shown]
	ds_load_b128 v[105:108], v1 offset:560
	ds_load_b128 v[109:112], v1 offset:576
	s_mov_b32 s0, exec_lo
	s_waitcnt vmcnt(4) lgkmcnt(1)
	v_fma_f64 v[87:88], v[87:88], v[105:106], 0
	scratch_load_b64 v[105:106], off, off offset:312
	s_waitcnt vmcnt(4)
	v_fma_f64 v[87:88], v[89:90], v[107:108], v[87:88]
	s_waitcnt lgkmcnt(0)
	s_delay_alu instid0(VALU_DEP_1) | instskip(SKIP_1) | instid1(VALU_DEP_1)
	v_fma_f64 v[87:88], v[91:92], v[109:110], v[87:88]
	s_waitcnt vmcnt(3)
	v_fma_f64 v[107:108], v[93:94], v[111:112], v[87:88]
	ds_load_b128 v[87:90], v1 offset:592
	ds_load_b128 v[91:94], v1 offset:608
	s_waitcnt lgkmcnt(1)
	v_fma_f64 v[87:88], v[95:96], v[87:88], v[107:108]
	s_waitcnt vmcnt(2)
	s_delay_alu instid0(VALU_DEP_1) | instskip(SKIP_1) | instid1(VALU_DEP_1)
	v_fma_f64 v[87:88], v[97:98], v[89:90], v[87:88]
	s_waitcnt lgkmcnt(0)
	v_fma_f64 v[87:88], v[99:100], v[91:92], v[87:88]
	s_waitcnt vmcnt(1)
	s_delay_alu instid0(VALU_DEP_1) | instskip(SKIP_4) | instid1(VALU_DEP_1)
	v_fma_f64 v[91:92], v[101:102], v[93:94], v[87:88]
	ds_load_b128 v[87:90], v1 offset:624
	s_waitcnt lgkmcnt(0)
	v_fma_f64 v[1:2], v[103:104], v[87:88], v[91:92]
	s_waitcnt vmcnt(0)
	v_fma_f64 v[1:2], v[105:106], v[89:90], v[1:2]
	s_delay_alu instid0(VALU_DEP_1)
	v_add_f64 v[1:2], v[85:86], -v[1:2]
	scratch_store_b64 off, v[1:2], off offset:232
	v_cmpx_lt_u32_e32 28, v0
	s_cbranch_execz .LBB39_193
; %bb.192:
	scratch_load_b64 v[1:2], off, off offset:224
	v_mov_b32_e32 v85, 0
	s_delay_alu instid0(VALU_DEP_1)
	v_mov_b32_e32 v86, v85
	scratch_store_b64 off, v[85:86], off offset:224
	s_waitcnt vmcnt(0)
	ds_store_b64 v3, v[1:2]
.LBB39_193:
	s_or_b32 exec_lo, exec_lo, s0
	s_waitcnt lgkmcnt(0)
	s_waitcnt_vscnt null, 0x0
	s_barrier
	buffer_gl0_inv
	s_clause 0x4
	scratch_load_b128 v[85:88], off, off offset:224
	scratch_load_b128 v[89:92], off, off offset:240
	;; [unrolled: 1-line block ×5, first 2 shown]
	v_mov_b32_e32 v1, 0
	ds_load_2addr_b64 v[105:108], v1 offset0:69 offset1:70
	ds_load_2addr_b64 v[109:112], v1 offset0:71 offset1:72
	scratch_load_b128 v[113:116], off, off offset:304
	s_mov_b32 s0, exec_lo
	s_waitcnt vmcnt(5) lgkmcnt(1)
	v_fma_f64 v[87:88], v[87:88], v[105:106], 0
	s_waitcnt vmcnt(4)
	s_delay_alu instid0(VALU_DEP_1) | instskip(SKIP_1) | instid1(VALU_DEP_1)
	v_fma_f64 v[87:88], v[89:90], v[107:108], v[87:88]
	s_waitcnt lgkmcnt(0)
	v_fma_f64 v[87:88], v[91:92], v[109:110], v[87:88]
	s_waitcnt vmcnt(3)
	s_delay_alu instid0(VALU_DEP_1)
	v_fma_f64 v[105:106], v[93:94], v[111:112], v[87:88]
	ds_load_2addr_b64 v[87:90], v1 offset0:73 offset1:74
	ds_load_2addr_b64 v[91:94], v1 offset0:75 offset1:76
	s_waitcnt lgkmcnt(1)
	v_fma_f64 v[87:88], v[95:96], v[87:88], v[105:106]
	s_waitcnt vmcnt(2)
	s_delay_alu instid0(VALU_DEP_1) | instskip(SKIP_1) | instid1(VALU_DEP_1)
	v_fma_f64 v[87:88], v[97:98], v[89:90], v[87:88]
	s_waitcnt lgkmcnt(0)
	v_fma_f64 v[87:88], v[99:100], v[91:92], v[87:88]
	s_waitcnt vmcnt(1)
	s_delay_alu instid0(VALU_DEP_1)
	v_fma_f64 v[91:92], v[101:102], v[93:94], v[87:88]
	ds_load_2addr_b64 v[87:90], v1 offset0:77 offset1:78
	ds_load_b64 v[93:94], v1 offset:632
	s_waitcnt lgkmcnt(1)
	v_fma_f64 v[87:88], v[103:104], v[87:88], v[91:92]
	s_waitcnt vmcnt(0)
	s_delay_alu instid0(VALU_DEP_1) | instskip(SKIP_1) | instid1(VALU_DEP_1)
	v_fma_f64 v[87:88], v[113:114], v[89:90], v[87:88]
	s_waitcnt lgkmcnt(0)
	v_fma_f64 v[87:88], v[115:116], v[93:94], v[87:88]
	s_delay_alu instid0(VALU_DEP_1)
	v_add_f64 v[85:86], v[85:86], -v[87:88]
	scratch_store_b64 off, v[85:86], off offset:224
	v_cmpx_lt_u32_e32 27, v0
	s_cbranch_execz .LBB39_195
; %bb.194:
	scratch_load_b64 v[85:86], off, off offset:216
	v_mov_b32_e32 v2, v1
	scratch_store_b64 off, v[1:2], off offset:216
	s_waitcnt vmcnt(0)
	ds_store_b64 v3, v[85:86]
.LBB39_195:
	s_or_b32 exec_lo, exec_lo, s0
	s_waitcnt lgkmcnt(0)
	s_waitcnt_vscnt null, 0x0
	s_barrier
	buffer_gl0_inv
	s_clause 0x4
	scratch_load_b128 v[85:88], off, off offset:216
	scratch_load_b128 v[89:92], off, off offset:232
	;; [unrolled: 1-line block ×5, first 2 shown]
	ds_load_b128 v[105:108], v1 offset:544
	ds_load_b128 v[109:112], v1 offset:560
	scratch_load_b128 v[113:116], off, off offset:296
	s_mov_b32 s0, exec_lo
	s_waitcnt vmcnt(5) lgkmcnt(1)
	v_fma_f64 v[87:88], v[87:88], v[105:106], 0
	scratch_load_b64 v[105:106], off, off offset:312
	s_waitcnt vmcnt(5)
	v_fma_f64 v[87:88], v[89:90], v[107:108], v[87:88]
	s_waitcnt lgkmcnt(0)
	s_delay_alu instid0(VALU_DEP_1) | instskip(SKIP_1) | instid1(VALU_DEP_1)
	v_fma_f64 v[87:88], v[91:92], v[109:110], v[87:88]
	s_waitcnt vmcnt(4)
	v_fma_f64 v[107:108], v[93:94], v[111:112], v[87:88]
	ds_load_b128 v[87:90], v1 offset:576
	ds_load_b128 v[91:94], v1 offset:592
	s_waitcnt lgkmcnt(1)
	v_fma_f64 v[87:88], v[95:96], v[87:88], v[107:108]
	s_waitcnt vmcnt(3)
	s_delay_alu instid0(VALU_DEP_1) | instskip(SKIP_1) | instid1(VALU_DEP_1)
	v_fma_f64 v[87:88], v[97:98], v[89:90], v[87:88]
	s_waitcnt lgkmcnt(0)
	v_fma_f64 v[87:88], v[99:100], v[91:92], v[87:88]
	s_waitcnt vmcnt(2)
	s_delay_alu instid0(VALU_DEP_1)
	v_fma_f64 v[95:96], v[101:102], v[93:94], v[87:88]
	ds_load_b128 v[87:90], v1 offset:608
	ds_load_b128 v[91:94], v1 offset:624
	s_waitcnt lgkmcnt(1)
	v_fma_f64 v[1:2], v[103:104], v[87:88], v[95:96]
	s_waitcnt vmcnt(1)
	s_delay_alu instid0(VALU_DEP_1) | instskip(SKIP_1) | instid1(VALU_DEP_1)
	v_fma_f64 v[1:2], v[113:114], v[89:90], v[1:2]
	s_waitcnt lgkmcnt(0)
	v_fma_f64 v[1:2], v[115:116], v[91:92], v[1:2]
	s_waitcnt vmcnt(0)
	s_delay_alu instid0(VALU_DEP_1) | instskip(NEXT) | instid1(VALU_DEP_1)
	v_fma_f64 v[1:2], v[105:106], v[93:94], v[1:2]
	v_add_f64 v[1:2], v[85:86], -v[1:2]
	scratch_store_b64 off, v[1:2], off offset:216
	v_cmpx_lt_u32_e32 26, v0
	s_cbranch_execz .LBB39_197
; %bb.196:
	scratch_load_b64 v[1:2], off, off offset:208
	v_mov_b32_e32 v85, 0
	s_delay_alu instid0(VALU_DEP_1)
	v_mov_b32_e32 v86, v85
	scratch_store_b64 off, v[85:86], off offset:208
	s_waitcnt vmcnt(0)
	ds_store_b64 v3, v[1:2]
.LBB39_197:
	s_or_b32 exec_lo, exec_lo, s0
	s_waitcnt lgkmcnt(0)
	s_waitcnt_vscnt null, 0x0
	s_barrier
	buffer_gl0_inv
	s_clause 0x4
	scratch_load_b128 v[85:88], off, off offset:208
	scratch_load_b128 v[89:92], off, off offset:224
	;; [unrolled: 1-line block ×5, first 2 shown]
	v_mov_b32_e32 v1, 0
	ds_load_2addr_b64 v[105:108], v1 offset0:67 offset1:68
	ds_load_2addr_b64 v[109:112], v1 offset0:69 offset1:70
	scratch_load_b128 v[113:116], off, off offset:288
	s_mov_b32 s0, exec_lo
	s_waitcnt vmcnt(5) lgkmcnt(1)
	v_fma_f64 v[87:88], v[87:88], v[105:106], 0
	s_waitcnt vmcnt(4)
	s_delay_alu instid0(VALU_DEP_1) | instskip(SKIP_1) | instid1(VALU_DEP_1)
	v_fma_f64 v[87:88], v[89:90], v[107:108], v[87:88]
	s_waitcnt lgkmcnt(0)
	v_fma_f64 v[91:92], v[91:92], v[109:110], v[87:88]
	scratch_load_b128 v[87:90], off, off offset:304
	s_waitcnt vmcnt(4)
	v_fma_f64 v[109:110], v[93:94], v[111:112], v[91:92]
	ds_load_2addr_b64 v[91:94], v1 offset0:71 offset1:72
	ds_load_2addr_b64 v[105:108], v1 offset0:73 offset1:74
	s_waitcnt lgkmcnt(1)
	v_fma_f64 v[91:92], v[95:96], v[91:92], v[109:110]
	s_waitcnt vmcnt(3)
	s_delay_alu instid0(VALU_DEP_1) | instskip(SKIP_1) | instid1(VALU_DEP_1)
	v_fma_f64 v[91:92], v[97:98], v[93:94], v[91:92]
	s_waitcnt lgkmcnt(0)
	v_fma_f64 v[91:92], v[99:100], v[105:106], v[91:92]
	s_waitcnt vmcnt(2)
	s_delay_alu instid0(VALU_DEP_1)
	v_fma_f64 v[99:100], v[101:102], v[107:108], v[91:92]
	ds_load_2addr_b64 v[91:94], v1 offset0:75 offset1:76
	ds_load_2addr_b64 v[95:98], v1 offset0:77 offset1:78
	s_waitcnt lgkmcnt(1)
	v_fma_f64 v[91:92], v[103:104], v[91:92], v[99:100]
	s_waitcnt vmcnt(1)
	s_delay_alu instid0(VALU_DEP_1) | instskip(SKIP_1) | instid1(VALU_DEP_1)
	v_fma_f64 v[91:92], v[113:114], v[93:94], v[91:92]
	s_waitcnt lgkmcnt(0)
	v_fma_f64 v[91:92], v[115:116], v[95:96], v[91:92]
	s_waitcnt vmcnt(0)
	s_delay_alu instid0(VALU_DEP_1) | instskip(SKIP_3) | instid1(VALU_DEP_1)
	v_fma_f64 v[87:88], v[87:88], v[97:98], v[91:92]
	ds_load_b64 v[91:92], v1 offset:632
	s_waitcnt lgkmcnt(0)
	v_fma_f64 v[87:88], v[89:90], v[91:92], v[87:88]
	v_add_f64 v[85:86], v[85:86], -v[87:88]
	scratch_store_b64 off, v[85:86], off offset:208
	v_cmpx_lt_u32_e32 25, v0
	s_cbranch_execz .LBB39_199
; %bb.198:
	scratch_load_b64 v[85:86], off, off offset:200
	v_mov_b32_e32 v2, v1
	scratch_store_b64 off, v[1:2], off offset:200
	s_waitcnt vmcnt(0)
	ds_store_b64 v3, v[85:86]
.LBB39_199:
	s_or_b32 exec_lo, exec_lo, s0
	s_waitcnt lgkmcnt(0)
	s_waitcnt_vscnt null, 0x0
	s_barrier
	buffer_gl0_inv
	s_clause 0x4
	scratch_load_b128 v[85:88], off, off offset:200
	scratch_load_b128 v[89:92], off, off offset:216
	;; [unrolled: 1-line block ×5, first 2 shown]
	ds_load_b128 v[105:108], v1 offset:528
	ds_load_b128 v[109:112], v1 offset:544
	scratch_load_b128 v[113:116], off, off offset:280
	s_mov_b32 s0, exec_lo
	s_waitcnt vmcnt(5) lgkmcnt(1)
	v_fma_f64 v[87:88], v[87:88], v[105:106], 0
	s_waitcnt vmcnt(4)
	s_delay_alu instid0(VALU_DEP_1) | instskip(SKIP_1) | instid1(VALU_DEP_1)
	v_fma_f64 v[87:88], v[89:90], v[107:108], v[87:88]
	s_waitcnt lgkmcnt(0)
	v_fma_f64 v[91:92], v[91:92], v[109:110], v[87:88]
	scratch_load_b128 v[87:90], off, off offset:296
	s_waitcnt vmcnt(4)
	v_fma_f64 v[109:110], v[93:94], v[111:112], v[91:92]
	ds_load_b128 v[91:94], v1 offset:560
	ds_load_b128 v[105:108], v1 offset:576
	s_waitcnt lgkmcnt(1)
	v_fma_f64 v[91:92], v[95:96], v[91:92], v[109:110]
	scratch_load_b64 v[109:110], off, off offset:312
	s_waitcnt vmcnt(4)
	v_fma_f64 v[91:92], v[97:98], v[93:94], v[91:92]
	s_waitcnt lgkmcnt(0)
	s_delay_alu instid0(VALU_DEP_1) | instskip(SKIP_1) | instid1(VALU_DEP_1)
	v_fma_f64 v[91:92], v[99:100], v[105:106], v[91:92]
	s_waitcnt vmcnt(3)
	v_fma_f64 v[99:100], v[101:102], v[107:108], v[91:92]
	ds_load_b128 v[91:94], v1 offset:592
	ds_load_b128 v[95:98], v1 offset:608
	s_waitcnt lgkmcnt(1)
	v_fma_f64 v[91:92], v[103:104], v[91:92], v[99:100]
	s_waitcnt vmcnt(2)
	s_delay_alu instid0(VALU_DEP_1) | instskip(SKIP_1) | instid1(VALU_DEP_1)
	v_fma_f64 v[91:92], v[113:114], v[93:94], v[91:92]
	s_waitcnt lgkmcnt(0)
	v_fma_f64 v[91:92], v[115:116], v[95:96], v[91:92]
	s_waitcnt vmcnt(1)
	s_delay_alu instid0(VALU_DEP_1) | instskip(SKIP_4) | instid1(VALU_DEP_1)
	v_fma_f64 v[87:88], v[87:88], v[97:98], v[91:92]
	ds_load_b128 v[91:94], v1 offset:624
	s_waitcnt lgkmcnt(0)
	v_fma_f64 v[1:2], v[89:90], v[91:92], v[87:88]
	s_waitcnt vmcnt(0)
	v_fma_f64 v[1:2], v[109:110], v[93:94], v[1:2]
	s_delay_alu instid0(VALU_DEP_1)
	v_add_f64 v[1:2], v[85:86], -v[1:2]
	scratch_store_b64 off, v[1:2], off offset:200
	v_cmpx_lt_u32_e32 24, v0
	s_cbranch_execz .LBB39_201
; %bb.200:
	scratch_load_b64 v[1:2], off, off offset:192
	v_mov_b32_e32 v85, 0
	s_delay_alu instid0(VALU_DEP_1)
	v_mov_b32_e32 v86, v85
	scratch_store_b64 off, v[85:86], off offset:192
	s_waitcnt vmcnt(0)
	ds_store_b64 v3, v[1:2]
.LBB39_201:
	s_or_b32 exec_lo, exec_lo, s0
	s_waitcnt lgkmcnt(0)
	s_waitcnt_vscnt null, 0x0
	s_barrier
	buffer_gl0_inv
	s_clause 0x4
	scratch_load_b128 v[85:88], off, off offset:192
	scratch_load_b128 v[89:92], off, off offset:208
	;; [unrolled: 1-line block ×5, first 2 shown]
	v_mov_b32_e32 v1, 0
	ds_load_2addr_b64 v[105:108], v1 offset0:65 offset1:66
	ds_load_2addr_b64 v[109:112], v1 offset0:67 offset1:68
	scratch_load_b128 v[113:116], off, off offset:272
	s_mov_b32 s0, exec_lo
	s_waitcnt vmcnt(5) lgkmcnt(1)
	v_fma_f64 v[87:88], v[87:88], v[105:106], 0
	s_waitcnt vmcnt(4)
	s_delay_alu instid0(VALU_DEP_1) | instskip(SKIP_1) | instid1(VALU_DEP_1)
	v_fma_f64 v[87:88], v[89:90], v[107:108], v[87:88]
	s_waitcnt lgkmcnt(0)
	v_fma_f64 v[91:92], v[91:92], v[109:110], v[87:88]
	scratch_load_b128 v[87:90], off, off offset:288
	s_waitcnt vmcnt(4)
	v_fma_f64 v[109:110], v[93:94], v[111:112], v[91:92]
	ds_load_2addr_b64 v[91:94], v1 offset0:69 offset1:70
	ds_load_2addr_b64 v[105:108], v1 offset0:71 offset1:72
	s_waitcnt lgkmcnt(1)
	v_fma_f64 v[91:92], v[95:96], v[91:92], v[109:110]
	scratch_load_b128 v[109:112], off, off offset:304
	s_waitcnt vmcnt(4)
	v_fma_f64 v[91:92], v[97:98], v[93:94], v[91:92]
	s_waitcnt lgkmcnt(0)
	s_delay_alu instid0(VALU_DEP_1) | instskip(SKIP_1) | instid1(VALU_DEP_1)
	v_fma_f64 v[91:92], v[99:100], v[105:106], v[91:92]
	s_waitcnt vmcnt(3)
	v_fma_f64 v[99:100], v[101:102], v[107:108], v[91:92]
	ds_load_2addr_b64 v[91:94], v1 offset0:73 offset1:74
	ds_load_2addr_b64 v[95:98], v1 offset0:75 offset1:76
	s_waitcnt lgkmcnt(1)
	v_fma_f64 v[91:92], v[103:104], v[91:92], v[99:100]
	s_waitcnt vmcnt(2)
	s_delay_alu instid0(VALU_DEP_1) | instskip(SKIP_1) | instid1(VALU_DEP_1)
	v_fma_f64 v[91:92], v[113:114], v[93:94], v[91:92]
	s_waitcnt lgkmcnt(0)
	v_fma_f64 v[91:92], v[115:116], v[95:96], v[91:92]
	s_waitcnt vmcnt(1)
	s_delay_alu instid0(VALU_DEP_1)
	v_fma_f64 v[87:88], v[87:88], v[97:98], v[91:92]
	ds_load_2addr_b64 v[91:94], v1 offset0:77 offset1:78
	ds_load_b64 v[95:96], v1 offset:632
	s_waitcnt lgkmcnt(1)
	v_fma_f64 v[87:88], v[89:90], v[91:92], v[87:88]
	s_waitcnt vmcnt(0)
	s_delay_alu instid0(VALU_DEP_1) | instskip(SKIP_1) | instid1(VALU_DEP_1)
	v_fma_f64 v[87:88], v[109:110], v[93:94], v[87:88]
	s_waitcnt lgkmcnt(0)
	v_fma_f64 v[87:88], v[111:112], v[95:96], v[87:88]
	s_delay_alu instid0(VALU_DEP_1)
	v_add_f64 v[85:86], v[85:86], -v[87:88]
	scratch_store_b64 off, v[85:86], off offset:192
	v_cmpx_lt_u32_e32 23, v0
	s_cbranch_execz .LBB39_203
; %bb.202:
	scratch_load_b64 v[85:86], off, off offset:184
	v_mov_b32_e32 v2, v1
	scratch_store_b64 off, v[1:2], off offset:184
	s_waitcnt vmcnt(0)
	ds_store_b64 v3, v[85:86]
.LBB39_203:
	s_or_b32 exec_lo, exec_lo, s0
	s_waitcnt lgkmcnt(0)
	s_waitcnt_vscnt null, 0x0
	s_barrier
	buffer_gl0_inv
	s_clause 0x4
	scratch_load_b128 v[85:88], off, off offset:184
	scratch_load_b128 v[89:92], off, off offset:200
	;; [unrolled: 1-line block ×5, first 2 shown]
	ds_load_b128 v[105:108], v1 offset:512
	ds_load_b128 v[109:112], v1 offset:528
	scratch_load_b128 v[113:116], off, off offset:264
	s_mov_b32 s0, exec_lo
	s_waitcnt vmcnt(5) lgkmcnt(1)
	v_fma_f64 v[87:88], v[87:88], v[105:106], 0
	s_waitcnt vmcnt(4)
	s_delay_alu instid0(VALU_DEP_1) | instskip(SKIP_1) | instid1(VALU_DEP_1)
	v_fma_f64 v[87:88], v[89:90], v[107:108], v[87:88]
	s_waitcnt lgkmcnt(0)
	v_fma_f64 v[91:92], v[91:92], v[109:110], v[87:88]
	scratch_load_b128 v[87:90], off, off offset:280
	s_waitcnt vmcnt(4)
	v_fma_f64 v[109:110], v[93:94], v[111:112], v[91:92]
	ds_load_b128 v[91:94], v1 offset:544
	ds_load_b128 v[105:108], v1 offset:560
	s_waitcnt lgkmcnt(1)
	v_fma_f64 v[91:92], v[95:96], v[91:92], v[109:110]
	scratch_load_b128 v[109:112], off, off offset:296
	s_waitcnt vmcnt(4)
	v_fma_f64 v[91:92], v[97:98], v[93:94], v[91:92]
	s_waitcnt lgkmcnt(0)
	s_delay_alu instid0(VALU_DEP_1)
	v_fma_f64 v[91:92], v[99:100], v[105:106], v[91:92]
	scratch_load_b64 v[99:100], off, off offset:312
	s_waitcnt vmcnt(4)
	v_fma_f64 v[101:102], v[101:102], v[107:108], v[91:92]
	ds_load_b128 v[91:94], v1 offset:576
	ds_load_b128 v[95:98], v1 offset:592
	s_waitcnt lgkmcnt(1)
	v_fma_f64 v[91:92], v[103:104], v[91:92], v[101:102]
	s_waitcnt vmcnt(3)
	s_delay_alu instid0(VALU_DEP_1) | instskip(SKIP_1) | instid1(VALU_DEP_1)
	v_fma_f64 v[91:92], v[113:114], v[93:94], v[91:92]
	s_waitcnt lgkmcnt(0)
	v_fma_f64 v[91:92], v[115:116], v[95:96], v[91:92]
	s_waitcnt vmcnt(2)
	s_delay_alu instid0(VALU_DEP_1)
	v_fma_f64 v[87:88], v[87:88], v[97:98], v[91:92]
	ds_load_b128 v[91:94], v1 offset:608
	ds_load_b128 v[95:98], v1 offset:624
	s_waitcnt lgkmcnt(1)
	v_fma_f64 v[1:2], v[89:90], v[91:92], v[87:88]
	s_waitcnt vmcnt(1)
	s_delay_alu instid0(VALU_DEP_1) | instskip(SKIP_1) | instid1(VALU_DEP_1)
	v_fma_f64 v[1:2], v[109:110], v[93:94], v[1:2]
	s_waitcnt lgkmcnt(0)
	v_fma_f64 v[1:2], v[111:112], v[95:96], v[1:2]
	s_waitcnt vmcnt(0)
	s_delay_alu instid0(VALU_DEP_1) | instskip(NEXT) | instid1(VALU_DEP_1)
	v_fma_f64 v[1:2], v[99:100], v[97:98], v[1:2]
	v_add_f64 v[1:2], v[85:86], -v[1:2]
	scratch_store_b64 off, v[1:2], off offset:184
	v_cmpx_lt_u32_e32 22, v0
	s_cbranch_execz .LBB39_205
; %bb.204:
	scratch_load_b64 v[1:2], off, off offset:176
	v_mov_b32_e32 v85, 0
	s_delay_alu instid0(VALU_DEP_1)
	v_mov_b32_e32 v86, v85
	scratch_store_b64 off, v[85:86], off offset:176
	s_waitcnt vmcnt(0)
	ds_store_b64 v3, v[1:2]
.LBB39_205:
	s_or_b32 exec_lo, exec_lo, s0
	s_waitcnt lgkmcnt(0)
	s_waitcnt_vscnt null, 0x0
	s_barrier
	buffer_gl0_inv
	s_clause 0x4
	scratch_load_b128 v[85:88], off, off offset:176
	scratch_load_b128 v[89:92], off, off offset:192
	;; [unrolled: 1-line block ×5, first 2 shown]
	v_mov_b32_e32 v1, 0
	ds_load_2addr_b64 v[105:108], v1 offset0:63 offset1:64
	ds_load_2addr_b64 v[109:112], v1 offset0:65 offset1:66
	scratch_load_b128 v[113:116], off, off offset:256
	s_mov_b32 s0, exec_lo
	s_waitcnt vmcnt(5) lgkmcnt(1)
	v_fma_f64 v[87:88], v[87:88], v[105:106], 0
	s_waitcnt vmcnt(4)
	s_delay_alu instid0(VALU_DEP_1) | instskip(SKIP_1) | instid1(VALU_DEP_1)
	v_fma_f64 v[87:88], v[89:90], v[107:108], v[87:88]
	s_waitcnt lgkmcnt(0)
	v_fma_f64 v[91:92], v[91:92], v[109:110], v[87:88]
	scratch_load_b128 v[87:90], off, off offset:272
	s_waitcnt vmcnt(4)
	v_fma_f64 v[109:110], v[93:94], v[111:112], v[91:92]
	ds_load_2addr_b64 v[91:94], v1 offset0:67 offset1:68
	ds_load_2addr_b64 v[105:108], v1 offset0:69 offset1:70
	s_waitcnt lgkmcnt(1)
	v_fma_f64 v[91:92], v[95:96], v[91:92], v[109:110]
	scratch_load_b128 v[109:112], off, off offset:288
	s_waitcnt vmcnt(4)
	v_fma_f64 v[91:92], v[97:98], v[93:94], v[91:92]
	s_waitcnt lgkmcnt(0)
	s_delay_alu instid0(VALU_DEP_1)
	v_fma_f64 v[95:96], v[99:100], v[105:106], v[91:92]
	scratch_load_b128 v[91:94], off, off offset:304
	s_waitcnt vmcnt(4)
	v_fma_f64 v[105:106], v[101:102], v[107:108], v[95:96]
	ds_load_2addr_b64 v[95:98], v1 offset0:71 offset1:72
	ds_load_2addr_b64 v[99:102], v1 offset0:73 offset1:74
	s_waitcnt lgkmcnt(1)
	v_fma_f64 v[95:96], v[103:104], v[95:96], v[105:106]
	s_waitcnt vmcnt(3)
	s_delay_alu instid0(VALU_DEP_1) | instskip(SKIP_1) | instid1(VALU_DEP_1)
	v_fma_f64 v[95:96], v[113:114], v[97:98], v[95:96]
	s_waitcnt lgkmcnt(0)
	v_fma_f64 v[95:96], v[115:116], v[99:100], v[95:96]
	s_waitcnt vmcnt(2)
	s_delay_alu instid0(VALU_DEP_1)
	v_fma_f64 v[87:88], v[87:88], v[101:102], v[95:96]
	ds_load_2addr_b64 v[95:98], v1 offset0:75 offset1:76
	ds_load_2addr_b64 v[99:102], v1 offset0:77 offset1:78
	s_waitcnt lgkmcnt(1)
	v_fma_f64 v[87:88], v[89:90], v[95:96], v[87:88]
	ds_load_b64 v[89:90], v1 offset:632
	s_waitcnt vmcnt(1)
	v_fma_f64 v[87:88], v[109:110], v[97:98], v[87:88]
	s_waitcnt lgkmcnt(1)
	s_delay_alu instid0(VALU_DEP_1) | instskip(SKIP_1) | instid1(VALU_DEP_1)
	v_fma_f64 v[87:88], v[111:112], v[99:100], v[87:88]
	s_waitcnt vmcnt(0)
	v_fma_f64 v[87:88], v[91:92], v[101:102], v[87:88]
	s_waitcnt lgkmcnt(0)
	s_delay_alu instid0(VALU_DEP_1) | instskip(NEXT) | instid1(VALU_DEP_1)
	v_fma_f64 v[87:88], v[93:94], v[89:90], v[87:88]
	v_add_f64 v[85:86], v[85:86], -v[87:88]
	scratch_store_b64 off, v[85:86], off offset:176
	v_cmpx_lt_u32_e32 21, v0
	s_cbranch_execz .LBB39_207
; %bb.206:
	scratch_load_b64 v[85:86], off, off offset:168
	v_mov_b32_e32 v2, v1
	scratch_store_b64 off, v[1:2], off offset:168
	s_waitcnt vmcnt(0)
	ds_store_b64 v3, v[85:86]
.LBB39_207:
	s_or_b32 exec_lo, exec_lo, s0
	s_waitcnt lgkmcnt(0)
	s_waitcnt_vscnt null, 0x0
	s_barrier
	buffer_gl0_inv
	s_clause 0x4
	scratch_load_b128 v[85:88], off, off offset:168
	scratch_load_b128 v[89:92], off, off offset:184
	;; [unrolled: 1-line block ×5, first 2 shown]
	ds_load_b128 v[105:108], v1 offset:496
	ds_load_b128 v[109:112], v1 offset:512
	scratch_load_b128 v[113:116], off, off offset:248
	s_mov_b32 s0, exec_lo
	s_waitcnt vmcnt(5) lgkmcnt(1)
	v_fma_f64 v[87:88], v[87:88], v[105:106], 0
	s_waitcnt vmcnt(4)
	s_delay_alu instid0(VALU_DEP_1) | instskip(SKIP_1) | instid1(VALU_DEP_1)
	v_fma_f64 v[87:88], v[89:90], v[107:108], v[87:88]
	s_waitcnt lgkmcnt(0)
	v_fma_f64 v[91:92], v[91:92], v[109:110], v[87:88]
	scratch_load_b128 v[87:90], off, off offset:264
	s_waitcnt vmcnt(4)
	v_fma_f64 v[109:110], v[93:94], v[111:112], v[91:92]
	ds_load_b128 v[91:94], v1 offset:528
	ds_load_b128 v[105:108], v1 offset:544
	s_waitcnt lgkmcnt(1)
	v_fma_f64 v[91:92], v[95:96], v[91:92], v[109:110]
	scratch_load_b128 v[109:112], off, off offset:280
	s_waitcnt vmcnt(4)
	v_fma_f64 v[91:92], v[97:98], v[93:94], v[91:92]
	s_waitcnt lgkmcnt(0)
	s_delay_alu instid0(VALU_DEP_1)
	v_fma_f64 v[95:96], v[99:100], v[105:106], v[91:92]
	scratch_load_b128 v[91:94], off, off offset:296
	s_waitcnt vmcnt(4)
	v_fma_f64 v[105:106], v[101:102], v[107:108], v[95:96]
	ds_load_b128 v[95:98], v1 offset:560
	ds_load_b128 v[99:102], v1 offset:576
	s_waitcnt lgkmcnt(1)
	v_fma_f64 v[95:96], v[103:104], v[95:96], v[105:106]
	scratch_load_b64 v[103:104], off, off offset:312
	s_waitcnt vmcnt(4)
	v_fma_f64 v[95:96], v[113:114], v[97:98], v[95:96]
	s_waitcnt lgkmcnt(0)
	s_delay_alu instid0(VALU_DEP_1) | instskip(SKIP_1) | instid1(VALU_DEP_1)
	v_fma_f64 v[95:96], v[115:116], v[99:100], v[95:96]
	s_waitcnt vmcnt(3)
	v_fma_f64 v[87:88], v[87:88], v[101:102], v[95:96]
	ds_load_b128 v[95:98], v1 offset:592
	ds_load_b128 v[99:102], v1 offset:608
	s_waitcnt lgkmcnt(1)
	v_fma_f64 v[87:88], v[89:90], v[95:96], v[87:88]
	s_waitcnt vmcnt(2)
	s_delay_alu instid0(VALU_DEP_1) | instskip(SKIP_1) | instid1(VALU_DEP_1)
	v_fma_f64 v[87:88], v[109:110], v[97:98], v[87:88]
	s_waitcnt lgkmcnt(0)
	v_fma_f64 v[87:88], v[111:112], v[99:100], v[87:88]
	s_waitcnt vmcnt(1)
	s_delay_alu instid0(VALU_DEP_1) | instskip(SKIP_4) | instid1(VALU_DEP_1)
	v_fma_f64 v[91:92], v[91:92], v[101:102], v[87:88]
	ds_load_b128 v[87:90], v1 offset:624
	s_waitcnt lgkmcnt(0)
	v_fma_f64 v[1:2], v[93:94], v[87:88], v[91:92]
	s_waitcnt vmcnt(0)
	v_fma_f64 v[1:2], v[103:104], v[89:90], v[1:2]
	s_delay_alu instid0(VALU_DEP_1)
	v_add_f64 v[1:2], v[85:86], -v[1:2]
	scratch_store_b64 off, v[1:2], off offset:168
	v_cmpx_lt_u32_e32 20, v0
	s_cbranch_execz .LBB39_209
; %bb.208:
	scratch_load_b64 v[1:2], off, off offset:160
	v_mov_b32_e32 v85, 0
	s_delay_alu instid0(VALU_DEP_1)
	v_mov_b32_e32 v86, v85
	scratch_store_b64 off, v[85:86], off offset:160
	s_waitcnt vmcnt(0)
	ds_store_b64 v3, v[1:2]
.LBB39_209:
	s_or_b32 exec_lo, exec_lo, s0
	s_waitcnt lgkmcnt(0)
	s_waitcnt_vscnt null, 0x0
	s_barrier
	buffer_gl0_inv
	s_clause 0x4
	scratch_load_b128 v[85:88], off, off offset:160
	scratch_load_b128 v[89:92], off, off offset:176
	;; [unrolled: 1-line block ×5, first 2 shown]
	v_mov_b32_e32 v1, 0
	ds_load_2addr_b64 v[105:108], v1 offset0:61 offset1:62
	ds_load_2addr_b64 v[109:112], v1 offset0:63 offset1:64
	scratch_load_b128 v[113:116], off, off offset:240
	s_mov_b32 s0, exec_lo
	s_waitcnt vmcnt(5) lgkmcnt(1)
	v_fma_f64 v[87:88], v[87:88], v[105:106], 0
	s_waitcnt vmcnt(4)
	s_delay_alu instid0(VALU_DEP_1) | instskip(SKIP_1) | instid1(VALU_DEP_1)
	v_fma_f64 v[87:88], v[89:90], v[107:108], v[87:88]
	s_waitcnt lgkmcnt(0)
	v_fma_f64 v[91:92], v[91:92], v[109:110], v[87:88]
	scratch_load_b128 v[87:90], off, off offset:256
	s_waitcnt vmcnt(4)
	v_fma_f64 v[109:110], v[93:94], v[111:112], v[91:92]
	ds_load_2addr_b64 v[91:94], v1 offset0:65 offset1:66
	ds_load_2addr_b64 v[105:108], v1 offset0:67 offset1:68
	s_waitcnt lgkmcnt(1)
	v_fma_f64 v[91:92], v[95:96], v[91:92], v[109:110]
	scratch_load_b128 v[109:112], off, off offset:272
	s_waitcnt vmcnt(4)
	v_fma_f64 v[91:92], v[97:98], v[93:94], v[91:92]
	s_waitcnt lgkmcnt(0)
	s_delay_alu instid0(VALU_DEP_1)
	v_fma_f64 v[95:96], v[99:100], v[105:106], v[91:92]
	scratch_load_b128 v[91:94], off, off offset:288
	s_waitcnt vmcnt(4)
	v_fma_f64 v[105:106], v[101:102], v[107:108], v[95:96]
	ds_load_2addr_b64 v[95:98], v1 offset0:69 offset1:70
	ds_load_2addr_b64 v[99:102], v1 offset0:71 offset1:72
	s_waitcnt lgkmcnt(1)
	v_fma_f64 v[95:96], v[103:104], v[95:96], v[105:106]
	scratch_load_b128 v[103:106], off, off offset:304
	s_waitcnt vmcnt(4)
	v_fma_f64 v[95:96], v[113:114], v[97:98], v[95:96]
	s_waitcnt lgkmcnt(0)
	s_delay_alu instid0(VALU_DEP_1) | instskip(SKIP_1) | instid1(VALU_DEP_1)
	v_fma_f64 v[95:96], v[115:116], v[99:100], v[95:96]
	s_waitcnt vmcnt(3)
	v_fma_f64 v[87:88], v[87:88], v[101:102], v[95:96]
	ds_load_2addr_b64 v[95:98], v1 offset0:73 offset1:74
	ds_load_2addr_b64 v[99:102], v1 offset0:75 offset1:76
	s_waitcnt lgkmcnt(1)
	v_fma_f64 v[87:88], v[89:90], v[95:96], v[87:88]
	s_waitcnt vmcnt(2)
	s_delay_alu instid0(VALU_DEP_1) | instskip(SKIP_1) | instid1(VALU_DEP_1)
	v_fma_f64 v[87:88], v[109:110], v[97:98], v[87:88]
	s_waitcnt lgkmcnt(0)
	v_fma_f64 v[87:88], v[111:112], v[99:100], v[87:88]
	s_waitcnt vmcnt(1)
	s_delay_alu instid0(VALU_DEP_1)
	v_fma_f64 v[91:92], v[91:92], v[101:102], v[87:88]
	ds_load_2addr_b64 v[87:90], v1 offset0:77 offset1:78
	ds_load_b64 v[95:96], v1 offset:632
	s_waitcnt lgkmcnt(1)
	v_fma_f64 v[87:88], v[93:94], v[87:88], v[91:92]
	s_waitcnt vmcnt(0)
	s_delay_alu instid0(VALU_DEP_1) | instskip(SKIP_1) | instid1(VALU_DEP_1)
	v_fma_f64 v[87:88], v[103:104], v[89:90], v[87:88]
	s_waitcnt lgkmcnt(0)
	v_fma_f64 v[87:88], v[105:106], v[95:96], v[87:88]
	s_delay_alu instid0(VALU_DEP_1)
	v_add_f64 v[85:86], v[85:86], -v[87:88]
	scratch_store_b64 off, v[85:86], off offset:160
	v_cmpx_lt_u32_e32 19, v0
	s_cbranch_execz .LBB39_211
; %bb.210:
	scratch_load_b64 v[85:86], off, off offset:152
	v_mov_b32_e32 v2, v1
	scratch_store_b64 off, v[1:2], off offset:152
	s_waitcnt vmcnt(0)
	ds_store_b64 v3, v[85:86]
.LBB39_211:
	s_or_b32 exec_lo, exec_lo, s0
	s_waitcnt lgkmcnt(0)
	s_waitcnt_vscnt null, 0x0
	s_barrier
	buffer_gl0_inv
	s_clause 0x4
	scratch_load_b128 v[85:88], off, off offset:152
	scratch_load_b128 v[89:92], off, off offset:168
	;; [unrolled: 1-line block ×5, first 2 shown]
	ds_load_b128 v[105:108], v1 offset:480
	ds_load_b128 v[109:112], v1 offset:496
	scratch_load_b128 v[113:116], off, off offset:232
	s_mov_b32 s0, exec_lo
	s_waitcnt vmcnt(5) lgkmcnt(1)
	v_fma_f64 v[87:88], v[87:88], v[105:106], 0
	s_waitcnt vmcnt(4)
	s_delay_alu instid0(VALU_DEP_1) | instskip(SKIP_1) | instid1(VALU_DEP_1)
	v_fma_f64 v[87:88], v[89:90], v[107:108], v[87:88]
	s_waitcnt lgkmcnt(0)
	v_fma_f64 v[91:92], v[91:92], v[109:110], v[87:88]
	scratch_load_b128 v[87:90], off, off offset:248
	s_waitcnt vmcnt(4)
	v_fma_f64 v[109:110], v[93:94], v[111:112], v[91:92]
	ds_load_b128 v[91:94], v1 offset:512
	ds_load_b128 v[105:108], v1 offset:528
	s_waitcnt lgkmcnt(1)
	v_fma_f64 v[91:92], v[95:96], v[91:92], v[109:110]
	scratch_load_b128 v[109:112], off, off offset:264
	s_waitcnt vmcnt(4)
	v_fma_f64 v[91:92], v[97:98], v[93:94], v[91:92]
	s_waitcnt lgkmcnt(0)
	s_delay_alu instid0(VALU_DEP_1)
	v_fma_f64 v[95:96], v[99:100], v[105:106], v[91:92]
	scratch_load_b128 v[91:94], off, off offset:280
	s_waitcnt vmcnt(4)
	v_fma_f64 v[105:106], v[101:102], v[107:108], v[95:96]
	ds_load_b128 v[95:98], v1 offset:544
	ds_load_b128 v[99:102], v1 offset:560
	scratch_load_b64 v[107:108], off, off offset:312
	s_waitcnt lgkmcnt(1)
	v_fma_f64 v[95:96], v[103:104], v[95:96], v[105:106]
	scratch_load_b128 v[103:106], off, off offset:296
	s_waitcnt vmcnt(5)
	v_fma_f64 v[95:96], v[113:114], v[97:98], v[95:96]
	s_waitcnt lgkmcnt(0)
	s_delay_alu instid0(VALU_DEP_1) | instskip(SKIP_1) | instid1(VALU_DEP_1)
	v_fma_f64 v[95:96], v[115:116], v[99:100], v[95:96]
	s_waitcnt vmcnt(4)
	v_fma_f64 v[87:88], v[87:88], v[101:102], v[95:96]
	ds_load_b128 v[95:98], v1 offset:576
	ds_load_b128 v[99:102], v1 offset:592
	s_waitcnt lgkmcnt(1)
	v_fma_f64 v[87:88], v[89:90], v[95:96], v[87:88]
	s_waitcnt vmcnt(3)
	s_delay_alu instid0(VALU_DEP_1) | instskip(SKIP_1) | instid1(VALU_DEP_1)
	v_fma_f64 v[87:88], v[109:110], v[97:98], v[87:88]
	s_waitcnt lgkmcnt(0)
	v_fma_f64 v[87:88], v[111:112], v[99:100], v[87:88]
	s_waitcnt vmcnt(2)
	s_delay_alu instid0(VALU_DEP_1)
	v_fma_f64 v[91:92], v[91:92], v[101:102], v[87:88]
	ds_load_b128 v[87:90], v1 offset:608
	ds_load_b128 v[95:98], v1 offset:624
	s_waitcnt lgkmcnt(1)
	v_fma_f64 v[1:2], v[93:94], v[87:88], v[91:92]
	s_waitcnt vmcnt(0)
	s_delay_alu instid0(VALU_DEP_1) | instskip(SKIP_1) | instid1(VALU_DEP_1)
	v_fma_f64 v[1:2], v[103:104], v[89:90], v[1:2]
	s_waitcnt lgkmcnt(0)
	v_fma_f64 v[1:2], v[105:106], v[95:96], v[1:2]
	s_delay_alu instid0(VALU_DEP_1) | instskip(NEXT) | instid1(VALU_DEP_1)
	v_fma_f64 v[1:2], v[107:108], v[97:98], v[1:2]
	v_add_f64 v[1:2], v[85:86], -v[1:2]
	scratch_store_b64 off, v[1:2], off offset:152
	v_cmpx_lt_u32_e32 18, v0
	s_cbranch_execz .LBB39_213
; %bb.212:
	scratch_load_b64 v[1:2], off, off offset:144
	v_mov_b32_e32 v85, 0
	s_delay_alu instid0(VALU_DEP_1)
	v_mov_b32_e32 v86, v85
	scratch_store_b64 off, v[85:86], off offset:144
	s_waitcnt vmcnt(0)
	ds_store_b64 v3, v[1:2]
.LBB39_213:
	s_or_b32 exec_lo, exec_lo, s0
	s_waitcnt lgkmcnt(0)
	s_waitcnt_vscnt null, 0x0
	s_barrier
	buffer_gl0_inv
	s_clause 0x4
	scratch_load_b128 v[85:88], off, off offset:144
	scratch_load_b128 v[89:92], off, off offset:160
	;; [unrolled: 1-line block ×5, first 2 shown]
	v_mov_b32_e32 v1, 0
	ds_load_2addr_b64 v[105:108], v1 offset0:59 offset1:60
	ds_load_2addr_b64 v[109:112], v1 offset0:61 offset1:62
	scratch_load_b128 v[113:116], off, off offset:224
	s_mov_b32 s0, exec_lo
	s_waitcnt vmcnt(5) lgkmcnt(1)
	v_fma_f64 v[87:88], v[87:88], v[105:106], 0
	s_waitcnt vmcnt(4)
	s_delay_alu instid0(VALU_DEP_1) | instskip(SKIP_1) | instid1(VALU_DEP_1)
	v_fma_f64 v[87:88], v[89:90], v[107:108], v[87:88]
	s_waitcnt lgkmcnt(0)
	v_fma_f64 v[91:92], v[91:92], v[109:110], v[87:88]
	scratch_load_b128 v[87:90], off, off offset:240
	s_waitcnt vmcnt(4)
	v_fma_f64 v[109:110], v[93:94], v[111:112], v[91:92]
	ds_load_2addr_b64 v[91:94], v1 offset0:63 offset1:64
	ds_load_2addr_b64 v[105:108], v1 offset0:65 offset1:66
	s_waitcnt lgkmcnt(1)
	v_fma_f64 v[91:92], v[95:96], v[91:92], v[109:110]
	scratch_load_b128 v[109:112], off, off offset:256
	s_waitcnt vmcnt(4)
	v_fma_f64 v[91:92], v[97:98], v[93:94], v[91:92]
	s_waitcnt lgkmcnt(0)
	s_delay_alu instid0(VALU_DEP_1)
	v_fma_f64 v[95:96], v[99:100], v[105:106], v[91:92]
	scratch_load_b128 v[91:94], off, off offset:272
	s_waitcnt vmcnt(4)
	v_fma_f64 v[105:106], v[101:102], v[107:108], v[95:96]
	ds_load_2addr_b64 v[95:98], v1 offset0:67 offset1:68
	ds_load_2addr_b64 v[99:102], v1 offset0:69 offset1:70
	s_waitcnt lgkmcnt(1)
	v_fma_f64 v[95:96], v[103:104], v[95:96], v[105:106]
	scratch_load_b128 v[103:106], off, off offset:288
	s_waitcnt vmcnt(4)
	v_fma_f64 v[95:96], v[113:114], v[97:98], v[95:96]
	s_waitcnt lgkmcnt(0)
	s_delay_alu instid0(VALU_DEP_1)
	v_fma_f64 v[99:100], v[115:116], v[99:100], v[95:96]
	scratch_load_b128 v[95:98], off, off offset:304
	s_waitcnt vmcnt(4)
	v_fma_f64 v[87:88], v[87:88], v[101:102], v[99:100]
	ds_load_2addr_b64 v[99:102], v1 offset0:71 offset1:72
	ds_load_2addr_b64 v[113:116], v1 offset0:73 offset1:74
	s_waitcnt lgkmcnt(1)
	v_fma_f64 v[87:88], v[89:90], v[99:100], v[87:88]
	s_waitcnt vmcnt(3)
	s_delay_alu instid0(VALU_DEP_1) | instskip(SKIP_1) | instid1(VALU_DEP_1)
	v_fma_f64 v[87:88], v[109:110], v[101:102], v[87:88]
	s_waitcnt lgkmcnt(0)
	v_fma_f64 v[87:88], v[111:112], v[113:114], v[87:88]
	s_waitcnt vmcnt(2)
	s_delay_alu instid0(VALU_DEP_1)
	v_fma_f64 v[91:92], v[91:92], v[115:116], v[87:88]
	ds_load_2addr_b64 v[87:90], v1 offset0:75 offset1:76
	ds_load_2addr_b64 v[99:102], v1 offset0:77 offset1:78
	s_waitcnt lgkmcnt(1)
	v_fma_f64 v[87:88], v[93:94], v[87:88], v[91:92]
	s_waitcnt vmcnt(1)
	s_delay_alu instid0(VALU_DEP_1) | instskip(SKIP_4) | instid1(VALU_DEP_1)
	v_fma_f64 v[87:88], v[103:104], v[89:90], v[87:88]
	ds_load_b64 v[89:90], v1 offset:632
	s_waitcnt lgkmcnt(1)
	v_fma_f64 v[87:88], v[105:106], v[99:100], v[87:88]
	s_waitcnt vmcnt(0)
	v_fma_f64 v[87:88], v[95:96], v[101:102], v[87:88]
	s_waitcnt lgkmcnt(0)
	s_delay_alu instid0(VALU_DEP_1) | instskip(NEXT) | instid1(VALU_DEP_1)
	v_fma_f64 v[87:88], v[97:98], v[89:90], v[87:88]
	v_add_f64 v[85:86], v[85:86], -v[87:88]
	scratch_store_b64 off, v[85:86], off offset:144
	v_cmpx_lt_u32_e32 17, v0
	s_cbranch_execz .LBB39_215
; %bb.214:
	scratch_load_b64 v[85:86], off, off offset:136
	v_mov_b32_e32 v2, v1
	scratch_store_b64 off, v[1:2], off offset:136
	s_waitcnt vmcnt(0)
	ds_store_b64 v3, v[85:86]
.LBB39_215:
	s_or_b32 exec_lo, exec_lo, s0
	s_waitcnt lgkmcnt(0)
	s_waitcnt_vscnt null, 0x0
	s_barrier
	buffer_gl0_inv
	s_clause 0x4
	scratch_load_b128 v[85:88], off, off offset:136
	scratch_load_b128 v[89:92], off, off offset:152
	;; [unrolled: 1-line block ×5, first 2 shown]
	ds_load_b128 v[105:108], v1 offset:464
	ds_load_b128 v[109:112], v1 offset:480
	scratch_load_b128 v[113:116], off, off offset:216
	s_mov_b32 s0, exec_lo
	s_waitcnt vmcnt(5) lgkmcnt(1)
	v_fma_f64 v[87:88], v[87:88], v[105:106], 0
	s_waitcnt vmcnt(4)
	s_delay_alu instid0(VALU_DEP_1) | instskip(SKIP_1) | instid1(VALU_DEP_1)
	v_fma_f64 v[87:88], v[89:90], v[107:108], v[87:88]
	s_waitcnt lgkmcnt(0)
	v_fma_f64 v[91:92], v[91:92], v[109:110], v[87:88]
	scratch_load_b128 v[87:90], off, off offset:232
	s_waitcnt vmcnt(4)
	v_fma_f64 v[109:110], v[93:94], v[111:112], v[91:92]
	ds_load_b128 v[91:94], v1 offset:496
	ds_load_b128 v[105:108], v1 offset:512
	s_waitcnt lgkmcnt(1)
	v_fma_f64 v[91:92], v[95:96], v[91:92], v[109:110]
	scratch_load_b128 v[109:112], off, off offset:248
	s_waitcnt vmcnt(4)
	v_fma_f64 v[91:92], v[97:98], v[93:94], v[91:92]
	s_waitcnt lgkmcnt(0)
	s_delay_alu instid0(VALU_DEP_1)
	v_fma_f64 v[95:96], v[99:100], v[105:106], v[91:92]
	scratch_load_b128 v[91:94], off, off offset:264
	s_waitcnt vmcnt(4)
	v_fma_f64 v[105:106], v[101:102], v[107:108], v[95:96]
	ds_load_b128 v[95:98], v1 offset:528
	ds_load_b128 v[99:102], v1 offset:544
	s_waitcnt lgkmcnt(1)
	v_fma_f64 v[95:96], v[103:104], v[95:96], v[105:106]
	scratch_load_b128 v[103:106], off, off offset:280
	s_waitcnt vmcnt(4)
	v_fma_f64 v[95:96], v[113:114], v[97:98], v[95:96]
	s_waitcnt lgkmcnt(0)
	s_delay_alu instid0(VALU_DEP_1)
	v_fma_f64 v[99:100], v[115:116], v[99:100], v[95:96]
	scratch_load_b128 v[95:98], off, off offset:296
	s_waitcnt vmcnt(4)
	v_fma_f64 v[87:88], v[87:88], v[101:102], v[99:100]
	ds_load_b128 v[99:102], v1 offset:560
	ds_load_b128 v[113:116], v1 offset:576
	scratch_load_b64 v[107:108], off, off offset:312
	s_waitcnt lgkmcnt(1)
	v_fma_f64 v[87:88], v[89:90], v[99:100], v[87:88]
	s_waitcnt vmcnt(4)
	s_delay_alu instid0(VALU_DEP_1) | instskip(SKIP_1) | instid1(VALU_DEP_1)
	v_fma_f64 v[87:88], v[109:110], v[101:102], v[87:88]
	s_waitcnt lgkmcnt(0)
	v_fma_f64 v[87:88], v[111:112], v[113:114], v[87:88]
	s_waitcnt vmcnt(3)
	s_delay_alu instid0(VALU_DEP_1)
	v_fma_f64 v[91:92], v[91:92], v[115:116], v[87:88]
	ds_load_b128 v[87:90], v1 offset:592
	ds_load_b128 v[99:102], v1 offset:608
	s_waitcnt lgkmcnt(1)
	v_fma_f64 v[87:88], v[93:94], v[87:88], v[91:92]
	s_waitcnt vmcnt(2)
	s_delay_alu instid0(VALU_DEP_1) | instskip(SKIP_1) | instid1(VALU_DEP_1)
	v_fma_f64 v[87:88], v[103:104], v[89:90], v[87:88]
	s_waitcnt lgkmcnt(0)
	v_fma_f64 v[87:88], v[105:106], v[99:100], v[87:88]
	s_waitcnt vmcnt(1)
	s_delay_alu instid0(VALU_DEP_1) | instskip(SKIP_4) | instid1(VALU_DEP_1)
	v_fma_f64 v[91:92], v[95:96], v[101:102], v[87:88]
	ds_load_b128 v[87:90], v1 offset:624
	s_waitcnt lgkmcnt(0)
	v_fma_f64 v[1:2], v[97:98], v[87:88], v[91:92]
	s_waitcnt vmcnt(0)
	v_fma_f64 v[1:2], v[107:108], v[89:90], v[1:2]
	s_delay_alu instid0(VALU_DEP_1)
	v_add_f64 v[1:2], v[85:86], -v[1:2]
	scratch_store_b64 off, v[1:2], off offset:136
	v_cmpx_lt_u32_e32 16, v0
	s_cbranch_execz .LBB39_217
; %bb.216:
	scratch_load_b64 v[1:2], off, off offset:128
	v_mov_b32_e32 v85, 0
	s_delay_alu instid0(VALU_DEP_1)
	v_mov_b32_e32 v86, v85
	scratch_store_b64 off, v[85:86], off offset:128
	s_waitcnt vmcnt(0)
	ds_store_b64 v3, v[1:2]
.LBB39_217:
	s_or_b32 exec_lo, exec_lo, s0
	s_waitcnt lgkmcnt(0)
	s_waitcnt_vscnt null, 0x0
	s_barrier
	buffer_gl0_inv
	s_clause 0x4
	scratch_load_b128 v[85:88], off, off offset:128
	scratch_load_b128 v[89:92], off, off offset:144
	;; [unrolled: 1-line block ×5, first 2 shown]
	v_mov_b32_e32 v1, 0
	ds_load_2addr_b64 v[105:108], v1 offset0:57 offset1:58
	ds_load_2addr_b64 v[109:112], v1 offset0:59 offset1:60
	scratch_load_b128 v[113:116], off, off offset:208
	s_mov_b32 s0, exec_lo
	s_waitcnt vmcnt(5) lgkmcnt(1)
	v_fma_f64 v[87:88], v[87:88], v[105:106], 0
	s_waitcnt vmcnt(4)
	s_delay_alu instid0(VALU_DEP_1) | instskip(SKIP_1) | instid1(VALU_DEP_1)
	v_fma_f64 v[87:88], v[89:90], v[107:108], v[87:88]
	s_waitcnt lgkmcnt(0)
	v_fma_f64 v[91:92], v[91:92], v[109:110], v[87:88]
	scratch_load_b128 v[87:90], off, off offset:224
	s_waitcnt vmcnt(4)
	v_fma_f64 v[109:110], v[93:94], v[111:112], v[91:92]
	ds_load_2addr_b64 v[91:94], v1 offset0:61 offset1:62
	ds_load_2addr_b64 v[105:108], v1 offset0:63 offset1:64
	s_waitcnt lgkmcnt(1)
	v_fma_f64 v[91:92], v[95:96], v[91:92], v[109:110]
	scratch_load_b128 v[109:112], off, off offset:240
	s_waitcnt vmcnt(4)
	v_fma_f64 v[91:92], v[97:98], v[93:94], v[91:92]
	s_waitcnt lgkmcnt(0)
	s_delay_alu instid0(VALU_DEP_1)
	v_fma_f64 v[95:96], v[99:100], v[105:106], v[91:92]
	scratch_load_b128 v[91:94], off, off offset:256
	s_waitcnt vmcnt(4)
	v_fma_f64 v[105:106], v[101:102], v[107:108], v[95:96]
	ds_load_2addr_b64 v[95:98], v1 offset0:65 offset1:66
	ds_load_2addr_b64 v[99:102], v1 offset0:67 offset1:68
	s_waitcnt lgkmcnt(1)
	v_fma_f64 v[95:96], v[103:104], v[95:96], v[105:106]
	scratch_load_b128 v[103:106], off, off offset:272
	s_waitcnt vmcnt(4)
	v_fma_f64 v[95:96], v[113:114], v[97:98], v[95:96]
	s_waitcnt lgkmcnt(0)
	s_delay_alu instid0(VALU_DEP_1)
	v_fma_f64 v[99:100], v[115:116], v[99:100], v[95:96]
	scratch_load_b128 v[95:98], off, off offset:288
	s_waitcnt vmcnt(4)
	v_fma_f64 v[87:88], v[87:88], v[101:102], v[99:100]
	ds_load_2addr_b64 v[99:102], v1 offset0:69 offset1:70
	ds_load_2addr_b64 v[113:116], v1 offset0:71 offset1:72
	s_waitcnt lgkmcnt(1)
	v_fma_f64 v[99:100], v[89:90], v[99:100], v[87:88]
	scratch_load_b128 v[87:90], off, off offset:304
	s_waitcnt vmcnt(4)
	v_fma_f64 v[99:100], v[109:110], v[101:102], v[99:100]
	s_waitcnt lgkmcnt(0)
	s_delay_alu instid0(VALU_DEP_1) | instskip(SKIP_1) | instid1(VALU_DEP_1)
	v_fma_f64 v[99:100], v[111:112], v[113:114], v[99:100]
	s_waitcnt vmcnt(3)
	v_fma_f64 v[91:92], v[91:92], v[115:116], v[99:100]
	ds_load_2addr_b64 v[99:102], v1 offset0:73 offset1:74
	ds_load_2addr_b64 v[107:110], v1 offset0:75 offset1:76
	s_waitcnt lgkmcnt(1)
	v_fma_f64 v[91:92], v[93:94], v[99:100], v[91:92]
	s_waitcnt vmcnt(2)
	s_delay_alu instid0(VALU_DEP_1) | instskip(SKIP_1) | instid1(VALU_DEP_1)
	v_fma_f64 v[91:92], v[103:104], v[101:102], v[91:92]
	s_waitcnt lgkmcnt(0)
	v_fma_f64 v[91:92], v[105:106], v[107:108], v[91:92]
	s_waitcnt vmcnt(1)
	s_delay_alu instid0(VALU_DEP_1)
	v_fma_f64 v[95:96], v[95:96], v[109:110], v[91:92]
	ds_load_2addr_b64 v[91:94], v1 offset0:77 offset1:78
	ds_load_b64 v[99:100], v1 offset:632
	s_waitcnt lgkmcnt(1)
	v_fma_f64 v[91:92], v[97:98], v[91:92], v[95:96]
	s_waitcnt vmcnt(0)
	s_delay_alu instid0(VALU_DEP_1) | instskip(SKIP_1) | instid1(VALU_DEP_1)
	v_fma_f64 v[87:88], v[87:88], v[93:94], v[91:92]
	s_waitcnt lgkmcnt(0)
	v_fma_f64 v[87:88], v[89:90], v[99:100], v[87:88]
	s_delay_alu instid0(VALU_DEP_1)
	v_add_f64 v[85:86], v[85:86], -v[87:88]
	scratch_store_b64 off, v[85:86], off offset:128
	v_cmpx_lt_u32_e32 15, v0
	s_cbranch_execz .LBB39_219
; %bb.218:
	scratch_load_b64 v[85:86], off, off offset:120
	v_mov_b32_e32 v2, v1
	scratch_store_b64 off, v[1:2], off offset:120
	s_waitcnt vmcnt(0)
	ds_store_b64 v3, v[85:86]
.LBB39_219:
	s_or_b32 exec_lo, exec_lo, s0
	s_waitcnt lgkmcnt(0)
	s_waitcnt_vscnt null, 0x0
	s_barrier
	buffer_gl0_inv
	s_clause 0x4
	scratch_load_b128 v[85:88], off, off offset:120
	scratch_load_b128 v[89:92], off, off offset:136
	;; [unrolled: 1-line block ×5, first 2 shown]
	ds_load_b128 v[105:108], v1 offset:448
	ds_load_b128 v[109:112], v1 offset:464
	scratch_load_b128 v[113:116], off, off offset:200
	s_mov_b32 s0, exec_lo
	s_waitcnt vmcnt(5) lgkmcnt(1)
	v_fma_f64 v[87:88], v[87:88], v[105:106], 0
	s_waitcnt vmcnt(4)
	s_delay_alu instid0(VALU_DEP_1) | instskip(SKIP_1) | instid1(VALU_DEP_1)
	v_fma_f64 v[87:88], v[89:90], v[107:108], v[87:88]
	s_waitcnt lgkmcnt(0)
	v_fma_f64 v[91:92], v[91:92], v[109:110], v[87:88]
	scratch_load_b128 v[87:90], off, off offset:216
	s_waitcnt vmcnt(4)
	v_fma_f64 v[109:110], v[93:94], v[111:112], v[91:92]
	ds_load_b128 v[91:94], v1 offset:480
	ds_load_b128 v[105:108], v1 offset:496
	s_waitcnt lgkmcnt(1)
	v_fma_f64 v[91:92], v[95:96], v[91:92], v[109:110]
	scratch_load_b128 v[109:112], off, off offset:232
	s_waitcnt vmcnt(4)
	v_fma_f64 v[91:92], v[97:98], v[93:94], v[91:92]
	s_waitcnt lgkmcnt(0)
	s_delay_alu instid0(VALU_DEP_1)
	v_fma_f64 v[95:96], v[99:100], v[105:106], v[91:92]
	scratch_load_b128 v[91:94], off, off offset:248
	s_waitcnt vmcnt(4)
	v_fma_f64 v[105:106], v[101:102], v[107:108], v[95:96]
	ds_load_b128 v[95:98], v1 offset:512
	ds_load_b128 v[99:102], v1 offset:528
	s_waitcnt lgkmcnt(1)
	v_fma_f64 v[95:96], v[103:104], v[95:96], v[105:106]
	scratch_load_b128 v[103:106], off, off offset:264
	s_waitcnt vmcnt(4)
	v_fma_f64 v[95:96], v[113:114], v[97:98], v[95:96]
	s_waitcnt lgkmcnt(0)
	s_delay_alu instid0(VALU_DEP_1)
	;; [unrolled: 13-line block ×3, first 2 shown]
	v_fma_f64 v[99:100], v[111:112], v[113:114], v[99:100]
	scratch_load_b64 v[111:112], off, off offset:312
	s_waitcnt vmcnt(4)
	v_fma_f64 v[91:92], v[91:92], v[115:116], v[99:100]
	ds_load_b128 v[99:102], v1 offset:576
	ds_load_b128 v[107:110], v1 offset:592
	s_waitcnt lgkmcnt(1)
	v_fma_f64 v[91:92], v[93:94], v[99:100], v[91:92]
	s_waitcnt vmcnt(3)
	s_delay_alu instid0(VALU_DEP_1) | instskip(SKIP_1) | instid1(VALU_DEP_1)
	v_fma_f64 v[91:92], v[103:104], v[101:102], v[91:92]
	s_waitcnt lgkmcnt(0)
	v_fma_f64 v[91:92], v[105:106], v[107:108], v[91:92]
	s_waitcnt vmcnt(2)
	s_delay_alu instid0(VALU_DEP_1)
	v_fma_f64 v[95:96], v[95:96], v[109:110], v[91:92]
	ds_load_b128 v[91:94], v1 offset:608
	ds_load_b128 v[99:102], v1 offset:624
	s_waitcnt lgkmcnt(1)
	v_fma_f64 v[1:2], v[97:98], v[91:92], v[95:96]
	s_waitcnt vmcnt(1)
	s_delay_alu instid0(VALU_DEP_1) | instskip(SKIP_1) | instid1(VALU_DEP_1)
	v_fma_f64 v[1:2], v[87:88], v[93:94], v[1:2]
	s_waitcnt lgkmcnt(0)
	v_fma_f64 v[1:2], v[89:90], v[99:100], v[1:2]
	s_waitcnt vmcnt(0)
	s_delay_alu instid0(VALU_DEP_1) | instskip(NEXT) | instid1(VALU_DEP_1)
	v_fma_f64 v[1:2], v[111:112], v[101:102], v[1:2]
	v_add_f64 v[1:2], v[85:86], -v[1:2]
	scratch_store_b64 off, v[1:2], off offset:120
	v_cmpx_lt_u32_e32 14, v0
	s_cbranch_execz .LBB39_221
; %bb.220:
	scratch_load_b64 v[1:2], off, off offset:112
	v_mov_b32_e32 v85, 0
	s_delay_alu instid0(VALU_DEP_1)
	v_mov_b32_e32 v86, v85
	scratch_store_b64 off, v[85:86], off offset:112
	s_waitcnt vmcnt(0)
	ds_store_b64 v3, v[1:2]
.LBB39_221:
	s_or_b32 exec_lo, exec_lo, s0
	s_waitcnt lgkmcnt(0)
	s_waitcnt_vscnt null, 0x0
	s_barrier
	buffer_gl0_inv
	s_clause 0x4
	scratch_load_b128 v[85:88], off, off offset:112
	scratch_load_b128 v[89:92], off, off offset:128
	;; [unrolled: 1-line block ×5, first 2 shown]
	v_mov_b32_e32 v1, 0
	ds_load_2addr_b64 v[105:108], v1 offset0:55 offset1:56
	ds_load_2addr_b64 v[109:112], v1 offset0:57 offset1:58
	scratch_load_b128 v[113:116], off, off offset:192
	s_mov_b32 s0, exec_lo
	s_waitcnt vmcnt(5) lgkmcnt(1)
	v_fma_f64 v[87:88], v[87:88], v[105:106], 0
	s_waitcnt vmcnt(4)
	s_delay_alu instid0(VALU_DEP_1) | instskip(SKIP_1) | instid1(VALU_DEP_1)
	v_fma_f64 v[87:88], v[89:90], v[107:108], v[87:88]
	s_waitcnt lgkmcnt(0)
	v_fma_f64 v[91:92], v[91:92], v[109:110], v[87:88]
	scratch_load_b128 v[87:90], off, off offset:208
	s_waitcnt vmcnt(4)
	v_fma_f64 v[109:110], v[93:94], v[111:112], v[91:92]
	ds_load_2addr_b64 v[91:94], v1 offset0:59 offset1:60
	ds_load_2addr_b64 v[105:108], v1 offset0:61 offset1:62
	s_waitcnt lgkmcnt(1)
	v_fma_f64 v[91:92], v[95:96], v[91:92], v[109:110]
	scratch_load_b128 v[109:112], off, off offset:224
	s_waitcnt vmcnt(4)
	v_fma_f64 v[91:92], v[97:98], v[93:94], v[91:92]
	s_waitcnt lgkmcnt(0)
	s_delay_alu instid0(VALU_DEP_1)
	v_fma_f64 v[95:96], v[99:100], v[105:106], v[91:92]
	scratch_load_b128 v[91:94], off, off offset:240
	s_waitcnt vmcnt(4)
	v_fma_f64 v[105:106], v[101:102], v[107:108], v[95:96]
	ds_load_2addr_b64 v[95:98], v1 offset0:63 offset1:64
	ds_load_2addr_b64 v[99:102], v1 offset0:65 offset1:66
	s_waitcnt lgkmcnt(1)
	v_fma_f64 v[95:96], v[103:104], v[95:96], v[105:106]
	scratch_load_b128 v[103:106], off, off offset:256
	s_waitcnt vmcnt(4)
	v_fma_f64 v[95:96], v[113:114], v[97:98], v[95:96]
	s_waitcnt lgkmcnt(0)
	s_delay_alu instid0(VALU_DEP_1)
	;; [unrolled: 13-line block ×3, first 2 shown]
	v_fma_f64 v[107:108], v[111:112], v[113:114], v[99:100]
	scratch_load_b128 v[99:102], off, off offset:304
	s_waitcnt vmcnt(4)
	v_fma_f64 v[91:92], v[91:92], v[115:116], v[107:108]
	ds_load_2addr_b64 v[107:110], v1 offset0:71 offset1:72
	ds_load_2addr_b64 v[111:114], v1 offset0:73 offset1:74
	s_waitcnt lgkmcnt(1)
	v_fma_f64 v[91:92], v[93:94], v[107:108], v[91:92]
	s_waitcnt vmcnt(3)
	s_delay_alu instid0(VALU_DEP_1) | instskip(SKIP_1) | instid1(VALU_DEP_1)
	v_fma_f64 v[91:92], v[103:104], v[109:110], v[91:92]
	s_waitcnt lgkmcnt(0)
	v_fma_f64 v[91:92], v[105:106], v[111:112], v[91:92]
	s_waitcnt vmcnt(2)
	s_delay_alu instid0(VALU_DEP_1)
	v_fma_f64 v[95:96], v[95:96], v[113:114], v[91:92]
	ds_load_2addr_b64 v[91:94], v1 offset0:75 offset1:76
	ds_load_2addr_b64 v[103:106], v1 offset0:77 offset1:78
	s_waitcnt lgkmcnt(1)
	v_fma_f64 v[91:92], v[97:98], v[91:92], v[95:96]
	s_waitcnt vmcnt(1)
	s_delay_alu instid0(VALU_DEP_1) | instskip(SKIP_1) | instid1(VALU_DEP_1)
	v_fma_f64 v[87:88], v[87:88], v[93:94], v[91:92]
	s_waitcnt lgkmcnt(0)
	v_fma_f64 v[87:88], v[89:90], v[103:104], v[87:88]
	ds_load_b64 v[89:90], v1 offset:632
	s_waitcnt vmcnt(0)
	v_fma_f64 v[87:88], v[99:100], v[105:106], v[87:88]
	s_waitcnt lgkmcnt(0)
	s_delay_alu instid0(VALU_DEP_1) | instskip(NEXT) | instid1(VALU_DEP_1)
	v_fma_f64 v[87:88], v[101:102], v[89:90], v[87:88]
	v_add_f64 v[85:86], v[85:86], -v[87:88]
	scratch_store_b64 off, v[85:86], off offset:112
	v_cmpx_lt_u32_e32 13, v0
	s_cbranch_execz .LBB39_223
; %bb.222:
	scratch_load_b64 v[85:86], off, off offset:104
	v_mov_b32_e32 v2, v1
	scratch_store_b64 off, v[1:2], off offset:104
	s_waitcnt vmcnt(0)
	ds_store_b64 v3, v[85:86]
.LBB39_223:
	s_or_b32 exec_lo, exec_lo, s0
	s_waitcnt lgkmcnt(0)
	s_waitcnt_vscnt null, 0x0
	s_barrier
	buffer_gl0_inv
	s_clause 0x4
	scratch_load_b128 v[85:88], off, off offset:104
	scratch_load_b128 v[89:92], off, off offset:120
	;; [unrolled: 1-line block ×5, first 2 shown]
	ds_load_b128 v[105:108], v1 offset:432
	ds_load_b128 v[109:112], v1 offset:448
	scratch_load_b128 v[113:116], off, off offset:184
	s_mov_b32 s0, exec_lo
	s_waitcnt vmcnt(5) lgkmcnt(1)
	v_fma_f64 v[87:88], v[87:88], v[105:106], 0
	s_waitcnt vmcnt(4)
	s_delay_alu instid0(VALU_DEP_1) | instskip(SKIP_1) | instid1(VALU_DEP_1)
	v_fma_f64 v[87:88], v[89:90], v[107:108], v[87:88]
	s_waitcnt lgkmcnt(0)
	v_fma_f64 v[91:92], v[91:92], v[109:110], v[87:88]
	scratch_load_b128 v[87:90], off, off offset:200
	s_waitcnt vmcnt(4)
	v_fma_f64 v[109:110], v[93:94], v[111:112], v[91:92]
	ds_load_b128 v[91:94], v1 offset:464
	ds_load_b128 v[105:108], v1 offset:480
	s_waitcnt lgkmcnt(1)
	v_fma_f64 v[91:92], v[95:96], v[91:92], v[109:110]
	scratch_load_b128 v[109:112], off, off offset:216
	s_waitcnt vmcnt(4)
	v_fma_f64 v[91:92], v[97:98], v[93:94], v[91:92]
	s_waitcnt lgkmcnt(0)
	s_delay_alu instid0(VALU_DEP_1)
	v_fma_f64 v[95:96], v[99:100], v[105:106], v[91:92]
	scratch_load_b128 v[91:94], off, off offset:232
	s_waitcnt vmcnt(4)
	v_fma_f64 v[105:106], v[101:102], v[107:108], v[95:96]
	ds_load_b128 v[95:98], v1 offset:496
	ds_load_b128 v[99:102], v1 offset:512
	s_waitcnt lgkmcnt(1)
	v_fma_f64 v[95:96], v[103:104], v[95:96], v[105:106]
	scratch_load_b128 v[103:106], off, off offset:248
	s_waitcnt vmcnt(4)
	v_fma_f64 v[95:96], v[113:114], v[97:98], v[95:96]
	s_waitcnt lgkmcnt(0)
	s_delay_alu instid0(VALU_DEP_1)
	;; [unrolled: 13-line block ×3, first 2 shown]
	v_fma_f64 v[107:108], v[111:112], v[113:114], v[99:100]
	scratch_load_b128 v[99:102], off, off offset:296
	s_waitcnt vmcnt(4)
	v_fma_f64 v[91:92], v[91:92], v[115:116], v[107:108]
	ds_load_b128 v[107:110], v1 offset:560
	ds_load_b128 v[111:114], v1 offset:576
	s_waitcnt lgkmcnt(1)
	v_fma_f64 v[91:92], v[93:94], v[107:108], v[91:92]
	scratch_load_b64 v[107:108], off, off offset:312
	s_waitcnt vmcnt(4)
	v_fma_f64 v[91:92], v[103:104], v[109:110], v[91:92]
	s_waitcnt lgkmcnt(0)
	s_delay_alu instid0(VALU_DEP_1) | instskip(SKIP_1) | instid1(VALU_DEP_1)
	v_fma_f64 v[91:92], v[105:106], v[111:112], v[91:92]
	s_waitcnt vmcnt(3)
	v_fma_f64 v[95:96], v[95:96], v[113:114], v[91:92]
	ds_load_b128 v[91:94], v1 offset:592
	ds_load_b128 v[103:106], v1 offset:608
	s_waitcnt lgkmcnt(1)
	v_fma_f64 v[91:92], v[97:98], v[91:92], v[95:96]
	s_waitcnt vmcnt(2)
	s_delay_alu instid0(VALU_DEP_1) | instskip(SKIP_1) | instid1(VALU_DEP_1)
	v_fma_f64 v[87:88], v[87:88], v[93:94], v[91:92]
	s_waitcnt lgkmcnt(0)
	v_fma_f64 v[87:88], v[89:90], v[103:104], v[87:88]
	s_waitcnt vmcnt(1)
	s_delay_alu instid0(VALU_DEP_1) | instskip(SKIP_4) | instid1(VALU_DEP_1)
	v_fma_f64 v[91:92], v[99:100], v[105:106], v[87:88]
	ds_load_b128 v[87:90], v1 offset:624
	s_waitcnt lgkmcnt(0)
	v_fma_f64 v[1:2], v[101:102], v[87:88], v[91:92]
	s_waitcnt vmcnt(0)
	v_fma_f64 v[1:2], v[107:108], v[89:90], v[1:2]
	s_delay_alu instid0(VALU_DEP_1)
	v_add_f64 v[1:2], v[85:86], -v[1:2]
	scratch_store_b64 off, v[1:2], off offset:104
	v_cmpx_lt_u32_e32 12, v0
	s_cbranch_execz .LBB39_225
; %bb.224:
	scratch_load_b64 v[1:2], off, off offset:96
	v_mov_b32_e32 v85, 0
	s_delay_alu instid0(VALU_DEP_1)
	v_mov_b32_e32 v86, v85
	scratch_store_b64 off, v[85:86], off offset:96
	s_waitcnt vmcnt(0)
	ds_store_b64 v3, v[1:2]
.LBB39_225:
	s_or_b32 exec_lo, exec_lo, s0
	s_waitcnt lgkmcnt(0)
	s_waitcnt_vscnt null, 0x0
	s_barrier
	buffer_gl0_inv
	s_clause 0x4
	scratch_load_b128 v[85:88], off, off offset:96
	scratch_load_b128 v[89:92], off, off offset:112
	;; [unrolled: 1-line block ×5, first 2 shown]
	v_mov_b32_e32 v1, 0
	ds_load_2addr_b64 v[105:108], v1 offset0:53 offset1:54
	ds_load_2addr_b64 v[109:112], v1 offset0:55 offset1:56
	scratch_load_b128 v[113:116], off, off offset:176
	s_mov_b32 s0, exec_lo
	s_waitcnt vmcnt(5) lgkmcnt(1)
	v_fma_f64 v[87:88], v[87:88], v[105:106], 0
	s_waitcnt vmcnt(4)
	s_delay_alu instid0(VALU_DEP_1) | instskip(SKIP_1) | instid1(VALU_DEP_1)
	v_fma_f64 v[87:88], v[89:90], v[107:108], v[87:88]
	s_waitcnt lgkmcnt(0)
	v_fma_f64 v[91:92], v[91:92], v[109:110], v[87:88]
	scratch_load_b128 v[87:90], off, off offset:192
	s_waitcnt vmcnt(4)
	v_fma_f64 v[109:110], v[93:94], v[111:112], v[91:92]
	ds_load_2addr_b64 v[91:94], v1 offset0:57 offset1:58
	ds_load_2addr_b64 v[105:108], v1 offset0:59 offset1:60
	s_waitcnt lgkmcnt(1)
	v_fma_f64 v[91:92], v[95:96], v[91:92], v[109:110]
	scratch_load_b128 v[109:112], off, off offset:208
	s_waitcnt vmcnt(4)
	v_fma_f64 v[91:92], v[97:98], v[93:94], v[91:92]
	s_waitcnt lgkmcnt(0)
	s_delay_alu instid0(VALU_DEP_1)
	v_fma_f64 v[95:96], v[99:100], v[105:106], v[91:92]
	scratch_load_b128 v[91:94], off, off offset:224
	s_waitcnt vmcnt(4)
	v_fma_f64 v[105:106], v[101:102], v[107:108], v[95:96]
	ds_load_2addr_b64 v[95:98], v1 offset0:61 offset1:62
	ds_load_2addr_b64 v[99:102], v1 offset0:63 offset1:64
	s_waitcnt lgkmcnt(1)
	v_fma_f64 v[95:96], v[103:104], v[95:96], v[105:106]
	scratch_load_b128 v[103:106], off, off offset:240
	s_waitcnt vmcnt(4)
	v_fma_f64 v[95:96], v[113:114], v[97:98], v[95:96]
	s_waitcnt lgkmcnt(0)
	s_delay_alu instid0(VALU_DEP_1)
	;; [unrolled: 13-line block ×3, first 2 shown]
	v_fma_f64 v[107:108], v[111:112], v[113:114], v[99:100]
	scratch_load_b128 v[99:102], off, off offset:288
	s_waitcnt vmcnt(4)
	v_fma_f64 v[91:92], v[91:92], v[115:116], v[107:108]
	ds_load_2addr_b64 v[107:110], v1 offset0:69 offset1:70
	ds_load_2addr_b64 v[111:114], v1 offset0:71 offset1:72
	s_waitcnt lgkmcnt(1)
	v_fma_f64 v[107:108], v[93:94], v[107:108], v[91:92]
	scratch_load_b128 v[91:94], off, off offset:304
	s_waitcnt vmcnt(4)
	v_fma_f64 v[103:104], v[103:104], v[109:110], v[107:108]
	s_waitcnt lgkmcnt(0)
	s_delay_alu instid0(VALU_DEP_1) | instskip(SKIP_1) | instid1(VALU_DEP_1)
	v_fma_f64 v[103:104], v[105:106], v[111:112], v[103:104]
	s_waitcnt vmcnt(3)
	v_fma_f64 v[95:96], v[95:96], v[113:114], v[103:104]
	ds_load_2addr_b64 v[103:106], v1 offset0:73 offset1:74
	ds_load_2addr_b64 v[107:110], v1 offset0:75 offset1:76
	s_waitcnt lgkmcnt(1)
	v_fma_f64 v[95:96], v[97:98], v[103:104], v[95:96]
	s_waitcnt vmcnt(2)
	s_delay_alu instid0(VALU_DEP_1) | instskip(SKIP_1) | instid1(VALU_DEP_1)
	v_fma_f64 v[87:88], v[87:88], v[105:106], v[95:96]
	s_waitcnt lgkmcnt(0)
	v_fma_f64 v[87:88], v[89:90], v[107:108], v[87:88]
	s_waitcnt vmcnt(1)
	s_delay_alu instid0(VALU_DEP_1)
	v_fma_f64 v[95:96], v[99:100], v[109:110], v[87:88]
	ds_load_2addr_b64 v[87:90], v1 offset0:77 offset1:78
	ds_load_b64 v[97:98], v1 offset:632
	s_waitcnt lgkmcnt(1)
	v_fma_f64 v[87:88], v[101:102], v[87:88], v[95:96]
	s_waitcnt vmcnt(0)
	s_delay_alu instid0(VALU_DEP_1) | instskip(SKIP_1) | instid1(VALU_DEP_1)
	v_fma_f64 v[87:88], v[91:92], v[89:90], v[87:88]
	s_waitcnt lgkmcnt(0)
	v_fma_f64 v[87:88], v[93:94], v[97:98], v[87:88]
	s_delay_alu instid0(VALU_DEP_1)
	v_add_f64 v[85:86], v[85:86], -v[87:88]
	scratch_store_b64 off, v[85:86], off offset:96
	v_cmpx_lt_u32_e32 11, v0
	s_cbranch_execz .LBB39_227
; %bb.226:
	scratch_load_b64 v[85:86], off, off offset:88
	v_mov_b32_e32 v2, v1
	scratch_store_b64 off, v[1:2], off offset:88
	s_waitcnt vmcnt(0)
	ds_store_b64 v3, v[85:86]
.LBB39_227:
	s_or_b32 exec_lo, exec_lo, s0
	s_waitcnt lgkmcnt(0)
	s_waitcnt_vscnt null, 0x0
	s_barrier
	buffer_gl0_inv
	s_clause 0x4
	scratch_load_b128 v[85:88], off, off offset:88
	scratch_load_b128 v[89:92], off, off offset:104
	;; [unrolled: 1-line block ×5, first 2 shown]
	ds_load_b128 v[105:108], v1 offset:416
	ds_load_b128 v[109:112], v1 offset:432
	scratch_load_b128 v[113:116], off, off offset:168
	s_mov_b32 s0, exec_lo
	s_waitcnt vmcnt(5) lgkmcnt(1)
	v_fma_f64 v[87:88], v[87:88], v[105:106], 0
	s_waitcnt vmcnt(4)
	s_delay_alu instid0(VALU_DEP_1) | instskip(SKIP_1) | instid1(VALU_DEP_1)
	v_fma_f64 v[87:88], v[89:90], v[107:108], v[87:88]
	s_waitcnt lgkmcnt(0)
	v_fma_f64 v[91:92], v[91:92], v[109:110], v[87:88]
	scratch_load_b128 v[87:90], off, off offset:184
	s_waitcnt vmcnt(4)
	v_fma_f64 v[109:110], v[93:94], v[111:112], v[91:92]
	ds_load_b128 v[91:94], v1 offset:448
	ds_load_b128 v[105:108], v1 offset:464
	s_waitcnt lgkmcnt(1)
	v_fma_f64 v[91:92], v[95:96], v[91:92], v[109:110]
	scratch_load_b128 v[109:112], off, off offset:200
	s_waitcnt vmcnt(4)
	v_fma_f64 v[91:92], v[97:98], v[93:94], v[91:92]
	s_waitcnt lgkmcnt(0)
	s_delay_alu instid0(VALU_DEP_1)
	v_fma_f64 v[95:96], v[99:100], v[105:106], v[91:92]
	scratch_load_b128 v[91:94], off, off offset:216
	s_waitcnt vmcnt(4)
	v_fma_f64 v[105:106], v[101:102], v[107:108], v[95:96]
	ds_load_b128 v[95:98], v1 offset:480
	ds_load_b128 v[99:102], v1 offset:496
	s_waitcnt lgkmcnt(1)
	v_fma_f64 v[95:96], v[103:104], v[95:96], v[105:106]
	scratch_load_b128 v[103:106], off, off offset:232
	s_waitcnt vmcnt(4)
	v_fma_f64 v[95:96], v[113:114], v[97:98], v[95:96]
	s_waitcnt lgkmcnt(0)
	s_delay_alu instid0(VALU_DEP_1)
	;; [unrolled: 13-line block ×4, first 2 shown]
	v_fma_f64 v[103:104], v[105:106], v[111:112], v[103:104]
	scratch_load_b64 v[111:112], off, off offset:312
	s_waitcnt vmcnt(4)
	v_fma_f64 v[95:96], v[95:96], v[113:114], v[103:104]
	ds_load_b128 v[103:106], v1 offset:576
	ds_load_b128 v[107:110], v1 offset:592
	s_waitcnt lgkmcnt(1)
	v_fma_f64 v[95:96], v[97:98], v[103:104], v[95:96]
	s_waitcnt vmcnt(3)
	s_delay_alu instid0(VALU_DEP_1) | instskip(SKIP_1) | instid1(VALU_DEP_1)
	v_fma_f64 v[87:88], v[87:88], v[105:106], v[95:96]
	s_waitcnt lgkmcnt(0)
	v_fma_f64 v[87:88], v[89:90], v[107:108], v[87:88]
	s_waitcnt vmcnt(2)
	s_delay_alu instid0(VALU_DEP_1)
	v_fma_f64 v[99:100], v[99:100], v[109:110], v[87:88]
	ds_load_b128 v[87:90], v1 offset:608
	ds_load_b128 v[95:98], v1 offset:624
	s_waitcnt lgkmcnt(1)
	v_fma_f64 v[1:2], v[101:102], v[87:88], v[99:100]
	s_waitcnt vmcnt(1)
	s_delay_alu instid0(VALU_DEP_1) | instskip(SKIP_1) | instid1(VALU_DEP_1)
	v_fma_f64 v[1:2], v[91:92], v[89:90], v[1:2]
	s_waitcnt lgkmcnt(0)
	v_fma_f64 v[1:2], v[93:94], v[95:96], v[1:2]
	s_waitcnt vmcnt(0)
	s_delay_alu instid0(VALU_DEP_1) | instskip(NEXT) | instid1(VALU_DEP_1)
	v_fma_f64 v[1:2], v[111:112], v[97:98], v[1:2]
	v_add_f64 v[1:2], v[85:86], -v[1:2]
	scratch_store_b64 off, v[1:2], off offset:88
	v_cmpx_lt_u32_e32 10, v0
	s_cbranch_execz .LBB39_229
; %bb.228:
	scratch_load_b64 v[1:2], off, off offset:80
	v_mov_b32_e32 v85, 0
	s_delay_alu instid0(VALU_DEP_1)
	v_mov_b32_e32 v86, v85
	scratch_store_b64 off, v[85:86], off offset:80
	s_waitcnt vmcnt(0)
	ds_store_b64 v3, v[1:2]
.LBB39_229:
	s_or_b32 exec_lo, exec_lo, s0
	s_waitcnt lgkmcnt(0)
	s_waitcnt_vscnt null, 0x0
	s_barrier
	buffer_gl0_inv
	s_clause 0x4
	scratch_load_b128 v[85:88], off, off offset:80
	scratch_load_b128 v[89:92], off, off offset:96
	scratch_load_b128 v[93:96], off, off offset:112
	scratch_load_b128 v[97:100], off, off offset:128
	scratch_load_b128 v[101:104], off, off offset:144
	v_mov_b32_e32 v1, 0
	ds_load_2addr_b64 v[105:108], v1 offset0:51 offset1:52
	ds_load_2addr_b64 v[109:112], v1 offset0:53 offset1:54
	scratch_load_b128 v[113:116], off, off offset:160
	s_mov_b32 s0, exec_lo
	s_waitcnt vmcnt(5) lgkmcnt(1)
	v_fma_f64 v[87:88], v[87:88], v[105:106], 0
	s_waitcnt vmcnt(4)
	s_delay_alu instid0(VALU_DEP_1) | instskip(SKIP_1) | instid1(VALU_DEP_1)
	v_fma_f64 v[87:88], v[89:90], v[107:108], v[87:88]
	s_waitcnt lgkmcnt(0)
	v_fma_f64 v[91:92], v[91:92], v[109:110], v[87:88]
	scratch_load_b128 v[87:90], off, off offset:176
	s_waitcnt vmcnt(4)
	v_fma_f64 v[109:110], v[93:94], v[111:112], v[91:92]
	ds_load_2addr_b64 v[91:94], v1 offset0:55 offset1:56
	ds_load_2addr_b64 v[105:108], v1 offset0:57 offset1:58
	s_waitcnt lgkmcnt(1)
	v_fma_f64 v[91:92], v[95:96], v[91:92], v[109:110]
	scratch_load_b128 v[109:112], off, off offset:192
	s_waitcnt vmcnt(4)
	v_fma_f64 v[91:92], v[97:98], v[93:94], v[91:92]
	s_waitcnt lgkmcnt(0)
	s_delay_alu instid0(VALU_DEP_1)
	v_fma_f64 v[95:96], v[99:100], v[105:106], v[91:92]
	scratch_load_b128 v[91:94], off, off offset:208
	s_waitcnt vmcnt(4)
	v_fma_f64 v[105:106], v[101:102], v[107:108], v[95:96]
	ds_load_2addr_b64 v[95:98], v1 offset0:59 offset1:60
	ds_load_2addr_b64 v[99:102], v1 offset0:61 offset1:62
	s_waitcnt lgkmcnt(1)
	v_fma_f64 v[95:96], v[103:104], v[95:96], v[105:106]
	scratch_load_b128 v[103:106], off, off offset:224
	s_waitcnt vmcnt(4)
	v_fma_f64 v[95:96], v[113:114], v[97:98], v[95:96]
	s_waitcnt lgkmcnt(0)
	s_delay_alu instid0(VALU_DEP_1)
	;; [unrolled: 13-line block ×4, first 2 shown]
	v_fma_f64 v[107:108], v[105:106], v[111:112], v[103:104]
	scratch_load_b128 v[103:106], off, off offset:304
	s_waitcnt vmcnt(4)
	v_fma_f64 v[95:96], v[95:96], v[113:114], v[107:108]
	ds_load_2addr_b64 v[107:110], v1 offset0:71 offset1:72
	ds_load_2addr_b64 v[111:114], v1 offset0:73 offset1:74
	s_waitcnt lgkmcnt(1)
	v_fma_f64 v[95:96], v[97:98], v[107:108], v[95:96]
	s_waitcnt vmcnt(3)
	s_delay_alu instid0(VALU_DEP_1) | instskip(SKIP_1) | instid1(VALU_DEP_1)
	v_fma_f64 v[87:88], v[87:88], v[109:110], v[95:96]
	s_waitcnt lgkmcnt(0)
	v_fma_f64 v[87:88], v[89:90], v[111:112], v[87:88]
	s_waitcnt vmcnt(2)
	s_delay_alu instid0(VALU_DEP_1)
	v_fma_f64 v[99:100], v[99:100], v[113:114], v[87:88]
	ds_load_2addr_b64 v[87:90], v1 offset0:75 offset1:76
	ds_load_2addr_b64 v[95:98], v1 offset0:77 offset1:78
	s_waitcnt lgkmcnt(1)
	v_fma_f64 v[87:88], v[101:102], v[87:88], v[99:100]
	s_waitcnt vmcnt(1)
	s_delay_alu instid0(VALU_DEP_1) | instskip(SKIP_4) | instid1(VALU_DEP_1)
	v_fma_f64 v[87:88], v[91:92], v[89:90], v[87:88]
	ds_load_b64 v[89:90], v1 offset:632
	s_waitcnt lgkmcnt(1)
	v_fma_f64 v[87:88], v[93:94], v[95:96], v[87:88]
	s_waitcnt vmcnt(0)
	v_fma_f64 v[87:88], v[103:104], v[97:98], v[87:88]
	s_waitcnt lgkmcnt(0)
	s_delay_alu instid0(VALU_DEP_1) | instskip(NEXT) | instid1(VALU_DEP_1)
	v_fma_f64 v[87:88], v[105:106], v[89:90], v[87:88]
	v_add_f64 v[85:86], v[85:86], -v[87:88]
	scratch_store_b64 off, v[85:86], off offset:80
	v_cmpx_lt_u32_e32 9, v0
	s_cbranch_execz .LBB39_231
; %bb.230:
	scratch_load_b64 v[85:86], off, off offset:72
	v_mov_b32_e32 v2, v1
	scratch_store_b64 off, v[1:2], off offset:72
	s_waitcnt vmcnt(0)
	ds_store_b64 v3, v[85:86]
.LBB39_231:
	s_or_b32 exec_lo, exec_lo, s0
	s_waitcnt lgkmcnt(0)
	s_waitcnt_vscnt null, 0x0
	s_barrier
	buffer_gl0_inv
	s_clause 0x4
	scratch_load_b128 v[85:88], off, off offset:72
	scratch_load_b128 v[89:92], off, off offset:88
	scratch_load_b128 v[93:96], off, off offset:104
	scratch_load_b128 v[97:100], off, off offset:120
	scratch_load_b128 v[101:104], off, off offset:136
	ds_load_b128 v[105:108], v1 offset:400
	ds_load_b128 v[109:112], v1 offset:416
	scratch_load_b128 v[113:116], off, off offset:152
	s_mov_b32 s0, exec_lo
	s_waitcnt vmcnt(5) lgkmcnt(1)
	v_fma_f64 v[87:88], v[87:88], v[105:106], 0
	s_waitcnt vmcnt(4)
	s_delay_alu instid0(VALU_DEP_1) | instskip(SKIP_1) | instid1(VALU_DEP_1)
	v_fma_f64 v[87:88], v[89:90], v[107:108], v[87:88]
	s_waitcnt lgkmcnt(0)
	v_fma_f64 v[91:92], v[91:92], v[109:110], v[87:88]
	scratch_load_b128 v[87:90], off, off offset:168
	s_waitcnt vmcnt(4)
	v_fma_f64 v[109:110], v[93:94], v[111:112], v[91:92]
	ds_load_b128 v[91:94], v1 offset:432
	ds_load_b128 v[105:108], v1 offset:448
	s_waitcnt lgkmcnt(1)
	v_fma_f64 v[91:92], v[95:96], v[91:92], v[109:110]
	scratch_load_b128 v[109:112], off, off offset:184
	s_waitcnt vmcnt(4)
	v_fma_f64 v[91:92], v[97:98], v[93:94], v[91:92]
	s_waitcnt lgkmcnt(0)
	s_delay_alu instid0(VALU_DEP_1)
	v_fma_f64 v[95:96], v[99:100], v[105:106], v[91:92]
	scratch_load_b128 v[91:94], off, off offset:200
	s_waitcnt vmcnt(4)
	v_fma_f64 v[105:106], v[101:102], v[107:108], v[95:96]
	ds_load_b128 v[95:98], v1 offset:464
	ds_load_b128 v[99:102], v1 offset:480
	s_waitcnt lgkmcnt(1)
	v_fma_f64 v[95:96], v[103:104], v[95:96], v[105:106]
	scratch_load_b128 v[103:106], off, off offset:216
	s_waitcnt vmcnt(4)
	v_fma_f64 v[95:96], v[113:114], v[97:98], v[95:96]
	s_waitcnt lgkmcnt(0)
	s_delay_alu instid0(VALU_DEP_1)
	;; [unrolled: 13-line block ×4, first 2 shown]
	v_fma_f64 v[107:108], v[105:106], v[111:112], v[103:104]
	scratch_load_b128 v[103:106], off, off offset:296
	s_waitcnt vmcnt(4)
	v_fma_f64 v[95:96], v[95:96], v[113:114], v[107:108]
	ds_load_b128 v[107:110], v1 offset:560
	ds_load_b128 v[111:114], v1 offset:576
	s_waitcnt lgkmcnt(1)
	v_fma_f64 v[95:96], v[97:98], v[107:108], v[95:96]
	scratch_load_b64 v[107:108], off, off offset:312
	s_waitcnt vmcnt(4)
	v_fma_f64 v[87:88], v[87:88], v[109:110], v[95:96]
	s_waitcnt lgkmcnt(0)
	s_delay_alu instid0(VALU_DEP_1) | instskip(SKIP_1) | instid1(VALU_DEP_1)
	v_fma_f64 v[87:88], v[89:90], v[111:112], v[87:88]
	s_waitcnt vmcnt(3)
	v_fma_f64 v[99:100], v[99:100], v[113:114], v[87:88]
	ds_load_b128 v[87:90], v1 offset:592
	ds_load_b128 v[95:98], v1 offset:608
	s_waitcnt lgkmcnt(1)
	v_fma_f64 v[87:88], v[101:102], v[87:88], v[99:100]
	s_waitcnt vmcnt(2)
	s_delay_alu instid0(VALU_DEP_1) | instskip(SKIP_1) | instid1(VALU_DEP_1)
	v_fma_f64 v[87:88], v[91:92], v[89:90], v[87:88]
	s_waitcnt lgkmcnt(0)
	v_fma_f64 v[87:88], v[93:94], v[95:96], v[87:88]
	s_waitcnt vmcnt(1)
	s_delay_alu instid0(VALU_DEP_1) | instskip(SKIP_4) | instid1(VALU_DEP_1)
	v_fma_f64 v[91:92], v[103:104], v[97:98], v[87:88]
	ds_load_b128 v[87:90], v1 offset:624
	s_waitcnt lgkmcnt(0)
	v_fma_f64 v[1:2], v[105:106], v[87:88], v[91:92]
	s_waitcnt vmcnt(0)
	v_fma_f64 v[1:2], v[107:108], v[89:90], v[1:2]
	s_delay_alu instid0(VALU_DEP_1)
	v_add_f64 v[1:2], v[85:86], -v[1:2]
	scratch_store_b64 off, v[1:2], off offset:72
	v_cmpx_lt_u32_e32 8, v0
	s_cbranch_execz .LBB39_233
; %bb.232:
	scratch_load_b64 v[1:2], off, off offset:64
	v_mov_b32_e32 v85, 0
	s_delay_alu instid0(VALU_DEP_1)
	v_mov_b32_e32 v86, v85
	scratch_store_b64 off, v[85:86], off offset:64
	s_waitcnt vmcnt(0)
	ds_store_b64 v3, v[1:2]
.LBB39_233:
	s_or_b32 exec_lo, exec_lo, s0
	s_waitcnt lgkmcnt(0)
	s_waitcnt_vscnt null, 0x0
	s_barrier
	buffer_gl0_inv
	s_clause 0x4
	scratch_load_b128 v[85:88], off, off offset:64
	scratch_load_b128 v[89:92], off, off offset:80
	;; [unrolled: 1-line block ×5, first 2 shown]
	v_mov_b32_e32 v1, 0
	ds_load_2addr_b64 v[105:108], v1 offset0:49 offset1:50
	ds_load_2addr_b64 v[109:112], v1 offset0:51 offset1:52
	scratch_load_b128 v[113:116], off, off offset:144
	s_mov_b32 s0, exec_lo
	s_waitcnt vmcnt(5) lgkmcnt(1)
	v_fma_f64 v[87:88], v[87:88], v[105:106], 0
	s_waitcnt vmcnt(4)
	s_delay_alu instid0(VALU_DEP_1) | instskip(SKIP_1) | instid1(VALU_DEP_1)
	v_fma_f64 v[87:88], v[89:90], v[107:108], v[87:88]
	s_waitcnt lgkmcnt(0)
	v_fma_f64 v[91:92], v[91:92], v[109:110], v[87:88]
	scratch_load_b128 v[87:90], off, off offset:160
	s_waitcnt vmcnt(4)
	v_fma_f64 v[109:110], v[93:94], v[111:112], v[91:92]
	ds_load_2addr_b64 v[91:94], v1 offset0:53 offset1:54
	ds_load_2addr_b64 v[105:108], v1 offset0:55 offset1:56
	s_waitcnt lgkmcnt(1)
	v_fma_f64 v[91:92], v[95:96], v[91:92], v[109:110]
	scratch_load_b128 v[109:112], off, off offset:176
	s_waitcnt vmcnt(4)
	v_fma_f64 v[91:92], v[97:98], v[93:94], v[91:92]
	s_waitcnt lgkmcnt(0)
	s_delay_alu instid0(VALU_DEP_1)
	v_fma_f64 v[95:96], v[99:100], v[105:106], v[91:92]
	scratch_load_b128 v[91:94], off, off offset:192
	s_waitcnt vmcnt(4)
	v_fma_f64 v[105:106], v[101:102], v[107:108], v[95:96]
	ds_load_2addr_b64 v[95:98], v1 offset0:57 offset1:58
	ds_load_2addr_b64 v[99:102], v1 offset0:59 offset1:60
	s_waitcnt lgkmcnt(1)
	v_fma_f64 v[95:96], v[103:104], v[95:96], v[105:106]
	scratch_load_b128 v[103:106], off, off offset:208
	s_waitcnt vmcnt(4)
	v_fma_f64 v[95:96], v[113:114], v[97:98], v[95:96]
	s_waitcnt lgkmcnt(0)
	s_delay_alu instid0(VALU_DEP_1)
	;; [unrolled: 13-line block ×4, first 2 shown]
	v_fma_f64 v[107:108], v[105:106], v[111:112], v[103:104]
	scratch_load_b128 v[103:106], off, off offset:288
	s_waitcnt vmcnt(4)
	v_fma_f64 v[95:96], v[95:96], v[113:114], v[107:108]
	ds_load_2addr_b64 v[107:110], v1 offset0:69 offset1:70
	ds_load_2addr_b64 v[111:114], v1 offset0:71 offset1:72
	s_waitcnt lgkmcnt(1)
	v_fma_f64 v[107:108], v[97:98], v[107:108], v[95:96]
	scratch_load_b128 v[95:98], off, off offset:304
	s_waitcnt vmcnt(4)
	v_fma_f64 v[87:88], v[87:88], v[109:110], v[107:108]
	s_waitcnt lgkmcnt(0)
	s_delay_alu instid0(VALU_DEP_1) | instskip(SKIP_1) | instid1(VALU_DEP_1)
	v_fma_f64 v[87:88], v[89:90], v[111:112], v[87:88]
	s_waitcnt vmcnt(3)
	v_fma_f64 v[99:100], v[99:100], v[113:114], v[87:88]
	ds_load_2addr_b64 v[87:90], v1 offset0:73 offset1:74
	ds_load_2addr_b64 v[107:110], v1 offset0:75 offset1:76
	s_waitcnt lgkmcnt(1)
	v_fma_f64 v[87:88], v[101:102], v[87:88], v[99:100]
	s_waitcnt vmcnt(2)
	s_delay_alu instid0(VALU_DEP_1) | instskip(SKIP_1) | instid1(VALU_DEP_1)
	v_fma_f64 v[87:88], v[91:92], v[89:90], v[87:88]
	s_waitcnt lgkmcnt(0)
	v_fma_f64 v[87:88], v[93:94], v[107:108], v[87:88]
	s_waitcnt vmcnt(1)
	s_delay_alu instid0(VALU_DEP_1)
	v_fma_f64 v[91:92], v[103:104], v[109:110], v[87:88]
	ds_load_2addr_b64 v[87:90], v1 offset0:77 offset1:78
	ds_load_b64 v[93:94], v1 offset:632
	s_waitcnt lgkmcnt(1)
	v_fma_f64 v[87:88], v[105:106], v[87:88], v[91:92]
	s_waitcnt vmcnt(0)
	s_delay_alu instid0(VALU_DEP_1) | instskip(SKIP_1) | instid1(VALU_DEP_1)
	v_fma_f64 v[87:88], v[95:96], v[89:90], v[87:88]
	s_waitcnt lgkmcnt(0)
	v_fma_f64 v[87:88], v[97:98], v[93:94], v[87:88]
	s_delay_alu instid0(VALU_DEP_1)
	v_add_f64 v[85:86], v[85:86], -v[87:88]
	scratch_store_b64 off, v[85:86], off offset:64
	v_cmpx_lt_u32_e32 7, v0
	s_cbranch_execz .LBB39_235
; %bb.234:
	scratch_load_b64 v[85:86], off, off offset:56
	v_mov_b32_e32 v2, v1
	scratch_store_b64 off, v[1:2], off offset:56
	s_waitcnt vmcnt(0)
	ds_store_b64 v3, v[85:86]
.LBB39_235:
	s_or_b32 exec_lo, exec_lo, s0
	s_waitcnt lgkmcnt(0)
	s_waitcnt_vscnt null, 0x0
	s_barrier
	buffer_gl0_inv
	s_clause 0x4
	scratch_load_b128 v[85:88], off, off offset:56
	scratch_load_b128 v[89:92], off, off offset:72
	;; [unrolled: 1-line block ×5, first 2 shown]
	ds_load_b128 v[105:108], v1 offset:384
	ds_load_b128 v[109:112], v1 offset:400
	scratch_load_b128 v[113:116], off, off offset:136
	s_mov_b32 s0, exec_lo
	s_waitcnt vmcnt(5) lgkmcnt(1)
	v_fma_f64 v[87:88], v[87:88], v[105:106], 0
	s_waitcnt vmcnt(4)
	s_delay_alu instid0(VALU_DEP_1) | instskip(SKIP_1) | instid1(VALU_DEP_1)
	v_fma_f64 v[87:88], v[89:90], v[107:108], v[87:88]
	s_waitcnt lgkmcnt(0)
	v_fma_f64 v[91:92], v[91:92], v[109:110], v[87:88]
	scratch_load_b128 v[87:90], off, off offset:152
	s_waitcnt vmcnt(4)
	v_fma_f64 v[109:110], v[93:94], v[111:112], v[91:92]
	ds_load_b128 v[91:94], v1 offset:416
	ds_load_b128 v[105:108], v1 offset:432
	s_waitcnt lgkmcnt(1)
	v_fma_f64 v[91:92], v[95:96], v[91:92], v[109:110]
	scratch_load_b128 v[109:112], off, off offset:168
	s_waitcnt vmcnt(4)
	v_fma_f64 v[91:92], v[97:98], v[93:94], v[91:92]
	s_waitcnt lgkmcnt(0)
	s_delay_alu instid0(VALU_DEP_1)
	v_fma_f64 v[95:96], v[99:100], v[105:106], v[91:92]
	scratch_load_b128 v[91:94], off, off offset:184
	s_waitcnt vmcnt(4)
	v_fma_f64 v[105:106], v[101:102], v[107:108], v[95:96]
	ds_load_b128 v[95:98], v1 offset:448
	ds_load_b128 v[99:102], v1 offset:464
	s_waitcnt lgkmcnt(1)
	v_fma_f64 v[95:96], v[103:104], v[95:96], v[105:106]
	scratch_load_b128 v[103:106], off, off offset:200
	s_waitcnt vmcnt(4)
	v_fma_f64 v[95:96], v[113:114], v[97:98], v[95:96]
	s_waitcnt lgkmcnt(0)
	s_delay_alu instid0(VALU_DEP_1)
	;; [unrolled: 13-line block ×5, first 2 shown]
	v_fma_f64 v[87:88], v[89:90], v[111:112], v[87:88]
	scratch_load_b64 v[111:112], off, off offset:312
	s_waitcnt vmcnt(4)
	v_fma_f64 v[99:100], v[99:100], v[113:114], v[87:88]
	ds_load_b128 v[87:90], v1 offset:576
	ds_load_b128 v[107:110], v1 offset:592
	s_waitcnt lgkmcnt(1)
	v_fma_f64 v[87:88], v[101:102], v[87:88], v[99:100]
	s_waitcnt vmcnt(3)
	s_delay_alu instid0(VALU_DEP_1) | instskip(SKIP_1) | instid1(VALU_DEP_1)
	v_fma_f64 v[87:88], v[91:92], v[89:90], v[87:88]
	s_waitcnt lgkmcnt(0)
	v_fma_f64 v[87:88], v[93:94], v[107:108], v[87:88]
	s_waitcnt vmcnt(2)
	s_delay_alu instid0(VALU_DEP_1)
	v_fma_f64 v[99:100], v[103:104], v[109:110], v[87:88]
	ds_load_b128 v[87:90], v1 offset:608
	ds_load_b128 v[91:94], v1 offset:624
	s_waitcnt lgkmcnt(1)
	v_fma_f64 v[1:2], v[105:106], v[87:88], v[99:100]
	s_waitcnt vmcnt(1)
	s_delay_alu instid0(VALU_DEP_1) | instskip(SKIP_1) | instid1(VALU_DEP_1)
	v_fma_f64 v[1:2], v[95:96], v[89:90], v[1:2]
	s_waitcnt lgkmcnt(0)
	v_fma_f64 v[1:2], v[97:98], v[91:92], v[1:2]
	s_waitcnt vmcnt(0)
	s_delay_alu instid0(VALU_DEP_1) | instskip(NEXT) | instid1(VALU_DEP_1)
	v_fma_f64 v[1:2], v[111:112], v[93:94], v[1:2]
	v_add_f64 v[1:2], v[85:86], -v[1:2]
	scratch_store_b64 off, v[1:2], off offset:56
	v_cmpx_lt_u32_e32 6, v0
	s_cbranch_execz .LBB39_237
; %bb.236:
	scratch_load_b64 v[1:2], off, off offset:48
	v_mov_b32_e32 v85, 0
	s_delay_alu instid0(VALU_DEP_1)
	v_mov_b32_e32 v86, v85
	scratch_store_b64 off, v[85:86], off offset:48
	s_waitcnt vmcnt(0)
	ds_store_b64 v3, v[1:2]
.LBB39_237:
	s_or_b32 exec_lo, exec_lo, s0
	s_waitcnt lgkmcnt(0)
	s_waitcnt_vscnt null, 0x0
	s_barrier
	buffer_gl0_inv
	s_clause 0x4
	scratch_load_b128 v[85:88], off, off offset:48
	scratch_load_b128 v[89:92], off, off offset:64
	;; [unrolled: 1-line block ×5, first 2 shown]
	v_mov_b32_e32 v1, 0
	ds_load_2addr_b64 v[105:108], v1 offset0:47 offset1:48
	ds_load_2addr_b64 v[109:112], v1 offset0:49 offset1:50
	scratch_load_b128 v[113:116], off, off offset:128
	s_mov_b32 s0, exec_lo
	s_waitcnt vmcnt(5) lgkmcnt(1)
	v_fma_f64 v[87:88], v[87:88], v[105:106], 0
	s_waitcnt vmcnt(4)
	s_delay_alu instid0(VALU_DEP_1) | instskip(SKIP_1) | instid1(VALU_DEP_1)
	v_fma_f64 v[87:88], v[89:90], v[107:108], v[87:88]
	s_waitcnt lgkmcnt(0)
	v_fma_f64 v[91:92], v[91:92], v[109:110], v[87:88]
	scratch_load_b128 v[87:90], off, off offset:144
	s_waitcnt vmcnt(4)
	v_fma_f64 v[109:110], v[93:94], v[111:112], v[91:92]
	ds_load_2addr_b64 v[91:94], v1 offset0:51 offset1:52
	ds_load_2addr_b64 v[105:108], v1 offset0:53 offset1:54
	s_waitcnt lgkmcnt(1)
	v_fma_f64 v[91:92], v[95:96], v[91:92], v[109:110]
	scratch_load_b128 v[109:112], off, off offset:160
	s_waitcnt vmcnt(4)
	v_fma_f64 v[91:92], v[97:98], v[93:94], v[91:92]
	s_waitcnt lgkmcnt(0)
	s_delay_alu instid0(VALU_DEP_1)
	v_fma_f64 v[95:96], v[99:100], v[105:106], v[91:92]
	scratch_load_b128 v[91:94], off, off offset:176
	s_waitcnt vmcnt(4)
	v_fma_f64 v[105:106], v[101:102], v[107:108], v[95:96]
	ds_load_2addr_b64 v[95:98], v1 offset0:55 offset1:56
	ds_load_2addr_b64 v[99:102], v1 offset0:57 offset1:58
	s_waitcnt lgkmcnt(1)
	v_fma_f64 v[95:96], v[103:104], v[95:96], v[105:106]
	scratch_load_b128 v[103:106], off, off offset:192
	s_waitcnt vmcnt(4)
	v_fma_f64 v[95:96], v[113:114], v[97:98], v[95:96]
	s_waitcnt lgkmcnt(0)
	s_delay_alu instid0(VALU_DEP_1)
	v_fma_f64 v[99:100], v[115:116], v[99:100], v[95:96]
	scratch_load_b128 v[95:98], off, off offset:208
	s_waitcnt vmcnt(4)
	v_fma_f64 v[87:88], v[87:88], v[101:102], v[99:100]
	ds_load_2addr_b64 v[99:102], v1 offset0:59 offset1:60
	ds_load_2addr_b64 v[113:116], v1 offset0:61 offset1:62
	s_waitcnt lgkmcnt(1)
	v_fma_f64 v[99:100], v[89:90], v[99:100], v[87:88]
	scratch_load_b128 v[87:90], off, off offset:224
	s_waitcnt vmcnt(4)
	v_fma_f64 v[99:100], v[109:110], v[101:102], v[99:100]
	s_waitcnt lgkmcnt(0)
	s_delay_alu instid0(VALU_DEP_1)
	v_fma_f64 v[107:108], v[111:112], v[113:114], v[99:100]
	scratch_load_b128 v[99:102], off, off offset:240
	s_waitcnt vmcnt(4)
	v_fma_f64 v[91:92], v[91:92], v[115:116], v[107:108]
	ds_load_2addr_b64 v[107:110], v1 offset0:63 offset1:64
	ds_load_2addr_b64 v[111:114], v1 offset0:65 offset1:66
	s_waitcnt lgkmcnt(1)
	v_fma_f64 v[107:108], v[93:94], v[107:108], v[91:92]
	scratch_load_b128 v[91:94], off, off offset:256
	s_waitcnt vmcnt(4)
	v_fma_f64 v[103:104], v[103:104], v[109:110], v[107:108]
	s_waitcnt lgkmcnt(0)
	s_delay_alu instid0(VALU_DEP_1)
	v_fma_f64 v[107:108], v[105:106], v[111:112], v[103:104]
	scratch_load_b128 v[103:106], off, off offset:272
	s_waitcnt vmcnt(4)
	v_fma_f64 v[95:96], v[95:96], v[113:114], v[107:108]
	ds_load_2addr_b64 v[107:110], v1 offset0:67 offset1:68
	ds_load_2addr_b64 v[111:114], v1 offset0:69 offset1:70
	s_waitcnt lgkmcnt(1)
	v_fma_f64 v[107:108], v[97:98], v[107:108], v[95:96]
	scratch_load_b128 v[95:98], off, off offset:288
	s_waitcnt vmcnt(4)
	v_fma_f64 v[87:88], v[87:88], v[109:110], v[107:108]
	s_waitcnt lgkmcnt(0)
	s_delay_alu instid0(VALU_DEP_1)
	v_fma_f64 v[107:108], v[89:90], v[111:112], v[87:88]
	scratch_load_b128 v[87:90], off, off offset:304
	s_waitcnt vmcnt(4)
	v_fma_f64 v[99:100], v[99:100], v[113:114], v[107:108]
	ds_load_2addr_b64 v[107:110], v1 offset0:71 offset1:72
	ds_load_2addr_b64 v[111:114], v1 offset0:73 offset1:74
	s_waitcnt lgkmcnt(1)
	v_fma_f64 v[99:100], v[101:102], v[107:108], v[99:100]
	s_waitcnt vmcnt(3)
	s_delay_alu instid0(VALU_DEP_1) | instskip(SKIP_1) | instid1(VALU_DEP_1)
	v_fma_f64 v[91:92], v[91:92], v[109:110], v[99:100]
	s_waitcnt lgkmcnt(0)
	v_fma_f64 v[91:92], v[93:94], v[111:112], v[91:92]
	s_waitcnt vmcnt(2)
	s_delay_alu instid0(VALU_DEP_1)
	v_fma_f64 v[103:104], v[103:104], v[113:114], v[91:92]
	ds_load_2addr_b64 v[91:94], v1 offset0:75 offset1:76
	ds_load_2addr_b64 v[99:102], v1 offset0:77 offset1:78
	s_waitcnt lgkmcnt(1)
	v_fma_f64 v[91:92], v[105:106], v[91:92], v[103:104]
	s_waitcnt vmcnt(1)
	s_delay_alu instid0(VALU_DEP_1) | instskip(SKIP_1) | instid1(VALU_DEP_1)
	v_fma_f64 v[91:92], v[95:96], v[93:94], v[91:92]
	s_waitcnt lgkmcnt(0)
	v_fma_f64 v[91:92], v[97:98], v[99:100], v[91:92]
	s_waitcnt vmcnt(0)
	s_delay_alu instid0(VALU_DEP_1) | instskip(SKIP_3) | instid1(VALU_DEP_1)
	v_fma_f64 v[87:88], v[87:88], v[101:102], v[91:92]
	ds_load_b64 v[91:92], v1 offset:632
	s_waitcnt lgkmcnt(0)
	v_fma_f64 v[87:88], v[89:90], v[91:92], v[87:88]
	v_add_f64 v[85:86], v[85:86], -v[87:88]
	scratch_store_b64 off, v[85:86], off offset:48
	v_cmpx_lt_u32_e32 5, v0
	s_cbranch_execz .LBB39_239
; %bb.238:
	scratch_load_b64 v[85:86], off, off offset:40
	v_mov_b32_e32 v2, v1
	scratch_store_b64 off, v[1:2], off offset:40
	s_waitcnt vmcnt(0)
	ds_store_b64 v3, v[85:86]
.LBB39_239:
	s_or_b32 exec_lo, exec_lo, s0
	s_waitcnt lgkmcnt(0)
	s_waitcnt_vscnt null, 0x0
	s_barrier
	buffer_gl0_inv
	s_clause 0x4
	scratch_load_b128 v[85:88], off, off offset:40
	scratch_load_b128 v[89:92], off, off offset:56
	;; [unrolled: 1-line block ×5, first 2 shown]
	ds_load_b128 v[105:108], v1 offset:368
	ds_load_b128 v[109:112], v1 offset:384
	scratch_load_b128 v[113:116], off, off offset:120
	s_mov_b32 s0, exec_lo
	s_waitcnt vmcnt(5) lgkmcnt(1)
	v_fma_f64 v[87:88], v[87:88], v[105:106], 0
	s_waitcnt vmcnt(4)
	s_delay_alu instid0(VALU_DEP_1) | instskip(SKIP_1) | instid1(VALU_DEP_1)
	v_fma_f64 v[87:88], v[89:90], v[107:108], v[87:88]
	s_waitcnt lgkmcnt(0)
	v_fma_f64 v[91:92], v[91:92], v[109:110], v[87:88]
	scratch_load_b128 v[87:90], off, off offset:136
	s_waitcnt vmcnt(4)
	v_fma_f64 v[109:110], v[93:94], v[111:112], v[91:92]
	ds_load_b128 v[91:94], v1 offset:400
	ds_load_b128 v[105:108], v1 offset:416
	s_waitcnt lgkmcnt(1)
	v_fma_f64 v[91:92], v[95:96], v[91:92], v[109:110]
	scratch_load_b128 v[109:112], off, off offset:152
	s_waitcnt vmcnt(4)
	v_fma_f64 v[91:92], v[97:98], v[93:94], v[91:92]
	s_waitcnt lgkmcnt(0)
	s_delay_alu instid0(VALU_DEP_1)
	v_fma_f64 v[95:96], v[99:100], v[105:106], v[91:92]
	scratch_load_b128 v[91:94], off, off offset:168
	s_waitcnt vmcnt(4)
	v_fma_f64 v[105:106], v[101:102], v[107:108], v[95:96]
	ds_load_b128 v[95:98], v1 offset:432
	ds_load_b128 v[99:102], v1 offset:448
	s_waitcnt lgkmcnt(1)
	v_fma_f64 v[95:96], v[103:104], v[95:96], v[105:106]
	scratch_load_b128 v[103:106], off, off offset:184
	s_waitcnt vmcnt(4)
	v_fma_f64 v[95:96], v[113:114], v[97:98], v[95:96]
	s_waitcnt lgkmcnt(0)
	s_delay_alu instid0(VALU_DEP_1)
	;; [unrolled: 13-line block ×5, first 2 shown]
	v_fma_f64 v[107:108], v[89:90], v[111:112], v[87:88]
	scratch_load_b128 v[87:90], off, off offset:296
	s_waitcnt vmcnt(4)
	v_fma_f64 v[99:100], v[99:100], v[113:114], v[107:108]
	ds_load_b128 v[107:110], v1 offset:560
	ds_load_b128 v[111:114], v1 offset:576
	s_waitcnt lgkmcnt(1)
	v_fma_f64 v[99:100], v[101:102], v[107:108], v[99:100]
	scratch_load_b64 v[107:108], off, off offset:312
	s_waitcnt vmcnt(4)
	v_fma_f64 v[91:92], v[91:92], v[109:110], v[99:100]
	s_waitcnt lgkmcnt(0)
	s_delay_alu instid0(VALU_DEP_1) | instskip(SKIP_1) | instid1(VALU_DEP_1)
	v_fma_f64 v[91:92], v[93:94], v[111:112], v[91:92]
	s_waitcnt vmcnt(3)
	v_fma_f64 v[103:104], v[103:104], v[113:114], v[91:92]
	ds_load_b128 v[91:94], v1 offset:592
	ds_load_b128 v[99:102], v1 offset:608
	s_waitcnt lgkmcnt(1)
	v_fma_f64 v[91:92], v[105:106], v[91:92], v[103:104]
	s_waitcnt vmcnt(2)
	s_delay_alu instid0(VALU_DEP_1) | instskip(SKIP_1) | instid1(VALU_DEP_1)
	v_fma_f64 v[91:92], v[95:96], v[93:94], v[91:92]
	s_waitcnt lgkmcnt(0)
	v_fma_f64 v[91:92], v[97:98], v[99:100], v[91:92]
	s_waitcnt vmcnt(1)
	s_delay_alu instid0(VALU_DEP_1) | instskip(SKIP_4) | instid1(VALU_DEP_1)
	v_fma_f64 v[87:88], v[87:88], v[101:102], v[91:92]
	ds_load_b128 v[91:94], v1 offset:624
	s_waitcnt lgkmcnt(0)
	v_fma_f64 v[1:2], v[89:90], v[91:92], v[87:88]
	s_waitcnt vmcnt(0)
	v_fma_f64 v[1:2], v[107:108], v[93:94], v[1:2]
	s_delay_alu instid0(VALU_DEP_1)
	v_add_f64 v[1:2], v[85:86], -v[1:2]
	scratch_store_b64 off, v[1:2], off offset:40
	v_cmpx_lt_u32_e32 4, v0
	s_cbranch_execz .LBB39_241
; %bb.240:
	scratch_load_b64 v[1:2], off, off offset:32
	v_mov_b32_e32 v85, 0
	s_delay_alu instid0(VALU_DEP_1)
	v_mov_b32_e32 v86, v85
	scratch_store_b64 off, v[85:86], off offset:32
	s_waitcnt vmcnt(0)
	ds_store_b64 v3, v[1:2]
.LBB39_241:
	s_or_b32 exec_lo, exec_lo, s0
	s_waitcnt lgkmcnt(0)
	s_waitcnt_vscnt null, 0x0
	s_barrier
	buffer_gl0_inv
	s_clause 0x4
	scratch_load_b128 v[85:88], off, off offset:32
	scratch_load_b128 v[89:92], off, off offset:48
	;; [unrolled: 1-line block ×5, first 2 shown]
	v_mov_b32_e32 v1, 0
	ds_load_2addr_b64 v[105:108], v1 offset0:45 offset1:46
	ds_load_2addr_b64 v[109:112], v1 offset0:47 offset1:48
	scratch_load_b128 v[113:116], off, off offset:112
	s_mov_b32 s0, exec_lo
	s_waitcnt vmcnt(5) lgkmcnt(1)
	v_fma_f64 v[87:88], v[87:88], v[105:106], 0
	s_waitcnt vmcnt(4)
	s_delay_alu instid0(VALU_DEP_1) | instskip(SKIP_1) | instid1(VALU_DEP_1)
	v_fma_f64 v[87:88], v[89:90], v[107:108], v[87:88]
	s_waitcnt lgkmcnt(0)
	v_fma_f64 v[91:92], v[91:92], v[109:110], v[87:88]
	scratch_load_b128 v[87:90], off, off offset:128
	s_waitcnt vmcnt(4)
	v_fma_f64 v[109:110], v[93:94], v[111:112], v[91:92]
	ds_load_2addr_b64 v[91:94], v1 offset0:49 offset1:50
	ds_load_2addr_b64 v[105:108], v1 offset0:51 offset1:52
	s_waitcnt lgkmcnt(1)
	v_fma_f64 v[91:92], v[95:96], v[91:92], v[109:110]
	scratch_load_b128 v[109:112], off, off offset:144
	s_waitcnt vmcnt(4)
	v_fma_f64 v[91:92], v[97:98], v[93:94], v[91:92]
	s_waitcnt lgkmcnt(0)
	s_delay_alu instid0(VALU_DEP_1)
	v_fma_f64 v[95:96], v[99:100], v[105:106], v[91:92]
	scratch_load_b128 v[91:94], off, off offset:160
	s_waitcnt vmcnt(4)
	v_fma_f64 v[105:106], v[101:102], v[107:108], v[95:96]
	ds_load_2addr_b64 v[95:98], v1 offset0:53 offset1:54
	ds_load_2addr_b64 v[99:102], v1 offset0:55 offset1:56
	s_waitcnt lgkmcnt(1)
	v_fma_f64 v[95:96], v[103:104], v[95:96], v[105:106]
	scratch_load_b128 v[103:106], off, off offset:176
	s_waitcnt vmcnt(4)
	v_fma_f64 v[95:96], v[113:114], v[97:98], v[95:96]
	s_waitcnt lgkmcnt(0)
	s_delay_alu instid0(VALU_DEP_1)
	;; [unrolled: 13-line block ×5, first 2 shown]
	v_fma_f64 v[107:108], v[89:90], v[111:112], v[87:88]
	scratch_load_b128 v[87:90], off, off offset:288
	s_waitcnt vmcnt(4)
	v_fma_f64 v[99:100], v[99:100], v[113:114], v[107:108]
	ds_load_2addr_b64 v[107:110], v1 offset0:69 offset1:70
	ds_load_2addr_b64 v[111:114], v1 offset0:71 offset1:72
	s_waitcnt lgkmcnt(1)
	v_fma_f64 v[107:108], v[101:102], v[107:108], v[99:100]
	scratch_load_b128 v[99:102], off, off offset:304
	s_waitcnt vmcnt(4)
	v_fma_f64 v[91:92], v[91:92], v[109:110], v[107:108]
	s_waitcnt lgkmcnt(0)
	s_delay_alu instid0(VALU_DEP_1) | instskip(SKIP_1) | instid1(VALU_DEP_1)
	v_fma_f64 v[91:92], v[93:94], v[111:112], v[91:92]
	s_waitcnt vmcnt(3)
	v_fma_f64 v[103:104], v[103:104], v[113:114], v[91:92]
	ds_load_2addr_b64 v[91:94], v1 offset0:73 offset1:74
	ds_load_2addr_b64 v[107:110], v1 offset0:75 offset1:76
	s_waitcnt lgkmcnt(1)
	v_fma_f64 v[91:92], v[105:106], v[91:92], v[103:104]
	s_waitcnt vmcnt(2)
	s_delay_alu instid0(VALU_DEP_1) | instskip(SKIP_1) | instid1(VALU_DEP_1)
	v_fma_f64 v[91:92], v[95:96], v[93:94], v[91:92]
	s_waitcnt lgkmcnt(0)
	v_fma_f64 v[91:92], v[97:98], v[107:108], v[91:92]
	s_waitcnt vmcnt(1)
	s_delay_alu instid0(VALU_DEP_1)
	v_fma_f64 v[87:88], v[87:88], v[109:110], v[91:92]
	ds_load_2addr_b64 v[91:94], v1 offset0:77 offset1:78
	ds_load_b64 v[95:96], v1 offset:632
	s_waitcnt lgkmcnt(1)
	v_fma_f64 v[87:88], v[89:90], v[91:92], v[87:88]
	s_waitcnt vmcnt(0)
	s_delay_alu instid0(VALU_DEP_1) | instskip(SKIP_1) | instid1(VALU_DEP_1)
	v_fma_f64 v[87:88], v[99:100], v[93:94], v[87:88]
	s_waitcnt lgkmcnt(0)
	v_fma_f64 v[87:88], v[101:102], v[95:96], v[87:88]
	s_delay_alu instid0(VALU_DEP_1)
	v_add_f64 v[85:86], v[85:86], -v[87:88]
	scratch_store_b64 off, v[85:86], off offset:32
	v_cmpx_lt_u32_e32 3, v0
	s_cbranch_execz .LBB39_243
; %bb.242:
	scratch_load_b64 v[85:86], off, off offset:24
	v_mov_b32_e32 v2, v1
	scratch_store_b64 off, v[1:2], off offset:24
	s_waitcnt vmcnt(0)
	ds_store_b64 v3, v[85:86]
.LBB39_243:
	s_or_b32 exec_lo, exec_lo, s0
	s_waitcnt lgkmcnt(0)
	s_waitcnt_vscnt null, 0x0
	s_barrier
	buffer_gl0_inv
	s_clause 0x4
	scratch_load_b128 v[85:88], off, off offset:24
	scratch_load_b128 v[89:92], off, off offset:40
	scratch_load_b128 v[93:96], off, off offset:56
	scratch_load_b128 v[97:100], off, off offset:72
	scratch_load_b128 v[101:104], off, off offset:88
	ds_load_b128 v[105:108], v1 offset:352
	ds_load_b128 v[109:112], v1 offset:368
	scratch_load_b128 v[113:116], off, off offset:104
	s_mov_b32 s0, exec_lo
	s_waitcnt vmcnt(5) lgkmcnt(1)
	v_fma_f64 v[87:88], v[87:88], v[105:106], 0
	s_waitcnt vmcnt(4)
	s_delay_alu instid0(VALU_DEP_1) | instskip(SKIP_1) | instid1(VALU_DEP_1)
	v_fma_f64 v[87:88], v[89:90], v[107:108], v[87:88]
	s_waitcnt lgkmcnt(0)
	v_fma_f64 v[91:92], v[91:92], v[109:110], v[87:88]
	scratch_load_b128 v[87:90], off, off offset:120
	s_waitcnt vmcnt(4)
	v_fma_f64 v[109:110], v[93:94], v[111:112], v[91:92]
	ds_load_b128 v[91:94], v1 offset:384
	ds_load_b128 v[105:108], v1 offset:400
	s_waitcnt lgkmcnt(1)
	v_fma_f64 v[91:92], v[95:96], v[91:92], v[109:110]
	scratch_load_b128 v[109:112], off, off offset:136
	s_waitcnt vmcnt(4)
	v_fma_f64 v[91:92], v[97:98], v[93:94], v[91:92]
	s_waitcnt lgkmcnt(0)
	s_delay_alu instid0(VALU_DEP_1)
	v_fma_f64 v[95:96], v[99:100], v[105:106], v[91:92]
	scratch_load_b128 v[91:94], off, off offset:152
	s_waitcnt vmcnt(4)
	v_fma_f64 v[105:106], v[101:102], v[107:108], v[95:96]
	ds_load_b128 v[95:98], v1 offset:416
	ds_load_b128 v[99:102], v1 offset:432
	s_waitcnt lgkmcnt(1)
	v_fma_f64 v[95:96], v[103:104], v[95:96], v[105:106]
	scratch_load_b128 v[103:106], off, off offset:168
	s_waitcnt vmcnt(4)
	v_fma_f64 v[95:96], v[113:114], v[97:98], v[95:96]
	s_waitcnt lgkmcnt(0)
	s_delay_alu instid0(VALU_DEP_1)
	;; [unrolled: 13-line block ×6, first 2 shown]
	v_fma_f64 v[91:92], v[93:94], v[111:112], v[91:92]
	scratch_load_b64 v[111:112], off, off offset:312
	s_waitcnt vmcnt(4)
	v_fma_f64 v[103:104], v[103:104], v[113:114], v[91:92]
	ds_load_b128 v[91:94], v1 offset:576
	ds_load_b128 v[107:110], v1 offset:592
	s_waitcnt lgkmcnt(1)
	v_fma_f64 v[91:92], v[105:106], v[91:92], v[103:104]
	s_waitcnt vmcnt(3)
	s_delay_alu instid0(VALU_DEP_1) | instskip(SKIP_1) | instid1(VALU_DEP_1)
	v_fma_f64 v[91:92], v[95:96], v[93:94], v[91:92]
	s_waitcnt lgkmcnt(0)
	v_fma_f64 v[91:92], v[97:98], v[107:108], v[91:92]
	s_waitcnt vmcnt(2)
	s_delay_alu instid0(VALU_DEP_1)
	v_fma_f64 v[87:88], v[87:88], v[109:110], v[91:92]
	ds_load_b128 v[91:94], v1 offset:608
	ds_load_b128 v[95:98], v1 offset:624
	s_waitcnt lgkmcnt(1)
	v_fma_f64 v[1:2], v[89:90], v[91:92], v[87:88]
	s_waitcnt vmcnt(1)
	s_delay_alu instid0(VALU_DEP_1) | instskip(SKIP_1) | instid1(VALU_DEP_1)
	v_fma_f64 v[1:2], v[99:100], v[93:94], v[1:2]
	s_waitcnt lgkmcnt(0)
	v_fma_f64 v[1:2], v[101:102], v[95:96], v[1:2]
	s_waitcnt vmcnt(0)
	s_delay_alu instid0(VALU_DEP_1) | instskip(NEXT) | instid1(VALU_DEP_1)
	v_fma_f64 v[1:2], v[111:112], v[97:98], v[1:2]
	v_add_f64 v[1:2], v[85:86], -v[1:2]
	scratch_store_b64 off, v[1:2], off offset:24
	v_cmpx_lt_u32_e32 2, v0
	s_cbranch_execz .LBB39_245
; %bb.244:
	scratch_load_b64 v[1:2], off, off offset:16
	v_mov_b32_e32 v85, 0
	s_delay_alu instid0(VALU_DEP_1)
	v_mov_b32_e32 v86, v85
	scratch_store_b64 off, v[85:86], off offset:16
	s_waitcnt vmcnt(0)
	ds_store_b64 v3, v[1:2]
.LBB39_245:
	s_or_b32 exec_lo, exec_lo, s0
	s_waitcnt lgkmcnt(0)
	s_waitcnt_vscnt null, 0x0
	s_barrier
	buffer_gl0_inv
	s_clause 0x4
	scratch_load_b128 v[85:88], off, off offset:16
	scratch_load_b128 v[89:92], off, off offset:32
	;; [unrolled: 1-line block ×5, first 2 shown]
	v_mov_b32_e32 v1, 0
	ds_load_2addr_b64 v[105:108], v1 offset0:43 offset1:44
	ds_load_2addr_b64 v[109:112], v1 offset0:45 offset1:46
	scratch_load_b128 v[113:116], off, off offset:96
	s_mov_b32 s0, exec_lo
	s_waitcnt vmcnt(5) lgkmcnt(1)
	v_fma_f64 v[87:88], v[87:88], v[105:106], 0
	s_waitcnt vmcnt(4)
	s_delay_alu instid0(VALU_DEP_1) | instskip(SKIP_1) | instid1(VALU_DEP_1)
	v_fma_f64 v[87:88], v[89:90], v[107:108], v[87:88]
	s_waitcnt lgkmcnt(0)
	v_fma_f64 v[91:92], v[91:92], v[109:110], v[87:88]
	scratch_load_b128 v[87:90], off, off offset:112
	s_waitcnt vmcnt(4)
	v_fma_f64 v[109:110], v[93:94], v[111:112], v[91:92]
	ds_load_2addr_b64 v[91:94], v1 offset0:47 offset1:48
	ds_load_2addr_b64 v[105:108], v1 offset0:49 offset1:50
	s_waitcnt lgkmcnt(1)
	v_fma_f64 v[91:92], v[95:96], v[91:92], v[109:110]
	scratch_load_b128 v[109:112], off, off offset:128
	s_waitcnt vmcnt(4)
	v_fma_f64 v[91:92], v[97:98], v[93:94], v[91:92]
	s_waitcnt lgkmcnt(0)
	s_delay_alu instid0(VALU_DEP_1)
	v_fma_f64 v[95:96], v[99:100], v[105:106], v[91:92]
	scratch_load_b128 v[91:94], off, off offset:144
	s_waitcnt vmcnt(4)
	v_fma_f64 v[105:106], v[101:102], v[107:108], v[95:96]
	ds_load_2addr_b64 v[95:98], v1 offset0:51 offset1:52
	ds_load_2addr_b64 v[99:102], v1 offset0:53 offset1:54
	s_waitcnt lgkmcnt(1)
	v_fma_f64 v[95:96], v[103:104], v[95:96], v[105:106]
	scratch_load_b128 v[103:106], off, off offset:160
	s_waitcnt vmcnt(4)
	v_fma_f64 v[95:96], v[113:114], v[97:98], v[95:96]
	s_waitcnt lgkmcnt(0)
	s_delay_alu instid0(VALU_DEP_1)
	;; [unrolled: 13-line block ×6, first 2 shown]
	v_fma_f64 v[107:108], v[93:94], v[111:112], v[91:92]
	scratch_load_b128 v[91:94], off, off offset:304
	s_waitcnt vmcnt(4)
	v_fma_f64 v[103:104], v[103:104], v[113:114], v[107:108]
	ds_load_2addr_b64 v[107:110], v1 offset0:71 offset1:72
	ds_load_2addr_b64 v[111:114], v1 offset0:73 offset1:74
	s_waitcnt lgkmcnt(1)
	v_fma_f64 v[103:104], v[105:106], v[107:108], v[103:104]
	s_waitcnt vmcnt(3)
	s_delay_alu instid0(VALU_DEP_1) | instskip(SKIP_1) | instid1(VALU_DEP_1)
	v_fma_f64 v[95:96], v[95:96], v[109:110], v[103:104]
	s_waitcnt lgkmcnt(0)
	v_fma_f64 v[95:96], v[97:98], v[111:112], v[95:96]
	s_waitcnt vmcnt(2)
	s_delay_alu instid0(VALU_DEP_1)
	v_fma_f64 v[87:88], v[87:88], v[113:114], v[95:96]
	ds_load_2addr_b64 v[95:98], v1 offset0:75 offset1:76
	ds_load_2addr_b64 v[103:106], v1 offset0:77 offset1:78
	s_waitcnt lgkmcnt(1)
	v_fma_f64 v[87:88], v[89:90], v[95:96], v[87:88]
	ds_load_b64 v[89:90], v1 offset:632
	s_waitcnt vmcnt(1)
	v_fma_f64 v[87:88], v[99:100], v[97:98], v[87:88]
	s_waitcnt lgkmcnt(1)
	s_delay_alu instid0(VALU_DEP_1) | instskip(SKIP_1) | instid1(VALU_DEP_1)
	v_fma_f64 v[87:88], v[101:102], v[103:104], v[87:88]
	s_waitcnt vmcnt(0)
	v_fma_f64 v[87:88], v[91:92], v[105:106], v[87:88]
	s_waitcnt lgkmcnt(0)
	s_delay_alu instid0(VALU_DEP_1) | instskip(NEXT) | instid1(VALU_DEP_1)
	v_fma_f64 v[87:88], v[93:94], v[89:90], v[87:88]
	v_add_f64 v[85:86], v[85:86], -v[87:88]
	scratch_store_b64 off, v[85:86], off offset:16
	v_cmpx_lt_u32_e32 1, v0
	s_cbranch_execz .LBB39_247
; %bb.246:
	scratch_load_b64 v[85:86], off, off offset:8
	v_mov_b32_e32 v2, v1
	scratch_store_b64 off, v[1:2], off offset:8
	s_waitcnt vmcnt(0)
	ds_store_b64 v3, v[85:86]
.LBB39_247:
	s_or_b32 exec_lo, exec_lo, s0
	s_waitcnt lgkmcnt(0)
	s_waitcnt_vscnt null, 0x0
	s_barrier
	buffer_gl0_inv
	s_clause 0x4
	scratch_load_b128 v[85:88], off, off offset:8
	scratch_load_b128 v[89:92], off, off offset:24
	;; [unrolled: 1-line block ×5, first 2 shown]
	ds_load_b128 v[105:108], v1 offset:336
	ds_load_b128 v[109:112], v1 offset:352
	scratch_load_b128 v[113:116], off, off offset:88
	s_mov_b32 s0, exec_lo
	s_waitcnt vmcnt(5) lgkmcnt(1)
	v_fma_f64 v[87:88], v[87:88], v[105:106], 0
	s_waitcnt vmcnt(4)
	s_delay_alu instid0(VALU_DEP_1) | instskip(SKIP_1) | instid1(VALU_DEP_1)
	v_fma_f64 v[87:88], v[89:90], v[107:108], v[87:88]
	s_waitcnt lgkmcnt(0)
	v_fma_f64 v[91:92], v[91:92], v[109:110], v[87:88]
	scratch_load_b128 v[87:90], off, off offset:104
	s_waitcnt vmcnt(4)
	v_fma_f64 v[109:110], v[93:94], v[111:112], v[91:92]
	ds_load_b128 v[91:94], v1 offset:368
	ds_load_b128 v[105:108], v1 offset:384
	s_waitcnt lgkmcnt(1)
	v_fma_f64 v[91:92], v[95:96], v[91:92], v[109:110]
	scratch_load_b128 v[109:112], off, off offset:120
	s_waitcnt vmcnt(4)
	v_fma_f64 v[91:92], v[97:98], v[93:94], v[91:92]
	s_waitcnt lgkmcnt(0)
	s_delay_alu instid0(VALU_DEP_1)
	v_fma_f64 v[95:96], v[99:100], v[105:106], v[91:92]
	scratch_load_b128 v[91:94], off, off offset:136
	s_waitcnt vmcnt(4)
	v_fma_f64 v[105:106], v[101:102], v[107:108], v[95:96]
	ds_load_b128 v[95:98], v1 offset:400
	ds_load_b128 v[99:102], v1 offset:416
	s_waitcnt lgkmcnt(1)
	v_fma_f64 v[95:96], v[103:104], v[95:96], v[105:106]
	scratch_load_b128 v[103:106], off, off offset:152
	s_waitcnt vmcnt(4)
	v_fma_f64 v[95:96], v[113:114], v[97:98], v[95:96]
	s_waitcnt lgkmcnt(0)
	s_delay_alu instid0(VALU_DEP_1)
	;; [unrolled: 13-line block ×6, first 2 shown]
	v_fma_f64 v[107:108], v[93:94], v[111:112], v[91:92]
	scratch_load_b128 v[91:94], off, off offset:296
	s_waitcnt vmcnt(4)
	v_fma_f64 v[103:104], v[103:104], v[113:114], v[107:108]
	ds_load_b128 v[107:110], v1 offset:560
	ds_load_b128 v[111:114], v1 offset:576
	s_waitcnt lgkmcnt(1)
	v_fma_f64 v[103:104], v[105:106], v[107:108], v[103:104]
	scratch_load_b64 v[107:108], off, off offset:312
	s_waitcnt vmcnt(4)
	v_fma_f64 v[95:96], v[95:96], v[109:110], v[103:104]
	s_waitcnt lgkmcnt(0)
	s_delay_alu instid0(VALU_DEP_1) | instskip(SKIP_1) | instid1(VALU_DEP_1)
	v_fma_f64 v[95:96], v[97:98], v[111:112], v[95:96]
	s_waitcnt vmcnt(3)
	v_fma_f64 v[87:88], v[87:88], v[113:114], v[95:96]
	ds_load_b128 v[95:98], v1 offset:592
	ds_load_b128 v[103:106], v1 offset:608
	s_waitcnt lgkmcnt(1)
	v_fma_f64 v[87:88], v[89:90], v[95:96], v[87:88]
	s_waitcnt vmcnt(2)
	s_delay_alu instid0(VALU_DEP_1) | instskip(SKIP_1) | instid1(VALU_DEP_1)
	v_fma_f64 v[87:88], v[99:100], v[97:98], v[87:88]
	s_waitcnt lgkmcnt(0)
	v_fma_f64 v[87:88], v[101:102], v[103:104], v[87:88]
	s_waitcnt vmcnt(1)
	s_delay_alu instid0(VALU_DEP_1) | instskip(SKIP_4) | instid1(VALU_DEP_1)
	v_fma_f64 v[91:92], v[91:92], v[105:106], v[87:88]
	ds_load_b128 v[87:90], v1 offset:624
	s_waitcnt lgkmcnt(0)
	v_fma_f64 v[1:2], v[93:94], v[87:88], v[91:92]
	s_waitcnt vmcnt(0)
	v_fma_f64 v[1:2], v[107:108], v[89:90], v[1:2]
	s_delay_alu instid0(VALU_DEP_1)
	v_add_f64 v[1:2], v[85:86], -v[1:2]
	scratch_store_b64 off, v[1:2], off offset:8
	v_cmpx_ne_u32_e32 0, v0
	s_cbranch_execz .LBB39_249
; %bb.248:
	scratch_load_b64 v[0:1], off, off
	v_mov_b32_e32 v85, 0
	s_delay_alu instid0(VALU_DEP_1)
	v_mov_b32_e32 v86, v85
	scratch_store_b64 off, v[85:86], off
	s_waitcnt vmcnt(0)
	ds_store_b64 v3, v[0:1]
.LBB39_249:
	s_or_b32 exec_lo, exec_lo, s0
	s_waitcnt lgkmcnt(0)
	s_waitcnt_vscnt null, 0x0
	s_barrier
	buffer_gl0_inv
	s_clause 0x4
	scratch_load_b128 v[85:88], off, off
	scratch_load_b128 v[0:3], off, off offset:16
	scratch_load_b128 v[89:92], off, off offset:32
	;; [unrolled: 1-line block ×4, first 2 shown]
	v_mov_b32_e32 v4, 0
	ds_load_2addr_b64 v[101:104], v4 offset0:41 offset1:42
	ds_load_2addr_b64 v[105:108], v4 offset0:43 offset1:44
	scratch_load_b128 v[109:112], off, off offset:80
	s_and_b32 vcc_lo, exec_lo, s16
	s_waitcnt vmcnt(5) lgkmcnt(1)
	v_fma_f64 v[87:88], v[87:88], v[101:102], 0
	s_waitcnt vmcnt(4)
	s_delay_alu instid0(VALU_DEP_1) | instskip(SKIP_1) | instid1(VALU_DEP_1)
	v_fma_f64 v[0:1], v[0:1], v[103:104], v[87:88]
	s_waitcnt lgkmcnt(0)
	v_fma_f64 v[87:88], v[2:3], v[105:106], v[0:1]
	scratch_load_b128 v[0:3], off, off offset:96
	s_waitcnt vmcnt(4)
	v_fma_f64 v[105:106], v[89:90], v[107:108], v[87:88]
	ds_load_2addr_b64 v[87:90], v4 offset0:45 offset1:46
	ds_load_2addr_b64 v[101:104], v4 offset0:47 offset1:48
	s_waitcnt lgkmcnt(1)
	v_fma_f64 v[87:88], v[91:92], v[87:88], v[105:106]
	scratch_load_b128 v[105:108], off, off offset:112
	s_waitcnt vmcnt(4)
	v_fma_f64 v[87:88], v[93:94], v[89:90], v[87:88]
	s_waitcnt lgkmcnt(0)
	s_delay_alu instid0(VALU_DEP_1)
	v_fma_f64 v[91:92], v[95:96], v[101:102], v[87:88]
	scratch_load_b128 v[87:90], off, off offset:128
	s_waitcnt vmcnt(4)
	v_fma_f64 v[101:102], v[97:98], v[103:104], v[91:92]
	ds_load_2addr_b64 v[91:94], v4 offset0:49 offset1:50
	ds_load_2addr_b64 v[95:98], v4 offset0:51 offset1:52
	s_waitcnt lgkmcnt(1)
	v_fma_f64 v[91:92], v[99:100], v[91:92], v[101:102]
	scratch_load_b128 v[99:102], off, off offset:144
	s_waitcnt vmcnt(4)
	v_fma_f64 v[91:92], v[109:110], v[93:94], v[91:92]
	s_waitcnt lgkmcnt(0)
	s_delay_alu instid0(VALU_DEP_1)
	;; [unrolled: 13-line block ×4, first 2 shown]
	v_fma_f64 v[103:104], v[101:102], v[107:108], v[99:100]
	scratch_load_b128 v[99:102], off, off offset:224
	s_waitcnt vmcnt(4)
	v_fma_f64 v[91:92], v[91:92], v[109:110], v[103:104]
	ds_load_2addr_b64 v[103:106], v4 offset0:61 offset1:62
	ds_load_2addr_b64 v[107:110], v4 offset0:63 offset1:64
	s_waitcnt lgkmcnt(1)
	v_fma_f64 v[103:104], v[93:94], v[103:104], v[91:92]
	scratch_load_b128 v[91:94], off, off offset:240
	s_waitcnt vmcnt(4)
	v_fma_f64 v[0:1], v[0:1], v[105:106], v[103:104]
	scratch_load_b128 v[103:106], off, off offset:256
	s_waitcnt lgkmcnt(0)
	v_fma_f64 v[0:1], v[2:3], v[107:108], v[0:1]
	s_waitcnt vmcnt(4)
	s_delay_alu instid0(VALU_DEP_1)
	v_fma_f64 v[95:96], v[95:96], v[109:110], v[0:1]
	ds_load_2addr_b64 v[0:3], v4 offset0:65 offset1:66
	ds_load_2addr_b64 v[107:110], v4 offset0:67 offset1:68
	s_waitcnt lgkmcnt(1)
	v_fma_f64 v[0:1], v[97:98], v[0:1], v[95:96]
	scratch_load_b128 v[95:98], off, off offset:272
	s_waitcnt vmcnt(4)
	v_fma_f64 v[0:1], v[87:88], v[2:3], v[0:1]
	s_waitcnt lgkmcnt(0)
	s_delay_alu instid0(VALU_DEP_1)
	v_fma_f64 v[0:1], v[89:90], v[107:108], v[0:1]
	scratch_load_b128 v[87:90], off, off offset:288
	s_waitcnt vmcnt(4)
	v_fma_f64 v[0:1], v[99:100], v[109:110], v[0:1]
	ds_load_2addr_b64 v[107:110], v4 offset0:69 offset1:70
	ds_load_2addr_b64 v[111:114], v4 offset0:71 offset1:72
	s_waitcnt lgkmcnt(1)
	v_fma_f64 v[99:100], v[101:102], v[107:108], v[0:1]
	scratch_load_b128 v[0:3], off, off offset:304
	s_waitcnt vmcnt(4)
	v_fma_f64 v[91:92], v[91:92], v[109:110], v[99:100]
	s_waitcnt lgkmcnt(0)
	s_delay_alu instid0(VALU_DEP_1) | instskip(SKIP_1) | instid1(VALU_DEP_1)
	v_fma_f64 v[91:92], v[93:94], v[111:112], v[91:92]
	s_waitcnt vmcnt(3)
	v_fma_f64 v[103:104], v[103:104], v[113:114], v[91:92]
	ds_load_2addr_b64 v[91:94], v4 offset0:73 offset1:74
	ds_load_2addr_b64 v[99:102], v4 offset0:75 offset1:76
	s_waitcnt lgkmcnt(1)
	v_fma_f64 v[91:92], v[105:106], v[91:92], v[103:104]
	s_waitcnt vmcnt(2)
	s_delay_alu instid0(VALU_DEP_1) | instskip(SKIP_1) | instid1(VALU_DEP_1)
	v_fma_f64 v[91:92], v[95:96], v[93:94], v[91:92]
	s_waitcnt lgkmcnt(0)
	v_fma_f64 v[91:92], v[97:98], v[99:100], v[91:92]
	s_waitcnt vmcnt(1)
	s_delay_alu instid0(VALU_DEP_1)
	v_fma_f64 v[87:88], v[87:88], v[101:102], v[91:92]
	ds_load_2addr_b64 v[91:94], v4 offset0:77 offset1:78
	ds_load_b64 v[95:96], v4 offset:632
	s_waitcnt lgkmcnt(1)
	v_fma_f64 v[87:88], v[89:90], v[91:92], v[87:88]
	s_waitcnt vmcnt(0)
	s_delay_alu instid0(VALU_DEP_1) | instskip(SKIP_1) | instid1(VALU_DEP_1)
	v_fma_f64 v[87:88], v[0:1], v[93:94], v[87:88]
	s_waitcnt lgkmcnt(0)
	v_fma_f64 v[2:3], v[2:3], v[95:96], v[87:88]
	s_delay_alu instid0(VALU_DEP_1)
	v_add_f64 v[2:3], v[85:86], -v[2:3]
	scratch_store_b64 off, v[2:3], off
	s_cbranch_vccz .LBB39_329
; %bb.250:
	v_dual_mov_b32 v2, s12 :: v_dual_mov_b32 v3, s13
	s_mov_b32 s0, exec_lo
	flat_load_b32 v2, v[2:3] offset:152
	s_waitcnt vmcnt(0) lgkmcnt(0)
	v_cmpx_ne_u32_e32 39, v2
	s_cbranch_execz .LBB39_252
; %bb.251:
	v_lshl_add_u32 v4, v2, 3, 0
	scratch_load_b64 v[2:3], v4, off offset:-8
	s_waitcnt vmcnt(0)
	scratch_store_b64 off, v[2:3], off offset:304
	scratch_store_b64 v4, v[0:1], off offset:-8
.LBB39_252:
	s_or_b32 exec_lo, exec_lo, s0
	v_dual_mov_b32 v0, s12 :: v_dual_mov_b32 v1, s13
	s_mov_b32 s0, exec_lo
	flat_load_b32 v0, v[0:1] offset:148
	s_waitcnt vmcnt(0) lgkmcnt(0)
	v_cmpx_ne_u32_e32 38, v0
	s_cbranch_execz .LBB39_254
; %bb.253:
	v_lshl_add_u32 v4, v0, 3, 0
	scratch_load_b64 v[0:1], v4, off offset:-8
	scratch_load_b64 v[2:3], off, off offset:296
	s_waitcnt vmcnt(1)
	scratch_store_b64 off, v[0:1], off offset:296
	s_waitcnt vmcnt(0)
	scratch_store_b64 v4, v[2:3], off offset:-8
.LBB39_254:
	s_or_b32 exec_lo, exec_lo, s0
	v_dual_mov_b32 v0, s12 :: v_dual_mov_b32 v1, s13
	s_mov_b32 s0, exec_lo
	flat_load_b32 v0, v[0:1] offset:144
	s_waitcnt vmcnt(0) lgkmcnt(0)
	v_cmpx_ne_u32_e32 37, v0
	s_cbranch_execz .LBB39_256
; %bb.255:
	v_lshl_add_u32 v4, v0, 3, 0
	scratch_load_b64 v[0:1], v4, off offset:-8
	scratch_load_b64 v[2:3], off, off offset:288
	s_waitcnt vmcnt(1)
	scratch_store_b64 off, v[0:1], off offset:288
	s_waitcnt vmcnt(0)
	scratch_store_b64 v4, v[2:3], off offset:-8
.LBB39_256:
	;; [unrolled: 16-line block ×37, first 2 shown]
	s_or_b32 exec_lo, exec_lo, s0
	v_dual_mov_b32 v0, s12 :: v_dual_mov_b32 v1, s13
	s_mov_b32 s0, exec_lo
	flat_load_b32 v0, v[0:1]
	scratch_load_b64 v[2:3], off, off
	s_waitcnt vmcnt(1) lgkmcnt(0)
	v_cmpx_ne_u32_e32 1, v0
	s_cbranch_execz .LBB39_328
; %bb.327:
	v_lshl_add_u32 v4, v0, 3, 0
	scratch_load_b64 v[0:1], v4, off offset:-8
	s_waitcnt vmcnt(0)
	scratch_store_b64 off, v[0:1], off
	scratch_store_b64 v4, v[2:3], off offset:-8
	scratch_load_b64 v[2:3], off, off
.LBB39_328:
	s_or_b32 exec_lo, exec_lo, s0
.LBB39_329:
	s_clause 0x7
	scratch_load_b128 v[85:88], off, off offset:8
	scratch_load_b128 v[89:92], off, off offset:24
	;; [unrolled: 1-line block ×8, first 2 shown]
	s_waitcnt vmcnt(8)
	global_store_b64 v[7:8], v[2:3], off
	s_clause 0x2
	scratch_load_b128 v[0:3], off, off offset:136
	scratch_load_b128 v[117:120], off, off offset:184
	scratch_load_b128 v[121:124], off, off offset:280
	s_waitcnt vmcnt(10)
	global_store_b64 v[5:6], v[85:86], off
	scratch_load_b128 v[4:7], off, off offset:152
	global_store_b64 v[19:20], v[87:88], off
	s_waitcnt vmcnt(10)
	s_clause 0x1
	global_store_b64 v[25:26], v[89:90], off
	global_store_b64 v[17:18], v[91:92], off
	s_waitcnt vmcnt(9)
	s_clause 0x1
	global_store_b64 v[11:12], v[93:94], off
	global_store_b64 v[21:22], v[95:96], off
	s_waitcnt vmcnt(8)
	s_clause 0x1
	global_store_b64 v[13:14], v[97:98], off
	global_store_b64 v[15:16], v[99:100], off
	s_waitcnt vmcnt(7)
	s_clause 0x1
	global_store_b64 v[9:10], v[101:102], off
	global_store_b64 v[33:34], v[103:104], off
	s_clause 0x7
	scratch_load_b128 v[85:88], off, off offset:168
	scratch_load_b128 v[17:20], off, off offset:200
	;; [unrolled: 1-line block ×7, first 2 shown]
	scratch_load_b64 v[8:9], off, off offset:312
	s_waitcnt vmcnt(14)
	s_clause 0x1
	global_store_b64 v[23:24], v[105:106], off
	global_store_b64 v[27:28], v[107:108], off
	s_waitcnt vmcnt(13)
	s_clause 0x1
	global_store_b64 v[31:32], v[109:110], off
	global_store_b64 v[35:36], v[111:112], off
	;; [unrolled: 4-line block ×6, first 2 shown]
	global_store_b64 v[53:54], v[117:118], off
	global_store_b64 v[55:56], v[119:120], off
	s_waitcnt vmcnt(6)
	s_clause 0x1
	global_store_b64 v[57:58], v[17:18], off
	global_store_b64 v[59:60], v[19:20], off
	s_waitcnt vmcnt(5)
	s_clause 0x1
	;; [unrolled: 4-line block ×5, first 2 shown]
	global_store_b64 v[73:74], v[97:98], off
	global_store_b64 v[75:76], v[99:100], off
	;; [unrolled: 1-line block ×4, first 2 shown]
	s_waitcnt vmcnt(1)
	s_clause 0x1
	global_store_b64 v[81:82], v[101:102], off
	global_store_b64 v[83:84], v[103:104], off
	s_waitcnt vmcnt(0)
	global_store_b64 v[29:30], v[8:9], off
	s_endpgm
	.section	.rodata,"a",@progbits
	.p2align	6, 0x0
	.amdhsa_kernel _ZN9rocsolver6v33100L18getri_kernel_smallILi40EdPdEEvT1_iilPiilS4_bb
		.amdhsa_group_segment_fixed_size 648
		.amdhsa_private_segment_fixed_size 336
		.amdhsa_kernarg_size 60
		.amdhsa_user_sgpr_count 15
		.amdhsa_user_sgpr_dispatch_ptr 0
		.amdhsa_user_sgpr_queue_ptr 0
		.amdhsa_user_sgpr_kernarg_segment_ptr 1
		.amdhsa_user_sgpr_dispatch_id 0
		.amdhsa_user_sgpr_private_segment_size 0
		.amdhsa_wavefront_size32 1
		.amdhsa_uses_dynamic_stack 0
		.amdhsa_enable_private_segment 1
		.amdhsa_system_sgpr_workgroup_id_x 1
		.amdhsa_system_sgpr_workgroup_id_y 0
		.amdhsa_system_sgpr_workgroup_id_z 0
		.amdhsa_system_sgpr_workgroup_info 0
		.amdhsa_system_vgpr_workitem_id 0
		.amdhsa_next_free_vgpr 128
		.amdhsa_next_free_sgpr 18
		.amdhsa_reserve_vcc 1
		.amdhsa_float_round_mode_32 0
		.amdhsa_float_round_mode_16_64 0
		.amdhsa_float_denorm_mode_32 3
		.amdhsa_float_denorm_mode_16_64 3
		.amdhsa_dx10_clamp 1
		.amdhsa_ieee_mode 1
		.amdhsa_fp16_overflow 0
		.amdhsa_workgroup_processor_mode 1
		.amdhsa_memory_ordered 1
		.amdhsa_forward_progress 0
		.amdhsa_shared_vgpr_count 0
		.amdhsa_exception_fp_ieee_invalid_op 0
		.amdhsa_exception_fp_denorm_src 0
		.amdhsa_exception_fp_ieee_div_zero 0
		.amdhsa_exception_fp_ieee_overflow 0
		.amdhsa_exception_fp_ieee_underflow 0
		.amdhsa_exception_fp_ieee_inexact 0
		.amdhsa_exception_int_div_zero 0
	.end_amdhsa_kernel
	.section	.text._ZN9rocsolver6v33100L18getri_kernel_smallILi40EdPdEEvT1_iilPiilS4_bb,"axG",@progbits,_ZN9rocsolver6v33100L18getri_kernel_smallILi40EdPdEEvT1_iilPiilS4_bb,comdat
.Lfunc_end39:
	.size	_ZN9rocsolver6v33100L18getri_kernel_smallILi40EdPdEEvT1_iilPiilS4_bb, .Lfunc_end39-_ZN9rocsolver6v33100L18getri_kernel_smallILi40EdPdEEvT1_iilPiilS4_bb
                                        ; -- End function
	.section	.AMDGPU.csdata,"",@progbits
; Kernel info:
; codeLenInByte = 34484
; NumSgprs: 20
; NumVgprs: 128
; ScratchSize: 336
; MemoryBound: 0
; FloatMode: 240
; IeeeMode: 1
; LDSByteSize: 648 bytes/workgroup (compile time only)
; SGPRBlocks: 2
; VGPRBlocks: 15
; NumSGPRsForWavesPerEU: 20
; NumVGPRsForWavesPerEU: 128
; Occupancy: 10
; WaveLimiterHint : 1
; COMPUTE_PGM_RSRC2:SCRATCH_EN: 1
; COMPUTE_PGM_RSRC2:USER_SGPR: 15
; COMPUTE_PGM_RSRC2:TRAP_HANDLER: 0
; COMPUTE_PGM_RSRC2:TGID_X_EN: 1
; COMPUTE_PGM_RSRC2:TGID_Y_EN: 0
; COMPUTE_PGM_RSRC2:TGID_Z_EN: 0
; COMPUTE_PGM_RSRC2:TIDIG_COMP_CNT: 0
	.section	.text._ZN9rocsolver6v33100L18getri_kernel_smallILi41EdPdEEvT1_iilPiilS4_bb,"axG",@progbits,_ZN9rocsolver6v33100L18getri_kernel_smallILi41EdPdEEvT1_iilPiilS4_bb,comdat
	.globl	_ZN9rocsolver6v33100L18getri_kernel_smallILi41EdPdEEvT1_iilPiilS4_bb ; -- Begin function _ZN9rocsolver6v33100L18getri_kernel_smallILi41EdPdEEvT1_iilPiilS4_bb
	.p2align	8
	.type	_ZN9rocsolver6v33100L18getri_kernel_smallILi41EdPdEEvT1_iilPiilS4_bb,@function
_ZN9rocsolver6v33100L18getri_kernel_smallILi41EdPdEEvT1_iilPiilS4_bb: ; @_ZN9rocsolver6v33100L18getri_kernel_smallILi41EdPdEEvT1_iilPiilS4_bb
; %bb.0:
	s_mov_b32 s2, exec_lo
	v_cmpx_gt_u32_e32 41, v0
	s_cbranch_execz .LBB40_174
; %bb.1:
	s_clause 0x2
	s_load_b32 s17, s[0:1], 0x38
	s_load_b128 s[8:11], s[0:1], 0x10
	s_load_b128 s[4:7], s[0:1], 0x28
	s_mov_b32 s14, s15
                                        ; implicit-def: $sgpr12_sgpr13
	s_waitcnt lgkmcnt(0)
	s_bitcmp1_b32 s17, 8
	s_cselect_b32 s16, -1, 0
	s_bfe_u32 s2, s17, 0x10008
	s_ashr_i32 s15, s15, 31
	s_cmp_eq_u32 s2, 0
	s_cbranch_scc1 .LBB40_3
; %bb.2:
	s_load_b32 s2, s[0:1], 0x20
	s_mul_i32 s3, s14, s5
	s_mul_hi_u32 s5, s14, s4
	s_mul_i32 s12, s15, s4
	s_add_i32 s3, s5, s3
	s_mul_i32 s4, s14, s4
	s_add_i32 s5, s3, s12
	s_delay_alu instid0(SALU_CYCLE_1)
	s_lshl_b64 s[4:5], s[4:5], 2
	s_waitcnt lgkmcnt(0)
	s_ashr_i32 s3, s2, 31
	s_add_u32 s4, s10, s4
	s_addc_u32 s5, s11, s5
	s_lshl_b64 s[2:3], s[2:3], 2
	s_delay_alu instid0(SALU_CYCLE_1)
	s_add_u32 s12, s4, s2
	s_addc_u32 s13, s5, s3
.LBB40_3:
	s_load_b128 s[0:3], s[0:1], 0x0
	s_mul_i32 s4, s14, s9
	s_mul_hi_u32 s5, s14, s8
	s_mul_i32 s9, s15, s8
	s_add_i32 s5, s5, s4
	s_mul_i32 s4, s14, s8
	s_add_i32 s5, s5, s9
	v_lshlrev_b32_e32 v95, 3, v0
	s_lshl_b64 s[4:5], s[4:5], 3
	s_waitcnt lgkmcnt(0)
	v_add3_u32 v3, s3, s3, v0
	s_ashr_i32 s9, s2, 31
	s_mov_b32 s8, s2
	s_add_u32 s2, s0, s4
	s_addc_u32 s5, s1, s5
	v_add_nc_u32_e32 v5, s3, v3
	s_lshl_b64 s[0:1], s[8:9], 3
	v_ashrrev_i32_e32 v4, 31, v3
	s_add_u32 s0, s2, s0
	s_addc_u32 s1, s5, s1
	v_add_nc_u32_e32 v7, s3, v5
	v_add_co_u32 v13, s2, s0, v95
	s_mov_b32 s4, s3
	s_ashr_i32 s5, s3, 31
	v_add_co_ci_u32_e64 v14, null, s1, 0, s2
	v_lshlrev_b64 v[3:4], 3, v[3:4]
	s_lshl_b64 s[4:5], s[4:5], 3
	v_add_nc_u32_e32 v9, s3, v7
	v_add_co_u32 v15, vcc_lo, v13, s4
	v_add_co_ci_u32_e32 v16, vcc_lo, s5, v14, vcc_lo
	v_ashrrev_i32_e32 v6, 31, v5
	v_add_co_u32 v17, vcc_lo, s0, v3
	v_add_nc_u32_e32 v3, s3, v9
	v_ashrrev_i32_e32 v8, 31, v7
	s_delay_alu instid0(VALU_DEP_4)
	v_lshlrev_b64 v[5:6], 3, v[5:6]
	v_ashrrev_i32_e32 v10, 31, v9
	v_add_co_ci_u32_e32 v18, vcc_lo, s1, v4, vcc_lo
	v_add_nc_u32_e32 v11, s3, v3
	v_lshlrev_b64 v[7:8], 3, v[7:8]
	v_add_co_u32 v19, vcc_lo, s0, v5
	v_ashrrev_i32_e32 v4, 31, v3
	s_delay_alu instid0(VALU_DEP_4) | instskip(SKIP_3) | instid1(VALU_DEP_4)
	v_add_nc_u32_e32 v27, s3, v11
	v_add_co_ci_u32_e32 v20, vcc_lo, s1, v6, vcc_lo
	v_lshlrev_b64 v[5:6], 3, v[9:10]
	v_ashrrev_i32_e32 v12, 31, v11
	v_add_nc_u32_e32 v33, s3, v27
	v_add_co_u32 v21, vcc_lo, s0, v7
	v_lshlrev_b64 v[25:26], 3, v[3:4]
	v_ashrrev_i32_e32 v28, 31, v27
	v_add_co_ci_u32_e32 v22, vcc_lo, s1, v8, vcc_lo
	v_add_co_u32 v23, vcc_lo, s0, v5
	v_lshlrev_b64 v[29:30], 3, v[11:12]
	v_ashrrev_i32_e32 v34, 31, v33
	v_add_co_ci_u32_e32 v24, vcc_lo, s1, v6, vcc_lo
	v_add_co_u32 v25, vcc_lo, s0, v25
	v_lshlrev_b64 v[31:32], 3, v[27:28]
	v_add_co_ci_u32_e32 v26, vcc_lo, s1, v26, vcc_lo
	v_add_co_u32 v27, vcc_lo, s0, v29
	v_lshlrev_b64 v[34:35], 3, v[33:34]
	v_add_co_ci_u32_e32 v28, vcc_lo, s1, v30, vcc_lo
	v_add_co_u32 v29, vcc_lo, s0, v31
	v_add_co_ci_u32_e32 v30, vcc_lo, s1, v32, vcc_lo
	s_delay_alu instid0(VALU_DEP_4)
	v_add_co_u32 v31, vcc_lo, s0, v34
	s_clause 0x4
	global_load_b64 v[1:2], v95, s[0:1]
	global_load_b64 v[3:4], v[15:16], off
	global_load_b64 v[5:6], v[17:18], off
	;; [unrolled: 1-line block ×4, first 2 shown]
	v_add_co_ci_u32_e32 v32, vcc_lo, s1, v35, vcc_lo
	s_clause 0x4
	global_load_b64 v[11:12], v[23:24], off
	global_load_b64 v[96:97], v[25:26], off
	;; [unrolled: 1-line block ×5, first 2 shown]
	v_add_nc_u32_e32 v33, s3, v33
	s_bitcmp0_b32 s17, 0
	s_delay_alu instid0(VALU_DEP_1) | instskip(SKIP_1) | instid1(VALU_DEP_2)
	v_add_nc_u32_e32 v35, s3, v33
	v_ashrrev_i32_e32 v34, 31, v33
	v_add_nc_u32_e32 v37, s3, v35
	s_delay_alu instid0(VALU_DEP_2) | instskip(SKIP_1) | instid1(VALU_DEP_3)
	v_lshlrev_b64 v[33:34], 3, v[33:34]
	v_ashrrev_i32_e32 v36, 31, v35
	v_ashrrev_i32_e32 v38, 31, v37
	v_add_nc_u32_e32 v39, s3, v37
	s_delay_alu instid0(VALU_DEP_4) | instskip(SKIP_1) | instid1(VALU_DEP_4)
	v_add_co_u32 v45, vcc_lo, s0, v33
	v_add_co_ci_u32_e32 v46, vcc_lo, s1, v34, vcc_lo
	v_lshlrev_b64 v[33:34], 3, v[37:38]
	s_delay_alu instid0(VALU_DEP_4) | instskip(SKIP_2) | instid1(VALU_DEP_3)
	v_add_nc_u32_e32 v37, s3, v39
	v_lshlrev_b64 v[35:36], 3, v[35:36]
	v_ashrrev_i32_e32 v40, 31, v39
	v_add_nc_u32_e32 v43, s3, v37
	v_ashrrev_i32_e32 v38, 31, v37
	s_delay_alu instid0(VALU_DEP_4) | instskip(NEXT) | instid1(VALU_DEP_4)
	v_add_co_u32 v41, vcc_lo, s0, v35
	v_lshlrev_b64 v[39:40], 3, v[39:40]
	v_add_co_ci_u32_e32 v42, vcc_lo, s1, v36, vcc_lo
	v_add_co_u32 v35, vcc_lo, s0, v33
	v_ashrrev_i32_e32 v44, 31, v43
	v_add_nc_u32_e32 v47, s3, v43
	v_add_co_ci_u32_e32 v36, vcc_lo, s1, v34, vcc_lo
	v_add_co_u32 v33, vcc_lo, s0, v39
	v_add_co_ci_u32_e32 v34, vcc_lo, s1, v40, vcc_lo
	v_lshlrev_b64 v[39:40], 3, v[43:44]
	v_add_nc_u32_e32 v43, s3, v47
	v_lshlrev_b64 v[37:38], 3, v[37:38]
	v_ashrrev_i32_e32 v48, 31, v47
	s_clause 0x2
	global_load_b64 v[104:105], v[45:46], off
	global_load_b64 v[106:107], v[41:42], off
	;; [unrolled: 1-line block ×3, first 2 shown]
	v_add_nc_u32_e32 v49, s3, v43
	v_ashrrev_i32_e32 v44, 31, v43
	v_add_co_u32 v37, vcc_lo, s0, v37
	v_lshlrev_b64 v[47:48], 3, v[47:48]
	s_delay_alu instid0(VALU_DEP_4)
	v_add_nc_u32_e32 v53, s3, v49
	v_add_co_ci_u32_e32 v38, vcc_lo, s1, v38, vcc_lo
	v_add_co_u32 v39, vcc_lo, s0, v39
	v_lshlrev_b64 v[51:52], 3, v[43:44]
	v_add_co_ci_u32_e32 v40, vcc_lo, s1, v40, vcc_lo
	v_add_co_u32 v43, vcc_lo, s0, v47
	v_ashrrev_i32_e32 v54, 31, v53
	v_add_nc_u32_e32 v55, s3, v53
	v_add_co_ci_u32_e32 v44, vcc_lo, s1, v48, vcc_lo
	v_ashrrev_i32_e32 v50, 31, v49
	v_add_co_u32 v47, vcc_lo, s0, v51
	v_add_co_ci_u32_e32 v48, vcc_lo, s1, v52, vcc_lo
	v_lshlrev_b64 v[51:52], 3, v[53:54]
	v_add_nc_u32_e32 v53, s3, v55
	v_lshlrev_b64 v[49:50], 3, v[49:50]
	v_ashrrev_i32_e32 v56, 31, v55
	s_delay_alu instid0(VALU_DEP_3) | instskip(SKIP_1) | instid1(VALU_DEP_4)
	v_add_nc_u32_e32 v57, s3, v53
	v_ashrrev_i32_e32 v54, 31, v53
	v_add_co_u32 v49, vcc_lo, s0, v49
	s_delay_alu instid0(VALU_DEP_4) | instskip(NEXT) | instid1(VALU_DEP_4)
	v_lshlrev_b64 v[55:56], 3, v[55:56]
	v_add_nc_u32_e32 v61, s3, v57
	v_add_co_ci_u32_e32 v50, vcc_lo, s1, v50, vcc_lo
	v_add_co_u32 v51, vcc_lo, s0, v51
	v_lshlrev_b64 v[59:60], 3, v[53:54]
	v_add_co_ci_u32_e32 v52, vcc_lo, s1, v52, vcc_lo
	v_add_co_u32 v53, vcc_lo, s0, v55
	v_ashrrev_i32_e32 v62, 31, v61
	v_add_nc_u32_e32 v63, s3, v61
	v_add_co_ci_u32_e32 v54, vcc_lo, s1, v56, vcc_lo
	v_ashrrev_i32_e32 v58, 31, v57
	v_add_co_u32 v55, vcc_lo, s0, v59
	v_add_co_ci_u32_e32 v56, vcc_lo, s1, v60, vcc_lo
	v_lshlrev_b64 v[59:60], 3, v[61:62]
	v_add_nc_u32_e32 v61, s3, v63
	v_lshlrev_b64 v[57:58], 3, v[57:58]
	v_ashrrev_i32_e32 v64, 31, v63
	s_delay_alu instid0(VALU_DEP_3) | instskip(SKIP_1) | instid1(VALU_DEP_4)
	v_add_nc_u32_e32 v65, s3, v61
	v_ashrrev_i32_e32 v62, 31, v61
	v_add_co_u32 v57, vcc_lo, s0, v57
	s_delay_alu instid0(VALU_DEP_4) | instskip(NEXT) | instid1(VALU_DEP_4)
	v_lshlrev_b64 v[63:64], 3, v[63:64]
	;; [unrolled: 22-line block ×4, first 2 shown]
	v_add_nc_u32_e32 v85, s3, v81
	v_add_co_ci_u32_e32 v74, vcc_lo, s1, v74, vcc_lo
	v_add_co_u32 v75, vcc_lo, s0, v75
	v_lshlrev_b64 v[83:84], 3, v[77:78]
	v_add_co_ci_u32_e32 v76, vcc_lo, s1, v76, vcc_lo
	v_add_co_u32 v77, vcc_lo, s0, v79
	v_ashrrev_i32_e32 v86, 31, v85
	v_add_nc_u32_e32 v87, s3, v85
	v_add_co_ci_u32_e32 v78, vcc_lo, s1, v80, vcc_lo
	v_add_co_u32 v79, vcc_lo, s0, v83
	v_ashrrev_i32_e32 v82, 31, v81
	v_add_co_ci_u32_e32 v80, vcc_lo, s1, v84, vcc_lo
	v_lshlrev_b64 v[83:84], 3, v[85:86]
	v_add_nc_u32_e32 v85, s3, v87
	s_delay_alu instid0(VALU_DEP_4) | instskip(SKIP_1) | instid1(VALU_DEP_3)
	v_lshlrev_b64 v[81:82], 3, v[81:82]
	v_ashrrev_i32_e32 v88, 31, v87
	v_add_nc_u32_e32 v89, s3, v85
	v_ashrrev_i32_e32 v86, 31, v85
	s_delay_alu instid0(VALU_DEP_4) | instskip(NEXT) | instid1(VALU_DEP_4)
	v_add_co_u32 v81, vcc_lo, s0, v81
	v_lshlrev_b64 v[87:88], 3, v[87:88]
	s_delay_alu instid0(VALU_DEP_4) | instskip(SKIP_3) | instid1(VALU_DEP_4)
	v_add_nc_u32_e32 v91, s3, v89
	v_add_co_ci_u32_e32 v82, vcc_lo, s1, v82, vcc_lo
	v_add_co_u32 v83, vcc_lo, s0, v83
	v_ashrrev_i32_e32 v90, 31, v89
	v_add_nc_u32_e32 v110, s3, v91
	v_add_co_ci_u32_e32 v84, vcc_lo, s1, v84, vcc_lo
	v_lshlrev_b64 v[93:94], 3, v[85:86]
	v_add_co_u32 v85, vcc_lo, s0, v87
	v_ashrrev_i32_e32 v92, 31, v91
	v_add_co_ci_u32_e32 v86, vcc_lo, s1, v88, vcc_lo
	v_lshlrev_b64 v[87:88], 3, v[89:90]
	v_ashrrev_i32_e32 v111, 31, v110
	v_add_co_u32 v89, vcc_lo, s0, v93
	v_lshlrev_b64 v[91:92], 3, v[91:92]
	v_add_co_ci_u32_e32 v90, vcc_lo, s1, v94, vcc_lo
	v_add_co_u32 v93, vcc_lo, s0, v87
	v_lshlrev_b64 v[110:111], 3, v[110:111]
	v_add_co_ci_u32_e32 v94, vcc_lo, s1, v88, vcc_lo
	v_add_co_u32 v87, vcc_lo, s0, v91
	v_add_co_ci_u32_e32 v88, vcc_lo, s1, v92, vcc_lo
	s_delay_alu instid0(VALU_DEP_4)
	v_add_co_u32 v91, vcc_lo, s0, v110
	v_add_co_ci_u32_e32 v92, vcc_lo, s1, v111, vcc_lo
	global_load_b64 v[110:111], v[33:34], off
	s_mov_b32 s1, -1
	s_waitcnt vmcnt(12)
	scratch_store_b128 off, v[1:4], off
	s_clause 0x3
	global_load_b64 v[1:2], v[37:38], off
	global_load_b64 v[3:4], v[39:40], off
	;; [unrolled: 1-line block ×4, first 2 shown]
	s_waitcnt vmcnt(14)
	scratch_store_b128 off, v[5:8], off offset:16
	s_waitcnt vmcnt(12)
	scratch_store_b128 off, v[9:12], off offset:32
	s_clause 0x3
	global_load_b64 v[5:6], v[49:50], off
	global_load_b64 v[7:8], v[51:52], off
	;; [unrolled: 1-line block ×4, first 2 shown]
	s_waitcnt vmcnt(14)
	scratch_store_b128 off, v[96:99], off offset:48
	s_clause 0x1
	global_load_b64 v[96:97], v[57:58], off
	global_load_b64 v[98:99], v[59:60], off
	s_waitcnt vmcnt(14)
	scratch_store_b128 off, v[100:103], off offset:64
	s_clause 0x1
	global_load_b64 v[100:101], v[61:62], off
	global_load_b64 v[102:103], v[63:64], off
	s_waitcnt vmcnt(14)
	scratch_store_b128 off, v[104:107], off offset:80
	s_waitcnt vmcnt(12)
	scratch_store_b128 off, v[108:111], off offset:96
	s_clause 0x2
	global_load_b64 v[104:105], v[65:66], off
	global_load_b64 v[106:107], v[67:68], off
	;; [unrolled: 1-line block ×3, first 2 shown]
	s_waitcnt vmcnt(13)
	scratch_store_b128 off, v[1:4], off offset:112
	s_waitcnt vmcnt(11)
	scratch_store_b128 off, v[112:115], off offset:128
	s_clause 0x3
	global_load_b64 v[110:111], v[71:72], off
	global_load_b64 v[1:2], v[73:74], off
	;; [unrolled: 1-line block ×4, first 2 shown]
	s_waitcnt vmcnt(13)
	scratch_store_b128 off, v[5:8], off offset:144
	s_waitcnt vmcnt(11)
	scratch_store_b128 off, v[9:12], off offset:160
	s_clause 0x3
	global_load_b64 v[114:115], v[79:80], off
	global_load_b64 v[5:6], v[81:82], off
	;; [unrolled: 1-line block ×4, first 2 shown]
	s_waitcnt vmcnt(13)
	scratch_store_b128 off, v[96:99], off offset:176
	s_clause 0x2
	global_load_b64 v[11:12], v[89:90], off
	global_load_b64 v[96:97], v[93:94], off
	;; [unrolled: 1-line block ×3, first 2 shown]
	s_waitcnt vmcnt(14)
	scratch_store_b128 off, v[100:103], off offset:192
	global_load_b64 v[100:101], v[91:92], off
	s_waitcnt vmcnt(13)
	scratch_store_b128 off, v[104:107], off offset:208
	s_waitcnt vmcnt(11)
	scratch_store_b128 off, v[108:111], off offset:224
	;; [unrolled: 2-line block ×7, first 2 shown]
	s_waitcnt vmcnt(0)
	scratch_store_b64 off, v[100:101], off offset:320
	s_cbranch_scc1 .LBB40_172
; %bb.4:
	v_cmp_eq_u32_e64 s0, 0, v0
	s_delay_alu instid0(VALU_DEP_1)
	s_and_saveexec_b32 s1, s0
	s_cbranch_execz .LBB40_6
; %bb.5:
	v_mov_b32_e32 v1, 0
	ds_store_b32 v1, v1 offset:328
.LBB40_6:
	s_or_b32 exec_lo, exec_lo, s1
	s_waitcnt lgkmcnt(0)
	s_waitcnt_vscnt null, 0x0
	s_barrier
	buffer_gl0_inv
	scratch_load_b64 v[1:2], v95, off
	s_mov_b32 s2, exec_lo
	s_waitcnt vmcnt(0)
	v_cmpx_eq_f64_e32 0, v[1:2]
	s_cbranch_execz .LBB40_10
; %bb.7:
	v_mov_b32_e32 v1, 0
	s_mov_b32 s3, 0
	ds_load_b32 v2, v1 offset:328
	s_waitcnt lgkmcnt(0)
	v_readfirstlane_b32 s1, v2
	v_add_nc_u32_e32 v2, 1, v0
	s_delay_alu instid0(VALU_DEP_2) | instskip(NEXT) | instid1(VALU_DEP_1)
	s_cmp_eq_u32 s1, 0
	v_cmp_gt_i32_e32 vcc_lo, s1, v2
	s_cselect_b32 s4, -1, 0
	s_delay_alu instid0(SALU_CYCLE_1) | instskip(NEXT) | instid1(SALU_CYCLE_1)
	s_or_b32 s4, s4, vcc_lo
	s_and_b32 exec_lo, exec_lo, s4
	s_cbranch_execz .LBB40_10
; %bb.8:
	v_mov_b32_e32 v3, s1
.LBB40_9:                               ; =>This Inner Loop Header: Depth=1
	ds_cmpstore_rtn_b32 v3, v1, v2, v3 offset:328
	s_waitcnt lgkmcnt(0)
	v_cmp_ne_u32_e32 vcc_lo, 0, v3
	v_cmp_le_i32_e64 s1, v3, v2
	s_delay_alu instid0(VALU_DEP_1) | instskip(NEXT) | instid1(SALU_CYCLE_1)
	s_and_b32 s1, vcc_lo, s1
	s_and_b32 s1, exec_lo, s1
	s_delay_alu instid0(SALU_CYCLE_1) | instskip(NEXT) | instid1(SALU_CYCLE_1)
	s_or_b32 s3, s1, s3
	s_and_not1_b32 exec_lo, exec_lo, s3
	s_cbranch_execnz .LBB40_9
.LBB40_10:
	s_or_b32 exec_lo, exec_lo, s2
	v_mov_b32_e32 v1, 0
	s_barrier
	buffer_gl0_inv
	ds_load_b32 v2, v1 offset:328
	s_and_saveexec_b32 s1, s0
	s_cbranch_execz .LBB40_12
; %bb.11:
	s_lshl_b64 s[2:3], s[14:15], 2
	s_delay_alu instid0(SALU_CYCLE_1)
	s_add_u32 s2, s6, s2
	s_addc_u32 s3, s7, s3
	s_waitcnt lgkmcnt(0)
	global_store_b32 v1, v2, s[2:3]
.LBB40_12:
	s_or_b32 exec_lo, exec_lo, s1
	s_waitcnt lgkmcnt(0)
	v_cmp_ne_u32_e32 vcc_lo, 0, v2
	s_mov_b32 s1, 0
	s_cbranch_vccnz .LBB40_172
; %bb.13:
	v_add_nc_u32_e32 v3, 0, v95
	scratch_load_b64 v[1:2], v3, off
	s_waitcnt vmcnt(0)
	v_div_scale_f64 v[4:5], null, v[1:2], v[1:2], 1.0
	v_div_scale_f64 v[10:11], vcc_lo, 1.0, v[1:2], 1.0
	s_delay_alu instid0(VALU_DEP_2) | instskip(SKIP_2) | instid1(VALU_DEP_1)
	v_rcp_f64_e32 v[6:7], v[4:5]
	s_waitcnt_depctr 0xfff
	v_fma_f64 v[8:9], -v[4:5], v[6:7], 1.0
	v_fma_f64 v[6:7], v[6:7], v[8:9], v[6:7]
	s_delay_alu instid0(VALU_DEP_1) | instskip(NEXT) | instid1(VALU_DEP_1)
	v_fma_f64 v[8:9], -v[4:5], v[6:7], 1.0
	v_fma_f64 v[6:7], v[6:7], v[8:9], v[6:7]
	s_delay_alu instid0(VALU_DEP_1) | instskip(NEXT) | instid1(VALU_DEP_1)
	v_mul_f64 v[8:9], v[10:11], v[6:7]
	v_fma_f64 v[4:5], -v[4:5], v[8:9], v[10:11]
	s_delay_alu instid0(VALU_DEP_1) | instskip(NEXT) | instid1(VALU_DEP_1)
	v_div_fmas_f64 v[4:5], v[4:5], v[6:7], v[8:9]
	v_div_fixup_f64 v[1:2], v[4:5], v[1:2], 1.0
	v_add_nc_u32_e32 v4, 0x150, v95
	scratch_store_b64 v3, v[1:2], off
	scratch_load_b64 v[5:6], off, off offset:8
	v_xor_b32_e32 v2, 0x80000000, v2
	s_waitcnt vmcnt(0)
	ds_store_2addr_b64 v95, v[1:2], v[5:6] offset1:42
	s_waitcnt lgkmcnt(0)
	s_waitcnt_vscnt null, 0x0
	s_barrier
	buffer_gl0_inv
	s_and_saveexec_b32 s1, s0
	s_cbranch_execz .LBB40_15
; %bb.14:
	scratch_load_b64 v[1:2], v3, off
	ds_load_b64 v[5:6], v4
	s_waitcnt vmcnt(0) lgkmcnt(0)
	v_fma_f64 v[1:2], v[1:2], v[5:6], 0
	v_mov_b32_e32 v5, 0
	ds_load_b64 v[5:6], v5 offset:8
	s_waitcnt lgkmcnt(0)
	v_mul_f64 v[1:2], v[1:2], v[5:6]
	scratch_store_b64 off, v[1:2], off offset:8
.LBB40_15:
	s_or_b32 exec_lo, exec_lo, s1
	s_waitcnt_vscnt null, 0x0
	s_barrier
	buffer_gl0_inv
	scratch_load_b64 v[1:2], off, off offset:16
	s_mov_b32 s1, exec_lo
	s_waitcnt vmcnt(0)
	ds_store_b64 v4, v[1:2]
	s_waitcnt lgkmcnt(0)
	s_barrier
	buffer_gl0_inv
	v_cmpx_gt_u32_e32 2, v0
	s_cbranch_execz .LBB40_19
; %bb.16:
	scratch_load_b64 v[1:2], v3, off
	ds_load_b64 v[5:6], v4
	s_waitcnt vmcnt(0) lgkmcnt(0)
	v_fma_f64 v[1:2], v[1:2], v[5:6], 0
	s_and_saveexec_b32 s2, s0
	s_cbranch_execz .LBB40_18
; %bb.17:
	scratch_load_b64 v[5:6], off, off offset:8
	v_mov_b32_e32 v7, 0
	ds_load_b64 v[7:8], v7 offset:344
	s_waitcnt vmcnt(0) lgkmcnt(0)
	v_fma_f64 v[1:2], v[5:6], v[7:8], v[1:2]
.LBB40_18:
	s_or_b32 exec_lo, exec_lo, s2
	v_mov_b32_e32 v5, 0
	ds_load_b64 v[5:6], v5 offset:16
	s_waitcnt lgkmcnt(0)
	v_mul_f64 v[1:2], v[1:2], v[5:6]
	scratch_store_b64 off, v[1:2], off offset:16
.LBB40_19:
	s_or_b32 exec_lo, exec_lo, s1
	s_waitcnt_vscnt null, 0x0
	s_barrier
	buffer_gl0_inv
	scratch_load_b64 v[1:2], off, off offset:24
	v_add_nc_u32_e32 v5, -1, v0
	s_mov_b32 s0, exec_lo
	s_waitcnt vmcnt(0)
	ds_store_b64 v4, v[1:2]
	s_waitcnt lgkmcnt(0)
	s_barrier
	buffer_gl0_inv
	v_cmpx_gt_u32_e32 3, v0
	s_cbranch_execz .LBB40_23
; %bb.20:
	v_dual_mov_b32 v1, 0 :: v_dual_add_nc_u32 v6, -1, v0
	v_dual_mov_b32 v2, 0 :: v_dual_add_nc_u32 v7, 0x150, v95
	v_add_nc_u32_e32 v8, 0, v95
	s_mov_b32 s1, 0
.LBB40_21:                              ; =>This Inner Loop Header: Depth=1
	scratch_load_b64 v[9:10], v8, off
	ds_load_b64 v[11:12], v7
	v_add_nc_u32_e32 v6, 1, v6
	v_add_nc_u32_e32 v7, 8, v7
	v_add_nc_u32_e32 v8, 8, v8
	s_delay_alu instid0(VALU_DEP_3)
	v_cmp_lt_u32_e32 vcc_lo, 1, v6
	s_or_b32 s1, vcc_lo, s1
	s_waitcnt vmcnt(0) lgkmcnt(0)
	v_fma_f64 v[1:2], v[9:10], v[11:12], v[1:2]
	s_and_not1_b32 exec_lo, exec_lo, s1
	s_cbranch_execnz .LBB40_21
; %bb.22:
	s_or_b32 exec_lo, exec_lo, s1
	v_mov_b32_e32 v6, 0
	ds_load_b64 v[6:7], v6 offset:24
	s_waitcnt lgkmcnt(0)
	v_mul_f64 v[1:2], v[1:2], v[6:7]
	scratch_store_b64 off, v[1:2], off offset:24
.LBB40_23:
	s_or_b32 exec_lo, exec_lo, s0
	s_waitcnt_vscnt null, 0x0
	s_barrier
	buffer_gl0_inv
	scratch_load_b64 v[1:2], off, off offset:32
	s_mov_b32 s0, exec_lo
	s_waitcnt vmcnt(0)
	ds_store_b64 v4, v[1:2]
	s_waitcnt lgkmcnt(0)
	s_barrier
	buffer_gl0_inv
	v_cmpx_gt_u32_e32 4, v0
	s_cbranch_execz .LBB40_27
; %bb.24:
	v_dual_mov_b32 v1, 0 :: v_dual_add_nc_u32 v6, -1, v0
	v_dual_mov_b32 v2, 0 :: v_dual_add_nc_u32 v7, 0x150, v95
	v_add_nc_u32_e32 v8, 0, v95
	s_mov_b32 s1, 0
.LBB40_25:                              ; =>This Inner Loop Header: Depth=1
	scratch_load_b64 v[9:10], v8, off
	ds_load_b64 v[11:12], v7
	v_add_nc_u32_e32 v6, 1, v6
	v_add_nc_u32_e32 v7, 8, v7
	v_add_nc_u32_e32 v8, 8, v8
	s_delay_alu instid0(VALU_DEP_3)
	v_cmp_lt_u32_e32 vcc_lo, 2, v6
	s_or_b32 s1, vcc_lo, s1
	s_waitcnt vmcnt(0) lgkmcnt(0)
	v_fma_f64 v[1:2], v[9:10], v[11:12], v[1:2]
	s_and_not1_b32 exec_lo, exec_lo, s1
	s_cbranch_execnz .LBB40_25
; %bb.26:
	s_or_b32 exec_lo, exec_lo, s1
	v_mov_b32_e32 v6, 0
	ds_load_b64 v[6:7], v6 offset:32
	s_waitcnt lgkmcnt(0)
	v_mul_f64 v[1:2], v[1:2], v[6:7]
	scratch_store_b64 off, v[1:2], off offset:32
.LBB40_27:
	s_or_b32 exec_lo, exec_lo, s0
	s_waitcnt_vscnt null, 0x0
	s_barrier
	buffer_gl0_inv
	scratch_load_b64 v[1:2], off, off offset:40
	;; [unrolled: 39-line block ×20, first 2 shown]
	s_mov_b32 s0, exec_lo
	s_waitcnt vmcnt(0)
	ds_store_b64 v4, v[1:2]
	s_waitcnt lgkmcnt(0)
	s_barrier
	buffer_gl0_inv
	v_cmpx_gt_u32_e32 23, v0
	s_cbranch_execz .LBB40_103
; %bb.100:
	v_dual_mov_b32 v1, 0 :: v_dual_add_nc_u32 v6, -1, v0
	v_dual_mov_b32 v2, 0 :: v_dual_add_nc_u32 v7, 0x150, v95
	v_add_nc_u32_e32 v8, 0, v95
	s_mov_b32 s1, 0
.LBB40_101:                             ; =>This Inner Loop Header: Depth=1
	scratch_load_b64 v[9:10], v8, off
	ds_load_b64 v[11:12], v7
	v_add_nc_u32_e32 v6, 1, v6
	v_add_nc_u32_e32 v7, 8, v7
	v_add_nc_u32_e32 v8, 8, v8
	s_delay_alu instid0(VALU_DEP_3)
	v_cmp_lt_u32_e32 vcc_lo, 21, v6
	s_or_b32 s1, vcc_lo, s1
	s_waitcnt vmcnt(0) lgkmcnt(0)
	v_fma_f64 v[1:2], v[9:10], v[11:12], v[1:2]
	s_and_not1_b32 exec_lo, exec_lo, s1
	s_cbranch_execnz .LBB40_101
; %bb.102:
	s_or_b32 exec_lo, exec_lo, s1
	v_mov_b32_e32 v6, 0
	ds_load_b64 v[6:7], v6 offset:184
	s_waitcnt lgkmcnt(0)
	v_mul_f64 v[1:2], v[1:2], v[6:7]
	scratch_store_b64 off, v[1:2], off offset:184
.LBB40_103:
	s_or_b32 exec_lo, exec_lo, s0
	s_waitcnt_vscnt null, 0x0
	s_barrier
	buffer_gl0_inv
	scratch_load_b64 v[1:2], off, off offset:192
	s_mov_b32 s0, exec_lo
	s_waitcnt vmcnt(0)
	ds_store_b64 v4, v[1:2]
	s_waitcnt lgkmcnt(0)
	s_barrier
	buffer_gl0_inv
	v_cmpx_gt_u32_e32 24, v0
	s_cbranch_execz .LBB40_107
; %bb.104:
	v_dual_mov_b32 v1, 0 :: v_dual_add_nc_u32 v6, -1, v0
	v_dual_mov_b32 v2, 0 :: v_dual_add_nc_u32 v7, 0x150, v95
	v_add_nc_u32_e32 v8, 0, v95
	s_mov_b32 s1, 0
.LBB40_105:                             ; =>This Inner Loop Header: Depth=1
	scratch_load_b64 v[9:10], v8, off
	ds_load_b64 v[11:12], v7
	v_add_nc_u32_e32 v6, 1, v6
	v_add_nc_u32_e32 v7, 8, v7
	v_add_nc_u32_e32 v8, 8, v8
	s_delay_alu instid0(VALU_DEP_3)
	v_cmp_lt_u32_e32 vcc_lo, 22, v6
	s_or_b32 s1, vcc_lo, s1
	s_waitcnt vmcnt(0) lgkmcnt(0)
	v_fma_f64 v[1:2], v[9:10], v[11:12], v[1:2]
	s_and_not1_b32 exec_lo, exec_lo, s1
	s_cbranch_execnz .LBB40_105
; %bb.106:
	s_or_b32 exec_lo, exec_lo, s1
	v_mov_b32_e32 v6, 0
	ds_load_b64 v[6:7], v6 offset:192
	s_waitcnt lgkmcnt(0)
	v_mul_f64 v[1:2], v[1:2], v[6:7]
	scratch_store_b64 off, v[1:2], off offset:192
.LBB40_107:
	s_or_b32 exec_lo, exec_lo, s0
	s_waitcnt_vscnt null, 0x0
	s_barrier
	buffer_gl0_inv
	scratch_load_b64 v[1:2], off, off offset:200
	;; [unrolled: 39-line block ×17, first 2 shown]
	s_mov_b32 s0, exec_lo
	s_waitcnt vmcnt(0)
	ds_store_b64 v4, v[1:2]
	s_waitcnt lgkmcnt(0)
	s_barrier
	buffer_gl0_inv
	v_cmpx_ne_u32_e32 40, v0
	s_cbranch_execz .LBB40_171
; %bb.168:
	v_mov_b32_e32 v1, 0
	v_mov_b32_e32 v2, 0
	s_mov_b32 s1, 0
.LBB40_169:                             ; =>This Inner Loop Header: Depth=1
	scratch_load_b64 v[6:7], v3, off
	ds_load_b64 v[8:9], v4
	v_add_nc_u32_e32 v5, 1, v5
	v_add_nc_u32_e32 v4, 8, v4
	;; [unrolled: 1-line block ×3, first 2 shown]
	s_delay_alu instid0(VALU_DEP_3)
	v_cmp_lt_u32_e32 vcc_lo, 38, v5
	s_or_b32 s1, vcc_lo, s1
	s_waitcnt vmcnt(0) lgkmcnt(0)
	v_fma_f64 v[1:2], v[6:7], v[8:9], v[1:2]
	s_and_not1_b32 exec_lo, exec_lo, s1
	s_cbranch_execnz .LBB40_169
; %bb.170:
	s_or_b32 exec_lo, exec_lo, s1
	v_mov_b32_e32 v3, 0
	ds_load_b64 v[3:4], v3 offset:320
	s_waitcnt lgkmcnt(0)
	v_mul_f64 v[1:2], v[1:2], v[3:4]
	scratch_store_b64 off, v[1:2], off offset:320
.LBB40_171:
	s_or_b32 exec_lo, exec_lo, s0
	s_mov_b32 s1, -1
	s_waitcnt_vscnt null, 0x0
	s_barrier
	buffer_gl0_inv
.LBB40_172:
	s_and_b32 vcc_lo, exec_lo, s1
	s_cbranch_vccz .LBB40_174
; %bb.173:
	s_lshl_b64 s[0:1], s[14:15], 2
	v_mov_b32_e32 v1, 0
	s_add_u32 s0, s6, s0
	s_addc_u32 s1, s7, s1
	global_load_b32 v1, v1, s[0:1]
	s_waitcnt vmcnt(0)
	v_cmp_ne_u32_e32 vcc_lo, 0, v1
	s_cbranch_vccz .LBB40_175
.LBB40_174:
	s_endpgm
.LBB40_175:
	v_lshl_add_u32 v3, v0, 3, 0x150
	s_mov_b32 s0, exec_lo
	v_cmpx_eq_u32_e32 40, v0
	s_cbranch_execz .LBB40_177
; %bb.176:
	scratch_load_b64 v[1:2], off, off offset:312
	v_mov_b32_e32 v4, 0
	s_delay_alu instid0(VALU_DEP_1)
	v_mov_b32_e32 v5, v4
	scratch_store_b64 off, v[4:5], off offset:312
	s_waitcnt vmcnt(0)
	ds_store_b64 v3, v[1:2]
.LBB40_177:
	s_or_b32 exec_lo, exec_lo, s0
	s_waitcnt lgkmcnt(0)
	s_waitcnt_vscnt null, 0x0
	s_barrier
	buffer_gl0_inv
	scratch_load_b128 v[4:7], off, off offset:312
	v_mov_b32_e32 v1, 0
	s_mov_b32 s0, exec_lo
	ds_load_b64 v[8:9], v1 offset:656
	s_waitcnt vmcnt(0) lgkmcnt(0)
	v_fma_f64 v[6:7], v[6:7], v[8:9], 0
	s_delay_alu instid0(VALU_DEP_1)
	v_add_f64 v[4:5], v[4:5], -v[6:7]
	scratch_store_b64 off, v[4:5], off offset:312
	v_cmpx_lt_u32_e32 38, v0
	s_cbranch_execz .LBB40_179
; %bb.178:
	scratch_load_b64 v[4:5], off, off offset:304
	v_mov_b32_e32 v2, v1
	scratch_store_b64 off, v[1:2], off offset:304
	s_waitcnt vmcnt(0)
	ds_store_b64 v3, v[4:5]
.LBB40_179:
	s_or_b32 exec_lo, exec_lo, s0
	s_waitcnt lgkmcnt(0)
	s_waitcnt_vscnt null, 0x0
	s_barrier
	buffer_gl0_inv
	s_clause 0x1
	scratch_load_b128 v[4:7], off, off offset:304
	scratch_load_b64 v[95:96], off, off offset:320
	ds_load_2addr_b64 v[8:11], v1 offset0:81 offset1:82
	s_mov_b32 s0, exec_lo
	s_waitcnt vmcnt(1) lgkmcnt(0)
	v_fma_f64 v[1:2], v[6:7], v[8:9], 0
	s_waitcnt vmcnt(0)
	s_delay_alu instid0(VALU_DEP_1) | instskip(NEXT) | instid1(VALU_DEP_1)
	v_fma_f64 v[1:2], v[95:96], v[10:11], v[1:2]
	v_add_f64 v[1:2], v[4:5], -v[1:2]
	scratch_store_b64 off, v[1:2], off offset:304
	v_cmpx_lt_u32_e32 37, v0
	s_cbranch_execz .LBB40_181
; %bb.180:
	scratch_load_b64 v[1:2], off, off offset:296
	v_mov_b32_e32 v4, 0
	s_delay_alu instid0(VALU_DEP_1)
	v_mov_b32_e32 v5, v4
	scratch_store_b64 off, v[4:5], off offset:296
	s_waitcnt vmcnt(0)
	ds_store_b64 v3, v[1:2]
.LBB40_181:
	s_or_b32 exec_lo, exec_lo, s0
	s_waitcnt lgkmcnt(0)
	s_waitcnt_vscnt null, 0x0
	s_barrier
	buffer_gl0_inv
	s_clause 0x1
	scratch_load_b128 v[4:7], off, off offset:296
	scratch_load_b128 v[8:11], off, off offset:312
	v_mov_b32_e32 v1, 0
	ds_load_b128 v[95:98], v1 offset:640
	ds_load_b64 v[99:100], v1 offset:656
	s_mov_b32 s0, exec_lo
	s_waitcnt vmcnt(1) lgkmcnt(1)
	v_fma_f64 v[6:7], v[6:7], v[95:96], 0
	s_waitcnt vmcnt(0)
	s_delay_alu instid0(VALU_DEP_1) | instskip(SKIP_1) | instid1(VALU_DEP_1)
	v_fma_f64 v[6:7], v[8:9], v[97:98], v[6:7]
	s_waitcnt lgkmcnt(0)
	v_fma_f64 v[6:7], v[10:11], v[99:100], v[6:7]
	s_delay_alu instid0(VALU_DEP_1)
	v_add_f64 v[4:5], v[4:5], -v[6:7]
	scratch_store_b64 off, v[4:5], off offset:296
	v_cmpx_lt_u32_e32 36, v0
	s_cbranch_execz .LBB40_183
; %bb.182:
	scratch_load_b64 v[4:5], off, off offset:288
	v_mov_b32_e32 v2, v1
	scratch_store_b64 off, v[1:2], off offset:288
	s_waitcnt vmcnt(0)
	ds_store_b64 v3, v[4:5]
.LBB40_183:
	s_or_b32 exec_lo, exec_lo, s0
	s_waitcnt lgkmcnt(0)
	s_waitcnt_vscnt null, 0x0
	s_barrier
	buffer_gl0_inv
	s_clause 0x2
	scratch_load_b128 v[4:7], off, off offset:288
	scratch_load_b128 v[8:11], off, off offset:304
	scratch_load_b64 v[103:104], off, off offset:320
	ds_load_2addr_b64 v[95:98], v1 offset0:79 offset1:80
	ds_load_2addr_b64 v[99:102], v1 offset0:81 offset1:82
	s_mov_b32 s0, exec_lo
	s_waitcnt vmcnt(2) lgkmcnt(1)
	v_fma_f64 v[1:2], v[6:7], v[95:96], 0
	s_waitcnt vmcnt(1)
	s_delay_alu instid0(VALU_DEP_1) | instskip(SKIP_1) | instid1(VALU_DEP_1)
	v_fma_f64 v[1:2], v[8:9], v[97:98], v[1:2]
	s_waitcnt lgkmcnt(0)
	v_fma_f64 v[1:2], v[10:11], v[99:100], v[1:2]
	s_waitcnt vmcnt(0)
	s_delay_alu instid0(VALU_DEP_1) | instskip(NEXT) | instid1(VALU_DEP_1)
	v_fma_f64 v[1:2], v[103:104], v[101:102], v[1:2]
	v_add_f64 v[1:2], v[4:5], -v[1:2]
	scratch_store_b64 off, v[1:2], off offset:288
	v_cmpx_lt_u32_e32 35, v0
	s_cbranch_execz .LBB40_185
; %bb.184:
	scratch_load_b64 v[1:2], off, off offset:280
	v_mov_b32_e32 v4, 0
	s_delay_alu instid0(VALU_DEP_1)
	v_mov_b32_e32 v5, v4
	scratch_store_b64 off, v[4:5], off offset:280
	s_waitcnt vmcnt(0)
	ds_store_b64 v3, v[1:2]
.LBB40_185:
	s_or_b32 exec_lo, exec_lo, s0
	s_waitcnt lgkmcnt(0)
	s_waitcnt_vscnt null, 0x0
	s_barrier
	buffer_gl0_inv
	s_clause 0x2
	scratch_load_b128 v[4:7], off, off offset:280
	scratch_load_b128 v[8:11], off, off offset:296
	;; [unrolled: 1-line block ×3, first 2 shown]
	v_mov_b32_e32 v1, 0
	ds_load_b128 v[99:102], v1 offset:624
	ds_load_b128 v[103:106], v1 offset:640
	s_mov_b32 s0, exec_lo
	s_waitcnt vmcnt(2) lgkmcnt(1)
	v_fma_f64 v[6:7], v[6:7], v[99:100], 0
	s_waitcnt vmcnt(1)
	s_delay_alu instid0(VALU_DEP_1) | instskip(SKIP_4) | instid1(VALU_DEP_1)
	v_fma_f64 v[6:7], v[8:9], v[101:102], v[6:7]
	ds_load_b64 v[8:9], v1 offset:656
	s_waitcnt lgkmcnt(1)
	v_fma_f64 v[6:7], v[10:11], v[103:104], v[6:7]
	s_waitcnt vmcnt(0)
	v_fma_f64 v[6:7], v[95:96], v[105:106], v[6:7]
	s_waitcnt lgkmcnt(0)
	s_delay_alu instid0(VALU_DEP_1) | instskip(NEXT) | instid1(VALU_DEP_1)
	v_fma_f64 v[6:7], v[97:98], v[8:9], v[6:7]
	v_add_f64 v[4:5], v[4:5], -v[6:7]
	scratch_store_b64 off, v[4:5], off offset:280
	v_cmpx_lt_u32_e32 34, v0
	s_cbranch_execz .LBB40_187
; %bb.186:
	scratch_load_b64 v[4:5], off, off offset:272
	v_mov_b32_e32 v2, v1
	scratch_store_b64 off, v[1:2], off offset:272
	s_waitcnt vmcnt(0)
	ds_store_b64 v3, v[4:5]
.LBB40_187:
	s_or_b32 exec_lo, exec_lo, s0
	s_waitcnt lgkmcnt(0)
	s_waitcnt_vscnt null, 0x0
	s_barrier
	buffer_gl0_inv
	s_clause 0x3
	scratch_load_b128 v[4:7], off, off offset:272
	scratch_load_b128 v[8:11], off, off offset:288
	;; [unrolled: 1-line block ×3, first 2 shown]
	scratch_load_b64 v[107:108], off, off offset:320
	ds_load_2addr_b64 v[99:102], v1 offset0:77 offset1:78
	ds_load_2addr_b64 v[103:106], v1 offset0:79 offset1:80
	s_mov_b32 s0, exec_lo
	s_waitcnt vmcnt(3) lgkmcnt(1)
	v_fma_f64 v[6:7], v[6:7], v[99:100], 0
	s_waitcnt vmcnt(2)
	s_delay_alu instid0(VALU_DEP_1) | instskip(SKIP_1) | instid1(VALU_DEP_1)
	v_fma_f64 v[6:7], v[8:9], v[101:102], v[6:7]
	s_waitcnt lgkmcnt(0)
	v_fma_f64 v[6:7], v[10:11], v[103:104], v[6:7]
	s_waitcnt vmcnt(1)
	s_delay_alu instid0(VALU_DEP_1) | instskip(SKIP_4) | instid1(VALU_DEP_1)
	v_fma_f64 v[10:11], v[95:96], v[105:106], v[6:7]
	ds_load_2addr_b64 v[6:9], v1 offset0:81 offset1:82
	s_waitcnt lgkmcnt(0)
	v_fma_f64 v[1:2], v[97:98], v[6:7], v[10:11]
	s_waitcnt vmcnt(0)
	v_fma_f64 v[1:2], v[107:108], v[8:9], v[1:2]
	s_delay_alu instid0(VALU_DEP_1)
	v_add_f64 v[1:2], v[4:5], -v[1:2]
	scratch_store_b64 off, v[1:2], off offset:272
	v_cmpx_lt_u32_e32 33, v0
	s_cbranch_execz .LBB40_189
; %bb.188:
	scratch_load_b64 v[1:2], off, off offset:264
	v_mov_b32_e32 v4, 0
	s_delay_alu instid0(VALU_DEP_1)
	v_mov_b32_e32 v5, v4
	scratch_store_b64 off, v[4:5], off offset:264
	s_waitcnt vmcnt(0)
	ds_store_b64 v3, v[1:2]
.LBB40_189:
	s_or_b32 exec_lo, exec_lo, s0
	s_waitcnt lgkmcnt(0)
	s_waitcnt_vscnt null, 0x0
	s_barrier
	buffer_gl0_inv
	s_clause 0x3
	scratch_load_b128 v[4:7], off, off offset:264
	scratch_load_b128 v[8:11], off, off offset:280
	;; [unrolled: 1-line block ×4, first 2 shown]
	v_mov_b32_e32 v1, 0
	ds_load_b128 v[103:106], v1 offset:608
	ds_load_b128 v[107:110], v1 offset:624
	s_mov_b32 s0, exec_lo
	s_waitcnt vmcnt(3) lgkmcnt(1)
	v_fma_f64 v[6:7], v[6:7], v[103:104], 0
	s_waitcnt vmcnt(2)
	s_delay_alu instid0(VALU_DEP_1) | instskip(SKIP_1) | instid1(VALU_DEP_1)
	v_fma_f64 v[6:7], v[8:9], v[105:106], v[6:7]
	s_waitcnt lgkmcnt(0)
	v_fma_f64 v[6:7], v[10:11], v[107:108], v[6:7]
	s_waitcnt vmcnt(1)
	s_delay_alu instid0(VALU_DEP_1)
	v_fma_f64 v[10:11], v[95:96], v[109:110], v[6:7]
	ds_load_b128 v[6:9], v1 offset:640
	ds_load_b64 v[95:96], v1 offset:656
	s_waitcnt lgkmcnt(1)
	v_fma_f64 v[6:7], v[97:98], v[6:7], v[10:11]
	s_waitcnt vmcnt(0)
	s_delay_alu instid0(VALU_DEP_1) | instskip(SKIP_1) | instid1(VALU_DEP_1)
	v_fma_f64 v[6:7], v[99:100], v[8:9], v[6:7]
	s_waitcnt lgkmcnt(0)
	v_fma_f64 v[6:7], v[101:102], v[95:96], v[6:7]
	s_delay_alu instid0(VALU_DEP_1)
	v_add_f64 v[4:5], v[4:5], -v[6:7]
	scratch_store_b64 off, v[4:5], off offset:264
	v_cmpx_lt_u32_e32 32, v0
	s_cbranch_execz .LBB40_191
; %bb.190:
	scratch_load_b64 v[4:5], off, off offset:256
	v_mov_b32_e32 v2, v1
	scratch_store_b64 off, v[1:2], off offset:256
	s_waitcnt vmcnt(0)
	ds_store_b64 v3, v[4:5]
.LBB40_191:
	s_or_b32 exec_lo, exec_lo, s0
	s_waitcnt lgkmcnt(0)
	s_waitcnt_vscnt null, 0x0
	s_barrier
	buffer_gl0_inv
	s_clause 0x4
	scratch_load_b128 v[4:7], off, off offset:256
	scratch_load_b128 v[8:11], off, off offset:272
	;; [unrolled: 1-line block ×4, first 2 shown]
	scratch_load_b64 v[111:112], off, off offset:320
	ds_load_2addr_b64 v[103:106], v1 offset0:75 offset1:76
	ds_load_2addr_b64 v[107:110], v1 offset0:77 offset1:78
	s_mov_b32 s0, exec_lo
	s_waitcnt vmcnt(4) lgkmcnt(1)
	v_fma_f64 v[6:7], v[6:7], v[103:104], 0
	s_waitcnt vmcnt(3)
	s_delay_alu instid0(VALU_DEP_1) | instskip(SKIP_1) | instid1(VALU_DEP_1)
	v_fma_f64 v[6:7], v[8:9], v[105:106], v[6:7]
	s_waitcnt lgkmcnt(0)
	v_fma_f64 v[6:7], v[10:11], v[107:108], v[6:7]
	s_waitcnt vmcnt(2)
	s_delay_alu instid0(VALU_DEP_1)
	v_fma_f64 v[10:11], v[95:96], v[109:110], v[6:7]
	ds_load_2addr_b64 v[6:9], v1 offset0:79 offset1:80
	ds_load_2addr_b64 v[103:106], v1 offset0:81 offset1:82
	s_waitcnt lgkmcnt(1)
	v_fma_f64 v[1:2], v[97:98], v[6:7], v[10:11]
	s_waitcnt vmcnt(1)
	s_delay_alu instid0(VALU_DEP_1) | instskip(SKIP_1) | instid1(VALU_DEP_1)
	v_fma_f64 v[1:2], v[99:100], v[8:9], v[1:2]
	s_waitcnt lgkmcnt(0)
	v_fma_f64 v[1:2], v[101:102], v[103:104], v[1:2]
	s_waitcnt vmcnt(0)
	s_delay_alu instid0(VALU_DEP_1) | instskip(NEXT) | instid1(VALU_DEP_1)
	v_fma_f64 v[1:2], v[111:112], v[105:106], v[1:2]
	v_add_f64 v[1:2], v[4:5], -v[1:2]
	scratch_store_b64 off, v[1:2], off offset:256
	v_cmpx_lt_u32_e32 31, v0
	s_cbranch_execz .LBB40_193
; %bb.192:
	scratch_load_b64 v[1:2], off, off offset:248
	v_mov_b32_e32 v4, 0
	s_delay_alu instid0(VALU_DEP_1)
	v_mov_b32_e32 v5, v4
	scratch_store_b64 off, v[4:5], off offset:248
	s_waitcnt vmcnt(0)
	ds_store_b64 v3, v[1:2]
.LBB40_193:
	s_or_b32 exec_lo, exec_lo, s0
	s_waitcnt lgkmcnt(0)
	s_waitcnt_vscnt null, 0x0
	s_barrier
	buffer_gl0_inv
	s_clause 0x4
	scratch_load_b128 v[4:7], off, off offset:248
	scratch_load_b128 v[8:11], off, off offset:264
	;; [unrolled: 1-line block ×5, first 2 shown]
	v_mov_b32_e32 v1, 0
	ds_load_b128 v[107:110], v1 offset:592
	ds_load_b128 v[111:114], v1 offset:608
	s_mov_b32 s0, exec_lo
	s_waitcnt vmcnt(4) lgkmcnt(1)
	v_fma_f64 v[6:7], v[6:7], v[107:108], 0
	s_waitcnt vmcnt(3)
	s_delay_alu instid0(VALU_DEP_1) | instskip(SKIP_1) | instid1(VALU_DEP_1)
	v_fma_f64 v[6:7], v[8:9], v[109:110], v[6:7]
	s_waitcnt lgkmcnt(0)
	v_fma_f64 v[6:7], v[10:11], v[111:112], v[6:7]
	s_waitcnt vmcnt(2)
	s_delay_alu instid0(VALU_DEP_1)
	v_fma_f64 v[10:11], v[95:96], v[113:114], v[6:7]
	ds_load_b128 v[6:9], v1 offset:624
	ds_load_b128 v[107:110], v1 offset:640
	s_waitcnt lgkmcnt(1)
	v_fma_f64 v[6:7], v[97:98], v[6:7], v[10:11]
	s_waitcnt vmcnt(1)
	s_delay_alu instid0(VALU_DEP_1) | instskip(SKIP_4) | instid1(VALU_DEP_1)
	v_fma_f64 v[6:7], v[99:100], v[8:9], v[6:7]
	ds_load_b64 v[8:9], v1 offset:656
	s_waitcnt lgkmcnt(1)
	v_fma_f64 v[6:7], v[101:102], v[107:108], v[6:7]
	s_waitcnt vmcnt(0)
	v_fma_f64 v[6:7], v[103:104], v[109:110], v[6:7]
	s_waitcnt lgkmcnt(0)
	s_delay_alu instid0(VALU_DEP_1) | instskip(NEXT) | instid1(VALU_DEP_1)
	v_fma_f64 v[6:7], v[105:106], v[8:9], v[6:7]
	v_add_f64 v[4:5], v[4:5], -v[6:7]
	scratch_store_b64 off, v[4:5], off offset:248
	v_cmpx_lt_u32_e32 30, v0
	s_cbranch_execz .LBB40_195
; %bb.194:
	scratch_load_b64 v[4:5], off, off offset:240
	v_mov_b32_e32 v2, v1
	scratch_store_b64 off, v[1:2], off offset:240
	s_waitcnt vmcnt(0)
	ds_store_b64 v3, v[4:5]
.LBB40_195:
	s_or_b32 exec_lo, exec_lo, s0
	s_waitcnt lgkmcnt(0)
	s_waitcnt_vscnt null, 0x0
	s_barrier
	buffer_gl0_inv
	s_clause 0x4
	scratch_load_b128 v[4:7], off, off offset:240
	scratch_load_b128 v[8:11], off, off offset:256
	;; [unrolled: 1-line block ×5, first 2 shown]
	ds_load_2addr_b64 v[107:110], v1 offset0:73 offset1:74
	ds_load_2addr_b64 v[111:114], v1 offset0:75 offset1:76
	scratch_load_b64 v[115:116], off, off offset:320
	s_mov_b32 s0, exec_lo
	s_waitcnt vmcnt(5) lgkmcnt(1)
	v_fma_f64 v[6:7], v[6:7], v[107:108], 0
	s_waitcnt vmcnt(4)
	s_delay_alu instid0(VALU_DEP_1) | instskip(SKIP_1) | instid1(VALU_DEP_1)
	v_fma_f64 v[6:7], v[8:9], v[109:110], v[6:7]
	s_waitcnt lgkmcnt(0)
	v_fma_f64 v[6:7], v[10:11], v[111:112], v[6:7]
	s_waitcnt vmcnt(3)
	s_delay_alu instid0(VALU_DEP_1)
	v_fma_f64 v[10:11], v[95:96], v[113:114], v[6:7]
	ds_load_2addr_b64 v[6:9], v1 offset0:77 offset1:78
	ds_load_2addr_b64 v[107:110], v1 offset0:79 offset1:80
	s_waitcnt lgkmcnt(1)
	v_fma_f64 v[6:7], v[97:98], v[6:7], v[10:11]
	s_waitcnt vmcnt(2)
	s_delay_alu instid0(VALU_DEP_1) | instskip(SKIP_1) | instid1(VALU_DEP_1)
	v_fma_f64 v[6:7], v[99:100], v[8:9], v[6:7]
	s_waitcnt lgkmcnt(0)
	v_fma_f64 v[6:7], v[101:102], v[107:108], v[6:7]
	s_waitcnt vmcnt(1)
	s_delay_alu instid0(VALU_DEP_1) | instskip(SKIP_4) | instid1(VALU_DEP_1)
	v_fma_f64 v[10:11], v[103:104], v[109:110], v[6:7]
	ds_load_2addr_b64 v[6:9], v1 offset0:81 offset1:82
	s_waitcnt lgkmcnt(0)
	v_fma_f64 v[1:2], v[105:106], v[6:7], v[10:11]
	s_waitcnt vmcnt(0)
	v_fma_f64 v[1:2], v[115:116], v[8:9], v[1:2]
	s_delay_alu instid0(VALU_DEP_1)
	v_add_f64 v[1:2], v[4:5], -v[1:2]
	scratch_store_b64 off, v[1:2], off offset:240
	v_cmpx_lt_u32_e32 29, v0
	s_cbranch_execz .LBB40_197
; %bb.196:
	scratch_load_b64 v[1:2], off, off offset:232
	v_mov_b32_e32 v4, 0
	s_delay_alu instid0(VALU_DEP_1)
	v_mov_b32_e32 v5, v4
	scratch_store_b64 off, v[4:5], off offset:232
	s_waitcnt vmcnt(0)
	ds_store_b64 v3, v[1:2]
.LBB40_197:
	s_or_b32 exec_lo, exec_lo, s0
	s_waitcnt lgkmcnt(0)
	s_waitcnt_vscnt null, 0x0
	s_barrier
	buffer_gl0_inv
	s_clause 0x4
	scratch_load_b128 v[4:7], off, off offset:232
	scratch_load_b128 v[8:11], off, off offset:248
	;; [unrolled: 1-line block ×5, first 2 shown]
	v_mov_b32_e32 v1, 0
	ds_load_b128 v[107:110], v1 offset:576
	ds_load_b128 v[111:114], v1 offset:592
	scratch_load_b128 v[115:118], off, off offset:312
	s_mov_b32 s0, exec_lo
	s_waitcnt vmcnt(5) lgkmcnt(1)
	v_fma_f64 v[6:7], v[6:7], v[107:108], 0
	s_waitcnt vmcnt(4)
	s_delay_alu instid0(VALU_DEP_1) | instskip(SKIP_1) | instid1(VALU_DEP_1)
	v_fma_f64 v[6:7], v[8:9], v[109:110], v[6:7]
	s_waitcnt lgkmcnt(0)
	v_fma_f64 v[6:7], v[10:11], v[111:112], v[6:7]
	s_waitcnt vmcnt(3)
	s_delay_alu instid0(VALU_DEP_1)
	v_fma_f64 v[10:11], v[95:96], v[113:114], v[6:7]
	ds_load_b128 v[6:9], v1 offset:608
	ds_load_b128 v[107:110], v1 offset:624
	s_waitcnt lgkmcnt(1)
	v_fma_f64 v[6:7], v[97:98], v[6:7], v[10:11]
	s_waitcnt vmcnt(2)
	s_delay_alu instid0(VALU_DEP_1) | instskip(SKIP_1) | instid1(VALU_DEP_1)
	v_fma_f64 v[6:7], v[99:100], v[8:9], v[6:7]
	s_waitcnt lgkmcnt(0)
	v_fma_f64 v[6:7], v[101:102], v[107:108], v[6:7]
	s_waitcnt vmcnt(1)
	s_delay_alu instid0(VALU_DEP_1)
	v_fma_f64 v[10:11], v[103:104], v[109:110], v[6:7]
	ds_load_b128 v[6:9], v1 offset:640
	ds_load_b64 v[95:96], v1 offset:656
	s_waitcnt lgkmcnt(1)
	v_fma_f64 v[6:7], v[105:106], v[6:7], v[10:11]
	s_waitcnt vmcnt(0)
	s_delay_alu instid0(VALU_DEP_1) | instskip(SKIP_1) | instid1(VALU_DEP_1)
	v_fma_f64 v[6:7], v[115:116], v[8:9], v[6:7]
	s_waitcnt lgkmcnt(0)
	v_fma_f64 v[6:7], v[117:118], v[95:96], v[6:7]
	s_delay_alu instid0(VALU_DEP_1)
	v_add_f64 v[4:5], v[4:5], -v[6:7]
	scratch_store_b64 off, v[4:5], off offset:232
	v_cmpx_lt_u32_e32 28, v0
	s_cbranch_execz .LBB40_199
; %bb.198:
	scratch_load_b64 v[4:5], off, off offset:224
	v_mov_b32_e32 v2, v1
	scratch_store_b64 off, v[1:2], off offset:224
	s_waitcnt vmcnt(0)
	ds_store_b64 v3, v[4:5]
.LBB40_199:
	s_or_b32 exec_lo, exec_lo, s0
	s_waitcnt lgkmcnt(0)
	s_waitcnt_vscnt null, 0x0
	s_barrier
	buffer_gl0_inv
	s_clause 0x4
	scratch_load_b128 v[4:7], off, off offset:224
	scratch_load_b128 v[8:11], off, off offset:240
	;; [unrolled: 1-line block ×5, first 2 shown]
	ds_load_2addr_b64 v[107:110], v1 offset0:71 offset1:72
	ds_load_2addr_b64 v[111:114], v1 offset0:73 offset1:74
	scratch_load_b128 v[115:118], off, off offset:304
	s_mov_b32 s0, exec_lo
	s_waitcnt vmcnt(5) lgkmcnt(1)
	v_fma_f64 v[6:7], v[6:7], v[107:108], 0
	s_waitcnt vmcnt(4)
	s_delay_alu instid0(VALU_DEP_1) | instskip(SKIP_1) | instid1(VALU_DEP_1)
	v_fma_f64 v[6:7], v[8:9], v[109:110], v[6:7]
	s_waitcnt lgkmcnt(0)
	v_fma_f64 v[6:7], v[10:11], v[111:112], v[6:7]
	scratch_load_b64 v[10:11], off, off offset:320
	s_waitcnt vmcnt(4)
	v_fma_f64 v[95:96], v[95:96], v[113:114], v[6:7]
	ds_load_2addr_b64 v[6:9], v1 offset0:75 offset1:76
	ds_load_2addr_b64 v[107:110], v1 offset0:77 offset1:78
	s_waitcnt lgkmcnt(1)
	v_fma_f64 v[6:7], v[97:98], v[6:7], v[95:96]
	s_waitcnt vmcnt(3)
	s_delay_alu instid0(VALU_DEP_1) | instskip(SKIP_1) | instid1(VALU_DEP_1)
	v_fma_f64 v[6:7], v[99:100], v[8:9], v[6:7]
	s_waitcnt lgkmcnt(0)
	v_fma_f64 v[6:7], v[101:102], v[107:108], v[6:7]
	s_waitcnt vmcnt(2)
	s_delay_alu instid0(VALU_DEP_1)
	v_fma_f64 v[99:100], v[103:104], v[109:110], v[6:7]
	ds_load_2addr_b64 v[6:9], v1 offset0:79 offset1:80
	ds_load_2addr_b64 v[95:98], v1 offset0:81 offset1:82
	s_waitcnt lgkmcnt(1)
	v_fma_f64 v[1:2], v[105:106], v[6:7], v[99:100]
	s_waitcnt vmcnt(1)
	s_delay_alu instid0(VALU_DEP_1) | instskip(SKIP_1) | instid1(VALU_DEP_1)
	v_fma_f64 v[1:2], v[115:116], v[8:9], v[1:2]
	s_waitcnt lgkmcnt(0)
	v_fma_f64 v[1:2], v[117:118], v[95:96], v[1:2]
	s_waitcnt vmcnt(0)
	s_delay_alu instid0(VALU_DEP_1) | instskip(NEXT) | instid1(VALU_DEP_1)
	v_fma_f64 v[1:2], v[10:11], v[97:98], v[1:2]
	v_add_f64 v[1:2], v[4:5], -v[1:2]
	scratch_store_b64 off, v[1:2], off offset:224
	v_cmpx_lt_u32_e32 27, v0
	s_cbranch_execz .LBB40_201
; %bb.200:
	scratch_load_b64 v[1:2], off, off offset:216
	v_mov_b32_e32 v4, 0
	s_delay_alu instid0(VALU_DEP_1)
	v_mov_b32_e32 v5, v4
	scratch_store_b64 off, v[4:5], off offset:216
	s_waitcnt vmcnt(0)
	ds_store_b64 v3, v[1:2]
.LBB40_201:
	s_or_b32 exec_lo, exec_lo, s0
	s_waitcnt lgkmcnt(0)
	s_waitcnt_vscnt null, 0x0
	s_barrier
	buffer_gl0_inv
	s_clause 0x4
	scratch_load_b128 v[4:7], off, off offset:216
	scratch_load_b128 v[8:11], off, off offset:232
	scratch_load_b128 v[95:98], off, off offset:248
	scratch_load_b128 v[99:102], off, off offset:264
	scratch_load_b128 v[103:106], off, off offset:280
	v_mov_b32_e32 v1, 0
	ds_load_b128 v[107:110], v1 offset:560
	ds_load_b128 v[111:114], v1 offset:576
	scratch_load_b128 v[115:118], off, off offset:296
	s_mov_b32 s0, exec_lo
	s_waitcnt vmcnt(5) lgkmcnt(1)
	v_fma_f64 v[6:7], v[6:7], v[107:108], 0
	s_waitcnt vmcnt(4)
	s_delay_alu instid0(VALU_DEP_1) | instskip(SKIP_1) | instid1(VALU_DEP_1)
	v_fma_f64 v[6:7], v[8:9], v[109:110], v[6:7]
	s_waitcnt lgkmcnt(0)
	v_fma_f64 v[10:11], v[10:11], v[111:112], v[6:7]
	scratch_load_b128 v[6:9], off, off offset:312
	s_waitcnt vmcnt(4)
	v_fma_f64 v[10:11], v[95:96], v[113:114], v[10:11]
	ds_load_b128 v[107:110], v1 offset:592
	ds_load_b128 v[111:114], v1 offset:608
	s_waitcnt lgkmcnt(1)
	v_fma_f64 v[10:11], v[97:98], v[107:108], v[10:11]
	s_waitcnt vmcnt(3)
	s_delay_alu instid0(VALU_DEP_1) | instskip(SKIP_1) | instid1(VALU_DEP_1)
	v_fma_f64 v[10:11], v[99:100], v[109:110], v[10:11]
	s_waitcnt lgkmcnt(0)
	v_fma_f64 v[10:11], v[101:102], v[111:112], v[10:11]
	ds_load_b128 v[95:98], v1 offset:624
	ds_load_b128 v[99:102], v1 offset:640
	s_waitcnt vmcnt(2)
	v_fma_f64 v[10:11], v[103:104], v[113:114], v[10:11]
	s_waitcnt lgkmcnt(1)
	s_delay_alu instid0(VALU_DEP_1) | instskip(SKIP_1) | instid1(VALU_DEP_1)
	v_fma_f64 v[10:11], v[105:106], v[95:96], v[10:11]
	s_waitcnt vmcnt(1)
	v_fma_f64 v[10:11], v[115:116], v[97:98], v[10:11]
	s_waitcnt lgkmcnt(0)
	s_delay_alu instid0(VALU_DEP_1) | instskip(SKIP_1) | instid1(VALU_DEP_1)
	v_fma_f64 v[10:11], v[117:118], v[99:100], v[10:11]
	s_waitcnt vmcnt(0)
	v_fma_f64 v[6:7], v[6:7], v[101:102], v[10:11]
	ds_load_b64 v[10:11], v1 offset:656
	s_waitcnt lgkmcnt(0)
	v_fma_f64 v[6:7], v[8:9], v[10:11], v[6:7]
	s_delay_alu instid0(VALU_DEP_1)
	v_add_f64 v[4:5], v[4:5], -v[6:7]
	scratch_store_b64 off, v[4:5], off offset:216
	v_cmpx_lt_u32_e32 26, v0
	s_cbranch_execz .LBB40_203
; %bb.202:
	scratch_load_b64 v[4:5], off, off offset:208
	v_mov_b32_e32 v2, v1
	scratch_store_b64 off, v[1:2], off offset:208
	s_waitcnt vmcnt(0)
	ds_store_b64 v3, v[4:5]
.LBB40_203:
	s_or_b32 exec_lo, exec_lo, s0
	s_waitcnt lgkmcnt(0)
	s_waitcnt_vscnt null, 0x0
	s_barrier
	buffer_gl0_inv
	s_clause 0x4
	scratch_load_b128 v[4:7], off, off offset:208
	scratch_load_b128 v[8:11], off, off offset:224
	;; [unrolled: 1-line block ×5, first 2 shown]
	ds_load_2addr_b64 v[107:110], v1 offset0:69 offset1:70
	ds_load_2addr_b64 v[111:114], v1 offset0:71 offset1:72
	scratch_load_b128 v[115:118], off, off offset:288
	s_mov_b32 s0, exec_lo
	s_waitcnt vmcnt(5) lgkmcnt(1)
	v_fma_f64 v[6:7], v[6:7], v[107:108], 0
	s_waitcnt vmcnt(4)
	s_delay_alu instid0(VALU_DEP_1) | instskip(SKIP_1) | instid1(VALU_DEP_1)
	v_fma_f64 v[6:7], v[8:9], v[109:110], v[6:7]
	s_waitcnt lgkmcnt(0)
	v_fma_f64 v[10:11], v[10:11], v[111:112], v[6:7]
	scratch_load_b128 v[6:9], off, off offset:304
	s_waitcnt vmcnt(4)
	v_fma_f64 v[10:11], v[95:96], v[113:114], v[10:11]
	ds_load_2addr_b64 v[107:110], v1 offset0:73 offset1:74
	ds_load_2addr_b64 v[111:114], v1 offset0:75 offset1:76
	s_waitcnt lgkmcnt(1)
	v_fma_f64 v[10:11], v[97:98], v[107:108], v[10:11]
	scratch_load_b64 v[107:108], off, off offset:320
	s_waitcnt vmcnt(4)
	v_fma_f64 v[10:11], v[99:100], v[109:110], v[10:11]
	s_waitcnt lgkmcnt(0)
	s_delay_alu instid0(VALU_DEP_1)
	v_fma_f64 v[10:11], v[101:102], v[111:112], v[10:11]
	ds_load_2addr_b64 v[95:98], v1 offset0:77 offset1:78
	ds_load_2addr_b64 v[99:102], v1 offset0:79 offset1:80
	s_waitcnt vmcnt(3)
	v_fma_f64 v[10:11], v[103:104], v[113:114], v[10:11]
	s_waitcnt lgkmcnt(1)
	s_delay_alu instid0(VALU_DEP_1) | instskip(SKIP_1) | instid1(VALU_DEP_1)
	v_fma_f64 v[10:11], v[105:106], v[95:96], v[10:11]
	s_waitcnt vmcnt(2)
	v_fma_f64 v[10:11], v[115:116], v[97:98], v[10:11]
	ds_load_2addr_b64 v[95:98], v1 offset0:81 offset1:82
	s_waitcnt lgkmcnt(1)
	v_fma_f64 v[10:11], v[117:118], v[99:100], v[10:11]
	s_waitcnt vmcnt(1)
	s_delay_alu instid0(VALU_DEP_1) | instskip(SKIP_1) | instid1(VALU_DEP_1)
	v_fma_f64 v[6:7], v[6:7], v[101:102], v[10:11]
	s_waitcnt lgkmcnt(0)
	v_fma_f64 v[1:2], v[8:9], v[95:96], v[6:7]
	s_waitcnt vmcnt(0)
	s_delay_alu instid0(VALU_DEP_1) | instskip(NEXT) | instid1(VALU_DEP_1)
	v_fma_f64 v[1:2], v[107:108], v[97:98], v[1:2]
	v_add_f64 v[1:2], v[4:5], -v[1:2]
	scratch_store_b64 off, v[1:2], off offset:208
	v_cmpx_lt_u32_e32 25, v0
	s_cbranch_execz .LBB40_205
; %bb.204:
	scratch_load_b64 v[1:2], off, off offset:200
	v_mov_b32_e32 v4, 0
	s_delay_alu instid0(VALU_DEP_1)
	v_mov_b32_e32 v5, v4
	scratch_store_b64 off, v[4:5], off offset:200
	s_waitcnt vmcnt(0)
	ds_store_b64 v3, v[1:2]
.LBB40_205:
	s_or_b32 exec_lo, exec_lo, s0
	s_waitcnt lgkmcnt(0)
	s_waitcnt_vscnt null, 0x0
	s_barrier
	buffer_gl0_inv
	s_clause 0x4
	scratch_load_b128 v[4:7], off, off offset:200
	scratch_load_b128 v[8:11], off, off offset:216
	;; [unrolled: 1-line block ×5, first 2 shown]
	v_mov_b32_e32 v1, 0
	ds_load_b128 v[107:110], v1 offset:544
	ds_load_b128 v[111:114], v1 offset:560
	scratch_load_b128 v[115:118], off, off offset:280
	s_mov_b32 s0, exec_lo
	s_waitcnt vmcnt(5) lgkmcnt(1)
	v_fma_f64 v[6:7], v[6:7], v[107:108], 0
	s_waitcnt vmcnt(4)
	s_delay_alu instid0(VALU_DEP_1) | instskip(SKIP_1) | instid1(VALU_DEP_1)
	v_fma_f64 v[6:7], v[8:9], v[109:110], v[6:7]
	s_waitcnt lgkmcnt(0)
	v_fma_f64 v[10:11], v[10:11], v[111:112], v[6:7]
	scratch_load_b128 v[6:9], off, off offset:296
	s_waitcnt vmcnt(4)
	v_fma_f64 v[10:11], v[95:96], v[113:114], v[10:11]
	ds_load_b128 v[107:110], v1 offset:576
	ds_load_b128 v[111:114], v1 offset:592
	s_waitcnt lgkmcnt(1)
	v_fma_f64 v[10:11], v[97:98], v[107:108], v[10:11]
	scratch_load_b128 v[95:98], off, off offset:312
	s_waitcnt vmcnt(4)
	v_fma_f64 v[10:11], v[99:100], v[109:110], v[10:11]
	s_waitcnt lgkmcnt(0)
	s_delay_alu instid0(VALU_DEP_1)
	v_fma_f64 v[10:11], v[101:102], v[111:112], v[10:11]
	ds_load_b128 v[99:102], v1 offset:608
	ds_load_b128 v[107:110], v1 offset:624
	s_waitcnt vmcnt(3)
	v_fma_f64 v[10:11], v[103:104], v[113:114], v[10:11]
	s_waitcnt lgkmcnt(1)
	s_delay_alu instid0(VALU_DEP_1) | instskip(SKIP_1) | instid1(VALU_DEP_1)
	v_fma_f64 v[10:11], v[105:106], v[99:100], v[10:11]
	s_waitcnt vmcnt(2)
	v_fma_f64 v[10:11], v[115:116], v[101:102], v[10:11]
	s_waitcnt lgkmcnt(0)
	s_delay_alu instid0(VALU_DEP_1) | instskip(SKIP_1) | instid1(VALU_DEP_1)
	v_fma_f64 v[10:11], v[117:118], v[107:108], v[10:11]
	s_waitcnt vmcnt(1)
	v_fma_f64 v[6:7], v[6:7], v[109:110], v[10:11]
	ds_load_b128 v[99:102], v1 offset:640
	ds_load_b64 v[10:11], v1 offset:656
	s_waitcnt lgkmcnt(1)
	v_fma_f64 v[6:7], v[8:9], v[99:100], v[6:7]
	s_waitcnt vmcnt(0)
	s_delay_alu instid0(VALU_DEP_1) | instskip(SKIP_1) | instid1(VALU_DEP_1)
	v_fma_f64 v[6:7], v[95:96], v[101:102], v[6:7]
	s_waitcnt lgkmcnt(0)
	v_fma_f64 v[6:7], v[97:98], v[10:11], v[6:7]
	s_delay_alu instid0(VALU_DEP_1)
	v_add_f64 v[4:5], v[4:5], -v[6:7]
	scratch_store_b64 off, v[4:5], off offset:200
	v_cmpx_lt_u32_e32 24, v0
	s_cbranch_execz .LBB40_207
; %bb.206:
	scratch_load_b64 v[4:5], off, off offset:192
	v_mov_b32_e32 v2, v1
	scratch_store_b64 off, v[1:2], off offset:192
	s_waitcnt vmcnt(0)
	ds_store_b64 v3, v[4:5]
.LBB40_207:
	s_or_b32 exec_lo, exec_lo, s0
	s_waitcnt lgkmcnt(0)
	s_waitcnt_vscnt null, 0x0
	s_barrier
	buffer_gl0_inv
	s_clause 0x4
	scratch_load_b128 v[4:7], off, off offset:192
	scratch_load_b128 v[8:11], off, off offset:208
	;; [unrolled: 1-line block ×5, first 2 shown]
	ds_load_2addr_b64 v[107:110], v1 offset0:67 offset1:68
	ds_load_2addr_b64 v[111:114], v1 offset0:69 offset1:70
	scratch_load_b128 v[115:118], off, off offset:272
	s_mov_b32 s0, exec_lo
	s_waitcnt vmcnt(5) lgkmcnt(1)
	v_fma_f64 v[6:7], v[6:7], v[107:108], 0
	s_waitcnt vmcnt(4)
	s_delay_alu instid0(VALU_DEP_1) | instskip(SKIP_1) | instid1(VALU_DEP_1)
	v_fma_f64 v[6:7], v[8:9], v[109:110], v[6:7]
	s_waitcnt lgkmcnt(0)
	v_fma_f64 v[10:11], v[10:11], v[111:112], v[6:7]
	scratch_load_b128 v[6:9], off, off offset:288
	s_waitcnt vmcnt(4)
	v_fma_f64 v[10:11], v[95:96], v[113:114], v[10:11]
	ds_load_2addr_b64 v[107:110], v1 offset0:71 offset1:72
	ds_load_2addr_b64 v[111:114], v1 offset0:73 offset1:74
	s_waitcnt lgkmcnt(1)
	v_fma_f64 v[10:11], v[97:98], v[107:108], v[10:11]
	scratch_load_b128 v[95:98], off, off offset:304
	s_waitcnt vmcnt(4)
	v_fma_f64 v[10:11], v[99:100], v[109:110], v[10:11]
	s_waitcnt lgkmcnt(0)
	s_delay_alu instid0(VALU_DEP_1)
	v_fma_f64 v[10:11], v[101:102], v[111:112], v[10:11]
	scratch_load_b64 v[111:112], off, off offset:320
	ds_load_2addr_b64 v[99:102], v1 offset0:75 offset1:76
	ds_load_2addr_b64 v[107:110], v1 offset0:77 offset1:78
	s_waitcnt vmcnt(4)
	v_fma_f64 v[10:11], v[103:104], v[113:114], v[10:11]
	s_waitcnt lgkmcnt(1)
	s_delay_alu instid0(VALU_DEP_1) | instskip(SKIP_1) | instid1(VALU_DEP_1)
	v_fma_f64 v[10:11], v[105:106], v[99:100], v[10:11]
	s_waitcnt vmcnt(3)
	v_fma_f64 v[10:11], v[115:116], v[101:102], v[10:11]
	ds_load_2addr_b64 v[99:102], v1 offset0:79 offset1:80
	ds_load_2addr_b64 v[103:106], v1 offset0:81 offset1:82
	s_waitcnt lgkmcnt(2)
	v_fma_f64 v[10:11], v[117:118], v[107:108], v[10:11]
	s_waitcnt vmcnt(2)
	s_delay_alu instid0(VALU_DEP_1) | instskip(SKIP_1) | instid1(VALU_DEP_1)
	v_fma_f64 v[6:7], v[6:7], v[109:110], v[10:11]
	s_waitcnt lgkmcnt(1)
	v_fma_f64 v[1:2], v[8:9], v[99:100], v[6:7]
	s_waitcnt vmcnt(1)
	s_delay_alu instid0(VALU_DEP_1) | instskip(SKIP_1) | instid1(VALU_DEP_1)
	v_fma_f64 v[1:2], v[95:96], v[101:102], v[1:2]
	s_waitcnt lgkmcnt(0)
	v_fma_f64 v[1:2], v[97:98], v[103:104], v[1:2]
	s_waitcnt vmcnt(0)
	s_delay_alu instid0(VALU_DEP_1) | instskip(NEXT) | instid1(VALU_DEP_1)
	v_fma_f64 v[1:2], v[111:112], v[105:106], v[1:2]
	v_add_f64 v[1:2], v[4:5], -v[1:2]
	scratch_store_b64 off, v[1:2], off offset:192
	v_cmpx_lt_u32_e32 23, v0
	s_cbranch_execz .LBB40_209
; %bb.208:
	scratch_load_b64 v[1:2], off, off offset:184
	v_mov_b32_e32 v4, 0
	s_delay_alu instid0(VALU_DEP_1)
	v_mov_b32_e32 v5, v4
	scratch_store_b64 off, v[4:5], off offset:184
	s_waitcnt vmcnt(0)
	ds_store_b64 v3, v[1:2]
.LBB40_209:
	s_or_b32 exec_lo, exec_lo, s0
	s_waitcnt lgkmcnt(0)
	s_waitcnt_vscnt null, 0x0
	s_barrier
	buffer_gl0_inv
	s_clause 0x4
	scratch_load_b128 v[4:7], off, off offset:184
	scratch_load_b128 v[8:11], off, off offset:200
	;; [unrolled: 1-line block ×5, first 2 shown]
	v_mov_b32_e32 v1, 0
	ds_load_b128 v[107:110], v1 offset:528
	ds_load_b128 v[111:114], v1 offset:544
	scratch_load_b128 v[115:118], off, off offset:264
	s_mov_b32 s0, exec_lo
	s_waitcnt vmcnt(5) lgkmcnt(1)
	v_fma_f64 v[6:7], v[6:7], v[107:108], 0
	s_waitcnt vmcnt(4)
	s_delay_alu instid0(VALU_DEP_1) | instskip(SKIP_1) | instid1(VALU_DEP_1)
	v_fma_f64 v[6:7], v[8:9], v[109:110], v[6:7]
	s_waitcnt lgkmcnt(0)
	v_fma_f64 v[10:11], v[10:11], v[111:112], v[6:7]
	scratch_load_b128 v[6:9], off, off offset:280
	s_waitcnt vmcnt(4)
	v_fma_f64 v[10:11], v[95:96], v[113:114], v[10:11]
	ds_load_b128 v[107:110], v1 offset:560
	ds_load_b128 v[111:114], v1 offset:576
	s_waitcnt lgkmcnt(1)
	v_fma_f64 v[10:11], v[97:98], v[107:108], v[10:11]
	scratch_load_b128 v[95:98], off, off offset:296
	s_waitcnt vmcnt(4)
	v_fma_f64 v[10:11], v[99:100], v[109:110], v[10:11]
	s_waitcnt lgkmcnt(0)
	s_delay_alu instid0(VALU_DEP_1)
	v_fma_f64 v[10:11], v[101:102], v[111:112], v[10:11]
	scratch_load_b128 v[99:102], off, off offset:312
	s_waitcnt vmcnt(4)
	v_fma_f64 v[10:11], v[103:104], v[113:114], v[10:11]
	ds_load_b128 v[107:110], v1 offset:592
	ds_load_b128 v[111:114], v1 offset:608
	s_waitcnt lgkmcnt(1)
	v_fma_f64 v[10:11], v[105:106], v[107:108], v[10:11]
	s_waitcnt vmcnt(3)
	s_delay_alu instid0(VALU_DEP_1)
	v_fma_f64 v[10:11], v[115:116], v[109:110], v[10:11]
	ds_load_b128 v[103:106], v1 offset:624
	ds_load_b128 v[107:110], v1 offset:640
	s_waitcnt lgkmcnt(2)
	v_fma_f64 v[10:11], v[117:118], v[111:112], v[10:11]
	s_waitcnt vmcnt(2)
	s_delay_alu instid0(VALU_DEP_1) | instskip(SKIP_1) | instid1(VALU_DEP_1)
	v_fma_f64 v[6:7], v[6:7], v[113:114], v[10:11]
	s_waitcnt lgkmcnt(1)
	v_fma_f64 v[6:7], v[8:9], v[103:104], v[6:7]
	ds_load_b64 v[8:9], v1 offset:656
	s_waitcnt vmcnt(1)
	v_fma_f64 v[6:7], v[95:96], v[105:106], v[6:7]
	s_waitcnt lgkmcnt(1)
	s_delay_alu instid0(VALU_DEP_1) | instskip(SKIP_1) | instid1(VALU_DEP_1)
	v_fma_f64 v[6:7], v[97:98], v[107:108], v[6:7]
	s_waitcnt vmcnt(0)
	v_fma_f64 v[6:7], v[99:100], v[109:110], v[6:7]
	s_waitcnt lgkmcnt(0)
	s_delay_alu instid0(VALU_DEP_1) | instskip(NEXT) | instid1(VALU_DEP_1)
	v_fma_f64 v[6:7], v[101:102], v[8:9], v[6:7]
	v_add_f64 v[4:5], v[4:5], -v[6:7]
	scratch_store_b64 off, v[4:5], off offset:184
	v_cmpx_lt_u32_e32 22, v0
	s_cbranch_execz .LBB40_211
; %bb.210:
	scratch_load_b64 v[4:5], off, off offset:176
	v_mov_b32_e32 v2, v1
	scratch_store_b64 off, v[1:2], off offset:176
	s_waitcnt vmcnt(0)
	ds_store_b64 v3, v[4:5]
.LBB40_211:
	s_or_b32 exec_lo, exec_lo, s0
	s_waitcnt lgkmcnt(0)
	s_waitcnt_vscnt null, 0x0
	s_barrier
	buffer_gl0_inv
	s_clause 0x4
	scratch_load_b128 v[4:7], off, off offset:176
	scratch_load_b128 v[8:11], off, off offset:192
	;; [unrolled: 1-line block ×5, first 2 shown]
	ds_load_2addr_b64 v[107:110], v1 offset0:65 offset1:66
	ds_load_2addr_b64 v[111:114], v1 offset0:67 offset1:68
	scratch_load_b128 v[115:118], off, off offset:256
	s_mov_b32 s0, exec_lo
	s_waitcnt vmcnt(5) lgkmcnt(1)
	v_fma_f64 v[6:7], v[6:7], v[107:108], 0
	s_waitcnt vmcnt(4)
	s_delay_alu instid0(VALU_DEP_1) | instskip(SKIP_1) | instid1(VALU_DEP_1)
	v_fma_f64 v[6:7], v[8:9], v[109:110], v[6:7]
	s_waitcnt lgkmcnt(0)
	v_fma_f64 v[10:11], v[10:11], v[111:112], v[6:7]
	scratch_load_b128 v[6:9], off, off offset:272
	s_waitcnt vmcnt(4)
	v_fma_f64 v[10:11], v[95:96], v[113:114], v[10:11]
	ds_load_2addr_b64 v[107:110], v1 offset0:69 offset1:70
	ds_load_2addr_b64 v[111:114], v1 offset0:71 offset1:72
	s_waitcnt lgkmcnt(1)
	v_fma_f64 v[10:11], v[97:98], v[107:108], v[10:11]
	scratch_load_b128 v[95:98], off, off offset:288
	s_waitcnt vmcnt(4)
	v_fma_f64 v[10:11], v[99:100], v[109:110], v[10:11]
	s_waitcnt lgkmcnt(0)
	s_delay_alu instid0(VALU_DEP_1)
	v_fma_f64 v[10:11], v[101:102], v[111:112], v[10:11]
	scratch_load_b128 v[99:102], off, off offset:304
	s_waitcnt vmcnt(4)
	v_fma_f64 v[10:11], v[103:104], v[113:114], v[10:11]
	ds_load_2addr_b64 v[107:110], v1 offset0:73 offset1:74
	ds_load_2addr_b64 v[111:114], v1 offset0:75 offset1:76
	scratch_load_b64 v[119:120], off, off offset:320
	s_waitcnt lgkmcnt(1)
	v_fma_f64 v[10:11], v[105:106], v[107:108], v[10:11]
	s_waitcnt vmcnt(4)
	s_delay_alu instid0(VALU_DEP_1)
	v_fma_f64 v[10:11], v[115:116], v[109:110], v[10:11]
	ds_load_2addr_b64 v[103:106], v1 offset0:77 offset1:78
	ds_load_2addr_b64 v[107:110], v1 offset0:79 offset1:80
	s_waitcnt lgkmcnt(2)
	v_fma_f64 v[10:11], v[117:118], v[111:112], v[10:11]
	s_waitcnt vmcnt(3)
	s_delay_alu instid0(VALU_DEP_1) | instskip(SKIP_1) | instid1(VALU_DEP_1)
	v_fma_f64 v[6:7], v[6:7], v[113:114], v[10:11]
	s_waitcnt lgkmcnt(1)
	v_fma_f64 v[6:7], v[8:9], v[103:104], v[6:7]
	s_waitcnt vmcnt(2)
	s_delay_alu instid0(VALU_DEP_1) | instskip(SKIP_1) | instid1(VALU_DEP_1)
	v_fma_f64 v[6:7], v[95:96], v[105:106], v[6:7]
	s_waitcnt lgkmcnt(0)
	v_fma_f64 v[6:7], v[97:98], v[107:108], v[6:7]
	s_waitcnt vmcnt(1)
	s_delay_alu instid0(VALU_DEP_1) | instskip(SKIP_4) | instid1(VALU_DEP_1)
	v_fma_f64 v[10:11], v[99:100], v[109:110], v[6:7]
	ds_load_2addr_b64 v[6:9], v1 offset0:81 offset1:82
	s_waitcnt lgkmcnt(0)
	v_fma_f64 v[1:2], v[101:102], v[6:7], v[10:11]
	s_waitcnt vmcnt(0)
	v_fma_f64 v[1:2], v[119:120], v[8:9], v[1:2]
	s_delay_alu instid0(VALU_DEP_1)
	v_add_f64 v[1:2], v[4:5], -v[1:2]
	scratch_store_b64 off, v[1:2], off offset:176
	v_cmpx_lt_u32_e32 21, v0
	s_cbranch_execz .LBB40_213
; %bb.212:
	scratch_load_b64 v[1:2], off, off offset:168
	v_mov_b32_e32 v4, 0
	s_delay_alu instid0(VALU_DEP_1)
	v_mov_b32_e32 v5, v4
	scratch_store_b64 off, v[4:5], off offset:168
	s_waitcnt vmcnt(0)
	ds_store_b64 v3, v[1:2]
.LBB40_213:
	s_or_b32 exec_lo, exec_lo, s0
	s_waitcnt lgkmcnt(0)
	s_waitcnt_vscnt null, 0x0
	s_barrier
	buffer_gl0_inv
	s_clause 0x4
	scratch_load_b128 v[4:7], off, off offset:168
	scratch_load_b128 v[8:11], off, off offset:184
	;; [unrolled: 1-line block ×5, first 2 shown]
	v_mov_b32_e32 v1, 0
	ds_load_b128 v[107:110], v1 offset:512
	ds_load_b128 v[111:114], v1 offset:528
	scratch_load_b128 v[115:118], off, off offset:248
	s_mov_b32 s0, exec_lo
	s_waitcnt vmcnt(5) lgkmcnt(1)
	v_fma_f64 v[6:7], v[6:7], v[107:108], 0
	s_waitcnt vmcnt(4)
	s_delay_alu instid0(VALU_DEP_1) | instskip(SKIP_1) | instid1(VALU_DEP_1)
	v_fma_f64 v[6:7], v[8:9], v[109:110], v[6:7]
	s_waitcnt lgkmcnt(0)
	v_fma_f64 v[10:11], v[10:11], v[111:112], v[6:7]
	scratch_load_b128 v[6:9], off, off offset:264
	s_waitcnt vmcnt(4)
	v_fma_f64 v[10:11], v[95:96], v[113:114], v[10:11]
	ds_load_b128 v[107:110], v1 offset:544
	ds_load_b128 v[111:114], v1 offset:560
	s_waitcnt lgkmcnt(1)
	v_fma_f64 v[10:11], v[97:98], v[107:108], v[10:11]
	scratch_load_b128 v[95:98], off, off offset:280
	s_waitcnt vmcnt(4)
	v_fma_f64 v[10:11], v[99:100], v[109:110], v[10:11]
	s_waitcnt lgkmcnt(0)
	s_delay_alu instid0(VALU_DEP_1)
	v_fma_f64 v[10:11], v[101:102], v[111:112], v[10:11]
	scratch_load_b128 v[99:102], off, off offset:296
	s_waitcnt vmcnt(4)
	v_fma_f64 v[10:11], v[103:104], v[113:114], v[10:11]
	ds_load_b128 v[107:110], v1 offset:576
	ds_load_b128 v[111:114], v1 offset:592
	s_waitcnt lgkmcnt(1)
	v_fma_f64 v[10:11], v[105:106], v[107:108], v[10:11]
	scratch_load_b128 v[103:106], off, off offset:312
	s_waitcnt vmcnt(4)
	v_fma_f64 v[10:11], v[115:116], v[109:110], v[10:11]
	s_waitcnt lgkmcnt(0)
	s_delay_alu instid0(VALU_DEP_1) | instskip(SKIP_1) | instid1(VALU_DEP_1)
	v_fma_f64 v[10:11], v[117:118], v[111:112], v[10:11]
	s_waitcnt vmcnt(3)
	v_fma_f64 v[6:7], v[6:7], v[113:114], v[10:11]
	ds_load_b128 v[107:110], v1 offset:608
	ds_load_b128 v[111:114], v1 offset:624
	s_waitcnt lgkmcnt(1)
	v_fma_f64 v[6:7], v[8:9], v[107:108], v[6:7]
	s_waitcnt vmcnt(2)
	s_delay_alu instid0(VALU_DEP_1) | instskip(SKIP_1) | instid1(VALU_DEP_1)
	v_fma_f64 v[6:7], v[95:96], v[109:110], v[6:7]
	s_waitcnt lgkmcnt(0)
	v_fma_f64 v[6:7], v[97:98], v[111:112], v[6:7]
	s_waitcnt vmcnt(1)
	s_delay_alu instid0(VALU_DEP_1)
	v_fma_f64 v[10:11], v[99:100], v[113:114], v[6:7]
	ds_load_b128 v[6:9], v1 offset:640
	ds_load_b64 v[95:96], v1 offset:656
	s_waitcnt lgkmcnt(1)
	v_fma_f64 v[6:7], v[101:102], v[6:7], v[10:11]
	s_waitcnt vmcnt(0)
	s_delay_alu instid0(VALU_DEP_1) | instskip(SKIP_1) | instid1(VALU_DEP_1)
	v_fma_f64 v[6:7], v[103:104], v[8:9], v[6:7]
	s_waitcnt lgkmcnt(0)
	v_fma_f64 v[6:7], v[105:106], v[95:96], v[6:7]
	s_delay_alu instid0(VALU_DEP_1)
	v_add_f64 v[4:5], v[4:5], -v[6:7]
	scratch_store_b64 off, v[4:5], off offset:168
	v_cmpx_lt_u32_e32 20, v0
	s_cbranch_execz .LBB40_215
; %bb.214:
	scratch_load_b64 v[4:5], off, off offset:160
	v_mov_b32_e32 v2, v1
	scratch_store_b64 off, v[1:2], off offset:160
	s_waitcnt vmcnt(0)
	ds_store_b64 v3, v[4:5]
.LBB40_215:
	s_or_b32 exec_lo, exec_lo, s0
	s_waitcnt lgkmcnt(0)
	s_waitcnt_vscnt null, 0x0
	s_barrier
	buffer_gl0_inv
	s_clause 0x4
	scratch_load_b128 v[4:7], off, off offset:160
	scratch_load_b128 v[8:11], off, off offset:176
	;; [unrolled: 1-line block ×5, first 2 shown]
	ds_load_2addr_b64 v[107:110], v1 offset0:63 offset1:64
	ds_load_2addr_b64 v[111:114], v1 offset0:65 offset1:66
	scratch_load_b128 v[115:118], off, off offset:240
	s_mov_b32 s0, exec_lo
	s_waitcnt vmcnt(5) lgkmcnt(1)
	v_fma_f64 v[6:7], v[6:7], v[107:108], 0
	s_waitcnt vmcnt(4)
	s_delay_alu instid0(VALU_DEP_1) | instskip(SKIP_1) | instid1(VALU_DEP_1)
	v_fma_f64 v[6:7], v[8:9], v[109:110], v[6:7]
	s_waitcnt lgkmcnt(0)
	v_fma_f64 v[10:11], v[10:11], v[111:112], v[6:7]
	scratch_load_b128 v[6:9], off, off offset:256
	s_waitcnt vmcnt(4)
	v_fma_f64 v[10:11], v[95:96], v[113:114], v[10:11]
	ds_load_2addr_b64 v[107:110], v1 offset0:67 offset1:68
	ds_load_2addr_b64 v[111:114], v1 offset0:69 offset1:70
	s_waitcnt lgkmcnt(1)
	v_fma_f64 v[10:11], v[97:98], v[107:108], v[10:11]
	scratch_load_b128 v[95:98], off, off offset:272
	s_waitcnt vmcnt(4)
	v_fma_f64 v[10:11], v[99:100], v[109:110], v[10:11]
	s_waitcnt lgkmcnt(0)
	s_delay_alu instid0(VALU_DEP_1)
	v_fma_f64 v[10:11], v[101:102], v[111:112], v[10:11]
	scratch_load_b128 v[99:102], off, off offset:288
	s_waitcnt vmcnt(4)
	v_fma_f64 v[10:11], v[103:104], v[113:114], v[10:11]
	ds_load_2addr_b64 v[107:110], v1 offset0:71 offset1:72
	ds_load_2addr_b64 v[111:114], v1 offset0:73 offset1:74
	s_waitcnt lgkmcnt(1)
	v_fma_f64 v[10:11], v[105:106], v[107:108], v[10:11]
	scratch_load_b128 v[103:106], off, off offset:304
	s_waitcnt vmcnt(4)
	v_fma_f64 v[10:11], v[115:116], v[109:110], v[10:11]
	scratch_load_b64 v[115:116], off, off offset:320
	s_waitcnt lgkmcnt(0)
	v_fma_f64 v[10:11], v[117:118], v[111:112], v[10:11]
	s_waitcnt vmcnt(4)
	s_delay_alu instid0(VALU_DEP_1)
	v_fma_f64 v[6:7], v[6:7], v[113:114], v[10:11]
	ds_load_2addr_b64 v[107:110], v1 offset0:75 offset1:76
	ds_load_2addr_b64 v[111:114], v1 offset0:77 offset1:78
	s_waitcnt lgkmcnt(1)
	v_fma_f64 v[6:7], v[8:9], v[107:108], v[6:7]
	s_waitcnt vmcnt(3)
	s_delay_alu instid0(VALU_DEP_1) | instskip(SKIP_1) | instid1(VALU_DEP_1)
	v_fma_f64 v[6:7], v[95:96], v[109:110], v[6:7]
	s_waitcnt lgkmcnt(0)
	v_fma_f64 v[6:7], v[97:98], v[111:112], v[6:7]
	s_waitcnt vmcnt(2)
	s_delay_alu instid0(VALU_DEP_1)
	v_fma_f64 v[10:11], v[99:100], v[113:114], v[6:7]
	ds_load_2addr_b64 v[6:9], v1 offset0:79 offset1:80
	ds_load_2addr_b64 v[95:98], v1 offset0:81 offset1:82
	s_waitcnt lgkmcnt(1)
	v_fma_f64 v[1:2], v[101:102], v[6:7], v[10:11]
	s_waitcnt vmcnt(1)
	s_delay_alu instid0(VALU_DEP_1) | instskip(SKIP_1) | instid1(VALU_DEP_1)
	v_fma_f64 v[1:2], v[103:104], v[8:9], v[1:2]
	s_waitcnt lgkmcnt(0)
	v_fma_f64 v[1:2], v[105:106], v[95:96], v[1:2]
	s_waitcnt vmcnt(0)
	s_delay_alu instid0(VALU_DEP_1) | instskip(NEXT) | instid1(VALU_DEP_1)
	v_fma_f64 v[1:2], v[115:116], v[97:98], v[1:2]
	v_add_f64 v[1:2], v[4:5], -v[1:2]
	scratch_store_b64 off, v[1:2], off offset:160
	v_cmpx_lt_u32_e32 19, v0
	s_cbranch_execz .LBB40_217
; %bb.216:
	scratch_load_b64 v[1:2], off, off offset:152
	v_mov_b32_e32 v4, 0
	s_delay_alu instid0(VALU_DEP_1)
	v_mov_b32_e32 v5, v4
	scratch_store_b64 off, v[4:5], off offset:152
	s_waitcnt vmcnt(0)
	ds_store_b64 v3, v[1:2]
.LBB40_217:
	s_or_b32 exec_lo, exec_lo, s0
	s_waitcnt lgkmcnt(0)
	s_waitcnt_vscnt null, 0x0
	s_barrier
	buffer_gl0_inv
	s_clause 0x4
	scratch_load_b128 v[4:7], off, off offset:152
	scratch_load_b128 v[8:11], off, off offset:168
	;; [unrolled: 1-line block ×5, first 2 shown]
	v_mov_b32_e32 v1, 0
	ds_load_b128 v[107:110], v1 offset:496
	ds_load_b128 v[111:114], v1 offset:512
	scratch_load_b128 v[115:118], off, off offset:232
	s_mov_b32 s0, exec_lo
	s_waitcnt vmcnt(5) lgkmcnt(1)
	v_fma_f64 v[6:7], v[6:7], v[107:108], 0
	s_waitcnt vmcnt(4)
	s_delay_alu instid0(VALU_DEP_1) | instskip(SKIP_1) | instid1(VALU_DEP_1)
	v_fma_f64 v[6:7], v[8:9], v[109:110], v[6:7]
	s_waitcnt lgkmcnt(0)
	v_fma_f64 v[10:11], v[10:11], v[111:112], v[6:7]
	scratch_load_b128 v[6:9], off, off offset:248
	s_waitcnt vmcnt(4)
	v_fma_f64 v[10:11], v[95:96], v[113:114], v[10:11]
	ds_load_b128 v[107:110], v1 offset:528
	ds_load_b128 v[111:114], v1 offset:544
	s_waitcnt lgkmcnt(1)
	v_fma_f64 v[10:11], v[97:98], v[107:108], v[10:11]
	scratch_load_b128 v[95:98], off, off offset:264
	s_waitcnt vmcnt(4)
	v_fma_f64 v[10:11], v[99:100], v[109:110], v[10:11]
	s_waitcnt lgkmcnt(0)
	s_delay_alu instid0(VALU_DEP_1)
	v_fma_f64 v[10:11], v[101:102], v[111:112], v[10:11]
	scratch_load_b128 v[99:102], off, off offset:280
	s_waitcnt vmcnt(4)
	v_fma_f64 v[10:11], v[103:104], v[113:114], v[10:11]
	ds_load_b128 v[107:110], v1 offset:560
	ds_load_b128 v[111:114], v1 offset:576
	s_waitcnt lgkmcnt(1)
	v_fma_f64 v[10:11], v[105:106], v[107:108], v[10:11]
	scratch_load_b128 v[103:106], off, off offset:296
	s_waitcnt vmcnt(4)
	v_fma_f64 v[10:11], v[115:116], v[109:110], v[10:11]
	scratch_load_b128 v[107:110], off, off offset:312
	s_waitcnt lgkmcnt(0)
	v_fma_f64 v[10:11], v[117:118], v[111:112], v[10:11]
	s_waitcnt vmcnt(4)
	s_delay_alu instid0(VALU_DEP_1)
	v_fma_f64 v[6:7], v[6:7], v[113:114], v[10:11]
	ds_load_b128 v[111:114], v1 offset:592
	ds_load_b128 v[115:118], v1 offset:608
	s_waitcnt lgkmcnt(1)
	v_fma_f64 v[6:7], v[8:9], v[111:112], v[6:7]
	s_waitcnt vmcnt(3)
	s_delay_alu instid0(VALU_DEP_1) | instskip(SKIP_1) | instid1(VALU_DEP_1)
	v_fma_f64 v[6:7], v[95:96], v[113:114], v[6:7]
	s_waitcnt lgkmcnt(0)
	v_fma_f64 v[6:7], v[97:98], v[115:116], v[6:7]
	s_waitcnt vmcnt(2)
	s_delay_alu instid0(VALU_DEP_1)
	v_fma_f64 v[10:11], v[99:100], v[117:118], v[6:7]
	ds_load_b128 v[6:9], v1 offset:624
	ds_load_b128 v[95:98], v1 offset:640
	s_waitcnt lgkmcnt(1)
	v_fma_f64 v[6:7], v[101:102], v[6:7], v[10:11]
	s_waitcnt vmcnt(1)
	s_delay_alu instid0(VALU_DEP_1) | instskip(SKIP_4) | instid1(VALU_DEP_1)
	v_fma_f64 v[6:7], v[103:104], v[8:9], v[6:7]
	ds_load_b64 v[8:9], v1 offset:656
	s_waitcnt lgkmcnt(1)
	v_fma_f64 v[6:7], v[105:106], v[95:96], v[6:7]
	s_waitcnt vmcnt(0)
	v_fma_f64 v[6:7], v[107:108], v[97:98], v[6:7]
	s_waitcnt lgkmcnt(0)
	s_delay_alu instid0(VALU_DEP_1) | instskip(NEXT) | instid1(VALU_DEP_1)
	v_fma_f64 v[6:7], v[109:110], v[8:9], v[6:7]
	v_add_f64 v[4:5], v[4:5], -v[6:7]
	scratch_store_b64 off, v[4:5], off offset:152
	v_cmpx_lt_u32_e32 18, v0
	s_cbranch_execz .LBB40_219
; %bb.218:
	scratch_load_b64 v[4:5], off, off offset:144
	v_mov_b32_e32 v2, v1
	scratch_store_b64 off, v[1:2], off offset:144
	s_waitcnt vmcnt(0)
	ds_store_b64 v3, v[4:5]
.LBB40_219:
	s_or_b32 exec_lo, exec_lo, s0
	s_waitcnt lgkmcnt(0)
	s_waitcnt_vscnt null, 0x0
	s_barrier
	buffer_gl0_inv
	s_clause 0x4
	scratch_load_b128 v[4:7], off, off offset:144
	scratch_load_b128 v[8:11], off, off offset:160
	;; [unrolled: 1-line block ×5, first 2 shown]
	ds_load_2addr_b64 v[107:110], v1 offset0:61 offset1:62
	ds_load_2addr_b64 v[111:114], v1 offset0:63 offset1:64
	scratch_load_b128 v[115:118], off, off offset:224
	s_mov_b32 s0, exec_lo
	s_waitcnt vmcnt(5) lgkmcnt(1)
	v_fma_f64 v[6:7], v[6:7], v[107:108], 0
	s_waitcnt vmcnt(4)
	s_delay_alu instid0(VALU_DEP_1) | instskip(SKIP_1) | instid1(VALU_DEP_1)
	v_fma_f64 v[6:7], v[8:9], v[109:110], v[6:7]
	s_waitcnt lgkmcnt(0)
	v_fma_f64 v[10:11], v[10:11], v[111:112], v[6:7]
	scratch_load_b128 v[6:9], off, off offset:240
	s_waitcnt vmcnt(4)
	v_fma_f64 v[10:11], v[95:96], v[113:114], v[10:11]
	ds_load_2addr_b64 v[107:110], v1 offset0:65 offset1:66
	ds_load_2addr_b64 v[111:114], v1 offset0:67 offset1:68
	s_waitcnt lgkmcnt(1)
	v_fma_f64 v[10:11], v[97:98], v[107:108], v[10:11]
	scratch_load_b128 v[95:98], off, off offset:256
	s_waitcnt vmcnt(4)
	v_fma_f64 v[10:11], v[99:100], v[109:110], v[10:11]
	s_waitcnt lgkmcnt(0)
	s_delay_alu instid0(VALU_DEP_1)
	v_fma_f64 v[10:11], v[101:102], v[111:112], v[10:11]
	scratch_load_b128 v[99:102], off, off offset:272
	s_waitcnt vmcnt(4)
	v_fma_f64 v[10:11], v[103:104], v[113:114], v[10:11]
	ds_load_2addr_b64 v[107:110], v1 offset0:69 offset1:70
	ds_load_2addr_b64 v[111:114], v1 offset0:71 offset1:72
	s_waitcnt lgkmcnt(1)
	v_fma_f64 v[10:11], v[105:106], v[107:108], v[10:11]
	scratch_load_b128 v[103:106], off, off offset:288
	s_waitcnt vmcnt(4)
	v_fma_f64 v[10:11], v[115:116], v[109:110], v[10:11]
	scratch_load_b128 v[107:110], off, off offset:304
	s_waitcnt lgkmcnt(0)
	v_fma_f64 v[10:11], v[117:118], v[111:112], v[10:11]
	s_waitcnt vmcnt(4)
	s_delay_alu instid0(VALU_DEP_1)
	v_fma_f64 v[6:7], v[6:7], v[113:114], v[10:11]
	ds_load_2addr_b64 v[111:114], v1 offset0:73 offset1:74
	ds_load_2addr_b64 v[115:118], v1 offset0:75 offset1:76
	scratch_load_b64 v[10:11], off, off offset:320
	s_waitcnt lgkmcnt(1)
	v_fma_f64 v[6:7], v[8:9], v[111:112], v[6:7]
	s_waitcnt vmcnt(4)
	s_delay_alu instid0(VALU_DEP_1) | instskip(SKIP_1) | instid1(VALU_DEP_1)
	v_fma_f64 v[6:7], v[95:96], v[113:114], v[6:7]
	s_waitcnt lgkmcnt(0)
	v_fma_f64 v[6:7], v[97:98], v[115:116], v[6:7]
	s_waitcnt vmcnt(3)
	s_delay_alu instid0(VALU_DEP_1)
	v_fma_f64 v[99:100], v[99:100], v[117:118], v[6:7]
	ds_load_2addr_b64 v[6:9], v1 offset0:77 offset1:78
	ds_load_2addr_b64 v[95:98], v1 offset0:79 offset1:80
	s_waitcnt lgkmcnt(1)
	v_fma_f64 v[6:7], v[101:102], v[6:7], v[99:100]
	s_waitcnt vmcnt(2)
	s_delay_alu instid0(VALU_DEP_1) | instskip(SKIP_1) | instid1(VALU_DEP_1)
	v_fma_f64 v[6:7], v[103:104], v[8:9], v[6:7]
	s_waitcnt lgkmcnt(0)
	v_fma_f64 v[6:7], v[105:106], v[95:96], v[6:7]
	s_waitcnt vmcnt(1)
	s_delay_alu instid0(VALU_DEP_1) | instskip(SKIP_4) | instid1(VALU_DEP_1)
	v_fma_f64 v[95:96], v[107:108], v[97:98], v[6:7]
	ds_load_2addr_b64 v[6:9], v1 offset0:81 offset1:82
	s_waitcnt lgkmcnt(0)
	v_fma_f64 v[1:2], v[109:110], v[6:7], v[95:96]
	s_waitcnt vmcnt(0)
	v_fma_f64 v[1:2], v[10:11], v[8:9], v[1:2]
	s_delay_alu instid0(VALU_DEP_1)
	v_add_f64 v[1:2], v[4:5], -v[1:2]
	scratch_store_b64 off, v[1:2], off offset:144
	v_cmpx_lt_u32_e32 17, v0
	s_cbranch_execz .LBB40_221
; %bb.220:
	scratch_load_b64 v[1:2], off, off offset:136
	v_mov_b32_e32 v4, 0
	s_delay_alu instid0(VALU_DEP_1)
	v_mov_b32_e32 v5, v4
	scratch_store_b64 off, v[4:5], off offset:136
	s_waitcnt vmcnt(0)
	ds_store_b64 v3, v[1:2]
.LBB40_221:
	s_or_b32 exec_lo, exec_lo, s0
	s_waitcnt lgkmcnt(0)
	s_waitcnt_vscnt null, 0x0
	s_barrier
	buffer_gl0_inv
	s_clause 0x4
	scratch_load_b128 v[4:7], off, off offset:136
	scratch_load_b128 v[8:11], off, off offset:152
	;; [unrolled: 1-line block ×5, first 2 shown]
	v_mov_b32_e32 v1, 0
	ds_load_b128 v[107:110], v1 offset:480
	ds_load_b128 v[111:114], v1 offset:496
	scratch_load_b128 v[115:118], off, off offset:216
	s_mov_b32 s0, exec_lo
	s_waitcnt vmcnt(5) lgkmcnt(1)
	v_fma_f64 v[6:7], v[6:7], v[107:108], 0
	s_waitcnt vmcnt(4)
	s_delay_alu instid0(VALU_DEP_1) | instskip(SKIP_1) | instid1(VALU_DEP_1)
	v_fma_f64 v[6:7], v[8:9], v[109:110], v[6:7]
	s_waitcnt lgkmcnt(0)
	v_fma_f64 v[10:11], v[10:11], v[111:112], v[6:7]
	scratch_load_b128 v[6:9], off, off offset:232
	s_waitcnt vmcnt(4)
	v_fma_f64 v[10:11], v[95:96], v[113:114], v[10:11]
	ds_load_b128 v[107:110], v1 offset:512
	ds_load_b128 v[111:114], v1 offset:528
	s_waitcnt lgkmcnt(1)
	v_fma_f64 v[10:11], v[97:98], v[107:108], v[10:11]
	scratch_load_b128 v[95:98], off, off offset:248
	s_waitcnt vmcnt(4)
	v_fma_f64 v[10:11], v[99:100], v[109:110], v[10:11]
	s_waitcnt lgkmcnt(0)
	s_delay_alu instid0(VALU_DEP_1)
	v_fma_f64 v[10:11], v[101:102], v[111:112], v[10:11]
	scratch_load_b128 v[99:102], off, off offset:264
	s_waitcnt vmcnt(4)
	v_fma_f64 v[10:11], v[103:104], v[113:114], v[10:11]
	ds_load_b128 v[107:110], v1 offset:544
	ds_load_b128 v[111:114], v1 offset:560
	s_waitcnt lgkmcnt(1)
	v_fma_f64 v[10:11], v[105:106], v[107:108], v[10:11]
	scratch_load_b128 v[103:106], off, off offset:280
	s_waitcnt vmcnt(4)
	v_fma_f64 v[10:11], v[115:116], v[109:110], v[10:11]
	scratch_load_b128 v[107:110], off, off offset:296
	s_waitcnt lgkmcnt(0)
	v_fma_f64 v[10:11], v[117:118], v[111:112], v[10:11]
	s_waitcnt vmcnt(4)
	s_delay_alu instid0(VALU_DEP_1)
	v_fma_f64 v[6:7], v[6:7], v[113:114], v[10:11]
	ds_load_b128 v[111:114], v1 offset:576
	ds_load_b128 v[115:118], v1 offset:592
	s_waitcnt lgkmcnt(1)
	v_fma_f64 v[10:11], v[8:9], v[111:112], v[6:7]
	scratch_load_b128 v[6:9], off, off offset:312
	s_waitcnt vmcnt(4)
	v_fma_f64 v[10:11], v[95:96], v[113:114], v[10:11]
	s_waitcnt lgkmcnt(0)
	s_delay_alu instid0(VALU_DEP_1)
	v_fma_f64 v[10:11], v[97:98], v[115:116], v[10:11]
	ds_load_b128 v[95:98], v1 offset:608
	ds_load_b128 v[111:114], v1 offset:624
	s_waitcnt vmcnt(3)
	v_fma_f64 v[10:11], v[99:100], v[117:118], v[10:11]
	s_waitcnt lgkmcnt(1)
	s_delay_alu instid0(VALU_DEP_1) | instskip(SKIP_1) | instid1(VALU_DEP_1)
	v_fma_f64 v[10:11], v[101:102], v[95:96], v[10:11]
	s_waitcnt vmcnt(2)
	v_fma_f64 v[10:11], v[103:104], v[97:98], v[10:11]
	ds_load_b128 v[95:98], v1 offset:640
	ds_load_b64 v[99:100], v1 offset:656
	s_waitcnt lgkmcnt(2)
	v_fma_f64 v[10:11], v[105:106], v[111:112], v[10:11]
	s_waitcnt vmcnt(1)
	s_delay_alu instid0(VALU_DEP_1) | instskip(SKIP_1) | instid1(VALU_DEP_1)
	v_fma_f64 v[10:11], v[107:108], v[113:114], v[10:11]
	s_waitcnt lgkmcnt(1)
	v_fma_f64 v[10:11], v[109:110], v[95:96], v[10:11]
	s_waitcnt vmcnt(0)
	s_delay_alu instid0(VALU_DEP_1) | instskip(SKIP_1) | instid1(VALU_DEP_1)
	v_fma_f64 v[6:7], v[6:7], v[97:98], v[10:11]
	s_waitcnt lgkmcnt(0)
	v_fma_f64 v[6:7], v[8:9], v[99:100], v[6:7]
	s_delay_alu instid0(VALU_DEP_1)
	v_add_f64 v[4:5], v[4:5], -v[6:7]
	scratch_store_b64 off, v[4:5], off offset:136
	v_cmpx_lt_u32_e32 16, v0
	s_cbranch_execz .LBB40_223
; %bb.222:
	scratch_load_b64 v[4:5], off, off offset:128
	v_mov_b32_e32 v2, v1
	scratch_store_b64 off, v[1:2], off offset:128
	s_waitcnt vmcnt(0)
	ds_store_b64 v3, v[4:5]
.LBB40_223:
	s_or_b32 exec_lo, exec_lo, s0
	s_waitcnt lgkmcnt(0)
	s_waitcnt_vscnt null, 0x0
	s_barrier
	buffer_gl0_inv
	s_clause 0x4
	scratch_load_b128 v[4:7], off, off offset:128
	scratch_load_b128 v[8:11], off, off offset:144
	;; [unrolled: 1-line block ×5, first 2 shown]
	ds_load_2addr_b64 v[107:110], v1 offset0:59 offset1:60
	ds_load_2addr_b64 v[111:114], v1 offset0:61 offset1:62
	scratch_load_b128 v[115:118], off, off offset:208
	s_mov_b32 s0, exec_lo
	s_waitcnt vmcnt(5) lgkmcnt(1)
	v_fma_f64 v[6:7], v[6:7], v[107:108], 0
	s_waitcnt vmcnt(4)
	s_delay_alu instid0(VALU_DEP_1) | instskip(SKIP_1) | instid1(VALU_DEP_1)
	v_fma_f64 v[6:7], v[8:9], v[109:110], v[6:7]
	s_waitcnt lgkmcnt(0)
	v_fma_f64 v[10:11], v[10:11], v[111:112], v[6:7]
	scratch_load_b128 v[6:9], off, off offset:224
	s_waitcnt vmcnt(4)
	v_fma_f64 v[10:11], v[95:96], v[113:114], v[10:11]
	ds_load_2addr_b64 v[107:110], v1 offset0:63 offset1:64
	ds_load_2addr_b64 v[111:114], v1 offset0:65 offset1:66
	s_waitcnt lgkmcnt(1)
	v_fma_f64 v[10:11], v[97:98], v[107:108], v[10:11]
	scratch_load_b128 v[95:98], off, off offset:240
	s_waitcnt vmcnt(4)
	v_fma_f64 v[10:11], v[99:100], v[109:110], v[10:11]
	s_waitcnt lgkmcnt(0)
	s_delay_alu instid0(VALU_DEP_1)
	v_fma_f64 v[10:11], v[101:102], v[111:112], v[10:11]
	scratch_load_b128 v[99:102], off, off offset:256
	s_waitcnt vmcnt(4)
	v_fma_f64 v[10:11], v[103:104], v[113:114], v[10:11]
	ds_load_2addr_b64 v[107:110], v1 offset0:67 offset1:68
	ds_load_2addr_b64 v[111:114], v1 offset0:69 offset1:70
	s_waitcnt lgkmcnt(1)
	v_fma_f64 v[10:11], v[105:106], v[107:108], v[10:11]
	scratch_load_b128 v[103:106], off, off offset:272
	s_waitcnt vmcnt(4)
	v_fma_f64 v[10:11], v[115:116], v[109:110], v[10:11]
	scratch_load_b128 v[107:110], off, off offset:288
	s_waitcnt lgkmcnt(0)
	v_fma_f64 v[10:11], v[117:118], v[111:112], v[10:11]
	s_waitcnt vmcnt(4)
	s_delay_alu instid0(VALU_DEP_1)
	v_fma_f64 v[6:7], v[6:7], v[113:114], v[10:11]
	ds_load_2addr_b64 v[111:114], v1 offset0:71 offset1:72
	ds_load_2addr_b64 v[115:118], v1 offset0:73 offset1:74
	s_waitcnt lgkmcnt(1)
	v_fma_f64 v[10:11], v[8:9], v[111:112], v[6:7]
	scratch_load_b128 v[6:9], off, off offset:304
	s_waitcnt vmcnt(4)
	v_fma_f64 v[10:11], v[95:96], v[113:114], v[10:11]
	s_waitcnt lgkmcnt(0)
	s_delay_alu instid0(VALU_DEP_1)
	v_fma_f64 v[10:11], v[97:98], v[115:116], v[10:11]
	scratch_load_b64 v[115:116], off, off offset:320
	ds_load_2addr_b64 v[95:98], v1 offset0:75 offset1:76
	ds_load_2addr_b64 v[111:114], v1 offset0:77 offset1:78
	s_waitcnt vmcnt(4)
	v_fma_f64 v[10:11], v[99:100], v[117:118], v[10:11]
	s_waitcnt lgkmcnt(1)
	s_delay_alu instid0(VALU_DEP_1) | instskip(SKIP_1) | instid1(VALU_DEP_1)
	v_fma_f64 v[10:11], v[101:102], v[95:96], v[10:11]
	s_waitcnt vmcnt(3)
	v_fma_f64 v[10:11], v[103:104], v[97:98], v[10:11]
	ds_load_2addr_b64 v[95:98], v1 offset0:79 offset1:80
	ds_load_2addr_b64 v[99:102], v1 offset0:81 offset1:82
	s_waitcnt lgkmcnt(2)
	v_fma_f64 v[10:11], v[105:106], v[111:112], v[10:11]
	s_waitcnt vmcnt(2)
	s_delay_alu instid0(VALU_DEP_1) | instskip(SKIP_1) | instid1(VALU_DEP_1)
	v_fma_f64 v[10:11], v[107:108], v[113:114], v[10:11]
	s_waitcnt lgkmcnt(1)
	v_fma_f64 v[1:2], v[109:110], v[95:96], v[10:11]
	s_waitcnt vmcnt(1)
	s_delay_alu instid0(VALU_DEP_1) | instskip(SKIP_1) | instid1(VALU_DEP_1)
	v_fma_f64 v[1:2], v[6:7], v[97:98], v[1:2]
	s_waitcnt lgkmcnt(0)
	v_fma_f64 v[1:2], v[8:9], v[99:100], v[1:2]
	s_waitcnt vmcnt(0)
	s_delay_alu instid0(VALU_DEP_1) | instskip(NEXT) | instid1(VALU_DEP_1)
	v_fma_f64 v[1:2], v[115:116], v[101:102], v[1:2]
	v_add_f64 v[1:2], v[4:5], -v[1:2]
	scratch_store_b64 off, v[1:2], off offset:128
	v_cmpx_lt_u32_e32 15, v0
	s_cbranch_execz .LBB40_225
; %bb.224:
	scratch_load_b64 v[1:2], off, off offset:120
	v_mov_b32_e32 v4, 0
	s_delay_alu instid0(VALU_DEP_1)
	v_mov_b32_e32 v5, v4
	scratch_store_b64 off, v[4:5], off offset:120
	s_waitcnt vmcnt(0)
	ds_store_b64 v3, v[1:2]
.LBB40_225:
	s_or_b32 exec_lo, exec_lo, s0
	s_waitcnt lgkmcnt(0)
	s_waitcnt_vscnt null, 0x0
	s_barrier
	buffer_gl0_inv
	s_clause 0x4
	scratch_load_b128 v[4:7], off, off offset:120
	scratch_load_b128 v[8:11], off, off offset:136
	scratch_load_b128 v[95:98], off, off offset:152
	scratch_load_b128 v[99:102], off, off offset:168
	scratch_load_b128 v[103:106], off, off offset:184
	v_mov_b32_e32 v1, 0
	ds_load_b128 v[107:110], v1 offset:464
	ds_load_b128 v[111:114], v1 offset:480
	scratch_load_b128 v[115:118], off, off offset:200
	s_mov_b32 s0, exec_lo
	s_waitcnt vmcnt(5) lgkmcnt(1)
	v_fma_f64 v[6:7], v[6:7], v[107:108], 0
	s_waitcnt vmcnt(4)
	s_delay_alu instid0(VALU_DEP_1) | instskip(SKIP_1) | instid1(VALU_DEP_1)
	v_fma_f64 v[6:7], v[8:9], v[109:110], v[6:7]
	s_waitcnt lgkmcnt(0)
	v_fma_f64 v[10:11], v[10:11], v[111:112], v[6:7]
	scratch_load_b128 v[6:9], off, off offset:216
	s_waitcnt vmcnt(4)
	v_fma_f64 v[10:11], v[95:96], v[113:114], v[10:11]
	ds_load_b128 v[107:110], v1 offset:496
	ds_load_b128 v[111:114], v1 offset:512
	s_waitcnt lgkmcnt(1)
	v_fma_f64 v[10:11], v[97:98], v[107:108], v[10:11]
	scratch_load_b128 v[95:98], off, off offset:232
	s_waitcnt vmcnt(4)
	v_fma_f64 v[10:11], v[99:100], v[109:110], v[10:11]
	s_waitcnt lgkmcnt(0)
	s_delay_alu instid0(VALU_DEP_1)
	v_fma_f64 v[10:11], v[101:102], v[111:112], v[10:11]
	scratch_load_b128 v[99:102], off, off offset:248
	s_waitcnt vmcnt(4)
	v_fma_f64 v[10:11], v[103:104], v[113:114], v[10:11]
	ds_load_b128 v[107:110], v1 offset:528
	ds_load_b128 v[111:114], v1 offset:544
	s_waitcnt lgkmcnt(1)
	v_fma_f64 v[10:11], v[105:106], v[107:108], v[10:11]
	scratch_load_b128 v[103:106], off, off offset:264
	s_waitcnt vmcnt(4)
	v_fma_f64 v[10:11], v[115:116], v[109:110], v[10:11]
	scratch_load_b128 v[107:110], off, off offset:280
	s_waitcnt lgkmcnt(0)
	v_fma_f64 v[10:11], v[117:118], v[111:112], v[10:11]
	s_waitcnt vmcnt(4)
	s_delay_alu instid0(VALU_DEP_1)
	v_fma_f64 v[6:7], v[6:7], v[113:114], v[10:11]
	ds_load_b128 v[111:114], v1 offset:560
	ds_load_b128 v[115:118], v1 offset:576
	s_waitcnt lgkmcnt(1)
	v_fma_f64 v[10:11], v[8:9], v[111:112], v[6:7]
	scratch_load_b128 v[6:9], off, off offset:296
	s_waitcnt vmcnt(4)
	v_fma_f64 v[10:11], v[95:96], v[113:114], v[10:11]
	s_waitcnt lgkmcnt(0)
	s_delay_alu instid0(VALU_DEP_1)
	v_fma_f64 v[10:11], v[97:98], v[115:116], v[10:11]
	scratch_load_b128 v[95:98], off, off offset:312
	s_waitcnt vmcnt(4)
	v_fma_f64 v[10:11], v[99:100], v[117:118], v[10:11]
	ds_load_b128 v[111:114], v1 offset:592
	ds_load_b128 v[115:118], v1 offset:608
	s_waitcnt lgkmcnt(1)
	v_fma_f64 v[10:11], v[101:102], v[111:112], v[10:11]
	s_waitcnt vmcnt(3)
	s_delay_alu instid0(VALU_DEP_1) | instskip(SKIP_1) | instid1(VALU_DEP_1)
	v_fma_f64 v[10:11], v[103:104], v[113:114], v[10:11]
	s_waitcnt lgkmcnt(0)
	v_fma_f64 v[10:11], v[105:106], v[115:116], v[10:11]
	ds_load_b128 v[99:102], v1 offset:624
	ds_load_b128 v[103:106], v1 offset:640
	s_waitcnt vmcnt(2)
	v_fma_f64 v[10:11], v[107:108], v[117:118], v[10:11]
	s_waitcnt lgkmcnt(1)
	s_delay_alu instid0(VALU_DEP_1) | instskip(SKIP_1) | instid1(VALU_DEP_1)
	v_fma_f64 v[10:11], v[109:110], v[99:100], v[10:11]
	s_waitcnt vmcnt(1)
	v_fma_f64 v[6:7], v[6:7], v[101:102], v[10:11]
	s_waitcnt lgkmcnt(0)
	s_delay_alu instid0(VALU_DEP_1) | instskip(SKIP_4) | instid1(VALU_DEP_1)
	v_fma_f64 v[6:7], v[8:9], v[103:104], v[6:7]
	ds_load_b64 v[8:9], v1 offset:656
	s_waitcnt vmcnt(0)
	v_fma_f64 v[6:7], v[95:96], v[105:106], v[6:7]
	s_waitcnt lgkmcnt(0)
	v_fma_f64 v[6:7], v[97:98], v[8:9], v[6:7]
	s_delay_alu instid0(VALU_DEP_1)
	v_add_f64 v[4:5], v[4:5], -v[6:7]
	scratch_store_b64 off, v[4:5], off offset:120
	v_cmpx_lt_u32_e32 14, v0
	s_cbranch_execz .LBB40_227
; %bb.226:
	scratch_load_b64 v[4:5], off, off offset:112
	v_mov_b32_e32 v2, v1
	scratch_store_b64 off, v[1:2], off offset:112
	s_waitcnt vmcnt(0)
	ds_store_b64 v3, v[4:5]
.LBB40_227:
	s_or_b32 exec_lo, exec_lo, s0
	s_waitcnt lgkmcnt(0)
	s_waitcnt_vscnt null, 0x0
	s_barrier
	buffer_gl0_inv
	s_clause 0x4
	scratch_load_b128 v[4:7], off, off offset:112
	scratch_load_b128 v[8:11], off, off offset:128
	;; [unrolled: 1-line block ×5, first 2 shown]
	ds_load_2addr_b64 v[107:110], v1 offset0:57 offset1:58
	ds_load_2addr_b64 v[111:114], v1 offset0:59 offset1:60
	scratch_load_b128 v[115:118], off, off offset:192
	s_mov_b32 s0, exec_lo
	s_waitcnt vmcnt(5) lgkmcnt(1)
	v_fma_f64 v[6:7], v[6:7], v[107:108], 0
	s_waitcnt vmcnt(4)
	s_delay_alu instid0(VALU_DEP_1) | instskip(SKIP_1) | instid1(VALU_DEP_1)
	v_fma_f64 v[6:7], v[8:9], v[109:110], v[6:7]
	s_waitcnt lgkmcnt(0)
	v_fma_f64 v[10:11], v[10:11], v[111:112], v[6:7]
	scratch_load_b128 v[6:9], off, off offset:208
	s_waitcnt vmcnt(4)
	v_fma_f64 v[10:11], v[95:96], v[113:114], v[10:11]
	ds_load_2addr_b64 v[107:110], v1 offset0:61 offset1:62
	ds_load_2addr_b64 v[111:114], v1 offset0:63 offset1:64
	s_waitcnt lgkmcnt(1)
	v_fma_f64 v[10:11], v[97:98], v[107:108], v[10:11]
	scratch_load_b128 v[95:98], off, off offset:224
	s_waitcnt vmcnt(4)
	v_fma_f64 v[10:11], v[99:100], v[109:110], v[10:11]
	s_waitcnt lgkmcnt(0)
	s_delay_alu instid0(VALU_DEP_1)
	v_fma_f64 v[10:11], v[101:102], v[111:112], v[10:11]
	scratch_load_b128 v[99:102], off, off offset:240
	s_waitcnt vmcnt(4)
	v_fma_f64 v[10:11], v[103:104], v[113:114], v[10:11]
	ds_load_2addr_b64 v[107:110], v1 offset0:65 offset1:66
	ds_load_2addr_b64 v[111:114], v1 offset0:67 offset1:68
	s_waitcnt lgkmcnt(1)
	v_fma_f64 v[10:11], v[105:106], v[107:108], v[10:11]
	scratch_load_b128 v[103:106], off, off offset:256
	s_waitcnt vmcnt(4)
	v_fma_f64 v[10:11], v[115:116], v[109:110], v[10:11]
	scratch_load_b128 v[107:110], off, off offset:272
	s_waitcnt lgkmcnt(0)
	v_fma_f64 v[10:11], v[117:118], v[111:112], v[10:11]
	s_waitcnt vmcnt(4)
	s_delay_alu instid0(VALU_DEP_1)
	v_fma_f64 v[6:7], v[6:7], v[113:114], v[10:11]
	ds_load_2addr_b64 v[111:114], v1 offset0:69 offset1:70
	ds_load_2addr_b64 v[115:118], v1 offset0:71 offset1:72
	s_waitcnt lgkmcnt(1)
	v_fma_f64 v[10:11], v[8:9], v[111:112], v[6:7]
	scratch_load_b128 v[6:9], off, off offset:288
	s_waitcnt vmcnt(4)
	v_fma_f64 v[10:11], v[95:96], v[113:114], v[10:11]
	s_waitcnt lgkmcnt(0)
	s_delay_alu instid0(VALU_DEP_1)
	v_fma_f64 v[10:11], v[97:98], v[115:116], v[10:11]
	scratch_load_b128 v[95:98], off, off offset:304
	s_waitcnt vmcnt(4)
	v_fma_f64 v[10:11], v[99:100], v[117:118], v[10:11]
	ds_load_2addr_b64 v[111:114], v1 offset0:73 offset1:74
	ds_load_2addr_b64 v[115:118], v1 offset0:75 offset1:76
	s_waitcnt lgkmcnt(1)
	v_fma_f64 v[10:11], v[101:102], v[111:112], v[10:11]
	scratch_load_b64 v[111:112], off, off offset:320
	s_waitcnt vmcnt(4)
	v_fma_f64 v[10:11], v[103:104], v[113:114], v[10:11]
	s_waitcnt lgkmcnt(0)
	s_delay_alu instid0(VALU_DEP_1)
	v_fma_f64 v[10:11], v[105:106], v[115:116], v[10:11]
	ds_load_2addr_b64 v[99:102], v1 offset0:77 offset1:78
	ds_load_2addr_b64 v[103:106], v1 offset0:79 offset1:80
	s_waitcnt vmcnt(3)
	v_fma_f64 v[10:11], v[107:108], v[117:118], v[10:11]
	s_waitcnt lgkmcnt(1)
	s_delay_alu instid0(VALU_DEP_1) | instskip(SKIP_1) | instid1(VALU_DEP_1)
	v_fma_f64 v[10:11], v[109:110], v[99:100], v[10:11]
	s_waitcnt vmcnt(2)
	v_fma_f64 v[6:7], v[6:7], v[101:102], v[10:11]
	s_waitcnt lgkmcnt(0)
	s_delay_alu instid0(VALU_DEP_1) | instskip(SKIP_1) | instid1(VALU_DEP_1)
	v_fma_f64 v[6:7], v[8:9], v[103:104], v[6:7]
	s_waitcnt vmcnt(1)
	v_fma_f64 v[10:11], v[95:96], v[105:106], v[6:7]
	ds_load_2addr_b64 v[6:9], v1 offset0:81 offset1:82
	s_waitcnt lgkmcnt(0)
	v_fma_f64 v[1:2], v[97:98], v[6:7], v[10:11]
	s_waitcnt vmcnt(0)
	s_delay_alu instid0(VALU_DEP_1) | instskip(NEXT) | instid1(VALU_DEP_1)
	v_fma_f64 v[1:2], v[111:112], v[8:9], v[1:2]
	v_add_f64 v[1:2], v[4:5], -v[1:2]
	scratch_store_b64 off, v[1:2], off offset:112
	v_cmpx_lt_u32_e32 13, v0
	s_cbranch_execz .LBB40_229
; %bb.228:
	scratch_load_b64 v[1:2], off, off offset:104
	v_mov_b32_e32 v4, 0
	s_delay_alu instid0(VALU_DEP_1)
	v_mov_b32_e32 v5, v4
	scratch_store_b64 off, v[4:5], off offset:104
	s_waitcnt vmcnt(0)
	ds_store_b64 v3, v[1:2]
.LBB40_229:
	s_or_b32 exec_lo, exec_lo, s0
	s_waitcnt lgkmcnt(0)
	s_waitcnt_vscnt null, 0x0
	s_barrier
	buffer_gl0_inv
	s_clause 0x4
	scratch_load_b128 v[4:7], off, off offset:104
	scratch_load_b128 v[8:11], off, off offset:120
	;; [unrolled: 1-line block ×5, first 2 shown]
	v_mov_b32_e32 v1, 0
	ds_load_b128 v[107:110], v1 offset:448
	ds_load_b128 v[111:114], v1 offset:464
	scratch_load_b128 v[115:118], off, off offset:184
	s_mov_b32 s0, exec_lo
	s_waitcnt vmcnt(5) lgkmcnt(1)
	v_fma_f64 v[6:7], v[6:7], v[107:108], 0
	s_waitcnt vmcnt(4)
	s_delay_alu instid0(VALU_DEP_1) | instskip(SKIP_1) | instid1(VALU_DEP_1)
	v_fma_f64 v[6:7], v[8:9], v[109:110], v[6:7]
	s_waitcnt lgkmcnt(0)
	v_fma_f64 v[10:11], v[10:11], v[111:112], v[6:7]
	scratch_load_b128 v[6:9], off, off offset:200
	s_waitcnt vmcnt(4)
	v_fma_f64 v[10:11], v[95:96], v[113:114], v[10:11]
	ds_load_b128 v[107:110], v1 offset:480
	ds_load_b128 v[111:114], v1 offset:496
	s_waitcnt lgkmcnt(1)
	v_fma_f64 v[10:11], v[97:98], v[107:108], v[10:11]
	scratch_load_b128 v[95:98], off, off offset:216
	s_waitcnt vmcnt(4)
	v_fma_f64 v[10:11], v[99:100], v[109:110], v[10:11]
	s_waitcnt lgkmcnt(0)
	s_delay_alu instid0(VALU_DEP_1)
	v_fma_f64 v[10:11], v[101:102], v[111:112], v[10:11]
	scratch_load_b128 v[99:102], off, off offset:232
	s_waitcnt vmcnt(4)
	v_fma_f64 v[10:11], v[103:104], v[113:114], v[10:11]
	ds_load_b128 v[107:110], v1 offset:512
	ds_load_b128 v[111:114], v1 offset:528
	s_waitcnt lgkmcnt(1)
	v_fma_f64 v[10:11], v[105:106], v[107:108], v[10:11]
	scratch_load_b128 v[103:106], off, off offset:248
	s_waitcnt vmcnt(4)
	v_fma_f64 v[10:11], v[115:116], v[109:110], v[10:11]
	scratch_load_b128 v[107:110], off, off offset:264
	s_waitcnt lgkmcnt(0)
	v_fma_f64 v[10:11], v[117:118], v[111:112], v[10:11]
	s_waitcnt vmcnt(4)
	s_delay_alu instid0(VALU_DEP_1)
	v_fma_f64 v[6:7], v[6:7], v[113:114], v[10:11]
	ds_load_b128 v[111:114], v1 offset:544
	ds_load_b128 v[115:118], v1 offset:560
	s_waitcnt lgkmcnt(1)
	v_fma_f64 v[10:11], v[8:9], v[111:112], v[6:7]
	scratch_load_b128 v[6:9], off, off offset:280
	s_waitcnt vmcnt(4)
	v_fma_f64 v[10:11], v[95:96], v[113:114], v[10:11]
	s_waitcnt lgkmcnt(0)
	s_delay_alu instid0(VALU_DEP_1)
	v_fma_f64 v[10:11], v[97:98], v[115:116], v[10:11]
	scratch_load_b128 v[95:98], off, off offset:296
	s_waitcnt vmcnt(4)
	v_fma_f64 v[10:11], v[99:100], v[117:118], v[10:11]
	ds_load_b128 v[111:114], v1 offset:576
	ds_load_b128 v[115:118], v1 offset:592
	s_waitcnt lgkmcnt(1)
	v_fma_f64 v[10:11], v[101:102], v[111:112], v[10:11]
	scratch_load_b128 v[99:102], off, off offset:312
	s_waitcnt vmcnt(4)
	v_fma_f64 v[10:11], v[103:104], v[113:114], v[10:11]
	s_waitcnt lgkmcnt(0)
	s_delay_alu instid0(VALU_DEP_1)
	v_fma_f64 v[10:11], v[105:106], v[115:116], v[10:11]
	ds_load_b128 v[103:106], v1 offset:608
	ds_load_b128 v[111:114], v1 offset:624
	s_waitcnt vmcnt(3)
	v_fma_f64 v[10:11], v[107:108], v[117:118], v[10:11]
	s_waitcnt lgkmcnt(1)
	s_delay_alu instid0(VALU_DEP_1) | instskip(SKIP_1) | instid1(VALU_DEP_1)
	v_fma_f64 v[10:11], v[109:110], v[103:104], v[10:11]
	s_waitcnt vmcnt(2)
	v_fma_f64 v[6:7], v[6:7], v[105:106], v[10:11]
	s_waitcnt lgkmcnt(0)
	s_delay_alu instid0(VALU_DEP_1) | instskip(SKIP_1) | instid1(VALU_DEP_1)
	v_fma_f64 v[6:7], v[8:9], v[111:112], v[6:7]
	s_waitcnt vmcnt(1)
	v_fma_f64 v[10:11], v[95:96], v[113:114], v[6:7]
	ds_load_b128 v[6:9], v1 offset:640
	ds_load_b64 v[95:96], v1 offset:656
	s_waitcnt lgkmcnt(1)
	v_fma_f64 v[6:7], v[97:98], v[6:7], v[10:11]
	s_waitcnt vmcnt(0)
	s_delay_alu instid0(VALU_DEP_1) | instskip(SKIP_1) | instid1(VALU_DEP_1)
	v_fma_f64 v[6:7], v[99:100], v[8:9], v[6:7]
	s_waitcnt lgkmcnt(0)
	v_fma_f64 v[6:7], v[101:102], v[95:96], v[6:7]
	s_delay_alu instid0(VALU_DEP_1)
	v_add_f64 v[4:5], v[4:5], -v[6:7]
	scratch_store_b64 off, v[4:5], off offset:104
	v_cmpx_lt_u32_e32 12, v0
	s_cbranch_execz .LBB40_231
; %bb.230:
	scratch_load_b64 v[4:5], off, off offset:96
	v_mov_b32_e32 v2, v1
	scratch_store_b64 off, v[1:2], off offset:96
	s_waitcnt vmcnt(0)
	ds_store_b64 v3, v[4:5]
.LBB40_231:
	s_or_b32 exec_lo, exec_lo, s0
	s_waitcnt lgkmcnt(0)
	s_waitcnt_vscnt null, 0x0
	s_barrier
	buffer_gl0_inv
	s_clause 0x4
	scratch_load_b128 v[4:7], off, off offset:96
	scratch_load_b128 v[8:11], off, off offset:112
	;; [unrolled: 1-line block ×5, first 2 shown]
	ds_load_2addr_b64 v[107:110], v1 offset0:55 offset1:56
	ds_load_2addr_b64 v[111:114], v1 offset0:57 offset1:58
	scratch_load_b128 v[115:118], off, off offset:176
	s_mov_b32 s0, exec_lo
	s_waitcnt vmcnt(5) lgkmcnt(1)
	v_fma_f64 v[6:7], v[6:7], v[107:108], 0
	s_waitcnt vmcnt(4)
	s_delay_alu instid0(VALU_DEP_1) | instskip(SKIP_1) | instid1(VALU_DEP_1)
	v_fma_f64 v[6:7], v[8:9], v[109:110], v[6:7]
	s_waitcnt lgkmcnt(0)
	v_fma_f64 v[10:11], v[10:11], v[111:112], v[6:7]
	scratch_load_b128 v[6:9], off, off offset:192
	s_waitcnt vmcnt(4)
	v_fma_f64 v[10:11], v[95:96], v[113:114], v[10:11]
	ds_load_2addr_b64 v[107:110], v1 offset0:59 offset1:60
	ds_load_2addr_b64 v[111:114], v1 offset0:61 offset1:62
	s_waitcnt lgkmcnt(1)
	v_fma_f64 v[10:11], v[97:98], v[107:108], v[10:11]
	scratch_load_b128 v[95:98], off, off offset:208
	s_waitcnt vmcnt(4)
	v_fma_f64 v[10:11], v[99:100], v[109:110], v[10:11]
	s_waitcnt lgkmcnt(0)
	s_delay_alu instid0(VALU_DEP_1)
	v_fma_f64 v[10:11], v[101:102], v[111:112], v[10:11]
	scratch_load_b128 v[99:102], off, off offset:224
	s_waitcnt vmcnt(4)
	v_fma_f64 v[10:11], v[103:104], v[113:114], v[10:11]
	ds_load_2addr_b64 v[107:110], v1 offset0:63 offset1:64
	ds_load_2addr_b64 v[111:114], v1 offset0:65 offset1:66
	s_waitcnt lgkmcnt(1)
	v_fma_f64 v[10:11], v[105:106], v[107:108], v[10:11]
	scratch_load_b128 v[103:106], off, off offset:240
	s_waitcnt vmcnt(4)
	v_fma_f64 v[10:11], v[115:116], v[109:110], v[10:11]
	scratch_load_b128 v[107:110], off, off offset:256
	s_waitcnt lgkmcnt(0)
	v_fma_f64 v[10:11], v[117:118], v[111:112], v[10:11]
	s_waitcnt vmcnt(4)
	s_delay_alu instid0(VALU_DEP_1)
	v_fma_f64 v[6:7], v[6:7], v[113:114], v[10:11]
	ds_load_2addr_b64 v[111:114], v1 offset0:67 offset1:68
	ds_load_2addr_b64 v[115:118], v1 offset0:69 offset1:70
	s_waitcnt lgkmcnt(1)
	v_fma_f64 v[10:11], v[8:9], v[111:112], v[6:7]
	scratch_load_b128 v[6:9], off, off offset:272
	s_waitcnt vmcnt(4)
	v_fma_f64 v[10:11], v[95:96], v[113:114], v[10:11]
	s_waitcnt lgkmcnt(0)
	s_delay_alu instid0(VALU_DEP_1)
	v_fma_f64 v[10:11], v[97:98], v[115:116], v[10:11]
	scratch_load_b128 v[95:98], off, off offset:288
	s_waitcnt vmcnt(4)
	v_fma_f64 v[10:11], v[99:100], v[117:118], v[10:11]
	ds_load_2addr_b64 v[111:114], v1 offset0:71 offset1:72
	ds_load_2addr_b64 v[115:118], v1 offset0:73 offset1:74
	s_waitcnt lgkmcnt(1)
	v_fma_f64 v[10:11], v[101:102], v[111:112], v[10:11]
	scratch_load_b128 v[99:102], off, off offset:304
	s_waitcnt vmcnt(4)
	v_fma_f64 v[10:11], v[103:104], v[113:114], v[10:11]
	s_waitcnt lgkmcnt(0)
	s_delay_alu instid0(VALU_DEP_1)
	v_fma_f64 v[10:11], v[105:106], v[115:116], v[10:11]
	scratch_load_b64 v[115:116], off, off offset:320
	ds_load_2addr_b64 v[103:106], v1 offset0:75 offset1:76
	ds_load_2addr_b64 v[111:114], v1 offset0:77 offset1:78
	s_waitcnt vmcnt(4)
	v_fma_f64 v[10:11], v[107:108], v[117:118], v[10:11]
	s_waitcnt lgkmcnt(1)
	s_delay_alu instid0(VALU_DEP_1) | instskip(SKIP_1) | instid1(VALU_DEP_1)
	v_fma_f64 v[10:11], v[109:110], v[103:104], v[10:11]
	s_waitcnt vmcnt(3)
	v_fma_f64 v[6:7], v[6:7], v[105:106], v[10:11]
	s_waitcnt lgkmcnt(0)
	s_delay_alu instid0(VALU_DEP_1) | instskip(SKIP_1) | instid1(VALU_DEP_1)
	v_fma_f64 v[6:7], v[8:9], v[111:112], v[6:7]
	s_waitcnt vmcnt(2)
	v_fma_f64 v[10:11], v[95:96], v[113:114], v[6:7]
	ds_load_2addr_b64 v[6:9], v1 offset0:79 offset1:80
	ds_load_2addr_b64 v[103:106], v1 offset0:81 offset1:82
	s_waitcnt lgkmcnt(1)
	v_fma_f64 v[1:2], v[97:98], v[6:7], v[10:11]
	s_waitcnt vmcnt(1)
	s_delay_alu instid0(VALU_DEP_1) | instskip(SKIP_1) | instid1(VALU_DEP_1)
	v_fma_f64 v[1:2], v[99:100], v[8:9], v[1:2]
	s_waitcnt lgkmcnt(0)
	v_fma_f64 v[1:2], v[101:102], v[103:104], v[1:2]
	s_waitcnt vmcnt(0)
	s_delay_alu instid0(VALU_DEP_1) | instskip(NEXT) | instid1(VALU_DEP_1)
	v_fma_f64 v[1:2], v[115:116], v[105:106], v[1:2]
	v_add_f64 v[1:2], v[4:5], -v[1:2]
	scratch_store_b64 off, v[1:2], off offset:96
	v_cmpx_lt_u32_e32 11, v0
	s_cbranch_execz .LBB40_233
; %bb.232:
	scratch_load_b64 v[1:2], off, off offset:88
	v_mov_b32_e32 v4, 0
	s_delay_alu instid0(VALU_DEP_1)
	v_mov_b32_e32 v5, v4
	scratch_store_b64 off, v[4:5], off offset:88
	s_waitcnt vmcnt(0)
	ds_store_b64 v3, v[1:2]
.LBB40_233:
	s_or_b32 exec_lo, exec_lo, s0
	s_waitcnt lgkmcnt(0)
	s_waitcnt_vscnt null, 0x0
	s_barrier
	buffer_gl0_inv
	s_clause 0x4
	scratch_load_b128 v[4:7], off, off offset:88
	scratch_load_b128 v[8:11], off, off offset:104
	;; [unrolled: 1-line block ×5, first 2 shown]
	v_mov_b32_e32 v1, 0
	ds_load_b128 v[107:110], v1 offset:432
	ds_load_b128 v[111:114], v1 offset:448
	scratch_load_b128 v[115:118], off, off offset:168
	s_mov_b32 s0, exec_lo
	s_waitcnt vmcnt(5) lgkmcnt(1)
	v_fma_f64 v[6:7], v[6:7], v[107:108], 0
	s_waitcnt vmcnt(4)
	s_delay_alu instid0(VALU_DEP_1) | instskip(SKIP_1) | instid1(VALU_DEP_1)
	v_fma_f64 v[6:7], v[8:9], v[109:110], v[6:7]
	s_waitcnt lgkmcnt(0)
	v_fma_f64 v[10:11], v[10:11], v[111:112], v[6:7]
	scratch_load_b128 v[6:9], off, off offset:184
	s_waitcnt vmcnt(4)
	v_fma_f64 v[10:11], v[95:96], v[113:114], v[10:11]
	ds_load_b128 v[107:110], v1 offset:464
	ds_load_b128 v[111:114], v1 offset:480
	s_waitcnt lgkmcnt(1)
	v_fma_f64 v[10:11], v[97:98], v[107:108], v[10:11]
	scratch_load_b128 v[95:98], off, off offset:200
	s_waitcnt vmcnt(4)
	v_fma_f64 v[10:11], v[99:100], v[109:110], v[10:11]
	s_waitcnt lgkmcnt(0)
	s_delay_alu instid0(VALU_DEP_1)
	v_fma_f64 v[10:11], v[101:102], v[111:112], v[10:11]
	scratch_load_b128 v[99:102], off, off offset:216
	s_waitcnt vmcnt(4)
	v_fma_f64 v[10:11], v[103:104], v[113:114], v[10:11]
	ds_load_b128 v[107:110], v1 offset:496
	ds_load_b128 v[111:114], v1 offset:512
	s_waitcnt lgkmcnt(1)
	v_fma_f64 v[10:11], v[105:106], v[107:108], v[10:11]
	scratch_load_b128 v[103:106], off, off offset:232
	s_waitcnt vmcnt(4)
	v_fma_f64 v[10:11], v[115:116], v[109:110], v[10:11]
	scratch_load_b128 v[107:110], off, off offset:248
	s_waitcnt lgkmcnt(0)
	v_fma_f64 v[10:11], v[117:118], v[111:112], v[10:11]
	s_waitcnt vmcnt(4)
	s_delay_alu instid0(VALU_DEP_1)
	v_fma_f64 v[6:7], v[6:7], v[113:114], v[10:11]
	ds_load_b128 v[111:114], v1 offset:528
	ds_load_b128 v[115:118], v1 offset:544
	s_waitcnt lgkmcnt(1)
	v_fma_f64 v[10:11], v[8:9], v[111:112], v[6:7]
	scratch_load_b128 v[6:9], off, off offset:264
	s_waitcnt vmcnt(4)
	v_fma_f64 v[10:11], v[95:96], v[113:114], v[10:11]
	s_waitcnt lgkmcnt(0)
	s_delay_alu instid0(VALU_DEP_1)
	v_fma_f64 v[10:11], v[97:98], v[115:116], v[10:11]
	scratch_load_b128 v[95:98], off, off offset:280
	s_waitcnt vmcnt(4)
	v_fma_f64 v[10:11], v[99:100], v[117:118], v[10:11]
	ds_load_b128 v[111:114], v1 offset:560
	ds_load_b128 v[115:118], v1 offset:576
	s_waitcnt lgkmcnt(1)
	v_fma_f64 v[10:11], v[101:102], v[111:112], v[10:11]
	scratch_load_b128 v[99:102], off, off offset:296
	s_waitcnt vmcnt(4)
	v_fma_f64 v[10:11], v[103:104], v[113:114], v[10:11]
	s_waitcnt lgkmcnt(0)
	s_delay_alu instid0(VALU_DEP_1)
	v_fma_f64 v[10:11], v[105:106], v[115:116], v[10:11]
	scratch_load_b128 v[103:106], off, off offset:312
	s_waitcnt vmcnt(4)
	v_fma_f64 v[10:11], v[107:108], v[117:118], v[10:11]
	ds_load_b128 v[111:114], v1 offset:592
	ds_load_b128 v[115:118], v1 offset:608
	s_waitcnt lgkmcnt(1)
	v_fma_f64 v[10:11], v[109:110], v[111:112], v[10:11]
	s_waitcnt vmcnt(3)
	s_delay_alu instid0(VALU_DEP_1) | instskip(SKIP_1) | instid1(VALU_DEP_1)
	v_fma_f64 v[6:7], v[6:7], v[113:114], v[10:11]
	s_waitcnt lgkmcnt(0)
	v_fma_f64 v[6:7], v[8:9], v[115:116], v[6:7]
	s_waitcnt vmcnt(2)
	s_delay_alu instid0(VALU_DEP_1)
	v_fma_f64 v[10:11], v[95:96], v[117:118], v[6:7]
	ds_load_b128 v[6:9], v1 offset:624
	ds_load_b128 v[107:110], v1 offset:640
	s_waitcnt lgkmcnt(1)
	v_fma_f64 v[6:7], v[97:98], v[6:7], v[10:11]
	s_waitcnt vmcnt(1)
	s_delay_alu instid0(VALU_DEP_1) | instskip(SKIP_4) | instid1(VALU_DEP_1)
	v_fma_f64 v[6:7], v[99:100], v[8:9], v[6:7]
	ds_load_b64 v[8:9], v1 offset:656
	s_waitcnt lgkmcnt(1)
	v_fma_f64 v[6:7], v[101:102], v[107:108], v[6:7]
	s_waitcnt vmcnt(0)
	v_fma_f64 v[6:7], v[103:104], v[109:110], v[6:7]
	s_waitcnt lgkmcnt(0)
	s_delay_alu instid0(VALU_DEP_1) | instskip(NEXT) | instid1(VALU_DEP_1)
	v_fma_f64 v[6:7], v[105:106], v[8:9], v[6:7]
	v_add_f64 v[4:5], v[4:5], -v[6:7]
	scratch_store_b64 off, v[4:5], off offset:88
	v_cmpx_lt_u32_e32 10, v0
	s_cbranch_execz .LBB40_235
; %bb.234:
	scratch_load_b64 v[4:5], off, off offset:80
	v_mov_b32_e32 v2, v1
	scratch_store_b64 off, v[1:2], off offset:80
	s_waitcnt vmcnt(0)
	ds_store_b64 v3, v[4:5]
.LBB40_235:
	s_or_b32 exec_lo, exec_lo, s0
	s_waitcnt lgkmcnt(0)
	s_waitcnt_vscnt null, 0x0
	s_barrier
	buffer_gl0_inv
	s_clause 0x4
	scratch_load_b128 v[4:7], off, off offset:80
	scratch_load_b128 v[8:11], off, off offset:96
	;; [unrolled: 1-line block ×5, first 2 shown]
	ds_load_2addr_b64 v[107:110], v1 offset0:53 offset1:54
	ds_load_2addr_b64 v[111:114], v1 offset0:55 offset1:56
	scratch_load_b128 v[115:118], off, off offset:160
	s_mov_b32 s0, exec_lo
	s_waitcnt vmcnt(5) lgkmcnt(1)
	v_fma_f64 v[6:7], v[6:7], v[107:108], 0
	s_waitcnt vmcnt(4)
	s_delay_alu instid0(VALU_DEP_1) | instskip(SKIP_1) | instid1(VALU_DEP_1)
	v_fma_f64 v[6:7], v[8:9], v[109:110], v[6:7]
	s_waitcnt lgkmcnt(0)
	v_fma_f64 v[10:11], v[10:11], v[111:112], v[6:7]
	scratch_load_b128 v[6:9], off, off offset:176
	s_waitcnt vmcnt(4)
	v_fma_f64 v[10:11], v[95:96], v[113:114], v[10:11]
	ds_load_2addr_b64 v[107:110], v1 offset0:57 offset1:58
	ds_load_2addr_b64 v[111:114], v1 offset0:59 offset1:60
	s_waitcnt lgkmcnt(1)
	v_fma_f64 v[10:11], v[97:98], v[107:108], v[10:11]
	scratch_load_b128 v[95:98], off, off offset:192
	s_waitcnt vmcnt(4)
	v_fma_f64 v[10:11], v[99:100], v[109:110], v[10:11]
	s_waitcnt lgkmcnt(0)
	s_delay_alu instid0(VALU_DEP_1)
	v_fma_f64 v[10:11], v[101:102], v[111:112], v[10:11]
	scratch_load_b128 v[99:102], off, off offset:208
	s_waitcnt vmcnt(4)
	v_fma_f64 v[10:11], v[103:104], v[113:114], v[10:11]
	ds_load_2addr_b64 v[107:110], v1 offset0:61 offset1:62
	ds_load_2addr_b64 v[111:114], v1 offset0:63 offset1:64
	s_waitcnt lgkmcnt(1)
	v_fma_f64 v[10:11], v[105:106], v[107:108], v[10:11]
	scratch_load_b128 v[103:106], off, off offset:224
	s_waitcnt vmcnt(4)
	v_fma_f64 v[10:11], v[115:116], v[109:110], v[10:11]
	scratch_load_b128 v[107:110], off, off offset:240
	s_waitcnt lgkmcnt(0)
	v_fma_f64 v[10:11], v[117:118], v[111:112], v[10:11]
	s_waitcnt vmcnt(4)
	s_delay_alu instid0(VALU_DEP_1)
	v_fma_f64 v[6:7], v[6:7], v[113:114], v[10:11]
	ds_load_2addr_b64 v[111:114], v1 offset0:65 offset1:66
	ds_load_2addr_b64 v[115:118], v1 offset0:67 offset1:68
	s_waitcnt lgkmcnt(1)
	v_fma_f64 v[10:11], v[8:9], v[111:112], v[6:7]
	scratch_load_b128 v[6:9], off, off offset:256
	s_waitcnt vmcnt(4)
	v_fma_f64 v[10:11], v[95:96], v[113:114], v[10:11]
	s_waitcnt lgkmcnt(0)
	s_delay_alu instid0(VALU_DEP_1)
	v_fma_f64 v[10:11], v[97:98], v[115:116], v[10:11]
	scratch_load_b128 v[95:98], off, off offset:272
	s_waitcnt vmcnt(4)
	v_fma_f64 v[10:11], v[99:100], v[117:118], v[10:11]
	ds_load_2addr_b64 v[111:114], v1 offset0:69 offset1:70
	ds_load_2addr_b64 v[115:118], v1 offset0:71 offset1:72
	s_waitcnt lgkmcnt(1)
	v_fma_f64 v[10:11], v[101:102], v[111:112], v[10:11]
	scratch_load_b128 v[99:102], off, off offset:288
	s_waitcnt vmcnt(4)
	v_fma_f64 v[10:11], v[103:104], v[113:114], v[10:11]
	s_waitcnt lgkmcnt(0)
	s_delay_alu instid0(VALU_DEP_1)
	v_fma_f64 v[10:11], v[105:106], v[115:116], v[10:11]
	scratch_load_b128 v[103:106], off, off offset:304
	s_waitcnt vmcnt(4)
	v_fma_f64 v[10:11], v[107:108], v[117:118], v[10:11]
	ds_load_2addr_b64 v[111:114], v1 offset0:73 offset1:74
	ds_load_2addr_b64 v[115:118], v1 offset0:75 offset1:76
	s_waitcnt lgkmcnt(1)
	v_fma_f64 v[10:11], v[109:110], v[111:112], v[10:11]
	scratch_load_b64 v[111:112], off, off offset:320
	s_waitcnt vmcnt(4)
	v_fma_f64 v[6:7], v[6:7], v[113:114], v[10:11]
	s_waitcnt lgkmcnt(0)
	s_delay_alu instid0(VALU_DEP_1) | instskip(SKIP_1) | instid1(VALU_DEP_1)
	v_fma_f64 v[6:7], v[8:9], v[115:116], v[6:7]
	s_waitcnt vmcnt(3)
	v_fma_f64 v[10:11], v[95:96], v[117:118], v[6:7]
	ds_load_2addr_b64 v[6:9], v1 offset0:77 offset1:78
	ds_load_2addr_b64 v[107:110], v1 offset0:79 offset1:80
	s_waitcnt lgkmcnt(1)
	v_fma_f64 v[6:7], v[97:98], v[6:7], v[10:11]
	s_waitcnt vmcnt(2)
	s_delay_alu instid0(VALU_DEP_1) | instskip(SKIP_1) | instid1(VALU_DEP_1)
	v_fma_f64 v[6:7], v[99:100], v[8:9], v[6:7]
	s_waitcnt lgkmcnt(0)
	v_fma_f64 v[6:7], v[101:102], v[107:108], v[6:7]
	s_waitcnt vmcnt(1)
	s_delay_alu instid0(VALU_DEP_1) | instskip(SKIP_4) | instid1(VALU_DEP_1)
	v_fma_f64 v[10:11], v[103:104], v[109:110], v[6:7]
	ds_load_2addr_b64 v[6:9], v1 offset0:81 offset1:82
	s_waitcnt lgkmcnt(0)
	v_fma_f64 v[1:2], v[105:106], v[6:7], v[10:11]
	s_waitcnt vmcnt(0)
	v_fma_f64 v[1:2], v[111:112], v[8:9], v[1:2]
	s_delay_alu instid0(VALU_DEP_1)
	v_add_f64 v[1:2], v[4:5], -v[1:2]
	scratch_store_b64 off, v[1:2], off offset:80
	v_cmpx_lt_u32_e32 9, v0
	s_cbranch_execz .LBB40_237
; %bb.236:
	scratch_load_b64 v[1:2], off, off offset:72
	v_mov_b32_e32 v4, 0
	s_delay_alu instid0(VALU_DEP_1)
	v_mov_b32_e32 v5, v4
	scratch_store_b64 off, v[4:5], off offset:72
	s_waitcnt vmcnt(0)
	ds_store_b64 v3, v[1:2]
.LBB40_237:
	s_or_b32 exec_lo, exec_lo, s0
	s_waitcnt lgkmcnt(0)
	s_waitcnt_vscnt null, 0x0
	s_barrier
	buffer_gl0_inv
	s_clause 0x4
	scratch_load_b128 v[4:7], off, off offset:72
	scratch_load_b128 v[8:11], off, off offset:88
	;; [unrolled: 1-line block ×5, first 2 shown]
	v_mov_b32_e32 v1, 0
	ds_load_b128 v[107:110], v1 offset:416
	ds_load_b128 v[111:114], v1 offset:432
	scratch_load_b128 v[115:118], off, off offset:152
	s_mov_b32 s0, exec_lo
	s_waitcnt vmcnt(5) lgkmcnt(1)
	v_fma_f64 v[6:7], v[6:7], v[107:108], 0
	s_waitcnt vmcnt(4)
	s_delay_alu instid0(VALU_DEP_1) | instskip(SKIP_1) | instid1(VALU_DEP_1)
	v_fma_f64 v[6:7], v[8:9], v[109:110], v[6:7]
	s_waitcnt lgkmcnt(0)
	v_fma_f64 v[10:11], v[10:11], v[111:112], v[6:7]
	scratch_load_b128 v[6:9], off, off offset:168
	s_waitcnt vmcnt(4)
	v_fma_f64 v[10:11], v[95:96], v[113:114], v[10:11]
	ds_load_b128 v[107:110], v1 offset:448
	ds_load_b128 v[111:114], v1 offset:464
	s_waitcnt lgkmcnt(1)
	v_fma_f64 v[10:11], v[97:98], v[107:108], v[10:11]
	scratch_load_b128 v[95:98], off, off offset:184
	s_waitcnt vmcnt(4)
	v_fma_f64 v[10:11], v[99:100], v[109:110], v[10:11]
	s_waitcnt lgkmcnt(0)
	s_delay_alu instid0(VALU_DEP_1)
	v_fma_f64 v[10:11], v[101:102], v[111:112], v[10:11]
	scratch_load_b128 v[99:102], off, off offset:200
	s_waitcnt vmcnt(4)
	v_fma_f64 v[10:11], v[103:104], v[113:114], v[10:11]
	ds_load_b128 v[107:110], v1 offset:480
	ds_load_b128 v[111:114], v1 offset:496
	s_waitcnt lgkmcnt(1)
	v_fma_f64 v[10:11], v[105:106], v[107:108], v[10:11]
	scratch_load_b128 v[103:106], off, off offset:216
	s_waitcnt vmcnt(4)
	v_fma_f64 v[10:11], v[115:116], v[109:110], v[10:11]
	scratch_load_b128 v[107:110], off, off offset:232
	s_waitcnt lgkmcnt(0)
	v_fma_f64 v[10:11], v[117:118], v[111:112], v[10:11]
	s_waitcnt vmcnt(4)
	s_delay_alu instid0(VALU_DEP_1)
	v_fma_f64 v[6:7], v[6:7], v[113:114], v[10:11]
	ds_load_b128 v[111:114], v1 offset:512
	ds_load_b128 v[115:118], v1 offset:528
	s_waitcnt lgkmcnt(1)
	v_fma_f64 v[10:11], v[8:9], v[111:112], v[6:7]
	scratch_load_b128 v[6:9], off, off offset:248
	s_waitcnt vmcnt(4)
	v_fma_f64 v[10:11], v[95:96], v[113:114], v[10:11]
	s_waitcnt lgkmcnt(0)
	s_delay_alu instid0(VALU_DEP_1)
	v_fma_f64 v[10:11], v[97:98], v[115:116], v[10:11]
	scratch_load_b128 v[95:98], off, off offset:264
	s_waitcnt vmcnt(4)
	v_fma_f64 v[10:11], v[99:100], v[117:118], v[10:11]
	ds_load_b128 v[111:114], v1 offset:544
	ds_load_b128 v[115:118], v1 offset:560
	s_waitcnt lgkmcnt(1)
	v_fma_f64 v[10:11], v[101:102], v[111:112], v[10:11]
	scratch_load_b128 v[99:102], off, off offset:280
	s_waitcnt vmcnt(4)
	v_fma_f64 v[10:11], v[103:104], v[113:114], v[10:11]
	s_waitcnt lgkmcnt(0)
	s_delay_alu instid0(VALU_DEP_1)
	v_fma_f64 v[10:11], v[105:106], v[115:116], v[10:11]
	scratch_load_b128 v[103:106], off, off offset:296
	s_waitcnt vmcnt(4)
	v_fma_f64 v[10:11], v[107:108], v[117:118], v[10:11]
	ds_load_b128 v[111:114], v1 offset:576
	ds_load_b128 v[115:118], v1 offset:592
	s_waitcnt lgkmcnt(1)
	v_fma_f64 v[10:11], v[109:110], v[111:112], v[10:11]
	scratch_load_b128 v[107:110], off, off offset:312
	s_waitcnt vmcnt(4)
	v_fma_f64 v[6:7], v[6:7], v[113:114], v[10:11]
	s_waitcnt lgkmcnt(0)
	s_delay_alu instid0(VALU_DEP_1) | instskip(SKIP_1) | instid1(VALU_DEP_1)
	v_fma_f64 v[6:7], v[8:9], v[115:116], v[6:7]
	s_waitcnt vmcnt(3)
	v_fma_f64 v[10:11], v[95:96], v[117:118], v[6:7]
	ds_load_b128 v[6:9], v1 offset:608
	ds_load_b128 v[111:114], v1 offset:624
	s_waitcnt lgkmcnt(1)
	v_fma_f64 v[6:7], v[97:98], v[6:7], v[10:11]
	s_waitcnt vmcnt(2)
	s_delay_alu instid0(VALU_DEP_1) | instskip(SKIP_1) | instid1(VALU_DEP_1)
	v_fma_f64 v[6:7], v[99:100], v[8:9], v[6:7]
	s_waitcnt lgkmcnt(0)
	v_fma_f64 v[6:7], v[101:102], v[111:112], v[6:7]
	s_waitcnt vmcnt(1)
	s_delay_alu instid0(VALU_DEP_1)
	v_fma_f64 v[10:11], v[103:104], v[113:114], v[6:7]
	ds_load_b128 v[6:9], v1 offset:640
	ds_load_b64 v[95:96], v1 offset:656
	s_waitcnt lgkmcnt(1)
	v_fma_f64 v[6:7], v[105:106], v[6:7], v[10:11]
	s_waitcnt vmcnt(0)
	s_delay_alu instid0(VALU_DEP_1) | instskip(SKIP_1) | instid1(VALU_DEP_1)
	v_fma_f64 v[6:7], v[107:108], v[8:9], v[6:7]
	s_waitcnt lgkmcnt(0)
	v_fma_f64 v[6:7], v[109:110], v[95:96], v[6:7]
	s_delay_alu instid0(VALU_DEP_1)
	v_add_f64 v[4:5], v[4:5], -v[6:7]
	scratch_store_b64 off, v[4:5], off offset:72
	v_cmpx_lt_u32_e32 8, v0
	s_cbranch_execz .LBB40_239
; %bb.238:
	scratch_load_b64 v[4:5], off, off offset:64
	v_mov_b32_e32 v2, v1
	scratch_store_b64 off, v[1:2], off offset:64
	s_waitcnt vmcnt(0)
	ds_store_b64 v3, v[4:5]
.LBB40_239:
	s_or_b32 exec_lo, exec_lo, s0
	s_waitcnt lgkmcnt(0)
	s_waitcnt_vscnt null, 0x0
	s_barrier
	buffer_gl0_inv
	s_clause 0x4
	scratch_load_b128 v[4:7], off, off offset:64
	scratch_load_b128 v[8:11], off, off offset:80
	;; [unrolled: 1-line block ×5, first 2 shown]
	ds_load_2addr_b64 v[107:110], v1 offset0:51 offset1:52
	ds_load_2addr_b64 v[111:114], v1 offset0:53 offset1:54
	scratch_load_b128 v[115:118], off, off offset:144
	s_mov_b32 s0, exec_lo
	s_waitcnt vmcnt(5) lgkmcnt(1)
	v_fma_f64 v[6:7], v[6:7], v[107:108], 0
	s_waitcnt vmcnt(4)
	s_delay_alu instid0(VALU_DEP_1) | instskip(SKIP_1) | instid1(VALU_DEP_1)
	v_fma_f64 v[6:7], v[8:9], v[109:110], v[6:7]
	s_waitcnt lgkmcnt(0)
	v_fma_f64 v[10:11], v[10:11], v[111:112], v[6:7]
	scratch_load_b128 v[6:9], off, off offset:160
	s_waitcnt vmcnt(4)
	v_fma_f64 v[10:11], v[95:96], v[113:114], v[10:11]
	ds_load_2addr_b64 v[107:110], v1 offset0:55 offset1:56
	ds_load_2addr_b64 v[111:114], v1 offset0:57 offset1:58
	s_waitcnt lgkmcnt(1)
	v_fma_f64 v[10:11], v[97:98], v[107:108], v[10:11]
	scratch_load_b128 v[95:98], off, off offset:176
	s_waitcnt vmcnt(4)
	v_fma_f64 v[10:11], v[99:100], v[109:110], v[10:11]
	s_waitcnt lgkmcnt(0)
	s_delay_alu instid0(VALU_DEP_1)
	v_fma_f64 v[10:11], v[101:102], v[111:112], v[10:11]
	scratch_load_b128 v[99:102], off, off offset:192
	s_waitcnt vmcnt(4)
	v_fma_f64 v[10:11], v[103:104], v[113:114], v[10:11]
	ds_load_2addr_b64 v[107:110], v1 offset0:59 offset1:60
	ds_load_2addr_b64 v[111:114], v1 offset0:61 offset1:62
	s_waitcnt lgkmcnt(1)
	v_fma_f64 v[10:11], v[105:106], v[107:108], v[10:11]
	scratch_load_b128 v[103:106], off, off offset:208
	s_waitcnt vmcnt(4)
	v_fma_f64 v[10:11], v[115:116], v[109:110], v[10:11]
	scratch_load_b128 v[107:110], off, off offset:224
	s_waitcnt lgkmcnt(0)
	v_fma_f64 v[10:11], v[117:118], v[111:112], v[10:11]
	s_waitcnt vmcnt(4)
	s_delay_alu instid0(VALU_DEP_1)
	v_fma_f64 v[6:7], v[6:7], v[113:114], v[10:11]
	ds_load_2addr_b64 v[111:114], v1 offset0:63 offset1:64
	ds_load_2addr_b64 v[115:118], v1 offset0:65 offset1:66
	s_waitcnt lgkmcnt(1)
	v_fma_f64 v[10:11], v[8:9], v[111:112], v[6:7]
	scratch_load_b128 v[6:9], off, off offset:240
	s_waitcnt vmcnt(4)
	v_fma_f64 v[10:11], v[95:96], v[113:114], v[10:11]
	s_waitcnt lgkmcnt(0)
	s_delay_alu instid0(VALU_DEP_1)
	v_fma_f64 v[10:11], v[97:98], v[115:116], v[10:11]
	scratch_load_b128 v[95:98], off, off offset:256
	s_waitcnt vmcnt(4)
	v_fma_f64 v[10:11], v[99:100], v[117:118], v[10:11]
	ds_load_2addr_b64 v[111:114], v1 offset0:67 offset1:68
	ds_load_2addr_b64 v[115:118], v1 offset0:69 offset1:70
	s_waitcnt lgkmcnt(1)
	v_fma_f64 v[10:11], v[101:102], v[111:112], v[10:11]
	scratch_load_b128 v[99:102], off, off offset:272
	s_waitcnt vmcnt(4)
	v_fma_f64 v[10:11], v[103:104], v[113:114], v[10:11]
	s_waitcnt lgkmcnt(0)
	s_delay_alu instid0(VALU_DEP_1)
	v_fma_f64 v[10:11], v[105:106], v[115:116], v[10:11]
	scratch_load_b128 v[103:106], off, off offset:288
	s_waitcnt vmcnt(4)
	v_fma_f64 v[10:11], v[107:108], v[117:118], v[10:11]
	ds_load_2addr_b64 v[111:114], v1 offset0:71 offset1:72
	ds_load_2addr_b64 v[115:118], v1 offset0:73 offset1:74
	s_waitcnt lgkmcnt(1)
	v_fma_f64 v[10:11], v[109:110], v[111:112], v[10:11]
	scratch_load_b128 v[107:110], off, off offset:304
	s_waitcnt vmcnt(4)
	v_fma_f64 v[6:7], v[6:7], v[113:114], v[10:11]
	scratch_load_b64 v[10:11], off, off offset:320
	s_waitcnt lgkmcnt(0)
	v_fma_f64 v[6:7], v[8:9], v[115:116], v[6:7]
	s_waitcnt vmcnt(4)
	s_delay_alu instid0(VALU_DEP_1)
	v_fma_f64 v[95:96], v[95:96], v[117:118], v[6:7]
	ds_load_2addr_b64 v[6:9], v1 offset0:75 offset1:76
	ds_load_2addr_b64 v[111:114], v1 offset0:77 offset1:78
	s_waitcnt lgkmcnt(1)
	v_fma_f64 v[6:7], v[97:98], v[6:7], v[95:96]
	s_waitcnt vmcnt(3)
	s_delay_alu instid0(VALU_DEP_1) | instskip(SKIP_1) | instid1(VALU_DEP_1)
	v_fma_f64 v[6:7], v[99:100], v[8:9], v[6:7]
	s_waitcnt lgkmcnt(0)
	v_fma_f64 v[6:7], v[101:102], v[111:112], v[6:7]
	s_waitcnt vmcnt(2)
	s_delay_alu instid0(VALU_DEP_1)
	v_fma_f64 v[99:100], v[103:104], v[113:114], v[6:7]
	ds_load_2addr_b64 v[6:9], v1 offset0:79 offset1:80
	ds_load_2addr_b64 v[95:98], v1 offset0:81 offset1:82
	s_waitcnt lgkmcnt(1)
	v_fma_f64 v[1:2], v[105:106], v[6:7], v[99:100]
	s_waitcnt vmcnt(1)
	s_delay_alu instid0(VALU_DEP_1) | instskip(SKIP_1) | instid1(VALU_DEP_1)
	v_fma_f64 v[1:2], v[107:108], v[8:9], v[1:2]
	s_waitcnt lgkmcnt(0)
	v_fma_f64 v[1:2], v[109:110], v[95:96], v[1:2]
	s_waitcnt vmcnt(0)
	s_delay_alu instid0(VALU_DEP_1) | instskip(NEXT) | instid1(VALU_DEP_1)
	v_fma_f64 v[1:2], v[10:11], v[97:98], v[1:2]
	v_add_f64 v[1:2], v[4:5], -v[1:2]
	scratch_store_b64 off, v[1:2], off offset:64
	v_cmpx_lt_u32_e32 7, v0
	s_cbranch_execz .LBB40_241
; %bb.240:
	scratch_load_b64 v[1:2], off, off offset:56
	v_mov_b32_e32 v4, 0
	s_delay_alu instid0(VALU_DEP_1)
	v_mov_b32_e32 v5, v4
	scratch_store_b64 off, v[4:5], off offset:56
	s_waitcnt vmcnt(0)
	ds_store_b64 v3, v[1:2]
.LBB40_241:
	s_or_b32 exec_lo, exec_lo, s0
	s_waitcnt lgkmcnt(0)
	s_waitcnt_vscnt null, 0x0
	s_barrier
	buffer_gl0_inv
	s_clause 0x4
	scratch_load_b128 v[4:7], off, off offset:56
	scratch_load_b128 v[8:11], off, off offset:72
	scratch_load_b128 v[95:98], off, off offset:88
	scratch_load_b128 v[99:102], off, off offset:104
	scratch_load_b128 v[103:106], off, off offset:120
	v_mov_b32_e32 v1, 0
	ds_load_b128 v[107:110], v1 offset:400
	ds_load_b128 v[111:114], v1 offset:416
	scratch_load_b128 v[115:118], off, off offset:136
	s_mov_b32 s0, exec_lo
	s_waitcnt vmcnt(5) lgkmcnt(1)
	v_fma_f64 v[6:7], v[6:7], v[107:108], 0
	s_waitcnt vmcnt(4)
	s_delay_alu instid0(VALU_DEP_1) | instskip(SKIP_1) | instid1(VALU_DEP_1)
	v_fma_f64 v[6:7], v[8:9], v[109:110], v[6:7]
	s_waitcnt lgkmcnt(0)
	v_fma_f64 v[10:11], v[10:11], v[111:112], v[6:7]
	scratch_load_b128 v[6:9], off, off offset:152
	s_waitcnt vmcnt(4)
	v_fma_f64 v[10:11], v[95:96], v[113:114], v[10:11]
	ds_load_b128 v[107:110], v1 offset:432
	ds_load_b128 v[111:114], v1 offset:448
	s_waitcnt lgkmcnt(1)
	v_fma_f64 v[10:11], v[97:98], v[107:108], v[10:11]
	scratch_load_b128 v[95:98], off, off offset:168
	s_waitcnt vmcnt(4)
	v_fma_f64 v[10:11], v[99:100], v[109:110], v[10:11]
	s_waitcnt lgkmcnt(0)
	s_delay_alu instid0(VALU_DEP_1)
	v_fma_f64 v[10:11], v[101:102], v[111:112], v[10:11]
	scratch_load_b128 v[99:102], off, off offset:184
	s_waitcnt vmcnt(4)
	v_fma_f64 v[10:11], v[103:104], v[113:114], v[10:11]
	ds_load_b128 v[107:110], v1 offset:464
	ds_load_b128 v[111:114], v1 offset:480
	s_waitcnt lgkmcnt(1)
	v_fma_f64 v[10:11], v[105:106], v[107:108], v[10:11]
	scratch_load_b128 v[103:106], off, off offset:200
	s_waitcnt vmcnt(4)
	v_fma_f64 v[10:11], v[115:116], v[109:110], v[10:11]
	scratch_load_b128 v[107:110], off, off offset:216
	s_waitcnt lgkmcnt(0)
	v_fma_f64 v[10:11], v[117:118], v[111:112], v[10:11]
	s_waitcnt vmcnt(4)
	s_delay_alu instid0(VALU_DEP_1)
	v_fma_f64 v[6:7], v[6:7], v[113:114], v[10:11]
	ds_load_b128 v[111:114], v1 offset:496
	ds_load_b128 v[115:118], v1 offset:512
	s_waitcnt lgkmcnt(1)
	v_fma_f64 v[10:11], v[8:9], v[111:112], v[6:7]
	scratch_load_b128 v[6:9], off, off offset:232
	s_waitcnt vmcnt(4)
	v_fma_f64 v[10:11], v[95:96], v[113:114], v[10:11]
	s_waitcnt lgkmcnt(0)
	s_delay_alu instid0(VALU_DEP_1)
	v_fma_f64 v[10:11], v[97:98], v[115:116], v[10:11]
	scratch_load_b128 v[95:98], off, off offset:248
	s_waitcnt vmcnt(4)
	v_fma_f64 v[10:11], v[99:100], v[117:118], v[10:11]
	ds_load_b128 v[111:114], v1 offset:528
	ds_load_b128 v[115:118], v1 offset:544
	s_waitcnt lgkmcnt(1)
	v_fma_f64 v[10:11], v[101:102], v[111:112], v[10:11]
	scratch_load_b128 v[99:102], off, off offset:264
	s_waitcnt vmcnt(4)
	v_fma_f64 v[10:11], v[103:104], v[113:114], v[10:11]
	s_waitcnt lgkmcnt(0)
	s_delay_alu instid0(VALU_DEP_1)
	v_fma_f64 v[10:11], v[105:106], v[115:116], v[10:11]
	scratch_load_b128 v[103:106], off, off offset:280
	s_waitcnt vmcnt(4)
	;; [unrolled: 13-line block ×3, first 2 shown]
	v_fma_f64 v[10:11], v[95:96], v[117:118], v[10:11]
	ds_load_b128 v[111:114], v1 offset:592
	ds_load_b128 v[115:118], v1 offset:608
	s_waitcnt lgkmcnt(1)
	v_fma_f64 v[10:11], v[97:98], v[111:112], v[10:11]
	s_waitcnt vmcnt(3)
	s_delay_alu instid0(VALU_DEP_1) | instskip(SKIP_1) | instid1(VALU_DEP_1)
	v_fma_f64 v[10:11], v[99:100], v[113:114], v[10:11]
	s_waitcnt lgkmcnt(0)
	v_fma_f64 v[10:11], v[101:102], v[115:116], v[10:11]
	ds_load_b128 v[95:98], v1 offset:624
	ds_load_b128 v[99:102], v1 offset:640
	s_waitcnt vmcnt(2)
	v_fma_f64 v[10:11], v[103:104], v[117:118], v[10:11]
	s_waitcnt lgkmcnt(1)
	s_delay_alu instid0(VALU_DEP_1) | instskip(SKIP_1) | instid1(VALU_DEP_1)
	v_fma_f64 v[10:11], v[105:106], v[95:96], v[10:11]
	s_waitcnt vmcnt(1)
	v_fma_f64 v[10:11], v[107:108], v[97:98], v[10:11]
	s_waitcnt lgkmcnt(0)
	s_delay_alu instid0(VALU_DEP_1) | instskip(SKIP_1) | instid1(VALU_DEP_1)
	v_fma_f64 v[10:11], v[109:110], v[99:100], v[10:11]
	s_waitcnt vmcnt(0)
	v_fma_f64 v[6:7], v[6:7], v[101:102], v[10:11]
	ds_load_b64 v[10:11], v1 offset:656
	s_waitcnt lgkmcnt(0)
	v_fma_f64 v[6:7], v[8:9], v[10:11], v[6:7]
	s_delay_alu instid0(VALU_DEP_1)
	v_add_f64 v[4:5], v[4:5], -v[6:7]
	scratch_store_b64 off, v[4:5], off offset:56
	v_cmpx_lt_u32_e32 6, v0
	s_cbranch_execz .LBB40_243
; %bb.242:
	scratch_load_b64 v[4:5], off, off offset:48
	v_mov_b32_e32 v2, v1
	scratch_store_b64 off, v[1:2], off offset:48
	s_waitcnt vmcnt(0)
	ds_store_b64 v3, v[4:5]
.LBB40_243:
	s_or_b32 exec_lo, exec_lo, s0
	s_waitcnt lgkmcnt(0)
	s_waitcnt_vscnt null, 0x0
	s_barrier
	buffer_gl0_inv
	s_clause 0x4
	scratch_load_b128 v[4:7], off, off offset:48
	scratch_load_b128 v[8:11], off, off offset:64
	;; [unrolled: 1-line block ×5, first 2 shown]
	ds_load_2addr_b64 v[107:110], v1 offset0:49 offset1:50
	ds_load_2addr_b64 v[111:114], v1 offset0:51 offset1:52
	scratch_load_b128 v[115:118], off, off offset:128
	s_mov_b32 s0, exec_lo
	s_waitcnt vmcnt(5) lgkmcnt(1)
	v_fma_f64 v[6:7], v[6:7], v[107:108], 0
	s_waitcnt vmcnt(4)
	s_delay_alu instid0(VALU_DEP_1) | instskip(SKIP_1) | instid1(VALU_DEP_1)
	v_fma_f64 v[6:7], v[8:9], v[109:110], v[6:7]
	s_waitcnt lgkmcnt(0)
	v_fma_f64 v[10:11], v[10:11], v[111:112], v[6:7]
	scratch_load_b128 v[6:9], off, off offset:144
	s_waitcnt vmcnt(4)
	v_fma_f64 v[10:11], v[95:96], v[113:114], v[10:11]
	ds_load_2addr_b64 v[107:110], v1 offset0:53 offset1:54
	ds_load_2addr_b64 v[111:114], v1 offset0:55 offset1:56
	s_waitcnt lgkmcnt(1)
	v_fma_f64 v[10:11], v[97:98], v[107:108], v[10:11]
	scratch_load_b128 v[95:98], off, off offset:160
	s_waitcnt vmcnt(4)
	v_fma_f64 v[10:11], v[99:100], v[109:110], v[10:11]
	s_waitcnt lgkmcnt(0)
	s_delay_alu instid0(VALU_DEP_1)
	v_fma_f64 v[10:11], v[101:102], v[111:112], v[10:11]
	scratch_load_b128 v[99:102], off, off offset:176
	s_waitcnt vmcnt(4)
	v_fma_f64 v[10:11], v[103:104], v[113:114], v[10:11]
	ds_load_2addr_b64 v[107:110], v1 offset0:57 offset1:58
	ds_load_2addr_b64 v[111:114], v1 offset0:59 offset1:60
	s_waitcnt lgkmcnt(1)
	v_fma_f64 v[10:11], v[105:106], v[107:108], v[10:11]
	scratch_load_b128 v[103:106], off, off offset:192
	s_waitcnt vmcnt(4)
	v_fma_f64 v[10:11], v[115:116], v[109:110], v[10:11]
	scratch_load_b128 v[107:110], off, off offset:208
	s_waitcnt lgkmcnt(0)
	v_fma_f64 v[10:11], v[117:118], v[111:112], v[10:11]
	s_waitcnt vmcnt(4)
	s_delay_alu instid0(VALU_DEP_1)
	v_fma_f64 v[6:7], v[6:7], v[113:114], v[10:11]
	ds_load_2addr_b64 v[111:114], v1 offset0:61 offset1:62
	ds_load_2addr_b64 v[115:118], v1 offset0:63 offset1:64
	s_waitcnt lgkmcnt(1)
	v_fma_f64 v[10:11], v[8:9], v[111:112], v[6:7]
	scratch_load_b128 v[6:9], off, off offset:224
	s_waitcnt vmcnt(4)
	v_fma_f64 v[10:11], v[95:96], v[113:114], v[10:11]
	s_waitcnt lgkmcnt(0)
	s_delay_alu instid0(VALU_DEP_1)
	v_fma_f64 v[10:11], v[97:98], v[115:116], v[10:11]
	scratch_load_b128 v[95:98], off, off offset:240
	s_waitcnt vmcnt(4)
	v_fma_f64 v[10:11], v[99:100], v[117:118], v[10:11]
	ds_load_2addr_b64 v[111:114], v1 offset0:65 offset1:66
	ds_load_2addr_b64 v[115:118], v1 offset0:67 offset1:68
	s_waitcnt lgkmcnt(1)
	v_fma_f64 v[10:11], v[101:102], v[111:112], v[10:11]
	scratch_load_b128 v[99:102], off, off offset:256
	s_waitcnt vmcnt(4)
	v_fma_f64 v[10:11], v[103:104], v[113:114], v[10:11]
	s_waitcnt lgkmcnt(0)
	s_delay_alu instid0(VALU_DEP_1)
	v_fma_f64 v[10:11], v[105:106], v[115:116], v[10:11]
	scratch_load_b128 v[103:106], off, off offset:272
	s_waitcnt vmcnt(4)
	;; [unrolled: 13-line block ×3, first 2 shown]
	v_fma_f64 v[10:11], v[95:96], v[117:118], v[10:11]
	ds_load_2addr_b64 v[111:114], v1 offset0:73 offset1:74
	ds_load_2addr_b64 v[115:118], v1 offset0:75 offset1:76
	s_waitcnt lgkmcnt(1)
	v_fma_f64 v[10:11], v[97:98], v[111:112], v[10:11]
	scratch_load_b64 v[111:112], off, off offset:320
	s_waitcnt vmcnt(4)
	v_fma_f64 v[10:11], v[99:100], v[113:114], v[10:11]
	s_waitcnt lgkmcnt(0)
	s_delay_alu instid0(VALU_DEP_1)
	v_fma_f64 v[10:11], v[101:102], v[115:116], v[10:11]
	ds_load_2addr_b64 v[95:98], v1 offset0:77 offset1:78
	ds_load_2addr_b64 v[99:102], v1 offset0:79 offset1:80
	s_waitcnt vmcnt(3)
	v_fma_f64 v[10:11], v[103:104], v[117:118], v[10:11]
	s_waitcnt lgkmcnt(1)
	s_delay_alu instid0(VALU_DEP_1) | instskip(SKIP_1) | instid1(VALU_DEP_1)
	v_fma_f64 v[10:11], v[105:106], v[95:96], v[10:11]
	s_waitcnt vmcnt(2)
	v_fma_f64 v[10:11], v[107:108], v[97:98], v[10:11]
	ds_load_2addr_b64 v[95:98], v1 offset0:81 offset1:82
	s_waitcnt lgkmcnt(1)
	v_fma_f64 v[10:11], v[109:110], v[99:100], v[10:11]
	s_waitcnt vmcnt(1)
	s_delay_alu instid0(VALU_DEP_1) | instskip(SKIP_1) | instid1(VALU_DEP_1)
	v_fma_f64 v[6:7], v[6:7], v[101:102], v[10:11]
	s_waitcnt lgkmcnt(0)
	v_fma_f64 v[1:2], v[8:9], v[95:96], v[6:7]
	s_waitcnt vmcnt(0)
	s_delay_alu instid0(VALU_DEP_1) | instskip(NEXT) | instid1(VALU_DEP_1)
	v_fma_f64 v[1:2], v[111:112], v[97:98], v[1:2]
	v_add_f64 v[1:2], v[4:5], -v[1:2]
	scratch_store_b64 off, v[1:2], off offset:48
	v_cmpx_lt_u32_e32 5, v0
	s_cbranch_execz .LBB40_245
; %bb.244:
	scratch_load_b64 v[1:2], off, off offset:40
	v_mov_b32_e32 v4, 0
	s_delay_alu instid0(VALU_DEP_1)
	v_mov_b32_e32 v5, v4
	scratch_store_b64 off, v[4:5], off offset:40
	s_waitcnt vmcnt(0)
	ds_store_b64 v3, v[1:2]
.LBB40_245:
	s_or_b32 exec_lo, exec_lo, s0
	s_waitcnt lgkmcnt(0)
	s_waitcnt_vscnt null, 0x0
	s_barrier
	buffer_gl0_inv
	s_clause 0x4
	scratch_load_b128 v[4:7], off, off offset:40
	scratch_load_b128 v[8:11], off, off offset:56
	;; [unrolled: 1-line block ×5, first 2 shown]
	v_mov_b32_e32 v1, 0
	ds_load_b128 v[107:110], v1 offset:384
	ds_load_b128 v[111:114], v1 offset:400
	scratch_load_b128 v[115:118], off, off offset:120
	s_mov_b32 s0, exec_lo
	s_waitcnt vmcnt(5) lgkmcnt(1)
	v_fma_f64 v[6:7], v[6:7], v[107:108], 0
	s_waitcnt vmcnt(4)
	s_delay_alu instid0(VALU_DEP_1) | instskip(SKIP_1) | instid1(VALU_DEP_1)
	v_fma_f64 v[6:7], v[8:9], v[109:110], v[6:7]
	s_waitcnt lgkmcnt(0)
	v_fma_f64 v[10:11], v[10:11], v[111:112], v[6:7]
	scratch_load_b128 v[6:9], off, off offset:136
	s_waitcnt vmcnt(4)
	v_fma_f64 v[10:11], v[95:96], v[113:114], v[10:11]
	ds_load_b128 v[107:110], v1 offset:416
	ds_load_b128 v[111:114], v1 offset:432
	s_waitcnt lgkmcnt(1)
	v_fma_f64 v[10:11], v[97:98], v[107:108], v[10:11]
	scratch_load_b128 v[95:98], off, off offset:152
	s_waitcnt vmcnt(4)
	v_fma_f64 v[10:11], v[99:100], v[109:110], v[10:11]
	s_waitcnt lgkmcnt(0)
	s_delay_alu instid0(VALU_DEP_1)
	v_fma_f64 v[10:11], v[101:102], v[111:112], v[10:11]
	scratch_load_b128 v[99:102], off, off offset:168
	s_waitcnt vmcnt(4)
	v_fma_f64 v[10:11], v[103:104], v[113:114], v[10:11]
	ds_load_b128 v[107:110], v1 offset:448
	ds_load_b128 v[111:114], v1 offset:464
	s_waitcnt lgkmcnt(1)
	v_fma_f64 v[10:11], v[105:106], v[107:108], v[10:11]
	scratch_load_b128 v[103:106], off, off offset:184
	s_waitcnt vmcnt(4)
	v_fma_f64 v[10:11], v[115:116], v[109:110], v[10:11]
	scratch_load_b128 v[107:110], off, off offset:200
	s_waitcnt lgkmcnt(0)
	v_fma_f64 v[10:11], v[117:118], v[111:112], v[10:11]
	s_waitcnt vmcnt(4)
	s_delay_alu instid0(VALU_DEP_1)
	v_fma_f64 v[6:7], v[6:7], v[113:114], v[10:11]
	ds_load_b128 v[111:114], v1 offset:480
	ds_load_b128 v[115:118], v1 offset:496
	s_waitcnt lgkmcnt(1)
	v_fma_f64 v[10:11], v[8:9], v[111:112], v[6:7]
	scratch_load_b128 v[6:9], off, off offset:216
	s_waitcnt vmcnt(4)
	v_fma_f64 v[10:11], v[95:96], v[113:114], v[10:11]
	s_waitcnt lgkmcnt(0)
	s_delay_alu instid0(VALU_DEP_1)
	v_fma_f64 v[10:11], v[97:98], v[115:116], v[10:11]
	scratch_load_b128 v[95:98], off, off offset:232
	s_waitcnt vmcnt(4)
	v_fma_f64 v[10:11], v[99:100], v[117:118], v[10:11]
	ds_load_b128 v[111:114], v1 offset:512
	ds_load_b128 v[115:118], v1 offset:528
	s_waitcnt lgkmcnt(1)
	v_fma_f64 v[10:11], v[101:102], v[111:112], v[10:11]
	scratch_load_b128 v[99:102], off, off offset:248
	s_waitcnt vmcnt(4)
	v_fma_f64 v[10:11], v[103:104], v[113:114], v[10:11]
	s_waitcnt lgkmcnt(0)
	s_delay_alu instid0(VALU_DEP_1)
	v_fma_f64 v[10:11], v[105:106], v[115:116], v[10:11]
	scratch_load_b128 v[103:106], off, off offset:264
	s_waitcnt vmcnt(4)
	;; [unrolled: 13-line block ×3, first 2 shown]
	v_fma_f64 v[10:11], v[95:96], v[117:118], v[10:11]
	ds_load_b128 v[111:114], v1 offset:576
	ds_load_b128 v[115:118], v1 offset:592
	s_waitcnt lgkmcnt(1)
	v_fma_f64 v[10:11], v[97:98], v[111:112], v[10:11]
	scratch_load_b128 v[95:98], off, off offset:312
	s_waitcnt vmcnt(4)
	v_fma_f64 v[10:11], v[99:100], v[113:114], v[10:11]
	s_waitcnt lgkmcnt(0)
	s_delay_alu instid0(VALU_DEP_1)
	v_fma_f64 v[10:11], v[101:102], v[115:116], v[10:11]
	ds_load_b128 v[99:102], v1 offset:608
	ds_load_b128 v[111:114], v1 offset:624
	s_waitcnt vmcnt(3)
	v_fma_f64 v[10:11], v[103:104], v[117:118], v[10:11]
	s_waitcnt lgkmcnt(1)
	s_delay_alu instid0(VALU_DEP_1) | instskip(SKIP_1) | instid1(VALU_DEP_1)
	v_fma_f64 v[10:11], v[105:106], v[99:100], v[10:11]
	s_waitcnt vmcnt(2)
	v_fma_f64 v[10:11], v[107:108], v[101:102], v[10:11]
	s_waitcnt lgkmcnt(0)
	s_delay_alu instid0(VALU_DEP_1) | instskip(SKIP_1) | instid1(VALU_DEP_1)
	v_fma_f64 v[10:11], v[109:110], v[111:112], v[10:11]
	s_waitcnt vmcnt(1)
	v_fma_f64 v[6:7], v[6:7], v[113:114], v[10:11]
	ds_load_b128 v[99:102], v1 offset:640
	ds_load_b64 v[10:11], v1 offset:656
	s_waitcnt lgkmcnt(1)
	v_fma_f64 v[6:7], v[8:9], v[99:100], v[6:7]
	s_waitcnt vmcnt(0)
	s_delay_alu instid0(VALU_DEP_1) | instskip(SKIP_1) | instid1(VALU_DEP_1)
	v_fma_f64 v[6:7], v[95:96], v[101:102], v[6:7]
	s_waitcnt lgkmcnt(0)
	v_fma_f64 v[6:7], v[97:98], v[10:11], v[6:7]
	s_delay_alu instid0(VALU_DEP_1)
	v_add_f64 v[4:5], v[4:5], -v[6:7]
	scratch_store_b64 off, v[4:5], off offset:40
	v_cmpx_lt_u32_e32 4, v0
	s_cbranch_execz .LBB40_247
; %bb.246:
	scratch_load_b64 v[4:5], off, off offset:32
	v_mov_b32_e32 v2, v1
	scratch_store_b64 off, v[1:2], off offset:32
	s_waitcnt vmcnt(0)
	ds_store_b64 v3, v[4:5]
.LBB40_247:
	s_or_b32 exec_lo, exec_lo, s0
	s_waitcnt lgkmcnt(0)
	s_waitcnt_vscnt null, 0x0
	s_barrier
	buffer_gl0_inv
	s_clause 0x4
	scratch_load_b128 v[4:7], off, off offset:32
	scratch_load_b128 v[8:11], off, off offset:48
	;; [unrolled: 1-line block ×5, first 2 shown]
	ds_load_2addr_b64 v[107:110], v1 offset0:47 offset1:48
	ds_load_2addr_b64 v[111:114], v1 offset0:49 offset1:50
	scratch_load_b128 v[115:118], off, off offset:112
	s_mov_b32 s0, exec_lo
	s_waitcnt vmcnt(5) lgkmcnt(1)
	v_fma_f64 v[6:7], v[6:7], v[107:108], 0
	s_waitcnt vmcnt(4)
	s_delay_alu instid0(VALU_DEP_1) | instskip(SKIP_1) | instid1(VALU_DEP_1)
	v_fma_f64 v[6:7], v[8:9], v[109:110], v[6:7]
	s_waitcnt lgkmcnt(0)
	v_fma_f64 v[10:11], v[10:11], v[111:112], v[6:7]
	scratch_load_b128 v[6:9], off, off offset:128
	s_waitcnt vmcnt(4)
	v_fma_f64 v[10:11], v[95:96], v[113:114], v[10:11]
	ds_load_2addr_b64 v[107:110], v1 offset0:51 offset1:52
	ds_load_2addr_b64 v[111:114], v1 offset0:53 offset1:54
	s_waitcnt lgkmcnt(1)
	v_fma_f64 v[10:11], v[97:98], v[107:108], v[10:11]
	scratch_load_b128 v[95:98], off, off offset:144
	s_waitcnt vmcnt(4)
	v_fma_f64 v[10:11], v[99:100], v[109:110], v[10:11]
	s_waitcnt lgkmcnt(0)
	s_delay_alu instid0(VALU_DEP_1)
	v_fma_f64 v[10:11], v[101:102], v[111:112], v[10:11]
	scratch_load_b128 v[99:102], off, off offset:160
	s_waitcnt vmcnt(4)
	v_fma_f64 v[10:11], v[103:104], v[113:114], v[10:11]
	ds_load_2addr_b64 v[107:110], v1 offset0:55 offset1:56
	ds_load_2addr_b64 v[111:114], v1 offset0:57 offset1:58
	s_waitcnt lgkmcnt(1)
	v_fma_f64 v[10:11], v[105:106], v[107:108], v[10:11]
	scratch_load_b128 v[103:106], off, off offset:176
	s_waitcnt vmcnt(4)
	v_fma_f64 v[10:11], v[115:116], v[109:110], v[10:11]
	scratch_load_b128 v[107:110], off, off offset:192
	s_waitcnt lgkmcnt(0)
	v_fma_f64 v[10:11], v[117:118], v[111:112], v[10:11]
	s_waitcnt vmcnt(4)
	s_delay_alu instid0(VALU_DEP_1)
	v_fma_f64 v[6:7], v[6:7], v[113:114], v[10:11]
	ds_load_2addr_b64 v[111:114], v1 offset0:59 offset1:60
	ds_load_2addr_b64 v[115:118], v1 offset0:61 offset1:62
	s_waitcnt lgkmcnt(1)
	v_fma_f64 v[10:11], v[8:9], v[111:112], v[6:7]
	scratch_load_b128 v[6:9], off, off offset:208
	s_waitcnt vmcnt(4)
	v_fma_f64 v[10:11], v[95:96], v[113:114], v[10:11]
	s_waitcnt lgkmcnt(0)
	s_delay_alu instid0(VALU_DEP_1)
	v_fma_f64 v[10:11], v[97:98], v[115:116], v[10:11]
	scratch_load_b128 v[95:98], off, off offset:224
	s_waitcnt vmcnt(4)
	v_fma_f64 v[10:11], v[99:100], v[117:118], v[10:11]
	ds_load_2addr_b64 v[111:114], v1 offset0:63 offset1:64
	ds_load_2addr_b64 v[115:118], v1 offset0:65 offset1:66
	s_waitcnt lgkmcnt(1)
	v_fma_f64 v[10:11], v[101:102], v[111:112], v[10:11]
	scratch_load_b128 v[99:102], off, off offset:240
	s_waitcnt vmcnt(4)
	v_fma_f64 v[10:11], v[103:104], v[113:114], v[10:11]
	s_waitcnt lgkmcnt(0)
	s_delay_alu instid0(VALU_DEP_1)
	v_fma_f64 v[10:11], v[105:106], v[115:116], v[10:11]
	scratch_load_b128 v[103:106], off, off offset:256
	s_waitcnt vmcnt(4)
	;; [unrolled: 13-line block ×3, first 2 shown]
	v_fma_f64 v[10:11], v[95:96], v[117:118], v[10:11]
	ds_load_2addr_b64 v[111:114], v1 offset0:71 offset1:72
	ds_load_2addr_b64 v[115:118], v1 offset0:73 offset1:74
	s_waitcnt lgkmcnt(1)
	v_fma_f64 v[10:11], v[97:98], v[111:112], v[10:11]
	scratch_load_b128 v[95:98], off, off offset:304
	s_waitcnt vmcnt(4)
	v_fma_f64 v[10:11], v[99:100], v[113:114], v[10:11]
	s_waitcnt lgkmcnt(0)
	s_delay_alu instid0(VALU_DEP_1)
	v_fma_f64 v[10:11], v[101:102], v[115:116], v[10:11]
	scratch_load_b64 v[115:116], off, off offset:320
	ds_load_2addr_b64 v[99:102], v1 offset0:75 offset1:76
	ds_load_2addr_b64 v[111:114], v1 offset0:77 offset1:78
	s_waitcnt vmcnt(4)
	v_fma_f64 v[10:11], v[103:104], v[117:118], v[10:11]
	s_waitcnt lgkmcnt(1)
	s_delay_alu instid0(VALU_DEP_1) | instskip(SKIP_1) | instid1(VALU_DEP_1)
	v_fma_f64 v[10:11], v[105:106], v[99:100], v[10:11]
	s_waitcnt vmcnt(3)
	v_fma_f64 v[10:11], v[107:108], v[101:102], v[10:11]
	ds_load_2addr_b64 v[99:102], v1 offset0:79 offset1:80
	ds_load_2addr_b64 v[103:106], v1 offset0:81 offset1:82
	s_waitcnt lgkmcnt(2)
	v_fma_f64 v[10:11], v[109:110], v[111:112], v[10:11]
	s_waitcnt vmcnt(2)
	s_delay_alu instid0(VALU_DEP_1) | instskip(SKIP_1) | instid1(VALU_DEP_1)
	v_fma_f64 v[6:7], v[6:7], v[113:114], v[10:11]
	s_waitcnt lgkmcnt(1)
	v_fma_f64 v[1:2], v[8:9], v[99:100], v[6:7]
	s_waitcnt vmcnt(1)
	s_delay_alu instid0(VALU_DEP_1) | instskip(SKIP_1) | instid1(VALU_DEP_1)
	v_fma_f64 v[1:2], v[95:96], v[101:102], v[1:2]
	s_waitcnt lgkmcnt(0)
	v_fma_f64 v[1:2], v[97:98], v[103:104], v[1:2]
	s_waitcnt vmcnt(0)
	s_delay_alu instid0(VALU_DEP_1) | instskip(NEXT) | instid1(VALU_DEP_1)
	v_fma_f64 v[1:2], v[115:116], v[105:106], v[1:2]
	v_add_f64 v[1:2], v[4:5], -v[1:2]
	scratch_store_b64 off, v[1:2], off offset:32
	v_cmpx_lt_u32_e32 3, v0
	s_cbranch_execz .LBB40_249
; %bb.248:
	scratch_load_b64 v[1:2], off, off offset:24
	v_mov_b32_e32 v4, 0
	s_delay_alu instid0(VALU_DEP_1)
	v_mov_b32_e32 v5, v4
	scratch_store_b64 off, v[4:5], off offset:24
	s_waitcnt vmcnt(0)
	ds_store_b64 v3, v[1:2]
.LBB40_249:
	s_or_b32 exec_lo, exec_lo, s0
	s_waitcnt lgkmcnt(0)
	s_waitcnt_vscnt null, 0x0
	s_barrier
	buffer_gl0_inv
	s_clause 0x4
	scratch_load_b128 v[4:7], off, off offset:24
	scratch_load_b128 v[8:11], off, off offset:40
	;; [unrolled: 1-line block ×5, first 2 shown]
	v_mov_b32_e32 v1, 0
	ds_load_b128 v[107:110], v1 offset:368
	ds_load_b128 v[111:114], v1 offset:384
	scratch_load_b128 v[115:118], off, off offset:104
	s_mov_b32 s0, exec_lo
	s_waitcnt vmcnt(5) lgkmcnt(1)
	v_fma_f64 v[6:7], v[6:7], v[107:108], 0
	s_waitcnt vmcnt(4)
	s_delay_alu instid0(VALU_DEP_1) | instskip(SKIP_1) | instid1(VALU_DEP_1)
	v_fma_f64 v[6:7], v[8:9], v[109:110], v[6:7]
	s_waitcnt lgkmcnt(0)
	v_fma_f64 v[10:11], v[10:11], v[111:112], v[6:7]
	scratch_load_b128 v[6:9], off, off offset:120
	s_waitcnt vmcnt(4)
	v_fma_f64 v[10:11], v[95:96], v[113:114], v[10:11]
	ds_load_b128 v[107:110], v1 offset:400
	ds_load_b128 v[111:114], v1 offset:416
	s_waitcnt lgkmcnt(1)
	v_fma_f64 v[10:11], v[97:98], v[107:108], v[10:11]
	scratch_load_b128 v[95:98], off, off offset:136
	s_waitcnt vmcnt(4)
	v_fma_f64 v[10:11], v[99:100], v[109:110], v[10:11]
	s_waitcnt lgkmcnt(0)
	s_delay_alu instid0(VALU_DEP_1)
	v_fma_f64 v[10:11], v[101:102], v[111:112], v[10:11]
	scratch_load_b128 v[99:102], off, off offset:152
	s_waitcnt vmcnt(4)
	v_fma_f64 v[10:11], v[103:104], v[113:114], v[10:11]
	ds_load_b128 v[107:110], v1 offset:432
	ds_load_b128 v[111:114], v1 offset:448
	s_waitcnt lgkmcnt(1)
	v_fma_f64 v[10:11], v[105:106], v[107:108], v[10:11]
	scratch_load_b128 v[103:106], off, off offset:168
	s_waitcnt vmcnt(4)
	v_fma_f64 v[10:11], v[115:116], v[109:110], v[10:11]
	scratch_load_b128 v[107:110], off, off offset:184
	s_waitcnt lgkmcnt(0)
	v_fma_f64 v[10:11], v[117:118], v[111:112], v[10:11]
	s_waitcnt vmcnt(4)
	s_delay_alu instid0(VALU_DEP_1)
	v_fma_f64 v[6:7], v[6:7], v[113:114], v[10:11]
	ds_load_b128 v[111:114], v1 offset:464
	ds_load_b128 v[115:118], v1 offset:480
	s_waitcnt lgkmcnt(1)
	v_fma_f64 v[10:11], v[8:9], v[111:112], v[6:7]
	scratch_load_b128 v[6:9], off, off offset:200
	s_waitcnt vmcnt(4)
	v_fma_f64 v[10:11], v[95:96], v[113:114], v[10:11]
	s_waitcnt lgkmcnt(0)
	s_delay_alu instid0(VALU_DEP_1)
	v_fma_f64 v[10:11], v[97:98], v[115:116], v[10:11]
	scratch_load_b128 v[95:98], off, off offset:216
	s_waitcnt vmcnt(4)
	v_fma_f64 v[10:11], v[99:100], v[117:118], v[10:11]
	ds_load_b128 v[111:114], v1 offset:496
	ds_load_b128 v[115:118], v1 offset:512
	s_waitcnt lgkmcnt(1)
	v_fma_f64 v[10:11], v[101:102], v[111:112], v[10:11]
	scratch_load_b128 v[99:102], off, off offset:232
	s_waitcnt vmcnt(4)
	v_fma_f64 v[10:11], v[103:104], v[113:114], v[10:11]
	s_waitcnt lgkmcnt(0)
	s_delay_alu instid0(VALU_DEP_1)
	v_fma_f64 v[10:11], v[105:106], v[115:116], v[10:11]
	scratch_load_b128 v[103:106], off, off offset:248
	s_waitcnt vmcnt(4)
	;; [unrolled: 13-line block ×4, first 2 shown]
	v_fma_f64 v[10:11], v[103:104], v[117:118], v[10:11]
	ds_load_b128 v[111:114], v1 offset:592
	ds_load_b128 v[115:118], v1 offset:608
	s_waitcnt lgkmcnt(1)
	v_fma_f64 v[10:11], v[105:106], v[111:112], v[10:11]
	s_waitcnt vmcnt(3)
	s_delay_alu instid0(VALU_DEP_1) | instskip(SKIP_1) | instid1(VALU_DEP_1)
	v_fma_f64 v[10:11], v[107:108], v[113:114], v[10:11]
	s_waitcnt lgkmcnt(0)
	v_fma_f64 v[10:11], v[109:110], v[115:116], v[10:11]
	ds_load_b128 v[103:106], v1 offset:624
	ds_load_b128 v[107:110], v1 offset:640
	s_waitcnt vmcnt(2)
	v_fma_f64 v[6:7], v[6:7], v[117:118], v[10:11]
	s_waitcnt lgkmcnt(1)
	s_delay_alu instid0(VALU_DEP_1) | instskip(SKIP_4) | instid1(VALU_DEP_1)
	v_fma_f64 v[6:7], v[8:9], v[103:104], v[6:7]
	ds_load_b64 v[8:9], v1 offset:656
	s_waitcnt vmcnt(1)
	v_fma_f64 v[6:7], v[95:96], v[105:106], v[6:7]
	s_waitcnt lgkmcnt(1)
	v_fma_f64 v[6:7], v[97:98], v[107:108], v[6:7]
	s_waitcnt vmcnt(0)
	s_delay_alu instid0(VALU_DEP_1) | instskip(SKIP_1) | instid1(VALU_DEP_1)
	v_fma_f64 v[6:7], v[99:100], v[109:110], v[6:7]
	s_waitcnt lgkmcnt(0)
	v_fma_f64 v[6:7], v[101:102], v[8:9], v[6:7]
	s_delay_alu instid0(VALU_DEP_1)
	v_add_f64 v[4:5], v[4:5], -v[6:7]
	scratch_store_b64 off, v[4:5], off offset:24
	v_cmpx_lt_u32_e32 2, v0
	s_cbranch_execz .LBB40_251
; %bb.250:
	scratch_load_b64 v[4:5], off, off offset:16
	v_mov_b32_e32 v2, v1
	scratch_store_b64 off, v[1:2], off offset:16
	s_waitcnt vmcnt(0)
	ds_store_b64 v3, v[4:5]
.LBB40_251:
	s_or_b32 exec_lo, exec_lo, s0
	s_waitcnt lgkmcnt(0)
	s_waitcnt_vscnt null, 0x0
	s_barrier
	buffer_gl0_inv
	s_clause 0x4
	scratch_load_b128 v[4:7], off, off offset:16
	scratch_load_b128 v[8:11], off, off offset:32
	;; [unrolled: 1-line block ×5, first 2 shown]
	ds_load_2addr_b64 v[107:110], v1 offset0:45 offset1:46
	ds_load_2addr_b64 v[111:114], v1 offset0:47 offset1:48
	scratch_load_b128 v[115:118], off, off offset:96
	s_mov_b32 s0, exec_lo
	s_waitcnt vmcnt(5) lgkmcnt(1)
	v_fma_f64 v[6:7], v[6:7], v[107:108], 0
	s_waitcnt vmcnt(4)
	s_delay_alu instid0(VALU_DEP_1) | instskip(SKIP_1) | instid1(VALU_DEP_1)
	v_fma_f64 v[6:7], v[8:9], v[109:110], v[6:7]
	s_waitcnt lgkmcnt(0)
	v_fma_f64 v[10:11], v[10:11], v[111:112], v[6:7]
	scratch_load_b128 v[6:9], off, off offset:112
	s_waitcnt vmcnt(4)
	v_fma_f64 v[10:11], v[95:96], v[113:114], v[10:11]
	ds_load_2addr_b64 v[107:110], v1 offset0:49 offset1:50
	ds_load_2addr_b64 v[111:114], v1 offset0:51 offset1:52
	s_waitcnt lgkmcnt(1)
	v_fma_f64 v[10:11], v[97:98], v[107:108], v[10:11]
	scratch_load_b128 v[95:98], off, off offset:128
	s_waitcnt vmcnt(4)
	v_fma_f64 v[10:11], v[99:100], v[109:110], v[10:11]
	s_waitcnt lgkmcnt(0)
	s_delay_alu instid0(VALU_DEP_1)
	v_fma_f64 v[10:11], v[101:102], v[111:112], v[10:11]
	scratch_load_b128 v[99:102], off, off offset:144
	s_waitcnt vmcnt(4)
	v_fma_f64 v[10:11], v[103:104], v[113:114], v[10:11]
	ds_load_2addr_b64 v[107:110], v1 offset0:53 offset1:54
	ds_load_2addr_b64 v[111:114], v1 offset0:55 offset1:56
	s_waitcnt lgkmcnt(1)
	v_fma_f64 v[10:11], v[105:106], v[107:108], v[10:11]
	scratch_load_b128 v[103:106], off, off offset:160
	s_waitcnt vmcnt(4)
	v_fma_f64 v[10:11], v[115:116], v[109:110], v[10:11]
	scratch_load_b128 v[107:110], off, off offset:176
	s_waitcnt lgkmcnt(0)
	v_fma_f64 v[10:11], v[117:118], v[111:112], v[10:11]
	s_waitcnt vmcnt(4)
	s_delay_alu instid0(VALU_DEP_1)
	v_fma_f64 v[6:7], v[6:7], v[113:114], v[10:11]
	ds_load_2addr_b64 v[111:114], v1 offset0:57 offset1:58
	ds_load_2addr_b64 v[115:118], v1 offset0:59 offset1:60
	s_waitcnt lgkmcnt(1)
	v_fma_f64 v[10:11], v[8:9], v[111:112], v[6:7]
	scratch_load_b128 v[6:9], off, off offset:192
	s_waitcnt vmcnt(4)
	v_fma_f64 v[10:11], v[95:96], v[113:114], v[10:11]
	s_waitcnt lgkmcnt(0)
	s_delay_alu instid0(VALU_DEP_1)
	v_fma_f64 v[10:11], v[97:98], v[115:116], v[10:11]
	scratch_load_b128 v[95:98], off, off offset:208
	s_waitcnt vmcnt(4)
	v_fma_f64 v[10:11], v[99:100], v[117:118], v[10:11]
	ds_load_2addr_b64 v[111:114], v1 offset0:61 offset1:62
	ds_load_2addr_b64 v[115:118], v1 offset0:63 offset1:64
	s_waitcnt lgkmcnt(1)
	v_fma_f64 v[10:11], v[101:102], v[111:112], v[10:11]
	scratch_load_b128 v[99:102], off, off offset:224
	s_waitcnt vmcnt(4)
	v_fma_f64 v[10:11], v[103:104], v[113:114], v[10:11]
	s_waitcnt lgkmcnt(0)
	s_delay_alu instid0(VALU_DEP_1)
	v_fma_f64 v[10:11], v[105:106], v[115:116], v[10:11]
	scratch_load_b128 v[103:106], off, off offset:240
	s_waitcnt vmcnt(4)
	;; [unrolled: 13-line block ×4, first 2 shown]
	v_fma_f64 v[10:11], v[103:104], v[117:118], v[10:11]
	ds_load_2addr_b64 v[111:114], v1 offset0:73 offset1:74
	ds_load_2addr_b64 v[115:118], v1 offset0:75 offset1:76
	s_waitcnt lgkmcnt(1)
	v_fma_f64 v[10:11], v[105:106], v[111:112], v[10:11]
	scratch_load_b64 v[111:112], off, off offset:320
	s_waitcnt vmcnt(4)
	v_fma_f64 v[10:11], v[107:108], v[113:114], v[10:11]
	s_waitcnt lgkmcnt(0)
	s_delay_alu instid0(VALU_DEP_1)
	v_fma_f64 v[10:11], v[109:110], v[115:116], v[10:11]
	ds_load_2addr_b64 v[103:106], v1 offset0:77 offset1:78
	ds_load_2addr_b64 v[107:110], v1 offset0:79 offset1:80
	s_waitcnt vmcnt(3)
	v_fma_f64 v[6:7], v[6:7], v[117:118], v[10:11]
	s_waitcnt lgkmcnt(1)
	s_delay_alu instid0(VALU_DEP_1) | instskip(SKIP_1) | instid1(VALU_DEP_1)
	v_fma_f64 v[6:7], v[8:9], v[103:104], v[6:7]
	s_waitcnt vmcnt(2)
	v_fma_f64 v[6:7], v[95:96], v[105:106], v[6:7]
	s_waitcnt lgkmcnt(0)
	s_delay_alu instid0(VALU_DEP_1) | instskip(SKIP_1) | instid1(VALU_DEP_1)
	v_fma_f64 v[6:7], v[97:98], v[107:108], v[6:7]
	s_waitcnt vmcnt(1)
	v_fma_f64 v[10:11], v[99:100], v[109:110], v[6:7]
	ds_load_2addr_b64 v[6:9], v1 offset0:81 offset1:82
	s_waitcnt lgkmcnt(0)
	v_fma_f64 v[1:2], v[101:102], v[6:7], v[10:11]
	s_waitcnt vmcnt(0)
	s_delay_alu instid0(VALU_DEP_1) | instskip(NEXT) | instid1(VALU_DEP_1)
	v_fma_f64 v[1:2], v[111:112], v[8:9], v[1:2]
	v_add_f64 v[1:2], v[4:5], -v[1:2]
	scratch_store_b64 off, v[1:2], off offset:16
	v_cmpx_lt_u32_e32 1, v0
	s_cbranch_execz .LBB40_253
; %bb.252:
	scratch_load_b64 v[1:2], off, off offset:8
	v_mov_b32_e32 v4, 0
	s_delay_alu instid0(VALU_DEP_1)
	v_mov_b32_e32 v5, v4
	scratch_store_b64 off, v[4:5], off offset:8
	s_waitcnt vmcnt(0)
	ds_store_b64 v3, v[1:2]
.LBB40_253:
	s_or_b32 exec_lo, exec_lo, s0
	s_waitcnt lgkmcnt(0)
	s_waitcnt_vscnt null, 0x0
	s_barrier
	buffer_gl0_inv
	s_clause 0x4
	scratch_load_b128 v[5:8], off, off offset:8
	scratch_load_b128 v[9:12], off, off offset:24
	;; [unrolled: 1-line block ×5, first 2 shown]
	v_mov_b32_e32 v4, 0
	ds_load_b128 v[107:110], v4 offset:352
	ds_load_b128 v[111:114], v4 offset:368
	scratch_load_b128 v[115:118], off, off offset:88
	s_mov_b32 s0, exec_lo
	s_waitcnt vmcnt(5) lgkmcnt(1)
	v_fma_f64 v[1:2], v[7:8], v[107:108], 0
	s_waitcnt vmcnt(4)
	s_delay_alu instid0(VALU_DEP_1) | instskip(SKIP_4) | instid1(VALU_DEP_1)
	v_fma_f64 v[1:2], v[9:10], v[109:110], v[1:2]
	scratch_load_b128 v[7:10], off, off offset:104
	s_waitcnt lgkmcnt(0)
	v_fma_f64 v[1:2], v[11:12], v[111:112], v[1:2]
	s_waitcnt vmcnt(4)
	v_fma_f64 v[1:2], v[95:96], v[113:114], v[1:2]
	ds_load_b128 v[107:110], v4 offset:384
	ds_load_b128 v[111:114], v4 offset:400
	s_waitcnt lgkmcnt(1)
	v_fma_f64 v[1:2], v[97:98], v[107:108], v[1:2]
	scratch_load_b128 v[95:98], off, off offset:120
	s_waitcnt vmcnt(4)
	v_fma_f64 v[1:2], v[99:100], v[109:110], v[1:2]
	s_waitcnt lgkmcnt(0)
	s_delay_alu instid0(VALU_DEP_1)
	v_fma_f64 v[1:2], v[101:102], v[111:112], v[1:2]
	scratch_load_b128 v[99:102], off, off offset:136
	s_waitcnt vmcnt(4)
	v_fma_f64 v[1:2], v[103:104], v[113:114], v[1:2]
	ds_load_b128 v[107:110], v4 offset:416
	ds_load_b128 v[111:114], v4 offset:432
	s_waitcnt lgkmcnt(1)
	v_fma_f64 v[1:2], v[105:106], v[107:108], v[1:2]
	scratch_load_b128 v[103:106], off, off offset:152
	s_waitcnt vmcnt(4)
	v_fma_f64 v[1:2], v[115:116], v[109:110], v[1:2]
	scratch_load_b128 v[107:110], off, off offset:168
	s_waitcnt lgkmcnt(0)
	v_fma_f64 v[1:2], v[117:118], v[111:112], v[1:2]
	s_waitcnt vmcnt(4)
	s_delay_alu instid0(VALU_DEP_1)
	v_fma_f64 v[1:2], v[7:8], v[113:114], v[1:2]
	ds_load_b128 v[111:114], v4 offset:448
	ds_load_b128 v[115:118], v4 offset:464
	s_waitcnt lgkmcnt(1)
	v_fma_f64 v[1:2], v[9:10], v[111:112], v[1:2]
	scratch_load_b128 v[7:10], off, off offset:184
	s_waitcnt vmcnt(4)
	v_fma_f64 v[1:2], v[95:96], v[113:114], v[1:2]
	s_waitcnt lgkmcnt(0)
	s_delay_alu instid0(VALU_DEP_1)
	v_fma_f64 v[1:2], v[97:98], v[115:116], v[1:2]
	scratch_load_b128 v[95:98], off, off offset:200
	s_waitcnt vmcnt(4)
	v_fma_f64 v[1:2], v[99:100], v[117:118], v[1:2]
	ds_load_b128 v[111:114], v4 offset:480
	ds_load_b128 v[115:118], v4 offset:496
	s_waitcnt lgkmcnt(1)
	v_fma_f64 v[1:2], v[101:102], v[111:112], v[1:2]
	scratch_load_b128 v[99:102], off, off offset:216
	s_waitcnt vmcnt(4)
	v_fma_f64 v[1:2], v[103:104], v[113:114], v[1:2]
	s_waitcnt lgkmcnt(0)
	s_delay_alu instid0(VALU_DEP_1)
	v_fma_f64 v[1:2], v[105:106], v[115:116], v[1:2]
	scratch_load_b128 v[103:106], off, off offset:232
	s_waitcnt vmcnt(4)
	;; [unrolled: 13-line block ×4, first 2 shown]
	v_fma_f64 v[1:2], v[103:104], v[117:118], v[1:2]
	ds_load_b128 v[111:114], v4 offset:576
	ds_load_b128 v[115:118], v4 offset:592
	s_waitcnt lgkmcnt(1)
	v_fma_f64 v[1:2], v[105:106], v[111:112], v[1:2]
	scratch_load_b128 v[103:106], off, off offset:312
	s_waitcnt vmcnt(4)
	v_fma_f64 v[1:2], v[107:108], v[113:114], v[1:2]
	s_waitcnt lgkmcnt(0)
	s_delay_alu instid0(VALU_DEP_1)
	v_fma_f64 v[1:2], v[109:110], v[115:116], v[1:2]
	ds_load_b128 v[107:110], v4 offset:608
	ds_load_b128 v[111:114], v4 offset:624
	s_waitcnt vmcnt(3)
	v_fma_f64 v[1:2], v[7:8], v[117:118], v[1:2]
	s_waitcnt lgkmcnt(1)
	s_delay_alu instid0(VALU_DEP_1)
	v_fma_f64 v[1:2], v[9:10], v[107:108], v[1:2]
	ds_load_b128 v[7:10], v4 offset:640
	ds_load_b64 v[11:12], v4 offset:656
	s_waitcnt vmcnt(2)
	v_fma_f64 v[1:2], v[95:96], v[109:110], v[1:2]
	s_waitcnt lgkmcnt(2)
	s_delay_alu instid0(VALU_DEP_1) | instskip(SKIP_1) | instid1(VALU_DEP_1)
	v_fma_f64 v[1:2], v[97:98], v[111:112], v[1:2]
	s_waitcnt vmcnt(1)
	v_fma_f64 v[1:2], v[99:100], v[113:114], v[1:2]
	s_waitcnt lgkmcnt(1)
	s_delay_alu instid0(VALU_DEP_1) | instskip(SKIP_1) | instid1(VALU_DEP_1)
	v_fma_f64 v[1:2], v[101:102], v[7:8], v[1:2]
	s_waitcnt vmcnt(0)
	v_fma_f64 v[1:2], v[103:104], v[9:10], v[1:2]
	s_waitcnt lgkmcnt(0)
	s_delay_alu instid0(VALU_DEP_1) | instskip(NEXT) | instid1(VALU_DEP_1)
	v_fma_f64 v[1:2], v[105:106], v[11:12], v[1:2]
	v_add_f64 v[1:2], v[5:6], -v[1:2]
	scratch_store_b64 off, v[1:2], off offset:8
	v_cmpx_ne_u32_e32 0, v0
	s_cbranch_execz .LBB40_255
; %bb.254:
	scratch_load_b64 v[0:1], off, off
	v_mov_b32_e32 v5, v4
	scratch_store_b64 off, v[4:5], off
	s_waitcnt vmcnt(0)
	ds_store_b64 v3, v[0:1]
.LBB40_255:
	s_or_b32 exec_lo, exec_lo, s0
	s_waitcnt lgkmcnt(0)
	s_waitcnt_vscnt null, 0x0
	s_barrier
	buffer_gl0_inv
	s_clause 0x4
	scratch_load_b128 v[5:8], off, off
	scratch_load_b128 v[0:3], off, off offset:16
	scratch_load_b128 v[9:12], off, off offset:32
	;; [unrolled: 1-line block ×4, first 2 shown]
	ds_load_2addr_b64 v[103:106], v4 offset0:43 offset1:44
	ds_load_2addr_b64 v[107:110], v4 offset0:45 offset1:46
	scratch_load_b128 v[111:114], off, off offset:80
	s_and_b32 vcc_lo, exec_lo, s16
	s_waitcnt vmcnt(5) lgkmcnt(1)
	v_fma_f64 v[7:8], v[7:8], v[103:104], 0
	s_waitcnt vmcnt(4)
	s_delay_alu instid0(VALU_DEP_1) | instskip(SKIP_1) | instid1(VALU_DEP_1)
	v_fma_f64 v[0:1], v[0:1], v[105:106], v[7:8]
	s_waitcnt lgkmcnt(0)
	v_fma_f64 v[7:8], v[2:3], v[107:108], v[0:1]
	scratch_load_b128 v[0:3], off, off offset:96
	s_waitcnt vmcnt(4)
	v_fma_f64 v[107:108], v[9:10], v[109:110], v[7:8]
	ds_load_2addr_b64 v[7:10], v4 offset0:47 offset1:48
	ds_load_2addr_b64 v[103:106], v4 offset0:49 offset1:50
	s_waitcnt lgkmcnt(1)
	v_fma_f64 v[7:8], v[11:12], v[7:8], v[107:108]
	scratch_load_b128 v[107:110], off, off offset:112
	s_waitcnt vmcnt(4)
	v_fma_f64 v[7:8], v[95:96], v[9:10], v[7:8]
	s_waitcnt lgkmcnt(0)
	s_delay_alu instid0(VALU_DEP_1)
	v_fma_f64 v[11:12], v[97:98], v[103:104], v[7:8]
	scratch_load_b128 v[7:10], off, off offset:128
	s_waitcnt vmcnt(4)
	v_fma_f64 v[11:12], v[99:100], v[105:106], v[11:12]
	ds_load_2addr_b64 v[95:98], v4 offset0:51 offset1:52
	ds_load_2addr_b64 v[103:106], v4 offset0:53 offset1:54
	s_waitcnt lgkmcnt(1)
	v_fma_f64 v[11:12], v[101:102], v[95:96], v[11:12]
	scratch_load_b128 v[99:102], off, off offset:144
	s_waitcnt vmcnt(4)
	v_fma_f64 v[11:12], v[111:112], v[97:98], v[11:12]
	scratch_load_b128 v[95:98], off, off offset:160
	s_waitcnt lgkmcnt(0)
	v_fma_f64 v[11:12], v[113:114], v[103:104], v[11:12]
	s_waitcnt vmcnt(4)
	s_delay_alu instid0(VALU_DEP_1)
	v_fma_f64 v[0:1], v[0:1], v[105:106], v[11:12]
	ds_load_2addr_b64 v[103:106], v4 offset0:55 offset1:56
	ds_load_2addr_b64 v[111:114], v4 offset0:57 offset1:58
	s_waitcnt lgkmcnt(1)
	v_fma_f64 v[11:12], v[2:3], v[103:104], v[0:1]
	scratch_load_b128 v[0:3], off, off offset:176
	s_waitcnt vmcnt(4)
	v_fma_f64 v[11:12], v[107:108], v[105:106], v[11:12]
	scratch_load_b128 v[103:106], off, off offset:192
	s_waitcnt lgkmcnt(0)
	v_fma_f64 v[11:12], v[109:110], v[111:112], v[11:12]
	s_waitcnt vmcnt(4)
	s_delay_alu instid0(VALU_DEP_1)
	v_fma_f64 v[7:8], v[7:8], v[113:114], v[11:12]
	ds_load_2addr_b64 v[107:110], v4 offset0:59 offset1:60
	ds_load_2addr_b64 v[111:114], v4 offset0:61 offset1:62
	s_waitcnt lgkmcnt(1)
	v_fma_f64 v[11:12], v[9:10], v[107:108], v[7:8]
	scratch_load_b128 v[7:10], off, off offset:208
	s_waitcnt vmcnt(4)
	v_fma_f64 v[11:12], v[99:100], v[109:110], v[11:12]
	s_waitcnt lgkmcnt(0)
	s_delay_alu instid0(VALU_DEP_1)
	v_fma_f64 v[11:12], v[101:102], v[111:112], v[11:12]
	scratch_load_b128 v[99:102], off, off offset:224
	s_waitcnt vmcnt(4)
	v_fma_f64 v[11:12], v[95:96], v[113:114], v[11:12]
	ds_load_2addr_b64 v[107:110], v4 offset0:63 offset1:64
	ds_load_2addr_b64 v[111:114], v4 offset0:65 offset1:66
	s_waitcnt lgkmcnt(1)
	v_fma_f64 v[11:12], v[97:98], v[107:108], v[11:12]
	scratch_load_b128 v[95:98], off, off offset:240
	s_waitcnt vmcnt(4)
	v_fma_f64 v[0:1], v[0:1], v[109:110], v[11:12]
	scratch_load_b128 v[107:110], off, off offset:256
	s_waitcnt lgkmcnt(0)
	v_fma_f64 v[0:1], v[2:3], v[111:112], v[0:1]
	s_waitcnt vmcnt(4)
	s_delay_alu instid0(VALU_DEP_1)
	v_fma_f64 v[11:12], v[103:104], v[113:114], v[0:1]
	ds_load_2addr_b64 v[0:3], v4 offset0:67 offset1:68
	ds_load_2addr_b64 v[111:114], v4 offset0:69 offset1:70
	s_waitcnt lgkmcnt(1)
	v_fma_f64 v[0:1], v[105:106], v[0:1], v[11:12]
	scratch_load_b128 v[103:106], off, off offset:272
	s_waitcnt vmcnt(4)
	v_fma_f64 v[0:1], v[7:8], v[2:3], v[0:1]
	s_waitcnt lgkmcnt(0)
	s_delay_alu instid0(VALU_DEP_1)
	v_fma_f64 v[0:1], v[9:10], v[111:112], v[0:1]
	scratch_load_b128 v[7:10], off, off offset:288
	s_waitcnt vmcnt(4)
	v_fma_f64 v[0:1], v[99:100], v[113:114], v[0:1]
	ds_load_2addr_b64 v[111:114], v4 offset0:71 offset1:72
	ds_load_2addr_b64 v[115:118], v4 offset0:73 offset1:74
	s_waitcnt lgkmcnt(1)
	v_fma_f64 v[11:12], v[101:102], v[111:112], v[0:1]
	s_clause 0x1
	scratch_load_b128 v[0:3], off, off offset:304
	scratch_load_b64 v[111:112], off, off offset:320
	s_waitcnt vmcnt(5)
	v_fma_f64 v[11:12], v[95:96], v[113:114], v[11:12]
	s_waitcnt lgkmcnt(0)
	s_delay_alu instid0(VALU_DEP_1)
	v_fma_f64 v[11:12], v[97:98], v[115:116], v[11:12]
	ds_load_2addr_b64 v[95:98], v4 offset0:75 offset1:76
	ds_load_2addr_b64 v[99:102], v4 offset0:77 offset1:78
	s_waitcnt vmcnt(4)
	v_fma_f64 v[11:12], v[107:108], v[117:118], v[11:12]
	s_waitcnt lgkmcnt(1)
	s_delay_alu instid0(VALU_DEP_1) | instskip(SKIP_1) | instid1(VALU_DEP_1)
	v_fma_f64 v[11:12], v[109:110], v[95:96], v[11:12]
	s_waitcnt vmcnt(3)
	v_fma_f64 v[11:12], v[103:104], v[97:98], v[11:12]
	s_waitcnt lgkmcnt(0)
	s_delay_alu instid0(VALU_DEP_1) | instskip(SKIP_1) | instid1(VALU_DEP_1)
	v_fma_f64 v[11:12], v[105:106], v[99:100], v[11:12]
	s_waitcnt vmcnt(2)
	v_fma_f64 v[7:8], v[7:8], v[101:102], v[11:12]
	ds_load_2addr_b64 v[95:98], v4 offset0:79 offset1:80
	ds_load_2addr_b64 v[99:102], v4 offset0:81 offset1:82
	s_waitcnt lgkmcnt(1)
	v_fma_f64 v[7:8], v[9:10], v[95:96], v[7:8]
	s_waitcnt vmcnt(1)
	s_delay_alu instid0(VALU_DEP_1) | instskip(SKIP_1) | instid1(VALU_DEP_1)
	v_fma_f64 v[0:1], v[0:1], v[97:98], v[7:8]
	s_waitcnt lgkmcnt(0)
	v_fma_f64 v[0:1], v[2:3], v[99:100], v[0:1]
	s_waitcnt vmcnt(0)
	s_delay_alu instid0(VALU_DEP_1) | instskip(NEXT) | instid1(VALU_DEP_1)
	v_fma_f64 v[0:1], v[111:112], v[101:102], v[0:1]
	v_add_f64 v[0:1], v[5:6], -v[0:1]
	scratch_store_b64 off, v[0:1], off
	s_cbranch_vccz .LBB40_337
; %bb.256:
	v_dual_mov_b32 v0, s12 :: v_dual_mov_b32 v1, s13
	s_mov_b32 s0, exec_lo
	flat_load_b32 v0, v[0:1] offset:156
	s_waitcnt vmcnt(0) lgkmcnt(0)
	v_cmpx_ne_u32_e32 40, v0
	s_cbranch_execz .LBB40_258
; %bb.257:
	v_lshl_add_u32 v4, v0, 3, 0
	scratch_load_b64 v[0:1], v4, off offset:-8
	s_waitcnt vmcnt(0)
	scratch_store_b64 off, v[0:1], off offset:312
	scratch_store_b64 v4, v[2:3], off offset:-8
.LBB40_258:
	s_or_b32 exec_lo, exec_lo, s0
	v_dual_mov_b32 v0, s12 :: v_dual_mov_b32 v1, s13
	s_mov_b32 s0, exec_lo
	flat_load_b32 v0, v[0:1] offset:152
	s_waitcnt vmcnt(0) lgkmcnt(0)
	v_cmpx_ne_u32_e32 39, v0
	s_cbranch_execz .LBB40_260
; %bb.259:
	v_lshl_add_u32 v4, v0, 3, 0
	scratch_load_b64 v[0:1], v4, off offset:-8
	scratch_load_b64 v[2:3], off, off offset:304
	s_waitcnt vmcnt(1)
	scratch_store_b64 off, v[0:1], off offset:304
	s_waitcnt vmcnt(0)
	scratch_store_b64 v4, v[2:3], off offset:-8
.LBB40_260:
	s_or_b32 exec_lo, exec_lo, s0
	v_dual_mov_b32 v0, s12 :: v_dual_mov_b32 v1, s13
	s_mov_b32 s0, exec_lo
	flat_load_b32 v0, v[0:1] offset:148
	s_waitcnt vmcnt(0) lgkmcnt(0)
	v_cmpx_ne_u32_e32 38, v0
	s_cbranch_execz .LBB40_262
; %bb.261:
	v_lshl_add_u32 v4, v0, 3, 0
	scratch_load_b64 v[0:1], v4, off offset:-8
	scratch_load_b64 v[2:3], off, off offset:296
	s_waitcnt vmcnt(1)
	scratch_store_b64 off, v[0:1], off offset:296
	s_waitcnt vmcnt(0)
	scratch_store_b64 v4, v[2:3], off offset:-8
.LBB40_262:
	;; [unrolled: 16-line block ×38, first 2 shown]
	s_or_b32 exec_lo, exec_lo, s0
	v_dual_mov_b32 v0, s12 :: v_dual_mov_b32 v1, s13
	s_mov_b32 s0, exec_lo
	flat_load_b32 v2, v[0:1]
	scratch_load_b64 v[0:1], off, off
	s_waitcnt vmcnt(1) lgkmcnt(0)
	v_cmpx_ne_u32_e32 1, v2
	s_cbranch_execz .LBB40_336
; %bb.335:
	v_lshl_add_u32 v4, v2, 3, 0
	scratch_load_b64 v[2:3], v4, off offset:-8
	s_waitcnt vmcnt(0)
	scratch_store_b64 off, v[2:3], off
	scratch_store_b64 v4, v[0:1], off offset:-8
	scratch_load_b64 v[0:1], off, off
.LBB40_336:
	s_or_b32 exec_lo, exec_lo, s0
.LBB40_337:
	s_clause 0x6
	scratch_load_b128 v[2:5], off, off offset:8
	scratch_load_b128 v[6:9], off, off offset:24
	;; [unrolled: 1-line block ×7, first 2 shown]
	s_waitcnt vmcnt(7)
	global_store_b64 v[13:14], v[0:1], off
	s_clause 0x2
	scratch_load_b128 v[10:13], off, off offset:120
	scratch_load_b128 v[115:118], off, off offset:200
	;; [unrolled: 1-line block ×3, first 2 shown]
	s_waitcnt vmcnt(9)
	global_store_b64 v[15:16], v[2:3], off
	scratch_load_b128 v[0:3], off, off offset:136
	global_store_b64 v[17:18], v[4:5], off
	scratch_load_b128 v[14:17], off, off offset:152
	s_waitcnt vmcnt(10)
	global_store_b64 v[19:20], v[6:7], off
	scratch_load_b128 v[4:7], off, off offset:168
	global_store_b64 v[21:22], v[8:9], off
	scratch_load_b128 v[18:21], off, off offset:184
	s_waitcnt vmcnt(11)
	s_clause 0x1
	global_store_b64 v[23:24], v[95:96], off
	global_store_b64 v[25:26], v[97:98], off
	s_clause 0x1
	scratch_load_b128 v[22:25], off, off offset:216
	scratch_load_b128 v[95:98], off, off offset:232
	s_waitcnt vmcnt(12)
	s_clause 0x1
	global_store_b64 v[27:28], v[99:100], off
	global_store_b64 v[29:30], v[101:102], off
	s_clause 0x1
	scratch_load_b128 v[26:29], off, off offset:248
	scratch_load_b128 v[99:102], off, off offset:264
	s_waitcnt vmcnt(13)
	s_clause 0x1
	global_store_b64 v[31:32], v[103:104], off
	global_store_b64 v[45:46], v[105:106], off
	scratch_load_b128 v[103:106], off, off offset:280
	s_waitcnt vmcnt(13)
	s_clause 0x1
	global_store_b64 v[41:42], v[107:108], off
	global_store_b64 v[35:36], v[109:110], off
	;; [unrolled: 5-line block ×3, first 2 shown]
	s_waitcnt vmcnt(12)
	s_clause 0x1
	global_store_b64 v[39:40], v[10:11], off
	global_store_b64 v[43:44], v[12:13], off
	s_waitcnt vmcnt(9)
	s_clause 0x1
	global_store_b64 v[47:48], v[0:1], off
	global_store_b64 v[49:50], v[2:3], off
	;; [unrolled: 4-line block ×5, first 2 shown]
	global_store_b64 v[63:64], v[115:116], off
	global_store_b64 v[65:66], v[117:118], off
	s_waitcnt vmcnt(5)
	s_clause 0x1
	global_store_b64 v[67:68], v[22:23], off
	global_store_b64 v[69:70], v[24:25], off
	s_waitcnt vmcnt(4)
	s_clause 0x1
	;; [unrolled: 4-line block ×5, first 2 shown]
	global_store_b64 v[83:84], v[103:104], off
	global_store_b64 v[85:86], v[105:106], off
	;; [unrolled: 1-line block ×4, first 2 shown]
	s_waitcnt vmcnt(0)
	s_clause 0x1
	global_store_b64 v[87:88], v[107:108], off
	global_store_b64 v[91:92], v[109:110], off
	s_endpgm
	.section	.rodata,"a",@progbits
	.p2align	6, 0x0
	.amdhsa_kernel _ZN9rocsolver6v33100L18getri_kernel_smallILi41EdPdEEvT1_iilPiilS4_bb
		.amdhsa_group_segment_fixed_size 664
		.amdhsa_private_segment_fixed_size 336
		.amdhsa_kernarg_size 60
		.amdhsa_user_sgpr_count 15
		.amdhsa_user_sgpr_dispatch_ptr 0
		.amdhsa_user_sgpr_queue_ptr 0
		.amdhsa_user_sgpr_kernarg_segment_ptr 1
		.amdhsa_user_sgpr_dispatch_id 0
		.amdhsa_user_sgpr_private_segment_size 0
		.amdhsa_wavefront_size32 1
		.amdhsa_uses_dynamic_stack 0
		.amdhsa_enable_private_segment 1
		.amdhsa_system_sgpr_workgroup_id_x 1
		.amdhsa_system_sgpr_workgroup_id_y 0
		.amdhsa_system_sgpr_workgroup_id_z 0
		.amdhsa_system_sgpr_workgroup_info 0
		.amdhsa_system_vgpr_workitem_id 0
		.amdhsa_next_free_vgpr 123
		.amdhsa_next_free_sgpr 18
		.amdhsa_reserve_vcc 1
		.amdhsa_float_round_mode_32 0
		.amdhsa_float_round_mode_16_64 0
		.amdhsa_float_denorm_mode_32 3
		.amdhsa_float_denorm_mode_16_64 3
		.amdhsa_dx10_clamp 1
		.amdhsa_ieee_mode 1
		.amdhsa_fp16_overflow 0
		.amdhsa_workgroup_processor_mode 1
		.amdhsa_memory_ordered 1
		.amdhsa_forward_progress 0
		.amdhsa_shared_vgpr_count 0
		.amdhsa_exception_fp_ieee_invalid_op 0
		.amdhsa_exception_fp_denorm_src 0
		.amdhsa_exception_fp_ieee_div_zero 0
		.amdhsa_exception_fp_ieee_overflow 0
		.amdhsa_exception_fp_ieee_underflow 0
		.amdhsa_exception_fp_ieee_inexact 0
		.amdhsa_exception_int_div_zero 0
	.end_amdhsa_kernel
	.section	.text._ZN9rocsolver6v33100L18getri_kernel_smallILi41EdPdEEvT1_iilPiilS4_bb,"axG",@progbits,_ZN9rocsolver6v33100L18getri_kernel_smallILi41EdPdEEvT1_iilPiilS4_bb,comdat
.Lfunc_end40:
	.size	_ZN9rocsolver6v33100L18getri_kernel_smallILi41EdPdEEvT1_iilPiilS4_bb, .Lfunc_end40-_ZN9rocsolver6v33100L18getri_kernel_smallILi41EdPdEEvT1_iilPiilS4_bb
                                        ; -- End function
	.section	.AMDGPU.csdata,"",@progbits
; Kernel info:
; codeLenInByte = 35752
; NumSgprs: 20
; NumVgprs: 123
; ScratchSize: 336
; MemoryBound: 0
; FloatMode: 240
; IeeeMode: 1
; LDSByteSize: 664 bytes/workgroup (compile time only)
; SGPRBlocks: 2
; VGPRBlocks: 15
; NumSGPRsForWavesPerEU: 20
; NumVGPRsForWavesPerEU: 123
; Occupancy: 10
; WaveLimiterHint : 1
; COMPUTE_PGM_RSRC2:SCRATCH_EN: 1
; COMPUTE_PGM_RSRC2:USER_SGPR: 15
; COMPUTE_PGM_RSRC2:TRAP_HANDLER: 0
; COMPUTE_PGM_RSRC2:TGID_X_EN: 1
; COMPUTE_PGM_RSRC2:TGID_Y_EN: 0
; COMPUTE_PGM_RSRC2:TGID_Z_EN: 0
; COMPUTE_PGM_RSRC2:TIDIG_COMP_CNT: 0
	.section	.text._ZN9rocsolver6v33100L18getri_kernel_smallILi42EdPdEEvT1_iilPiilS4_bb,"axG",@progbits,_ZN9rocsolver6v33100L18getri_kernel_smallILi42EdPdEEvT1_iilPiilS4_bb,comdat
	.globl	_ZN9rocsolver6v33100L18getri_kernel_smallILi42EdPdEEvT1_iilPiilS4_bb ; -- Begin function _ZN9rocsolver6v33100L18getri_kernel_smallILi42EdPdEEvT1_iilPiilS4_bb
	.p2align	8
	.type	_ZN9rocsolver6v33100L18getri_kernel_smallILi42EdPdEEvT1_iilPiilS4_bb,@function
_ZN9rocsolver6v33100L18getri_kernel_smallILi42EdPdEEvT1_iilPiilS4_bb: ; @_ZN9rocsolver6v33100L18getri_kernel_smallILi42EdPdEEvT1_iilPiilS4_bb
; %bb.0:
	s_mov_b32 s2, exec_lo
	v_cmpx_gt_u32_e32 42, v0
	s_cbranch_execz .LBB41_178
; %bb.1:
	s_clause 0x2
	s_load_b32 s17, s[0:1], 0x38
	s_load_b128 s[8:11], s[0:1], 0x10
	s_load_b128 s[4:7], s[0:1], 0x28
	s_mov_b32 s14, s15
                                        ; implicit-def: $sgpr12_sgpr13
	s_waitcnt lgkmcnt(0)
	s_bitcmp1_b32 s17, 8
	s_cselect_b32 s16, -1, 0
	s_bfe_u32 s2, s17, 0x10008
	s_ashr_i32 s15, s15, 31
	s_cmp_eq_u32 s2, 0
	s_cbranch_scc1 .LBB41_3
; %bb.2:
	s_load_b32 s2, s[0:1], 0x20
	s_mul_i32 s3, s14, s5
	s_mul_hi_u32 s5, s14, s4
	s_mul_i32 s12, s15, s4
	s_add_i32 s3, s5, s3
	s_mul_i32 s4, s14, s4
	s_add_i32 s5, s3, s12
	s_delay_alu instid0(SALU_CYCLE_1)
	s_lshl_b64 s[4:5], s[4:5], 2
	s_waitcnt lgkmcnt(0)
	s_ashr_i32 s3, s2, 31
	s_add_u32 s4, s10, s4
	s_addc_u32 s5, s11, s5
	s_lshl_b64 s[2:3], s[2:3], 2
	s_delay_alu instid0(SALU_CYCLE_1)
	s_add_u32 s12, s4, s2
	s_addc_u32 s13, s5, s3
.LBB41_3:
	s_load_b128 s[0:3], s[0:1], 0x0
	s_mul_i32 s4, s14, s9
	s_mul_hi_u32 s5, s14, s8
	s_mul_i32 s9, s15, s8
	s_add_i32 s5, s5, s4
	s_mul_i32 s4, s14, s8
	s_add_i32 s5, s5, s9
	v_lshlrev_b32_e32 v3, 3, v0
	s_lshl_b64 s[4:5], s[4:5], 3
	s_waitcnt lgkmcnt(0)
	s_ashr_i32 s9, s2, 31
	s_mov_b32 s8, s2
	s_add_u32 s2, s0, s4
	s_addc_u32 s5, s1, s5
	s_lshl_b64 s[0:1], s[8:9], 3
	v_add3_u32 v1, s3, s3, v0
	s_add_u32 s0, s2, s0
	s_addc_u32 s1, s5, s1
	v_add_co_u32 v4, s2, s0, v3
	s_mov_b32 s4, s3
	s_ashr_i32 s5, s3, 31
	v_add_nc_u32_e32 v12, s3, v1
	v_add_co_ci_u32_e64 v5, null, s1, 0, s2
	s_lshl_b64 s[4:5], s[4:5], 3
	v_ashrrev_i32_e32 v2, 31, v1
	v_add_co_u32 v6, vcc_lo, v4, s4
	v_ashrrev_i32_e32 v13, 31, v12
	v_add_co_ci_u32_e32 v7, vcc_lo, s5, v5, vcc_lo
	s_delay_alu instid0(VALU_DEP_4)
	v_lshlrev_b64 v[1:2], 3, v[1:2]
	s_clause 0x1
	global_load_b64 v[24:25], v3, s[0:1]
	global_load_b64 v[26:27], v[6:7], off
	v_lshlrev_b64 v[8:9], 3, v[12:13]
	s_bitcmp0_b32 s17, 0
	v_add_co_u32 v10, vcc_lo, s0, v1
	v_add_co_ci_u32_e32 v11, vcc_lo, s1, v2, vcc_lo
	s_delay_alu instid0(VALU_DEP_3) | instskip(NEXT) | instid1(VALU_DEP_4)
	v_add_co_u32 v8, vcc_lo, s0, v8
	v_add_co_ci_u32_e32 v9, vcc_lo, s1, v9, vcc_lo
	s_clause 0x1
	global_load_b64 v[44:45], v[10:11], off
	global_load_b64 v[46:47], v[8:9], off
	v_add_nc_u32_e32 v1, s3, v12
	s_delay_alu instid0(VALU_DEP_1) | instskip(SKIP_1) | instid1(VALU_DEP_2)
	v_add_nc_u32_e32 v12, s3, v1
	v_ashrrev_i32_e32 v2, 31, v1
	v_add_nc_u32_e32 v14, s3, v12
	v_ashrrev_i32_e32 v13, 31, v12
	s_delay_alu instid0(VALU_DEP_3) | instskip(NEXT) | instid1(VALU_DEP_3)
	v_lshlrev_b64 v[1:2], 3, v[1:2]
	v_add_nc_u32_e32 v16, s3, v14
	v_ashrrev_i32_e32 v15, 31, v14
	s_delay_alu instid0(VALU_DEP_4) | instskip(NEXT) | instid1(VALU_DEP_4)
	v_lshlrev_b64 v[12:13], 3, v[12:13]
	v_add_co_u32 v20, vcc_lo, s0, v1
	s_delay_alu instid0(VALU_DEP_4) | instskip(SKIP_3) | instid1(VALU_DEP_4)
	v_add_nc_u32_e32 v22, s3, v16
	v_add_co_ci_u32_e32 v21, vcc_lo, s1, v2, vcc_lo
	v_lshlrev_b64 v[1:2], 3, v[14:15]
	v_ashrrev_i32_e32 v17, 31, v16
	v_add_nc_u32_e32 v28, s3, v22
	v_add_co_u32 v18, vcc_lo, s0, v12
	v_ashrrev_i32_e32 v23, 31, v22
	v_add_co_ci_u32_e32 v19, vcc_lo, s1, v13, vcc_lo
	s_delay_alu instid0(VALU_DEP_4) | instskip(SKIP_3) | instid1(VALU_DEP_4)
	v_add_nc_u32_e32 v30, s3, v28
	v_lshlrev_b64 v[12:13], 3, v[16:17]
	v_add_co_u32 v16, vcc_lo, s0, v1
	v_ashrrev_i32_e32 v29, 31, v28
	v_add_nc_u32_e32 v32, s3, v30
	v_add_co_ci_u32_e32 v17, vcc_lo, s1, v2, vcc_lo
	v_lshlrev_b64 v[1:2], 3, v[22:23]
	v_add_co_u32 v12, vcc_lo, s0, v12
	s_delay_alu instid0(VALU_DEP_4) | instskip(SKIP_3) | instid1(VALU_DEP_4)
	v_add_nc_u32_e32 v36, s3, v32
	v_lshlrev_b64 v[14:15], 3, v[28:29]
	v_ashrrev_i32_e32 v31, 31, v30
	v_add_co_ci_u32_e32 v13, vcc_lo, s1, v13, vcc_lo
	v_add_nc_u32_e32 v40, s3, v36
	v_add_co_u32 v34, vcc_lo, s0, v1
	v_ashrrev_i32_e32 v33, 31, v32
	s_clause 0x1
	global_load_b64 v[48:49], v[20:21], off
	global_load_b64 v[50:51], v[18:19], off
	v_add_nc_u32_e32 v68, s3, v40
	v_add_co_ci_u32_e32 v35, vcc_lo, s1, v2, vcc_lo
	v_lshlrev_b64 v[1:2], 3, v[30:31]
	v_add_co_u32 v30, vcc_lo, s0, v14
	s_delay_alu instid0(VALU_DEP_4) | instskip(SKIP_3) | instid1(VALU_DEP_4)
	v_add_nc_u32_e32 v70, s3, v68
	v_add_co_ci_u32_e32 v31, vcc_lo, s1, v15, vcc_lo
	v_lshlrev_b64 v[14:15], 3, v[32:33]
	v_ashrrev_i32_e32 v37, 31, v36
	v_add_nc_u32_e32 v72, s3, v70
	v_add_co_u32 v42, vcc_lo, s0, v1
	s_clause 0x2
	global_load_b64 v[52:53], v[16:17], off
	global_load_b64 v[54:55], v[12:13], off
	;; [unrolled: 1-line block ×3, first 2 shown]
	v_add_co_ci_u32_e32 v43, vcc_lo, s1, v2, vcc_lo
	v_add_nc_u32_e32 v74, s3, v72
	v_lshlrev_b64 v[1:2], 3, v[36:37]
	global_load_b64 v[58:59], v[30:31], off
	v_ashrrev_i32_e32 v41, 31, v40
	v_add_co_u32 v38, vcc_lo, s0, v14
	v_add_nc_u32_e32 v76, s3, v74
	v_add_co_ci_u32_e32 v39, vcc_lo, s1, v15, vcc_lo
	s_delay_alu instid0(VALU_DEP_4) | instskip(SKIP_1) | instid1(VALU_DEP_4)
	v_lshlrev_b64 v[32:33], 3, v[40:41]
	v_add_co_u32 v28, vcc_lo, s0, v1
	v_add_nc_u32_e32 v78, s3, v76
	v_ashrrev_i32_e32 v69, 31, v68
	v_add_co_ci_u32_e32 v29, vcc_lo, s1, v2, vcc_lo
	v_ashrrev_i32_e32 v71, 31, v70
	s_delay_alu instid0(VALU_DEP_4) | instskip(NEXT) | instid1(VALU_DEP_4)
	v_add_nc_u32_e32 v80, s3, v78
	v_lshlrev_b64 v[1:2], 3, v[68:69]
	v_ashrrev_i32_e32 v73, 31, v72
	v_ashrrev_i32_e32 v75, 31, v74
	v_ashrrev_i32_e32 v77, 31, v76
	v_add_nc_u32_e32 v82, s3, v80
	v_ashrrev_i32_e32 v79, 31, v78
	v_ashrrev_i32_e32 v81, 31, v80
	v_lshlrev_b64 v[36:37], 3, v[74:75]
	s_delay_alu instid0(VALU_DEP_4) | instskip(SKIP_1) | instid1(VALU_DEP_2)
	v_add_nc_u32_e32 v84, s3, v82
	v_ashrrev_i32_e32 v83, 31, v82
	v_add_nc_u32_e32 v86, s3, v84
	v_ashrrev_i32_e32 v85, 31, v84
	s_delay_alu instid0(VALU_DEP_2) | instskip(SKIP_1) | instid1(VALU_DEP_2)
	v_add_nc_u32_e32 v88, s3, v86
	v_ashrrev_i32_e32 v87, 31, v86
	v_add_nc_u32_e32 v92, s3, v88
	v_ashrrev_i32_e32 v89, 31, v88
	s_delay_alu instid0(VALU_DEP_2) | instskip(SKIP_1) | instid1(VALU_DEP_2)
	;; [unrolled: 5-line block ×9, first 2 shown]
	v_add_nc_u32_e32 v124, s3, v122
	v_ashrrev_i32_e32 v123, 31, v122
	v_add_nc_u32_e32 v22, s3, v124
	v_ashrrev_i32_e32 v125, 31, v124
	s_delay_alu instid0(VALU_DEP_2) | instskip(NEXT) | instid1(VALU_DEP_1)
	v_ashrrev_i32_e32 v23, 31, v22
	v_lshlrev_b64 v[14:15], 3, v[22:23]
	s_delay_alu instid0(VALU_DEP_1) | instskip(NEXT) | instid1(VALU_DEP_2)
	v_add_co_u32 v14, vcc_lo, s0, v14
	v_add_co_ci_u32_e32 v15, vcc_lo, s1, v15, vcc_lo
	v_add_co_u32 v22, vcc_lo, s0, v32
	v_add_co_ci_u32_e32 v23, vcc_lo, s1, v33, vcc_lo
	global_load_b64 v[90:91], v[14:15], off
	s_waitcnt vmcnt(9)
	scratch_store_b128 off, v[24:27], off
	s_clause 0x3
	global_load_b64 v[60:61], v[42:43], off
	global_load_b64 v[62:63], v[38:39], off
	;; [unrolled: 1-line block ×4, first 2 shown]
	v_lshlrev_b64 v[26:27], 3, v[70:71]
	v_add_co_u32 v24, vcc_lo, s0, v1
	v_add_co_ci_u32_e32 v25, vcc_lo, s1, v2, vcc_lo
	v_lshlrev_b64 v[1:2], 3, v[72:73]
	s_delay_alu instid0(VALU_DEP_4) | instskip(SKIP_1) | instid1(VALU_DEP_3)
	v_add_co_u32 v26, vcc_lo, s0, v26
	v_add_co_ci_u32_e32 v27, vcc_lo, s1, v27, vcc_lo
	v_add_co_u32 v32, vcc_lo, s0, v1
	s_waitcnt vmcnt(11)
	scratch_store_b128 off, v[44:47], off offset:16
	s_clause 0x1
	global_load_b64 v[68:69], v[24:25], off
	global_load_b64 v[70:71], v[26:27], off
	v_add_co_ci_u32_e32 v33, vcc_lo, s1, v2, vcc_lo
	v_lshlrev_b64 v[1:2], 3, v[76:77]
	v_add_co_u32 v36, vcc_lo, s0, v36
	v_add_co_ci_u32_e32 v37, vcc_lo, s1, v37, vcc_lo
	v_lshlrev_b64 v[44:45], 3, v[78:79]
	s_delay_alu instid0(VALU_DEP_4) | instskip(SKIP_2) | instid1(VALU_DEP_4)
	v_add_co_u32 v40, vcc_lo, s0, v1
	v_add_co_ci_u32_e32 v41, vcc_lo, s1, v2, vcc_lo
	v_lshlrev_b64 v[1:2], 3, v[80:81]
	v_add_co_u32 v44, vcc_lo, s0, v44
	s_clause 0x1
	global_load_b64 v[72:73], v[32:33], off
	global_load_b64 v[74:75], v[36:37], off
	v_add_co_ci_u32_e32 v45, vcc_lo, s1, v45, vcc_lo
	v_add_co_u32 v46, vcc_lo, s0, v1
	v_add_co_ci_u32_e32 v47, vcc_lo, s1, v2, vcc_lo
	v_lshlrev_b64 v[1:2], 3, v[84:85]
	s_waitcnt vmcnt(13)
	scratch_store_b128 off, v[48:51], off offset:32
	v_lshlrev_b64 v[48:49], 3, v[82:83]
	s_waitcnt vmcnt(11)
	scratch_store_b128 off, v[52:55], off offset:48
	s_waitcnt vmcnt(9)
	scratch_store_b128 off, v[56:59], off offset:64
	v_add_co_u32 v48, vcc_lo, s0, v48
	v_add_co_ci_u32_e32 v49, vcc_lo, s1, v49, vcc_lo
	s_clause 0x3
	global_load_b64 v[76:77], v[40:41], off
	global_load_b64 v[78:79], v[44:45], off
	;; [unrolled: 1-line block ×4, first 2 shown]
	v_lshlrev_b64 v[52:53], 3, v[86:87]
	v_add_co_u32 v50, vcc_lo, s0, v1
	v_add_co_ci_u32_e32 v51, vcc_lo, s1, v2, vcc_lo
	v_lshlrev_b64 v[1:2], 3, v[88:89]
	s_delay_alu instid0(VALU_DEP_4) | instskip(SKIP_2) | instid1(VALU_DEP_4)
	v_add_co_u32 v52, vcc_lo, s0, v52
	v_lshlrev_b64 v[56:57], 3, v[92:93]
	v_add_co_ci_u32_e32 v53, vcc_lo, s1, v53, vcc_lo
	v_add_co_u32 v54, vcc_lo, s0, v1
	v_add_co_ci_u32_e32 v55, vcc_lo, s1, v2, vcc_lo
	s_delay_alu instid0(VALU_DEP_4)
	v_add_co_u32 v56, vcc_lo, s0, v56
	v_lshlrev_b64 v[1:2], 3, v[96:97]
	v_add_co_ci_u32_e32 v57, vcc_lo, s1, v57, vcc_lo
	s_waitcnt vmcnt(10)
	scratch_store_b128 off, v[60:63], off offset:80
	s_waitcnt vmcnt(8)
	scratch_store_b128 off, v[64:67], off offset:96
	s_clause 0x3
	global_load_b64 v[84:85], v[50:51], off
	global_load_b64 v[86:87], v[52:53], off
	;; [unrolled: 1-line block ×4, first 2 shown]
	v_lshlrev_b64 v[60:61], 3, v[98:99]
	v_add_co_u32 v58, vcc_lo, s0, v1
	v_add_co_ci_u32_e32 v59, vcc_lo, s1, v2, vcc_lo
	v_lshlrev_b64 v[1:2], 3, v[100:101]
	s_delay_alu instid0(VALU_DEP_4) | instskip(SKIP_2) | instid1(VALU_DEP_4)
	v_add_co_u32 v60, vcc_lo, s0, v60
	v_add_co_ci_u32_e32 v61, vcc_lo, s1, v61, vcc_lo
	v_lshlrev_b64 v[64:65], 3, v[102:103]
	v_add_co_u32 v62, vcc_lo, s0, v1
	s_waitcnt vmcnt(10)
	scratch_store_b128 off, v[68:71], off offset:112
	s_clause 0x1
	global_load_b64 v[96:97], v[58:59], off
	global_load_b64 v[98:99], v[60:61], off
	v_add_co_ci_u32_e32 v63, vcc_lo, s1, v2, vcc_lo
	v_lshlrev_b64 v[1:2], 3, v[104:105]
	v_add_co_u32 v64, vcc_lo, s0, v64
	v_add_co_ci_u32_e32 v65, vcc_lo, s1, v65, vcc_lo
	v_lshlrev_b64 v[68:69], 3, v[106:107]
	s_delay_alu instid0(VALU_DEP_4) | instskip(SKIP_2) | instid1(VALU_DEP_4)
	v_add_co_u32 v66, vcc_lo, s0, v1
	v_add_co_ci_u32_e32 v67, vcc_lo, s1, v2, vcc_lo
	v_lshlrev_b64 v[1:2], 3, v[108:109]
	v_add_co_u32 v68, vcc_lo, s0, v68
	s_waitcnt vmcnt(10)
	scratch_store_b128 off, v[72:75], off offset:128
	v_add_co_ci_u32_e32 v69, vcc_lo, s1, v69, vcc_lo
	v_lshlrev_b64 v[72:73], 3, v[110:111]
	v_add_co_u32 v70, vcc_lo, s0, v1
	v_add_co_ci_u32_e32 v71, vcc_lo, s1, v2, vcc_lo
	v_lshlrev_b64 v[1:2], 3, v[112:113]
	s_delay_alu instid0(VALU_DEP_4)
	v_add_co_u32 v72, vcc_lo, s0, v72
	global_load_b64 v[100:101], v[62:63], off
	v_add_co_ci_u32_e32 v73, vcc_lo, s1, v73, vcc_lo
	s_waitcnt vmcnt(9)
	scratch_store_b128 off, v[76:79], off offset:144
	s_waitcnt vmcnt(7)
	scratch_store_b128 off, v[80:83], off offset:160
	v_lshlrev_b64 v[76:77], 3, v[114:115]
	v_add_co_u32 v74, vcc_lo, s0, v1
	v_add_co_ci_u32_e32 v75, vcc_lo, s1, v2, vcc_lo
	v_lshlrev_b64 v[1:2], 3, v[116:117]
	s_delay_alu instid0(VALU_DEP_4) | instskip(SKIP_2) | instid1(VALU_DEP_4)
	v_add_co_u32 v76, vcc_lo, s0, v76
	v_add_co_ci_u32_e32 v77, vcc_lo, s1, v77, vcc_lo
	v_lshlrev_b64 v[80:81], 3, v[118:119]
	v_add_co_u32 v78, vcc_lo, s0, v1
	v_add_co_ci_u32_e32 v79, vcc_lo, s1, v2, vcc_lo
	v_lshlrev_b64 v[1:2], 3, v[120:121]
	s_delay_alu instid0(VALU_DEP_4)
	v_add_co_u32 v80, vcc_lo, s0, v80
	s_clause 0x3
	global_load_b64 v[102:103], v[64:65], off
	global_load_b64 v[104:105], v[66:67], off
	;; [unrolled: 1-line block ×4, first 2 shown]
	v_add_co_ci_u32_e32 v81, vcc_lo, s1, v81, vcc_lo
	v_add_co_u32 v82, vcc_lo, s0, v1
	v_add_co_ci_u32_e32 v83, vcc_lo, s1, v2, vcc_lo
	v_lshlrev_b64 v[1:2], 3, v[124:125]
	s_waitcnt vmcnt(9)
	scratch_store_b128 off, v[84:87], off offset:176
	s_waitcnt vmcnt(7)
	scratch_store_b128 off, v[92:95], off offset:192
	v_lshlrev_b64 v[84:85], 3, v[122:123]
	s_clause 0x3
	global_load_b64 v[110:111], v[72:73], off
	global_load_b64 v[92:93], v[74:75], off
	global_load_b64 v[94:95], v[76:77], off
	global_load_b64 v[112:113], v[78:79], off
	v_add_co_u32 v84, vcc_lo, s0, v84
	v_add_co_ci_u32_e32 v85, vcc_lo, s1, v85, vcc_lo
	v_add_co_u32 v86, vcc_lo, s0, v1
	v_add_co_ci_u32_e32 v87, vcc_lo, s1, v2, vcc_lo
	s_waitcnt vmcnt(9)
	scratch_store_b128 off, v[96:99], off offset:208
	s_clause 0x3
	global_load_b64 v[114:115], v[80:81], off
	global_load_b64 v[96:97], v[82:83], off
	;; [unrolled: 1-line block ×4, first 2 shown]
	s_mov_b32 s1, -1
	s_waitcnt vmcnt(11)
	scratch_store_b128 off, v[100:103], off offset:224
	s_waitcnt vmcnt(9)
	scratch_store_b128 off, v[104:107], off offset:240
	;; [unrolled: 2-line block ×7, first 2 shown]
	s_cbranch_scc1 .LBB41_176
; %bb.4:
	v_cmp_eq_u32_e64 s0, 0, v0
	s_delay_alu instid0(VALU_DEP_1)
	s_and_saveexec_b32 s1, s0
	s_cbranch_execz .LBB41_6
; %bb.5:
	v_mov_b32_e32 v1, 0
	ds_store_b32 v1, v1 offset:672
.LBB41_6:
	s_or_b32 exec_lo, exec_lo, s1
	s_waitcnt lgkmcnt(0)
	s_waitcnt_vscnt null, 0x0
	s_barrier
	buffer_gl0_inv
	scratch_load_b64 v[1:2], v3, off
	s_mov_b32 s2, exec_lo
	s_waitcnt vmcnt(0)
	v_cmpx_eq_f64_e32 0, v[1:2]
	s_cbranch_execz .LBB41_10
; %bb.7:
	v_mov_b32_e32 v1, 0
	s_mov_b32 s3, 0
	ds_load_b32 v2, v1 offset:672
	s_waitcnt lgkmcnt(0)
	v_readfirstlane_b32 s1, v2
	v_add_nc_u32_e32 v2, 1, v0
	s_delay_alu instid0(VALU_DEP_2) | instskip(NEXT) | instid1(VALU_DEP_1)
	s_cmp_eq_u32 s1, 0
	v_cmp_gt_i32_e32 vcc_lo, s1, v2
	s_cselect_b32 s4, -1, 0
	s_delay_alu instid0(SALU_CYCLE_1) | instskip(NEXT) | instid1(SALU_CYCLE_1)
	s_or_b32 s4, s4, vcc_lo
	s_and_b32 exec_lo, exec_lo, s4
	s_cbranch_execz .LBB41_10
; %bb.8:
	v_mov_b32_e32 v88, s1
.LBB41_9:                               ; =>This Inner Loop Header: Depth=1
	ds_cmpstore_rtn_b32 v88, v1, v2, v88 offset:672
	s_waitcnt lgkmcnt(0)
	v_cmp_ne_u32_e32 vcc_lo, 0, v88
	v_cmp_le_i32_e64 s1, v88, v2
	s_delay_alu instid0(VALU_DEP_1) | instskip(NEXT) | instid1(SALU_CYCLE_1)
	s_and_b32 s1, vcc_lo, s1
	s_and_b32 s1, exec_lo, s1
	s_delay_alu instid0(SALU_CYCLE_1) | instskip(NEXT) | instid1(SALU_CYCLE_1)
	s_or_b32 s3, s1, s3
	s_and_not1_b32 exec_lo, exec_lo, s3
	s_cbranch_execnz .LBB41_9
.LBB41_10:
	s_or_b32 exec_lo, exec_lo, s2
	v_mov_b32_e32 v1, 0
	s_barrier
	buffer_gl0_inv
	ds_load_b32 v2, v1 offset:672
	s_and_saveexec_b32 s1, s0
	s_cbranch_execz .LBB41_12
; %bb.11:
	s_lshl_b64 s[2:3], s[14:15], 2
	s_delay_alu instid0(SALU_CYCLE_1)
	s_add_u32 s2, s6, s2
	s_addc_u32 s3, s7, s3
	s_waitcnt lgkmcnt(0)
	global_store_b32 v1, v2, s[2:3]
.LBB41_12:
	s_or_b32 exec_lo, exec_lo, s1
	s_waitcnt lgkmcnt(0)
	v_cmp_ne_u32_e32 vcc_lo, 0, v2
	s_mov_b32 s1, 0
	s_cbranch_vccnz .LBB41_176
; %bb.13:
	v_add_nc_u32_e32 v88, 0, v3
	scratch_load_b64 v[1:2], v88, off
	s_waitcnt vmcnt(0)
	v_div_scale_f64 v[89:90], null, v[1:2], v[1:2], 1.0
	v_div_scale_f64 v[95:96], vcc_lo, 1.0, v[1:2], 1.0
	s_delay_alu instid0(VALU_DEP_2) | instskip(SKIP_2) | instid1(VALU_DEP_1)
	v_rcp_f64_e32 v[91:92], v[89:90]
	s_waitcnt_depctr 0xfff
	v_fma_f64 v[93:94], -v[89:90], v[91:92], 1.0
	v_fma_f64 v[91:92], v[91:92], v[93:94], v[91:92]
	s_delay_alu instid0(VALU_DEP_1) | instskip(NEXT) | instid1(VALU_DEP_1)
	v_fma_f64 v[93:94], -v[89:90], v[91:92], 1.0
	v_fma_f64 v[91:92], v[91:92], v[93:94], v[91:92]
	s_delay_alu instid0(VALU_DEP_1) | instskip(NEXT) | instid1(VALU_DEP_1)
	v_mul_f64 v[93:94], v[95:96], v[91:92]
	v_fma_f64 v[89:90], -v[89:90], v[93:94], v[95:96]
	s_delay_alu instid0(VALU_DEP_1) | instskip(NEXT) | instid1(VALU_DEP_1)
	v_div_fmas_f64 v[89:90], v[89:90], v[91:92], v[93:94]
	v_div_fixup_f64 v[1:2], v[89:90], v[1:2], 1.0
	v_add_nc_u32_e32 v89, 0x150, v3
	scratch_store_b64 v88, v[1:2], off
	scratch_load_b64 v[90:91], off, off offset:8
	v_xor_b32_e32 v2, 0x80000000, v2
	s_waitcnt vmcnt(0)
	ds_store_2addr_b64 v3, v[1:2], v[90:91] offset1:42
	s_waitcnt lgkmcnt(0)
	s_waitcnt_vscnt null, 0x0
	s_barrier
	buffer_gl0_inv
	s_and_saveexec_b32 s1, s0
	s_cbranch_execz .LBB41_15
; %bb.14:
	scratch_load_b64 v[1:2], v88, off
	ds_load_b64 v[90:91], v89
	s_waitcnt vmcnt(0) lgkmcnt(0)
	v_fma_f64 v[1:2], v[1:2], v[90:91], 0
	v_mov_b32_e32 v90, 0
	ds_load_b64 v[90:91], v90 offset:8
	s_waitcnt lgkmcnt(0)
	v_mul_f64 v[1:2], v[1:2], v[90:91]
	scratch_store_b64 off, v[1:2], off offset:8
.LBB41_15:
	s_or_b32 exec_lo, exec_lo, s1
	s_waitcnt_vscnt null, 0x0
	s_barrier
	buffer_gl0_inv
	scratch_load_b64 v[1:2], off, off offset:16
	s_mov_b32 s1, exec_lo
	s_waitcnt vmcnt(0)
	ds_store_b64 v89, v[1:2]
	s_waitcnt lgkmcnt(0)
	s_barrier
	buffer_gl0_inv
	v_cmpx_gt_u32_e32 2, v0
	s_cbranch_execz .LBB41_19
; %bb.16:
	scratch_load_b64 v[1:2], v88, off
	ds_load_b64 v[90:91], v89
	s_waitcnt vmcnt(0) lgkmcnt(0)
	v_fma_f64 v[1:2], v[1:2], v[90:91], 0
	s_and_saveexec_b32 s2, s0
	s_cbranch_execz .LBB41_18
; %bb.17:
	scratch_load_b64 v[90:91], off, off offset:8
	v_mov_b32_e32 v92, 0
	ds_load_b64 v[92:93], v92 offset:344
	s_waitcnt vmcnt(0) lgkmcnt(0)
	v_fma_f64 v[1:2], v[90:91], v[92:93], v[1:2]
.LBB41_18:
	s_or_b32 exec_lo, exec_lo, s2
	v_mov_b32_e32 v90, 0
	ds_load_b64 v[90:91], v90 offset:16
	s_waitcnt lgkmcnt(0)
	v_mul_f64 v[1:2], v[1:2], v[90:91]
	scratch_store_b64 off, v[1:2], off offset:16
.LBB41_19:
	s_or_b32 exec_lo, exec_lo, s1
	s_waitcnt_vscnt null, 0x0
	s_barrier
	buffer_gl0_inv
	scratch_load_b64 v[1:2], off, off offset:24
	v_add_nc_u32_e32 v90, -1, v0
	s_mov_b32 s0, exec_lo
	s_waitcnt vmcnt(0)
	ds_store_b64 v89, v[1:2]
	s_waitcnt lgkmcnt(0)
	s_barrier
	buffer_gl0_inv
	v_cmpx_gt_u32_e32 3, v0
	s_cbranch_execz .LBB41_23
; %bb.20:
	v_dual_mov_b32 v1, 0 :: v_dual_add_nc_u32 v92, 0x150, v3
	v_dual_mov_b32 v2, 0 :: v_dual_add_nc_u32 v91, -1, v0
	v_add_nc_u32_e32 v93, 0, v3
	s_mov_b32 s1, 0
.LBB41_21:                              ; =>This Inner Loop Header: Depth=1
	scratch_load_b64 v[94:95], v93, off
	ds_load_b64 v[96:97], v92
	v_add_nc_u32_e32 v91, 1, v91
	v_add_nc_u32_e32 v92, 8, v92
	v_add_nc_u32_e32 v93, 8, v93
	s_delay_alu instid0(VALU_DEP_3)
	v_cmp_lt_u32_e32 vcc_lo, 1, v91
	s_or_b32 s1, vcc_lo, s1
	s_waitcnt vmcnt(0) lgkmcnt(0)
	v_fma_f64 v[1:2], v[94:95], v[96:97], v[1:2]
	s_and_not1_b32 exec_lo, exec_lo, s1
	s_cbranch_execnz .LBB41_21
; %bb.22:
	s_or_b32 exec_lo, exec_lo, s1
	v_mov_b32_e32 v91, 0
	ds_load_b64 v[91:92], v91 offset:24
	s_waitcnt lgkmcnt(0)
	v_mul_f64 v[1:2], v[1:2], v[91:92]
	scratch_store_b64 off, v[1:2], off offset:24
.LBB41_23:
	s_or_b32 exec_lo, exec_lo, s0
	s_waitcnt_vscnt null, 0x0
	s_barrier
	buffer_gl0_inv
	scratch_load_b64 v[1:2], off, off offset:32
	s_mov_b32 s0, exec_lo
	s_waitcnt vmcnt(0)
	ds_store_b64 v89, v[1:2]
	s_waitcnt lgkmcnt(0)
	s_barrier
	buffer_gl0_inv
	v_cmpx_gt_u32_e32 4, v0
	s_cbranch_execz .LBB41_27
; %bb.24:
	v_dual_mov_b32 v1, 0 :: v_dual_add_nc_u32 v92, 0x150, v3
	v_dual_mov_b32 v2, 0 :: v_dual_add_nc_u32 v91, -1, v0
	v_add_nc_u32_e32 v93, 0, v3
	s_mov_b32 s1, 0
.LBB41_25:                              ; =>This Inner Loop Header: Depth=1
	scratch_load_b64 v[94:95], v93, off
	ds_load_b64 v[96:97], v92
	v_add_nc_u32_e32 v91, 1, v91
	v_add_nc_u32_e32 v92, 8, v92
	v_add_nc_u32_e32 v93, 8, v93
	s_delay_alu instid0(VALU_DEP_3)
	v_cmp_lt_u32_e32 vcc_lo, 2, v91
	s_or_b32 s1, vcc_lo, s1
	s_waitcnt vmcnt(0) lgkmcnt(0)
	v_fma_f64 v[1:2], v[94:95], v[96:97], v[1:2]
	s_and_not1_b32 exec_lo, exec_lo, s1
	s_cbranch_execnz .LBB41_25
; %bb.26:
	s_or_b32 exec_lo, exec_lo, s1
	v_mov_b32_e32 v91, 0
	ds_load_b64 v[91:92], v91 offset:32
	s_waitcnt lgkmcnt(0)
	v_mul_f64 v[1:2], v[1:2], v[91:92]
	scratch_store_b64 off, v[1:2], off offset:32
.LBB41_27:
	s_or_b32 exec_lo, exec_lo, s0
	s_waitcnt_vscnt null, 0x0
	s_barrier
	buffer_gl0_inv
	scratch_load_b64 v[1:2], off, off offset:40
	;; [unrolled: 39-line block ×20, first 2 shown]
	s_mov_b32 s0, exec_lo
	s_waitcnt vmcnt(0)
	ds_store_b64 v89, v[1:2]
	s_waitcnt lgkmcnt(0)
	s_barrier
	buffer_gl0_inv
	v_cmpx_gt_u32_e32 23, v0
	s_cbranch_execz .LBB41_103
; %bb.100:
	v_dual_mov_b32 v1, 0 :: v_dual_add_nc_u32 v92, 0x150, v3
	v_dual_mov_b32 v2, 0 :: v_dual_add_nc_u32 v91, -1, v0
	v_add_nc_u32_e32 v93, 0, v3
	s_mov_b32 s1, 0
.LBB41_101:                             ; =>This Inner Loop Header: Depth=1
	scratch_load_b64 v[94:95], v93, off
	ds_load_b64 v[96:97], v92
	v_add_nc_u32_e32 v91, 1, v91
	v_add_nc_u32_e32 v92, 8, v92
	v_add_nc_u32_e32 v93, 8, v93
	s_delay_alu instid0(VALU_DEP_3)
	v_cmp_lt_u32_e32 vcc_lo, 21, v91
	s_or_b32 s1, vcc_lo, s1
	s_waitcnt vmcnt(0) lgkmcnt(0)
	v_fma_f64 v[1:2], v[94:95], v[96:97], v[1:2]
	s_and_not1_b32 exec_lo, exec_lo, s1
	s_cbranch_execnz .LBB41_101
; %bb.102:
	s_or_b32 exec_lo, exec_lo, s1
	v_mov_b32_e32 v91, 0
	ds_load_b64 v[91:92], v91 offset:184
	s_waitcnt lgkmcnt(0)
	v_mul_f64 v[1:2], v[1:2], v[91:92]
	scratch_store_b64 off, v[1:2], off offset:184
.LBB41_103:
	s_or_b32 exec_lo, exec_lo, s0
	s_waitcnt_vscnt null, 0x0
	s_barrier
	buffer_gl0_inv
	scratch_load_b64 v[1:2], off, off offset:192
	s_mov_b32 s0, exec_lo
	s_waitcnt vmcnt(0)
	ds_store_b64 v89, v[1:2]
	s_waitcnt lgkmcnt(0)
	s_barrier
	buffer_gl0_inv
	v_cmpx_gt_u32_e32 24, v0
	s_cbranch_execz .LBB41_107
; %bb.104:
	v_dual_mov_b32 v1, 0 :: v_dual_add_nc_u32 v92, 0x150, v3
	v_dual_mov_b32 v2, 0 :: v_dual_add_nc_u32 v91, -1, v0
	v_add_nc_u32_e32 v93, 0, v3
	s_mov_b32 s1, 0
.LBB41_105:                             ; =>This Inner Loop Header: Depth=1
	scratch_load_b64 v[94:95], v93, off
	ds_load_b64 v[96:97], v92
	v_add_nc_u32_e32 v91, 1, v91
	v_add_nc_u32_e32 v92, 8, v92
	v_add_nc_u32_e32 v93, 8, v93
	s_delay_alu instid0(VALU_DEP_3)
	v_cmp_lt_u32_e32 vcc_lo, 22, v91
	s_or_b32 s1, vcc_lo, s1
	s_waitcnt vmcnt(0) lgkmcnt(0)
	v_fma_f64 v[1:2], v[94:95], v[96:97], v[1:2]
	s_and_not1_b32 exec_lo, exec_lo, s1
	s_cbranch_execnz .LBB41_105
; %bb.106:
	s_or_b32 exec_lo, exec_lo, s1
	v_mov_b32_e32 v91, 0
	ds_load_b64 v[91:92], v91 offset:192
	s_waitcnt lgkmcnt(0)
	v_mul_f64 v[1:2], v[1:2], v[91:92]
	scratch_store_b64 off, v[1:2], off offset:192
.LBB41_107:
	s_or_b32 exec_lo, exec_lo, s0
	s_waitcnt_vscnt null, 0x0
	s_barrier
	buffer_gl0_inv
	scratch_load_b64 v[1:2], off, off offset:200
	;; [unrolled: 39-line block ×18, first 2 shown]
	s_mov_b32 s0, exec_lo
	s_waitcnt vmcnt(0)
	ds_store_b64 v89, v[1:2]
	s_waitcnt lgkmcnt(0)
	s_barrier
	buffer_gl0_inv
	v_cmpx_ne_u32_e32 41, v0
	s_cbranch_execz .LBB41_175
; %bb.172:
	v_mov_b32_e32 v1, 0
	v_mov_b32_e32 v2, 0
	s_mov_b32 s1, 0
.LBB41_173:                             ; =>This Inner Loop Header: Depth=1
	scratch_load_b64 v[91:92], v88, off
	ds_load_b64 v[93:94], v89
	v_add_nc_u32_e32 v90, 1, v90
	v_add_nc_u32_e32 v89, 8, v89
	;; [unrolled: 1-line block ×3, first 2 shown]
	s_delay_alu instid0(VALU_DEP_3)
	v_cmp_lt_u32_e32 vcc_lo, 39, v90
	s_or_b32 s1, vcc_lo, s1
	s_waitcnt vmcnt(0) lgkmcnt(0)
	v_fma_f64 v[1:2], v[91:92], v[93:94], v[1:2]
	s_and_not1_b32 exec_lo, exec_lo, s1
	s_cbranch_execnz .LBB41_173
; %bb.174:
	s_or_b32 exec_lo, exec_lo, s1
	v_mov_b32_e32 v3, 0
	ds_load_b64 v[88:89], v3 offset:328
	s_waitcnt lgkmcnt(0)
	v_mul_f64 v[1:2], v[1:2], v[88:89]
	scratch_store_b64 off, v[1:2], off offset:328
.LBB41_175:
	s_or_b32 exec_lo, exec_lo, s0
	s_mov_b32 s1, -1
	s_waitcnt_vscnt null, 0x0
	s_barrier
	buffer_gl0_inv
.LBB41_176:
	s_and_b32 vcc_lo, exec_lo, s1
	s_cbranch_vccz .LBB41_178
; %bb.177:
	s_lshl_b64 s[0:1], s[14:15], 2
	v_mov_b32_e32 v1, 0
	s_add_u32 s0, s6, s0
	s_addc_u32 s1, s7, s1
	global_load_b32 v1, v1, s[0:1]
	s_waitcnt vmcnt(0)
	v_cmp_ne_u32_e32 vcc_lo, 0, v1
	s_cbranch_vccz .LBB41_179
.LBB41_178:
	s_endpgm
.LBB41_179:
	v_lshl_add_u32 v3, v0, 3, 0x150
	s_mov_b32 s0, exec_lo
	v_cmpx_eq_u32_e32 41, v0
	s_cbranch_execz .LBB41_181
; %bb.180:
	scratch_load_b64 v[1:2], off, off offset:320
	v_mov_b32_e32 v88, 0
	s_delay_alu instid0(VALU_DEP_1)
	v_mov_b32_e32 v89, v88
	scratch_store_b64 off, v[88:89], off offset:320
	s_waitcnt vmcnt(0)
	ds_store_b64 v3, v[1:2]
.LBB41_181:
	s_or_b32 exec_lo, exec_lo, s0
	s_waitcnt lgkmcnt(0)
	s_waitcnt_vscnt null, 0x0
	s_barrier
	buffer_gl0_inv
	scratch_load_b128 v[88:91], off, off offset:320
	v_mov_b32_e32 v1, 0
	s_mov_b32 s0, exec_lo
	ds_load_b64 v[92:93], v1 offset:664
	s_waitcnt vmcnt(0) lgkmcnt(0)
	v_fma_f64 v[90:91], v[90:91], v[92:93], 0
	s_delay_alu instid0(VALU_DEP_1)
	v_add_f64 v[88:89], v[88:89], -v[90:91]
	scratch_store_b64 off, v[88:89], off offset:320
	v_cmpx_lt_u32_e32 39, v0
	s_cbranch_execz .LBB41_183
; %bb.182:
	scratch_load_b64 v[88:89], off, off offset:312
	v_mov_b32_e32 v2, v1
	scratch_store_b64 off, v[1:2], off offset:312
	s_waitcnt vmcnt(0)
	ds_store_b64 v3, v[88:89]
.LBB41_183:
	s_or_b32 exec_lo, exec_lo, s0
	s_waitcnt lgkmcnt(0)
	s_waitcnt_vscnt null, 0x0
	s_barrier
	buffer_gl0_inv
	s_clause 0x1
	scratch_load_b128 v[88:91], off, off offset:312
	scratch_load_b64 v[96:97], off, off offset:328
	ds_load_b128 v[92:95], v1 offset:656
	s_mov_b32 s0, exec_lo
	s_waitcnt vmcnt(1) lgkmcnt(0)
	v_fma_f64 v[1:2], v[90:91], v[92:93], 0
	s_waitcnt vmcnt(0)
	s_delay_alu instid0(VALU_DEP_1) | instskip(NEXT) | instid1(VALU_DEP_1)
	v_fma_f64 v[1:2], v[96:97], v[94:95], v[1:2]
	v_add_f64 v[1:2], v[88:89], -v[1:2]
	scratch_store_b64 off, v[1:2], off offset:312
	v_cmpx_lt_u32_e32 38, v0
	s_cbranch_execz .LBB41_185
; %bb.184:
	scratch_load_b64 v[1:2], off, off offset:304
	v_mov_b32_e32 v88, 0
	s_delay_alu instid0(VALU_DEP_1)
	v_mov_b32_e32 v89, v88
	scratch_store_b64 off, v[88:89], off offset:304
	s_waitcnt vmcnt(0)
	ds_store_b64 v3, v[1:2]
.LBB41_185:
	s_or_b32 exec_lo, exec_lo, s0
	s_waitcnt lgkmcnt(0)
	s_waitcnt_vscnt null, 0x0
	s_barrier
	buffer_gl0_inv
	s_clause 0x1
	scratch_load_b128 v[88:91], off, off offset:304
	scratch_load_b128 v[92:95], off, off offset:320
	v_mov_b32_e32 v1, 0
	ds_load_2addr_b64 v[96:99], v1 offset0:81 offset1:82
	ds_load_b64 v[100:101], v1 offset:664
	s_mov_b32 s0, exec_lo
	s_waitcnt vmcnt(1) lgkmcnt(1)
	v_fma_f64 v[90:91], v[90:91], v[96:97], 0
	s_waitcnt vmcnt(0)
	s_delay_alu instid0(VALU_DEP_1) | instskip(SKIP_1) | instid1(VALU_DEP_1)
	v_fma_f64 v[90:91], v[92:93], v[98:99], v[90:91]
	s_waitcnt lgkmcnt(0)
	v_fma_f64 v[90:91], v[94:95], v[100:101], v[90:91]
	s_delay_alu instid0(VALU_DEP_1)
	v_add_f64 v[88:89], v[88:89], -v[90:91]
	scratch_store_b64 off, v[88:89], off offset:304
	v_cmpx_lt_u32_e32 37, v0
	s_cbranch_execz .LBB41_187
; %bb.186:
	scratch_load_b64 v[88:89], off, off offset:296
	v_mov_b32_e32 v2, v1
	scratch_store_b64 off, v[1:2], off offset:296
	s_waitcnt vmcnt(0)
	ds_store_b64 v3, v[88:89]
.LBB41_187:
	s_or_b32 exec_lo, exec_lo, s0
	s_waitcnt lgkmcnt(0)
	s_waitcnt_vscnt null, 0x0
	s_barrier
	buffer_gl0_inv
	s_clause 0x2
	scratch_load_b128 v[88:91], off, off offset:296
	scratch_load_b128 v[92:95], off, off offset:312
	scratch_load_b64 v[104:105], off, off offset:328
	ds_load_b128 v[96:99], v1 offset:640
	ds_load_b128 v[100:103], v1 offset:656
	s_mov_b32 s0, exec_lo
	s_waitcnt vmcnt(2) lgkmcnt(1)
	v_fma_f64 v[1:2], v[90:91], v[96:97], 0
	s_waitcnt vmcnt(1)
	s_delay_alu instid0(VALU_DEP_1) | instskip(SKIP_1) | instid1(VALU_DEP_1)
	v_fma_f64 v[1:2], v[92:93], v[98:99], v[1:2]
	s_waitcnt lgkmcnt(0)
	v_fma_f64 v[1:2], v[94:95], v[100:101], v[1:2]
	s_waitcnt vmcnt(0)
	s_delay_alu instid0(VALU_DEP_1) | instskip(NEXT) | instid1(VALU_DEP_1)
	v_fma_f64 v[1:2], v[104:105], v[102:103], v[1:2]
	v_add_f64 v[1:2], v[88:89], -v[1:2]
	scratch_store_b64 off, v[1:2], off offset:296
	v_cmpx_lt_u32_e32 36, v0
	s_cbranch_execz .LBB41_189
; %bb.188:
	scratch_load_b64 v[1:2], off, off offset:288
	v_mov_b32_e32 v88, 0
	s_delay_alu instid0(VALU_DEP_1)
	v_mov_b32_e32 v89, v88
	scratch_store_b64 off, v[88:89], off offset:288
	s_waitcnt vmcnt(0)
	ds_store_b64 v3, v[1:2]
.LBB41_189:
	s_or_b32 exec_lo, exec_lo, s0
	s_waitcnt lgkmcnt(0)
	s_waitcnt_vscnt null, 0x0
	s_barrier
	buffer_gl0_inv
	s_clause 0x2
	scratch_load_b128 v[88:91], off, off offset:288
	scratch_load_b128 v[92:95], off, off offset:304
	;; [unrolled: 1-line block ×3, first 2 shown]
	v_mov_b32_e32 v1, 0
	ds_load_2addr_b64 v[100:103], v1 offset0:79 offset1:80
	ds_load_2addr_b64 v[104:107], v1 offset0:81 offset1:82
	s_mov_b32 s0, exec_lo
	s_waitcnt vmcnt(2) lgkmcnt(1)
	v_fma_f64 v[90:91], v[90:91], v[100:101], 0
	s_waitcnt vmcnt(1)
	s_delay_alu instid0(VALU_DEP_1) | instskip(SKIP_4) | instid1(VALU_DEP_1)
	v_fma_f64 v[90:91], v[92:93], v[102:103], v[90:91]
	ds_load_b64 v[92:93], v1 offset:664
	s_waitcnt lgkmcnt(1)
	v_fma_f64 v[90:91], v[94:95], v[104:105], v[90:91]
	s_waitcnt vmcnt(0)
	v_fma_f64 v[90:91], v[96:97], v[106:107], v[90:91]
	s_waitcnt lgkmcnt(0)
	s_delay_alu instid0(VALU_DEP_1) | instskip(NEXT) | instid1(VALU_DEP_1)
	v_fma_f64 v[90:91], v[98:99], v[92:93], v[90:91]
	v_add_f64 v[88:89], v[88:89], -v[90:91]
	scratch_store_b64 off, v[88:89], off offset:288
	v_cmpx_lt_u32_e32 35, v0
	s_cbranch_execz .LBB41_191
; %bb.190:
	scratch_load_b64 v[88:89], off, off offset:280
	v_mov_b32_e32 v2, v1
	scratch_store_b64 off, v[1:2], off offset:280
	s_waitcnt vmcnt(0)
	ds_store_b64 v3, v[88:89]
.LBB41_191:
	s_or_b32 exec_lo, exec_lo, s0
	s_waitcnt lgkmcnt(0)
	s_waitcnt_vscnt null, 0x0
	s_barrier
	buffer_gl0_inv
	s_clause 0x3
	scratch_load_b128 v[88:91], off, off offset:280
	scratch_load_b128 v[92:95], off, off offset:296
	;; [unrolled: 1-line block ×3, first 2 shown]
	scratch_load_b64 v[108:109], off, off offset:328
	ds_load_b128 v[100:103], v1 offset:624
	ds_load_b128 v[104:107], v1 offset:640
	s_mov_b32 s0, exec_lo
	s_waitcnt vmcnt(3) lgkmcnt(1)
	v_fma_f64 v[90:91], v[90:91], v[100:101], 0
	s_waitcnt vmcnt(2)
	s_delay_alu instid0(VALU_DEP_1) | instskip(SKIP_1) | instid1(VALU_DEP_1)
	v_fma_f64 v[90:91], v[92:93], v[102:103], v[90:91]
	s_waitcnt lgkmcnt(0)
	v_fma_f64 v[90:91], v[94:95], v[104:105], v[90:91]
	s_waitcnt vmcnt(1)
	s_delay_alu instid0(VALU_DEP_1) | instskip(SKIP_4) | instid1(VALU_DEP_1)
	v_fma_f64 v[94:95], v[96:97], v[106:107], v[90:91]
	ds_load_b128 v[90:93], v1 offset:656
	s_waitcnt lgkmcnt(0)
	v_fma_f64 v[1:2], v[98:99], v[90:91], v[94:95]
	s_waitcnt vmcnt(0)
	v_fma_f64 v[1:2], v[108:109], v[92:93], v[1:2]
	s_delay_alu instid0(VALU_DEP_1)
	v_add_f64 v[1:2], v[88:89], -v[1:2]
	scratch_store_b64 off, v[1:2], off offset:280
	v_cmpx_lt_u32_e32 34, v0
	s_cbranch_execz .LBB41_193
; %bb.192:
	scratch_load_b64 v[1:2], off, off offset:272
	v_mov_b32_e32 v88, 0
	s_delay_alu instid0(VALU_DEP_1)
	v_mov_b32_e32 v89, v88
	scratch_store_b64 off, v[88:89], off offset:272
	s_waitcnt vmcnt(0)
	ds_store_b64 v3, v[1:2]
.LBB41_193:
	s_or_b32 exec_lo, exec_lo, s0
	s_waitcnt lgkmcnt(0)
	s_waitcnt_vscnt null, 0x0
	s_barrier
	buffer_gl0_inv
	s_clause 0x3
	scratch_load_b128 v[88:91], off, off offset:272
	scratch_load_b128 v[92:95], off, off offset:288
	;; [unrolled: 1-line block ×4, first 2 shown]
	v_mov_b32_e32 v1, 0
	ds_load_2addr_b64 v[104:107], v1 offset0:77 offset1:78
	ds_load_2addr_b64 v[108:111], v1 offset0:79 offset1:80
	s_mov_b32 s0, exec_lo
	s_waitcnt vmcnt(3) lgkmcnt(1)
	v_fma_f64 v[90:91], v[90:91], v[104:105], 0
	s_waitcnt vmcnt(2)
	s_delay_alu instid0(VALU_DEP_1) | instskip(SKIP_1) | instid1(VALU_DEP_1)
	v_fma_f64 v[90:91], v[92:93], v[106:107], v[90:91]
	s_waitcnt lgkmcnt(0)
	v_fma_f64 v[90:91], v[94:95], v[108:109], v[90:91]
	s_waitcnt vmcnt(1)
	s_delay_alu instid0(VALU_DEP_1)
	v_fma_f64 v[94:95], v[96:97], v[110:111], v[90:91]
	ds_load_2addr_b64 v[90:93], v1 offset0:81 offset1:82
	ds_load_b64 v[96:97], v1 offset:664
	s_waitcnt lgkmcnt(1)
	v_fma_f64 v[90:91], v[98:99], v[90:91], v[94:95]
	s_waitcnt vmcnt(0)
	s_delay_alu instid0(VALU_DEP_1) | instskip(SKIP_1) | instid1(VALU_DEP_1)
	v_fma_f64 v[90:91], v[100:101], v[92:93], v[90:91]
	s_waitcnt lgkmcnt(0)
	v_fma_f64 v[90:91], v[102:103], v[96:97], v[90:91]
	s_delay_alu instid0(VALU_DEP_1)
	v_add_f64 v[88:89], v[88:89], -v[90:91]
	scratch_store_b64 off, v[88:89], off offset:272
	v_cmpx_lt_u32_e32 33, v0
	s_cbranch_execz .LBB41_195
; %bb.194:
	scratch_load_b64 v[88:89], off, off offset:264
	v_mov_b32_e32 v2, v1
	scratch_store_b64 off, v[1:2], off offset:264
	s_waitcnt vmcnt(0)
	ds_store_b64 v3, v[88:89]
.LBB41_195:
	s_or_b32 exec_lo, exec_lo, s0
	s_waitcnt lgkmcnt(0)
	s_waitcnt_vscnt null, 0x0
	s_barrier
	buffer_gl0_inv
	s_clause 0x4
	scratch_load_b128 v[88:91], off, off offset:264
	scratch_load_b128 v[92:95], off, off offset:280
	;; [unrolled: 1-line block ×4, first 2 shown]
	scratch_load_b64 v[112:113], off, off offset:328
	ds_load_b128 v[104:107], v1 offset:608
	ds_load_b128 v[108:111], v1 offset:624
	s_mov_b32 s0, exec_lo
	s_waitcnt vmcnt(4) lgkmcnt(1)
	v_fma_f64 v[90:91], v[90:91], v[104:105], 0
	s_waitcnt vmcnt(3)
	s_delay_alu instid0(VALU_DEP_1) | instskip(SKIP_1) | instid1(VALU_DEP_1)
	v_fma_f64 v[90:91], v[92:93], v[106:107], v[90:91]
	s_waitcnt lgkmcnt(0)
	v_fma_f64 v[90:91], v[94:95], v[108:109], v[90:91]
	s_waitcnt vmcnt(2)
	s_delay_alu instid0(VALU_DEP_1)
	v_fma_f64 v[104:105], v[96:97], v[110:111], v[90:91]
	ds_load_b128 v[90:93], v1 offset:640
	ds_load_b128 v[94:97], v1 offset:656
	s_waitcnt lgkmcnt(1)
	v_fma_f64 v[1:2], v[98:99], v[90:91], v[104:105]
	s_waitcnt vmcnt(1)
	s_delay_alu instid0(VALU_DEP_1) | instskip(SKIP_1) | instid1(VALU_DEP_1)
	v_fma_f64 v[1:2], v[100:101], v[92:93], v[1:2]
	s_waitcnt lgkmcnt(0)
	v_fma_f64 v[1:2], v[102:103], v[94:95], v[1:2]
	s_waitcnt vmcnt(0)
	s_delay_alu instid0(VALU_DEP_1) | instskip(NEXT) | instid1(VALU_DEP_1)
	v_fma_f64 v[1:2], v[112:113], v[96:97], v[1:2]
	v_add_f64 v[1:2], v[88:89], -v[1:2]
	scratch_store_b64 off, v[1:2], off offset:264
	v_cmpx_lt_u32_e32 32, v0
	s_cbranch_execz .LBB41_197
; %bb.196:
	scratch_load_b64 v[1:2], off, off offset:256
	v_mov_b32_e32 v88, 0
	s_delay_alu instid0(VALU_DEP_1)
	v_mov_b32_e32 v89, v88
	scratch_store_b64 off, v[88:89], off offset:256
	s_waitcnt vmcnt(0)
	ds_store_b64 v3, v[1:2]
.LBB41_197:
	s_or_b32 exec_lo, exec_lo, s0
	s_waitcnt lgkmcnt(0)
	s_waitcnt_vscnt null, 0x0
	s_barrier
	buffer_gl0_inv
	s_clause 0x4
	scratch_load_b128 v[88:91], off, off offset:256
	scratch_load_b128 v[92:95], off, off offset:272
	;; [unrolled: 1-line block ×5, first 2 shown]
	v_mov_b32_e32 v1, 0
	ds_load_2addr_b64 v[108:111], v1 offset0:75 offset1:76
	ds_load_2addr_b64 v[112:115], v1 offset0:77 offset1:78
	s_mov_b32 s0, exec_lo
	s_waitcnt vmcnt(4) lgkmcnt(1)
	v_fma_f64 v[90:91], v[90:91], v[108:109], 0
	s_waitcnt vmcnt(3)
	s_delay_alu instid0(VALU_DEP_1) | instskip(SKIP_1) | instid1(VALU_DEP_1)
	v_fma_f64 v[90:91], v[92:93], v[110:111], v[90:91]
	s_waitcnt lgkmcnt(0)
	v_fma_f64 v[90:91], v[94:95], v[112:113], v[90:91]
	s_waitcnt vmcnt(2)
	s_delay_alu instid0(VALU_DEP_1)
	v_fma_f64 v[108:109], v[96:97], v[114:115], v[90:91]
	ds_load_2addr_b64 v[90:93], v1 offset0:79 offset1:80
	ds_load_2addr_b64 v[94:97], v1 offset0:81 offset1:82
	s_waitcnt lgkmcnt(1)
	v_fma_f64 v[90:91], v[98:99], v[90:91], v[108:109]
	s_waitcnt vmcnt(1)
	s_delay_alu instid0(VALU_DEP_1) | instskip(SKIP_4) | instid1(VALU_DEP_1)
	v_fma_f64 v[90:91], v[100:101], v[92:93], v[90:91]
	ds_load_b64 v[92:93], v1 offset:664
	s_waitcnt lgkmcnt(1)
	v_fma_f64 v[90:91], v[102:103], v[94:95], v[90:91]
	s_waitcnt vmcnt(0)
	v_fma_f64 v[90:91], v[104:105], v[96:97], v[90:91]
	s_waitcnt lgkmcnt(0)
	s_delay_alu instid0(VALU_DEP_1) | instskip(NEXT) | instid1(VALU_DEP_1)
	v_fma_f64 v[90:91], v[106:107], v[92:93], v[90:91]
	v_add_f64 v[88:89], v[88:89], -v[90:91]
	scratch_store_b64 off, v[88:89], off offset:256
	v_cmpx_lt_u32_e32 31, v0
	s_cbranch_execz .LBB41_199
; %bb.198:
	scratch_load_b64 v[88:89], off, off offset:248
	v_mov_b32_e32 v2, v1
	scratch_store_b64 off, v[1:2], off offset:248
	s_waitcnt vmcnt(0)
	ds_store_b64 v3, v[88:89]
.LBB41_199:
	s_or_b32 exec_lo, exec_lo, s0
	s_waitcnt lgkmcnt(0)
	s_waitcnt_vscnt null, 0x0
	s_barrier
	buffer_gl0_inv
	s_clause 0x4
	scratch_load_b128 v[88:91], off, off offset:248
	scratch_load_b128 v[92:95], off, off offset:264
	scratch_load_b128 v[96:99], off, off offset:280
	scratch_load_b128 v[100:103], off, off offset:296
	scratch_load_b128 v[104:107], off, off offset:312
	ds_load_b128 v[108:111], v1 offset:592
	ds_load_b128 v[112:115], v1 offset:608
	s_mov_b32 s0, exec_lo
	s_waitcnt vmcnt(4) lgkmcnt(1)
	v_fma_f64 v[90:91], v[90:91], v[108:109], 0
	scratch_load_b64 v[108:109], off, off offset:328
	s_waitcnt vmcnt(4)
	v_fma_f64 v[90:91], v[92:93], v[110:111], v[90:91]
	s_waitcnt lgkmcnt(0)
	s_delay_alu instid0(VALU_DEP_1) | instskip(SKIP_1) | instid1(VALU_DEP_1)
	v_fma_f64 v[90:91], v[94:95], v[112:113], v[90:91]
	s_waitcnt vmcnt(3)
	v_fma_f64 v[110:111], v[96:97], v[114:115], v[90:91]
	ds_load_b128 v[90:93], v1 offset:624
	ds_load_b128 v[94:97], v1 offset:640
	s_waitcnt lgkmcnt(1)
	v_fma_f64 v[90:91], v[98:99], v[90:91], v[110:111]
	s_waitcnt vmcnt(2)
	s_delay_alu instid0(VALU_DEP_1) | instskip(SKIP_1) | instid1(VALU_DEP_1)
	v_fma_f64 v[90:91], v[100:101], v[92:93], v[90:91]
	s_waitcnt lgkmcnt(0)
	v_fma_f64 v[90:91], v[102:103], v[94:95], v[90:91]
	s_waitcnt vmcnt(1)
	s_delay_alu instid0(VALU_DEP_1) | instskip(SKIP_4) | instid1(VALU_DEP_1)
	v_fma_f64 v[94:95], v[104:105], v[96:97], v[90:91]
	ds_load_b128 v[90:93], v1 offset:656
	s_waitcnt lgkmcnt(0)
	v_fma_f64 v[1:2], v[106:107], v[90:91], v[94:95]
	s_waitcnt vmcnt(0)
	v_fma_f64 v[1:2], v[108:109], v[92:93], v[1:2]
	s_delay_alu instid0(VALU_DEP_1)
	v_add_f64 v[1:2], v[88:89], -v[1:2]
	scratch_store_b64 off, v[1:2], off offset:248
	v_cmpx_lt_u32_e32 30, v0
	s_cbranch_execz .LBB41_201
; %bb.200:
	scratch_load_b64 v[1:2], off, off offset:240
	v_mov_b32_e32 v88, 0
	s_delay_alu instid0(VALU_DEP_1)
	v_mov_b32_e32 v89, v88
	scratch_store_b64 off, v[88:89], off offset:240
	s_waitcnt vmcnt(0)
	ds_store_b64 v3, v[1:2]
.LBB41_201:
	s_or_b32 exec_lo, exec_lo, s0
	s_waitcnt lgkmcnt(0)
	s_waitcnt_vscnt null, 0x0
	s_barrier
	buffer_gl0_inv
	s_clause 0x4
	scratch_load_b128 v[88:91], off, off offset:240
	scratch_load_b128 v[92:95], off, off offset:256
	;; [unrolled: 1-line block ×5, first 2 shown]
	v_mov_b32_e32 v1, 0
	ds_load_2addr_b64 v[108:111], v1 offset0:73 offset1:74
	ds_load_2addr_b64 v[112:115], v1 offset0:75 offset1:76
	scratch_load_b128 v[116:119], off, off offset:320
	s_mov_b32 s0, exec_lo
	s_waitcnt vmcnt(5) lgkmcnt(1)
	v_fma_f64 v[90:91], v[90:91], v[108:109], 0
	s_waitcnt vmcnt(4)
	s_delay_alu instid0(VALU_DEP_1) | instskip(SKIP_1) | instid1(VALU_DEP_1)
	v_fma_f64 v[90:91], v[92:93], v[110:111], v[90:91]
	s_waitcnt lgkmcnt(0)
	v_fma_f64 v[90:91], v[94:95], v[112:113], v[90:91]
	s_waitcnt vmcnt(3)
	s_delay_alu instid0(VALU_DEP_1)
	v_fma_f64 v[108:109], v[96:97], v[114:115], v[90:91]
	ds_load_2addr_b64 v[90:93], v1 offset0:77 offset1:78
	ds_load_2addr_b64 v[94:97], v1 offset0:79 offset1:80
	s_waitcnt lgkmcnt(1)
	v_fma_f64 v[90:91], v[98:99], v[90:91], v[108:109]
	s_waitcnt vmcnt(2)
	s_delay_alu instid0(VALU_DEP_1) | instskip(SKIP_1) | instid1(VALU_DEP_1)
	v_fma_f64 v[90:91], v[100:101], v[92:93], v[90:91]
	s_waitcnt lgkmcnt(0)
	v_fma_f64 v[90:91], v[102:103], v[94:95], v[90:91]
	s_waitcnt vmcnt(1)
	s_delay_alu instid0(VALU_DEP_1)
	v_fma_f64 v[94:95], v[104:105], v[96:97], v[90:91]
	ds_load_2addr_b64 v[90:93], v1 offset0:81 offset1:82
	ds_load_b64 v[96:97], v1 offset:664
	s_waitcnt lgkmcnt(1)
	v_fma_f64 v[90:91], v[106:107], v[90:91], v[94:95]
	s_waitcnt vmcnt(0)
	s_delay_alu instid0(VALU_DEP_1) | instskip(SKIP_1) | instid1(VALU_DEP_1)
	v_fma_f64 v[90:91], v[116:117], v[92:93], v[90:91]
	s_waitcnt lgkmcnt(0)
	v_fma_f64 v[90:91], v[118:119], v[96:97], v[90:91]
	s_delay_alu instid0(VALU_DEP_1)
	v_add_f64 v[88:89], v[88:89], -v[90:91]
	scratch_store_b64 off, v[88:89], off offset:240
	v_cmpx_lt_u32_e32 29, v0
	s_cbranch_execz .LBB41_203
; %bb.202:
	scratch_load_b64 v[88:89], off, off offset:232
	v_mov_b32_e32 v2, v1
	scratch_store_b64 off, v[1:2], off offset:232
	s_waitcnt vmcnt(0)
	ds_store_b64 v3, v[88:89]
.LBB41_203:
	s_or_b32 exec_lo, exec_lo, s0
	s_waitcnt lgkmcnt(0)
	s_waitcnt_vscnt null, 0x0
	s_barrier
	buffer_gl0_inv
	s_clause 0x4
	scratch_load_b128 v[88:91], off, off offset:232
	scratch_load_b128 v[92:95], off, off offset:248
	;; [unrolled: 1-line block ×5, first 2 shown]
	ds_load_b128 v[108:111], v1 offset:576
	ds_load_b128 v[112:115], v1 offset:592
	scratch_load_b128 v[116:119], off, off offset:312
	s_mov_b32 s0, exec_lo
	s_waitcnt vmcnt(5) lgkmcnt(1)
	v_fma_f64 v[90:91], v[90:91], v[108:109], 0
	scratch_load_b64 v[108:109], off, off offset:328
	s_waitcnt vmcnt(5)
	v_fma_f64 v[90:91], v[92:93], v[110:111], v[90:91]
	s_waitcnt lgkmcnt(0)
	s_delay_alu instid0(VALU_DEP_1) | instskip(SKIP_1) | instid1(VALU_DEP_1)
	v_fma_f64 v[90:91], v[94:95], v[112:113], v[90:91]
	s_waitcnt vmcnt(4)
	v_fma_f64 v[110:111], v[96:97], v[114:115], v[90:91]
	ds_load_b128 v[90:93], v1 offset:608
	ds_load_b128 v[94:97], v1 offset:624
	s_waitcnt lgkmcnt(1)
	v_fma_f64 v[90:91], v[98:99], v[90:91], v[110:111]
	s_waitcnt vmcnt(3)
	s_delay_alu instid0(VALU_DEP_1) | instskip(SKIP_1) | instid1(VALU_DEP_1)
	v_fma_f64 v[90:91], v[100:101], v[92:93], v[90:91]
	s_waitcnt lgkmcnt(0)
	v_fma_f64 v[90:91], v[102:103], v[94:95], v[90:91]
	s_waitcnt vmcnt(2)
	s_delay_alu instid0(VALU_DEP_1)
	v_fma_f64 v[98:99], v[104:105], v[96:97], v[90:91]
	ds_load_b128 v[90:93], v1 offset:640
	ds_load_b128 v[94:97], v1 offset:656
	s_waitcnt lgkmcnt(1)
	v_fma_f64 v[1:2], v[106:107], v[90:91], v[98:99]
	s_waitcnt vmcnt(1)
	s_delay_alu instid0(VALU_DEP_1) | instskip(SKIP_1) | instid1(VALU_DEP_1)
	v_fma_f64 v[1:2], v[116:117], v[92:93], v[1:2]
	s_waitcnt lgkmcnt(0)
	v_fma_f64 v[1:2], v[118:119], v[94:95], v[1:2]
	s_waitcnt vmcnt(0)
	s_delay_alu instid0(VALU_DEP_1) | instskip(NEXT) | instid1(VALU_DEP_1)
	v_fma_f64 v[1:2], v[108:109], v[96:97], v[1:2]
	v_add_f64 v[1:2], v[88:89], -v[1:2]
	scratch_store_b64 off, v[1:2], off offset:232
	v_cmpx_lt_u32_e32 28, v0
	s_cbranch_execz .LBB41_205
; %bb.204:
	scratch_load_b64 v[1:2], off, off offset:224
	v_mov_b32_e32 v88, 0
	s_delay_alu instid0(VALU_DEP_1)
	v_mov_b32_e32 v89, v88
	scratch_store_b64 off, v[88:89], off offset:224
	s_waitcnt vmcnt(0)
	ds_store_b64 v3, v[1:2]
.LBB41_205:
	s_or_b32 exec_lo, exec_lo, s0
	s_waitcnt lgkmcnt(0)
	s_waitcnt_vscnt null, 0x0
	s_barrier
	buffer_gl0_inv
	s_clause 0x4
	scratch_load_b128 v[88:91], off, off offset:224
	scratch_load_b128 v[92:95], off, off offset:240
	;; [unrolled: 1-line block ×5, first 2 shown]
	v_mov_b32_e32 v1, 0
	ds_load_2addr_b64 v[108:111], v1 offset0:71 offset1:72
	ds_load_2addr_b64 v[112:115], v1 offset0:73 offset1:74
	scratch_load_b128 v[116:119], off, off offset:304
	s_mov_b32 s0, exec_lo
	s_waitcnt vmcnt(5) lgkmcnt(1)
	v_fma_f64 v[90:91], v[90:91], v[108:109], 0
	s_waitcnt vmcnt(4)
	s_delay_alu instid0(VALU_DEP_1) | instskip(SKIP_1) | instid1(VALU_DEP_1)
	v_fma_f64 v[90:91], v[92:93], v[110:111], v[90:91]
	s_waitcnt lgkmcnt(0)
	v_fma_f64 v[94:95], v[94:95], v[112:113], v[90:91]
	scratch_load_b128 v[90:93], off, off offset:320
	s_waitcnt vmcnt(4)
	v_fma_f64 v[112:113], v[96:97], v[114:115], v[94:95]
	ds_load_2addr_b64 v[94:97], v1 offset0:75 offset1:76
	ds_load_2addr_b64 v[108:111], v1 offset0:77 offset1:78
	s_waitcnt lgkmcnt(1)
	v_fma_f64 v[94:95], v[98:99], v[94:95], v[112:113]
	s_waitcnt vmcnt(3)
	s_delay_alu instid0(VALU_DEP_1) | instskip(SKIP_1) | instid1(VALU_DEP_1)
	v_fma_f64 v[94:95], v[100:101], v[96:97], v[94:95]
	s_waitcnt lgkmcnt(0)
	v_fma_f64 v[94:95], v[102:103], v[108:109], v[94:95]
	s_waitcnt vmcnt(2)
	s_delay_alu instid0(VALU_DEP_1)
	v_fma_f64 v[102:103], v[104:105], v[110:111], v[94:95]
	ds_load_2addr_b64 v[94:97], v1 offset0:79 offset1:80
	ds_load_2addr_b64 v[98:101], v1 offset0:81 offset1:82
	s_waitcnt lgkmcnt(1)
	v_fma_f64 v[94:95], v[106:107], v[94:95], v[102:103]
	s_waitcnt vmcnt(1)
	s_delay_alu instid0(VALU_DEP_1) | instskip(SKIP_1) | instid1(VALU_DEP_1)
	v_fma_f64 v[94:95], v[116:117], v[96:97], v[94:95]
	s_waitcnt lgkmcnt(0)
	v_fma_f64 v[94:95], v[118:119], v[98:99], v[94:95]
	s_waitcnt vmcnt(0)
	s_delay_alu instid0(VALU_DEP_1) | instskip(SKIP_3) | instid1(VALU_DEP_1)
	v_fma_f64 v[90:91], v[90:91], v[100:101], v[94:95]
	ds_load_b64 v[94:95], v1 offset:664
	s_waitcnt lgkmcnt(0)
	v_fma_f64 v[90:91], v[92:93], v[94:95], v[90:91]
	v_add_f64 v[88:89], v[88:89], -v[90:91]
	scratch_store_b64 off, v[88:89], off offset:224
	v_cmpx_lt_u32_e32 27, v0
	s_cbranch_execz .LBB41_207
; %bb.206:
	scratch_load_b64 v[88:89], off, off offset:216
	v_mov_b32_e32 v2, v1
	scratch_store_b64 off, v[1:2], off offset:216
	s_waitcnt vmcnt(0)
	ds_store_b64 v3, v[88:89]
.LBB41_207:
	s_or_b32 exec_lo, exec_lo, s0
	s_waitcnt lgkmcnt(0)
	s_waitcnt_vscnt null, 0x0
	s_barrier
	buffer_gl0_inv
	s_clause 0x4
	scratch_load_b128 v[88:91], off, off offset:216
	scratch_load_b128 v[92:95], off, off offset:232
	;; [unrolled: 1-line block ×5, first 2 shown]
	ds_load_b128 v[108:111], v1 offset:560
	ds_load_b128 v[112:115], v1 offset:576
	scratch_load_b128 v[116:119], off, off offset:296
	s_mov_b32 s0, exec_lo
	s_waitcnt vmcnt(5) lgkmcnt(1)
	v_fma_f64 v[90:91], v[90:91], v[108:109], 0
	s_waitcnt vmcnt(4)
	s_delay_alu instid0(VALU_DEP_1) | instskip(SKIP_1) | instid1(VALU_DEP_1)
	v_fma_f64 v[90:91], v[92:93], v[110:111], v[90:91]
	s_waitcnt lgkmcnt(0)
	v_fma_f64 v[94:95], v[94:95], v[112:113], v[90:91]
	scratch_load_b128 v[90:93], off, off offset:312
	s_waitcnt vmcnt(4)
	v_fma_f64 v[112:113], v[96:97], v[114:115], v[94:95]
	ds_load_b128 v[94:97], v1 offset:592
	ds_load_b128 v[108:111], v1 offset:608
	s_waitcnt lgkmcnt(1)
	v_fma_f64 v[94:95], v[98:99], v[94:95], v[112:113]
	scratch_load_b64 v[112:113], off, off offset:328
	s_waitcnt vmcnt(4)
	v_fma_f64 v[94:95], v[100:101], v[96:97], v[94:95]
	s_waitcnt lgkmcnt(0)
	s_delay_alu instid0(VALU_DEP_1) | instskip(SKIP_1) | instid1(VALU_DEP_1)
	v_fma_f64 v[94:95], v[102:103], v[108:109], v[94:95]
	s_waitcnt vmcnt(3)
	v_fma_f64 v[102:103], v[104:105], v[110:111], v[94:95]
	ds_load_b128 v[94:97], v1 offset:624
	ds_load_b128 v[98:101], v1 offset:640
	s_waitcnt lgkmcnt(1)
	v_fma_f64 v[94:95], v[106:107], v[94:95], v[102:103]
	s_waitcnt vmcnt(2)
	s_delay_alu instid0(VALU_DEP_1) | instskip(SKIP_1) | instid1(VALU_DEP_1)
	v_fma_f64 v[94:95], v[116:117], v[96:97], v[94:95]
	s_waitcnt lgkmcnt(0)
	v_fma_f64 v[94:95], v[118:119], v[98:99], v[94:95]
	s_waitcnt vmcnt(1)
	s_delay_alu instid0(VALU_DEP_1) | instskip(SKIP_4) | instid1(VALU_DEP_1)
	v_fma_f64 v[90:91], v[90:91], v[100:101], v[94:95]
	ds_load_b128 v[94:97], v1 offset:656
	s_waitcnt lgkmcnt(0)
	v_fma_f64 v[1:2], v[92:93], v[94:95], v[90:91]
	s_waitcnt vmcnt(0)
	v_fma_f64 v[1:2], v[112:113], v[96:97], v[1:2]
	s_delay_alu instid0(VALU_DEP_1)
	v_add_f64 v[1:2], v[88:89], -v[1:2]
	scratch_store_b64 off, v[1:2], off offset:216
	v_cmpx_lt_u32_e32 26, v0
	s_cbranch_execz .LBB41_209
; %bb.208:
	scratch_load_b64 v[1:2], off, off offset:208
	v_mov_b32_e32 v88, 0
	s_delay_alu instid0(VALU_DEP_1)
	v_mov_b32_e32 v89, v88
	scratch_store_b64 off, v[88:89], off offset:208
	s_waitcnt vmcnt(0)
	ds_store_b64 v3, v[1:2]
.LBB41_209:
	s_or_b32 exec_lo, exec_lo, s0
	s_waitcnt lgkmcnt(0)
	s_waitcnt_vscnt null, 0x0
	s_barrier
	buffer_gl0_inv
	s_clause 0x4
	scratch_load_b128 v[88:91], off, off offset:208
	scratch_load_b128 v[92:95], off, off offset:224
	scratch_load_b128 v[96:99], off, off offset:240
	scratch_load_b128 v[100:103], off, off offset:256
	scratch_load_b128 v[104:107], off, off offset:272
	v_mov_b32_e32 v1, 0
	ds_load_2addr_b64 v[108:111], v1 offset0:69 offset1:70
	ds_load_2addr_b64 v[112:115], v1 offset0:71 offset1:72
	scratch_load_b128 v[116:119], off, off offset:288
	s_mov_b32 s0, exec_lo
	s_waitcnt vmcnt(5) lgkmcnt(1)
	v_fma_f64 v[90:91], v[90:91], v[108:109], 0
	s_waitcnt vmcnt(4)
	s_delay_alu instid0(VALU_DEP_1) | instskip(SKIP_1) | instid1(VALU_DEP_1)
	v_fma_f64 v[90:91], v[92:93], v[110:111], v[90:91]
	s_waitcnt lgkmcnt(0)
	v_fma_f64 v[94:95], v[94:95], v[112:113], v[90:91]
	scratch_load_b128 v[90:93], off, off offset:304
	s_waitcnt vmcnt(4)
	v_fma_f64 v[112:113], v[96:97], v[114:115], v[94:95]
	ds_load_2addr_b64 v[94:97], v1 offset0:73 offset1:74
	ds_load_2addr_b64 v[108:111], v1 offset0:75 offset1:76
	s_waitcnt lgkmcnt(1)
	v_fma_f64 v[94:95], v[98:99], v[94:95], v[112:113]
	scratch_load_b128 v[112:115], off, off offset:320
	s_waitcnt vmcnt(4)
	v_fma_f64 v[94:95], v[100:101], v[96:97], v[94:95]
	s_waitcnt lgkmcnt(0)
	s_delay_alu instid0(VALU_DEP_1) | instskip(SKIP_1) | instid1(VALU_DEP_1)
	v_fma_f64 v[94:95], v[102:103], v[108:109], v[94:95]
	s_waitcnt vmcnt(3)
	v_fma_f64 v[102:103], v[104:105], v[110:111], v[94:95]
	ds_load_2addr_b64 v[94:97], v1 offset0:77 offset1:78
	ds_load_2addr_b64 v[98:101], v1 offset0:79 offset1:80
	s_waitcnt lgkmcnt(1)
	v_fma_f64 v[94:95], v[106:107], v[94:95], v[102:103]
	s_waitcnt vmcnt(2)
	s_delay_alu instid0(VALU_DEP_1) | instskip(SKIP_1) | instid1(VALU_DEP_1)
	v_fma_f64 v[94:95], v[116:117], v[96:97], v[94:95]
	s_waitcnt lgkmcnt(0)
	v_fma_f64 v[94:95], v[118:119], v[98:99], v[94:95]
	s_waitcnt vmcnt(1)
	s_delay_alu instid0(VALU_DEP_1)
	v_fma_f64 v[90:91], v[90:91], v[100:101], v[94:95]
	ds_load_2addr_b64 v[94:97], v1 offset0:81 offset1:82
	ds_load_b64 v[98:99], v1 offset:664
	s_waitcnt lgkmcnt(1)
	v_fma_f64 v[90:91], v[92:93], v[94:95], v[90:91]
	s_waitcnt vmcnt(0)
	s_delay_alu instid0(VALU_DEP_1) | instskip(SKIP_1) | instid1(VALU_DEP_1)
	v_fma_f64 v[90:91], v[112:113], v[96:97], v[90:91]
	s_waitcnt lgkmcnt(0)
	v_fma_f64 v[90:91], v[114:115], v[98:99], v[90:91]
	s_delay_alu instid0(VALU_DEP_1)
	v_add_f64 v[88:89], v[88:89], -v[90:91]
	scratch_store_b64 off, v[88:89], off offset:208
	v_cmpx_lt_u32_e32 25, v0
	s_cbranch_execz .LBB41_211
; %bb.210:
	scratch_load_b64 v[88:89], off, off offset:200
	v_mov_b32_e32 v2, v1
	scratch_store_b64 off, v[1:2], off offset:200
	s_waitcnt vmcnt(0)
	ds_store_b64 v3, v[88:89]
.LBB41_211:
	s_or_b32 exec_lo, exec_lo, s0
	s_waitcnt lgkmcnt(0)
	s_waitcnt_vscnt null, 0x0
	s_barrier
	buffer_gl0_inv
	s_clause 0x4
	scratch_load_b128 v[88:91], off, off offset:200
	scratch_load_b128 v[92:95], off, off offset:216
	;; [unrolled: 1-line block ×5, first 2 shown]
	ds_load_b128 v[108:111], v1 offset:544
	ds_load_b128 v[112:115], v1 offset:560
	scratch_load_b128 v[116:119], off, off offset:280
	s_mov_b32 s0, exec_lo
	s_waitcnt vmcnt(5) lgkmcnt(1)
	v_fma_f64 v[90:91], v[90:91], v[108:109], 0
	s_waitcnt vmcnt(4)
	s_delay_alu instid0(VALU_DEP_1) | instskip(SKIP_1) | instid1(VALU_DEP_1)
	v_fma_f64 v[90:91], v[92:93], v[110:111], v[90:91]
	s_waitcnt lgkmcnt(0)
	v_fma_f64 v[94:95], v[94:95], v[112:113], v[90:91]
	scratch_load_b128 v[90:93], off, off offset:296
	s_waitcnt vmcnt(4)
	v_fma_f64 v[112:113], v[96:97], v[114:115], v[94:95]
	ds_load_b128 v[94:97], v1 offset:576
	ds_load_b128 v[108:111], v1 offset:592
	s_waitcnt lgkmcnt(1)
	v_fma_f64 v[94:95], v[98:99], v[94:95], v[112:113]
	scratch_load_b128 v[112:115], off, off offset:312
	s_waitcnt vmcnt(4)
	v_fma_f64 v[94:95], v[100:101], v[96:97], v[94:95]
	s_waitcnt lgkmcnt(0)
	s_delay_alu instid0(VALU_DEP_1)
	v_fma_f64 v[94:95], v[102:103], v[108:109], v[94:95]
	scratch_load_b64 v[102:103], off, off offset:328
	s_waitcnt vmcnt(4)
	v_fma_f64 v[104:105], v[104:105], v[110:111], v[94:95]
	ds_load_b128 v[94:97], v1 offset:608
	ds_load_b128 v[98:101], v1 offset:624
	s_waitcnt lgkmcnt(1)
	v_fma_f64 v[94:95], v[106:107], v[94:95], v[104:105]
	s_waitcnt vmcnt(3)
	s_delay_alu instid0(VALU_DEP_1) | instskip(SKIP_1) | instid1(VALU_DEP_1)
	v_fma_f64 v[94:95], v[116:117], v[96:97], v[94:95]
	s_waitcnt lgkmcnt(0)
	v_fma_f64 v[94:95], v[118:119], v[98:99], v[94:95]
	s_waitcnt vmcnt(2)
	s_delay_alu instid0(VALU_DEP_1)
	v_fma_f64 v[90:91], v[90:91], v[100:101], v[94:95]
	ds_load_b128 v[94:97], v1 offset:640
	ds_load_b128 v[98:101], v1 offset:656
	s_waitcnt lgkmcnt(1)
	v_fma_f64 v[1:2], v[92:93], v[94:95], v[90:91]
	s_waitcnt vmcnt(1)
	s_delay_alu instid0(VALU_DEP_1) | instskip(SKIP_1) | instid1(VALU_DEP_1)
	v_fma_f64 v[1:2], v[112:113], v[96:97], v[1:2]
	s_waitcnt lgkmcnt(0)
	v_fma_f64 v[1:2], v[114:115], v[98:99], v[1:2]
	s_waitcnt vmcnt(0)
	s_delay_alu instid0(VALU_DEP_1) | instskip(NEXT) | instid1(VALU_DEP_1)
	v_fma_f64 v[1:2], v[102:103], v[100:101], v[1:2]
	v_add_f64 v[1:2], v[88:89], -v[1:2]
	scratch_store_b64 off, v[1:2], off offset:200
	v_cmpx_lt_u32_e32 24, v0
	s_cbranch_execz .LBB41_213
; %bb.212:
	scratch_load_b64 v[1:2], off, off offset:192
	v_mov_b32_e32 v88, 0
	s_delay_alu instid0(VALU_DEP_1)
	v_mov_b32_e32 v89, v88
	scratch_store_b64 off, v[88:89], off offset:192
	s_waitcnt vmcnt(0)
	ds_store_b64 v3, v[1:2]
.LBB41_213:
	s_or_b32 exec_lo, exec_lo, s0
	s_waitcnt lgkmcnt(0)
	s_waitcnt_vscnt null, 0x0
	s_barrier
	buffer_gl0_inv
	s_clause 0x4
	scratch_load_b128 v[88:91], off, off offset:192
	scratch_load_b128 v[92:95], off, off offset:208
	;; [unrolled: 1-line block ×5, first 2 shown]
	v_mov_b32_e32 v1, 0
	ds_load_2addr_b64 v[108:111], v1 offset0:67 offset1:68
	ds_load_2addr_b64 v[112:115], v1 offset0:69 offset1:70
	scratch_load_b128 v[116:119], off, off offset:272
	s_mov_b32 s0, exec_lo
	s_waitcnt vmcnt(5) lgkmcnt(1)
	v_fma_f64 v[90:91], v[90:91], v[108:109], 0
	s_waitcnt vmcnt(4)
	s_delay_alu instid0(VALU_DEP_1) | instskip(SKIP_1) | instid1(VALU_DEP_1)
	v_fma_f64 v[90:91], v[92:93], v[110:111], v[90:91]
	s_waitcnt lgkmcnt(0)
	v_fma_f64 v[94:95], v[94:95], v[112:113], v[90:91]
	scratch_load_b128 v[90:93], off, off offset:288
	s_waitcnt vmcnt(4)
	v_fma_f64 v[112:113], v[96:97], v[114:115], v[94:95]
	ds_load_2addr_b64 v[94:97], v1 offset0:71 offset1:72
	ds_load_2addr_b64 v[108:111], v1 offset0:73 offset1:74
	s_waitcnt lgkmcnt(1)
	v_fma_f64 v[94:95], v[98:99], v[94:95], v[112:113]
	scratch_load_b128 v[112:115], off, off offset:304
	s_waitcnt vmcnt(4)
	v_fma_f64 v[94:95], v[100:101], v[96:97], v[94:95]
	s_waitcnt lgkmcnt(0)
	s_delay_alu instid0(VALU_DEP_1)
	v_fma_f64 v[98:99], v[102:103], v[108:109], v[94:95]
	scratch_load_b128 v[94:97], off, off offset:320
	s_waitcnt vmcnt(4)
	v_fma_f64 v[108:109], v[104:105], v[110:111], v[98:99]
	ds_load_2addr_b64 v[98:101], v1 offset0:75 offset1:76
	ds_load_2addr_b64 v[102:105], v1 offset0:77 offset1:78
	s_waitcnt lgkmcnt(1)
	v_fma_f64 v[98:99], v[106:107], v[98:99], v[108:109]
	s_waitcnt vmcnt(3)
	s_delay_alu instid0(VALU_DEP_1) | instskip(SKIP_1) | instid1(VALU_DEP_1)
	v_fma_f64 v[98:99], v[116:117], v[100:101], v[98:99]
	s_waitcnt lgkmcnt(0)
	v_fma_f64 v[98:99], v[118:119], v[102:103], v[98:99]
	s_waitcnt vmcnt(2)
	s_delay_alu instid0(VALU_DEP_1)
	v_fma_f64 v[90:91], v[90:91], v[104:105], v[98:99]
	ds_load_2addr_b64 v[98:101], v1 offset0:79 offset1:80
	ds_load_2addr_b64 v[102:105], v1 offset0:81 offset1:82
	s_waitcnt lgkmcnt(1)
	v_fma_f64 v[90:91], v[92:93], v[98:99], v[90:91]
	ds_load_b64 v[92:93], v1 offset:664
	s_waitcnt vmcnt(1)
	v_fma_f64 v[90:91], v[112:113], v[100:101], v[90:91]
	s_waitcnt lgkmcnt(1)
	s_delay_alu instid0(VALU_DEP_1) | instskip(SKIP_1) | instid1(VALU_DEP_1)
	v_fma_f64 v[90:91], v[114:115], v[102:103], v[90:91]
	s_waitcnt vmcnt(0)
	v_fma_f64 v[90:91], v[94:95], v[104:105], v[90:91]
	s_waitcnt lgkmcnt(0)
	s_delay_alu instid0(VALU_DEP_1) | instskip(NEXT) | instid1(VALU_DEP_1)
	v_fma_f64 v[90:91], v[96:97], v[92:93], v[90:91]
	v_add_f64 v[88:89], v[88:89], -v[90:91]
	scratch_store_b64 off, v[88:89], off offset:192
	v_cmpx_lt_u32_e32 23, v0
	s_cbranch_execz .LBB41_215
; %bb.214:
	scratch_load_b64 v[88:89], off, off offset:184
	v_mov_b32_e32 v2, v1
	scratch_store_b64 off, v[1:2], off offset:184
	s_waitcnt vmcnt(0)
	ds_store_b64 v3, v[88:89]
.LBB41_215:
	s_or_b32 exec_lo, exec_lo, s0
	s_waitcnt lgkmcnt(0)
	s_waitcnt_vscnt null, 0x0
	s_barrier
	buffer_gl0_inv
	s_clause 0x4
	scratch_load_b128 v[88:91], off, off offset:184
	scratch_load_b128 v[92:95], off, off offset:200
	;; [unrolled: 1-line block ×5, first 2 shown]
	ds_load_b128 v[108:111], v1 offset:528
	ds_load_b128 v[112:115], v1 offset:544
	scratch_load_b128 v[116:119], off, off offset:264
	s_mov_b32 s0, exec_lo
	s_waitcnt vmcnt(5) lgkmcnt(1)
	v_fma_f64 v[90:91], v[90:91], v[108:109], 0
	s_waitcnt vmcnt(4)
	s_delay_alu instid0(VALU_DEP_1) | instskip(SKIP_1) | instid1(VALU_DEP_1)
	v_fma_f64 v[90:91], v[92:93], v[110:111], v[90:91]
	s_waitcnt lgkmcnt(0)
	v_fma_f64 v[94:95], v[94:95], v[112:113], v[90:91]
	scratch_load_b128 v[90:93], off, off offset:280
	s_waitcnt vmcnt(4)
	v_fma_f64 v[112:113], v[96:97], v[114:115], v[94:95]
	ds_load_b128 v[94:97], v1 offset:560
	ds_load_b128 v[108:111], v1 offset:576
	s_waitcnt lgkmcnt(1)
	v_fma_f64 v[94:95], v[98:99], v[94:95], v[112:113]
	scratch_load_b128 v[112:115], off, off offset:296
	s_waitcnt vmcnt(4)
	v_fma_f64 v[94:95], v[100:101], v[96:97], v[94:95]
	s_waitcnt lgkmcnt(0)
	s_delay_alu instid0(VALU_DEP_1)
	v_fma_f64 v[98:99], v[102:103], v[108:109], v[94:95]
	scratch_load_b128 v[94:97], off, off offset:312
	s_waitcnt vmcnt(4)
	v_fma_f64 v[108:109], v[104:105], v[110:111], v[98:99]
	ds_load_b128 v[98:101], v1 offset:592
	ds_load_b128 v[102:105], v1 offset:608
	s_waitcnt lgkmcnt(1)
	v_fma_f64 v[98:99], v[106:107], v[98:99], v[108:109]
	scratch_load_b64 v[106:107], off, off offset:328
	s_waitcnt vmcnt(4)
	v_fma_f64 v[98:99], v[116:117], v[100:101], v[98:99]
	s_waitcnt lgkmcnt(0)
	s_delay_alu instid0(VALU_DEP_1) | instskip(SKIP_1) | instid1(VALU_DEP_1)
	v_fma_f64 v[98:99], v[118:119], v[102:103], v[98:99]
	s_waitcnt vmcnt(3)
	v_fma_f64 v[90:91], v[90:91], v[104:105], v[98:99]
	ds_load_b128 v[98:101], v1 offset:624
	ds_load_b128 v[102:105], v1 offset:640
	s_waitcnt lgkmcnt(1)
	v_fma_f64 v[90:91], v[92:93], v[98:99], v[90:91]
	s_waitcnt vmcnt(2)
	s_delay_alu instid0(VALU_DEP_1) | instskip(SKIP_1) | instid1(VALU_DEP_1)
	v_fma_f64 v[90:91], v[112:113], v[100:101], v[90:91]
	s_waitcnt lgkmcnt(0)
	v_fma_f64 v[90:91], v[114:115], v[102:103], v[90:91]
	s_waitcnt vmcnt(1)
	s_delay_alu instid0(VALU_DEP_1) | instskip(SKIP_4) | instid1(VALU_DEP_1)
	v_fma_f64 v[94:95], v[94:95], v[104:105], v[90:91]
	ds_load_b128 v[90:93], v1 offset:656
	s_waitcnt lgkmcnt(0)
	v_fma_f64 v[1:2], v[96:97], v[90:91], v[94:95]
	s_waitcnt vmcnt(0)
	v_fma_f64 v[1:2], v[106:107], v[92:93], v[1:2]
	s_delay_alu instid0(VALU_DEP_1)
	v_add_f64 v[1:2], v[88:89], -v[1:2]
	scratch_store_b64 off, v[1:2], off offset:184
	v_cmpx_lt_u32_e32 22, v0
	s_cbranch_execz .LBB41_217
; %bb.216:
	scratch_load_b64 v[1:2], off, off offset:176
	v_mov_b32_e32 v88, 0
	s_delay_alu instid0(VALU_DEP_1)
	v_mov_b32_e32 v89, v88
	scratch_store_b64 off, v[88:89], off offset:176
	s_waitcnt vmcnt(0)
	ds_store_b64 v3, v[1:2]
.LBB41_217:
	s_or_b32 exec_lo, exec_lo, s0
	s_waitcnt lgkmcnt(0)
	s_waitcnt_vscnt null, 0x0
	s_barrier
	buffer_gl0_inv
	s_clause 0x4
	scratch_load_b128 v[88:91], off, off offset:176
	scratch_load_b128 v[92:95], off, off offset:192
	scratch_load_b128 v[96:99], off, off offset:208
	scratch_load_b128 v[100:103], off, off offset:224
	scratch_load_b128 v[104:107], off, off offset:240
	v_mov_b32_e32 v1, 0
	ds_load_2addr_b64 v[108:111], v1 offset0:65 offset1:66
	ds_load_2addr_b64 v[112:115], v1 offset0:67 offset1:68
	scratch_load_b128 v[116:119], off, off offset:256
	s_mov_b32 s0, exec_lo
	s_waitcnt vmcnt(5) lgkmcnt(1)
	v_fma_f64 v[90:91], v[90:91], v[108:109], 0
	s_waitcnt vmcnt(4)
	s_delay_alu instid0(VALU_DEP_1) | instskip(SKIP_1) | instid1(VALU_DEP_1)
	v_fma_f64 v[90:91], v[92:93], v[110:111], v[90:91]
	s_waitcnt lgkmcnt(0)
	v_fma_f64 v[94:95], v[94:95], v[112:113], v[90:91]
	scratch_load_b128 v[90:93], off, off offset:272
	s_waitcnt vmcnt(4)
	v_fma_f64 v[112:113], v[96:97], v[114:115], v[94:95]
	ds_load_2addr_b64 v[94:97], v1 offset0:69 offset1:70
	ds_load_2addr_b64 v[108:111], v1 offset0:71 offset1:72
	s_waitcnt lgkmcnt(1)
	v_fma_f64 v[94:95], v[98:99], v[94:95], v[112:113]
	scratch_load_b128 v[112:115], off, off offset:288
	s_waitcnt vmcnt(4)
	v_fma_f64 v[94:95], v[100:101], v[96:97], v[94:95]
	s_waitcnt lgkmcnt(0)
	s_delay_alu instid0(VALU_DEP_1)
	v_fma_f64 v[98:99], v[102:103], v[108:109], v[94:95]
	scratch_load_b128 v[94:97], off, off offset:304
	s_waitcnt vmcnt(4)
	v_fma_f64 v[108:109], v[104:105], v[110:111], v[98:99]
	ds_load_2addr_b64 v[98:101], v1 offset0:73 offset1:74
	ds_load_2addr_b64 v[102:105], v1 offset0:75 offset1:76
	s_waitcnt lgkmcnt(1)
	v_fma_f64 v[98:99], v[106:107], v[98:99], v[108:109]
	scratch_load_b128 v[106:109], off, off offset:320
	s_waitcnt vmcnt(4)
	v_fma_f64 v[98:99], v[116:117], v[100:101], v[98:99]
	s_waitcnt lgkmcnt(0)
	s_delay_alu instid0(VALU_DEP_1) | instskip(SKIP_1) | instid1(VALU_DEP_1)
	v_fma_f64 v[98:99], v[118:119], v[102:103], v[98:99]
	s_waitcnt vmcnt(3)
	v_fma_f64 v[90:91], v[90:91], v[104:105], v[98:99]
	ds_load_2addr_b64 v[98:101], v1 offset0:77 offset1:78
	ds_load_2addr_b64 v[102:105], v1 offset0:79 offset1:80
	s_waitcnt lgkmcnt(1)
	v_fma_f64 v[90:91], v[92:93], v[98:99], v[90:91]
	s_waitcnt vmcnt(2)
	s_delay_alu instid0(VALU_DEP_1) | instskip(SKIP_1) | instid1(VALU_DEP_1)
	v_fma_f64 v[90:91], v[112:113], v[100:101], v[90:91]
	s_waitcnt lgkmcnt(0)
	v_fma_f64 v[90:91], v[114:115], v[102:103], v[90:91]
	s_waitcnt vmcnt(1)
	s_delay_alu instid0(VALU_DEP_1)
	v_fma_f64 v[94:95], v[94:95], v[104:105], v[90:91]
	ds_load_2addr_b64 v[90:93], v1 offset0:81 offset1:82
	ds_load_b64 v[98:99], v1 offset:664
	s_waitcnt lgkmcnt(1)
	v_fma_f64 v[90:91], v[96:97], v[90:91], v[94:95]
	s_waitcnt vmcnt(0)
	s_delay_alu instid0(VALU_DEP_1) | instskip(SKIP_1) | instid1(VALU_DEP_1)
	v_fma_f64 v[90:91], v[106:107], v[92:93], v[90:91]
	s_waitcnt lgkmcnt(0)
	v_fma_f64 v[90:91], v[108:109], v[98:99], v[90:91]
	s_delay_alu instid0(VALU_DEP_1)
	v_add_f64 v[88:89], v[88:89], -v[90:91]
	scratch_store_b64 off, v[88:89], off offset:176
	v_cmpx_lt_u32_e32 21, v0
	s_cbranch_execz .LBB41_219
; %bb.218:
	scratch_load_b64 v[88:89], off, off offset:168
	v_mov_b32_e32 v2, v1
	scratch_store_b64 off, v[1:2], off offset:168
	s_waitcnt vmcnt(0)
	ds_store_b64 v3, v[88:89]
.LBB41_219:
	s_or_b32 exec_lo, exec_lo, s0
	s_waitcnt lgkmcnt(0)
	s_waitcnt_vscnt null, 0x0
	s_barrier
	buffer_gl0_inv
	s_clause 0x4
	scratch_load_b128 v[88:91], off, off offset:168
	scratch_load_b128 v[92:95], off, off offset:184
	;; [unrolled: 1-line block ×5, first 2 shown]
	ds_load_b128 v[108:111], v1 offset:512
	ds_load_b128 v[112:115], v1 offset:528
	scratch_load_b128 v[116:119], off, off offset:248
	s_mov_b32 s0, exec_lo
	s_waitcnt vmcnt(5) lgkmcnt(1)
	v_fma_f64 v[90:91], v[90:91], v[108:109], 0
	s_waitcnt vmcnt(4)
	s_delay_alu instid0(VALU_DEP_1) | instskip(SKIP_1) | instid1(VALU_DEP_1)
	v_fma_f64 v[90:91], v[92:93], v[110:111], v[90:91]
	s_waitcnt lgkmcnt(0)
	v_fma_f64 v[94:95], v[94:95], v[112:113], v[90:91]
	scratch_load_b128 v[90:93], off, off offset:264
	s_waitcnt vmcnt(4)
	v_fma_f64 v[112:113], v[96:97], v[114:115], v[94:95]
	ds_load_b128 v[94:97], v1 offset:544
	ds_load_b128 v[108:111], v1 offset:560
	s_waitcnt lgkmcnt(1)
	v_fma_f64 v[94:95], v[98:99], v[94:95], v[112:113]
	scratch_load_b128 v[112:115], off, off offset:280
	s_waitcnt vmcnt(4)
	v_fma_f64 v[94:95], v[100:101], v[96:97], v[94:95]
	s_waitcnt lgkmcnt(0)
	s_delay_alu instid0(VALU_DEP_1)
	v_fma_f64 v[98:99], v[102:103], v[108:109], v[94:95]
	scratch_load_b128 v[94:97], off, off offset:296
	s_waitcnt vmcnt(4)
	v_fma_f64 v[108:109], v[104:105], v[110:111], v[98:99]
	ds_load_b128 v[98:101], v1 offset:576
	ds_load_b128 v[102:105], v1 offset:592
	scratch_load_b64 v[110:111], off, off offset:328
	s_waitcnt lgkmcnt(1)
	v_fma_f64 v[98:99], v[106:107], v[98:99], v[108:109]
	scratch_load_b128 v[106:109], off, off offset:312
	s_waitcnt vmcnt(5)
	v_fma_f64 v[98:99], v[116:117], v[100:101], v[98:99]
	s_waitcnt lgkmcnt(0)
	s_delay_alu instid0(VALU_DEP_1) | instskip(SKIP_1) | instid1(VALU_DEP_1)
	v_fma_f64 v[98:99], v[118:119], v[102:103], v[98:99]
	s_waitcnt vmcnt(4)
	v_fma_f64 v[90:91], v[90:91], v[104:105], v[98:99]
	ds_load_b128 v[98:101], v1 offset:608
	ds_load_b128 v[102:105], v1 offset:624
	s_waitcnt lgkmcnt(1)
	v_fma_f64 v[90:91], v[92:93], v[98:99], v[90:91]
	s_waitcnt vmcnt(3)
	s_delay_alu instid0(VALU_DEP_1) | instskip(SKIP_1) | instid1(VALU_DEP_1)
	v_fma_f64 v[90:91], v[112:113], v[100:101], v[90:91]
	s_waitcnt lgkmcnt(0)
	v_fma_f64 v[90:91], v[114:115], v[102:103], v[90:91]
	s_waitcnt vmcnt(2)
	s_delay_alu instid0(VALU_DEP_1)
	v_fma_f64 v[94:95], v[94:95], v[104:105], v[90:91]
	ds_load_b128 v[90:93], v1 offset:640
	ds_load_b128 v[98:101], v1 offset:656
	s_waitcnt lgkmcnt(1)
	v_fma_f64 v[1:2], v[96:97], v[90:91], v[94:95]
	s_waitcnt vmcnt(0)
	s_delay_alu instid0(VALU_DEP_1) | instskip(SKIP_1) | instid1(VALU_DEP_1)
	v_fma_f64 v[1:2], v[106:107], v[92:93], v[1:2]
	s_waitcnt lgkmcnt(0)
	v_fma_f64 v[1:2], v[108:109], v[98:99], v[1:2]
	s_delay_alu instid0(VALU_DEP_1) | instskip(NEXT) | instid1(VALU_DEP_1)
	v_fma_f64 v[1:2], v[110:111], v[100:101], v[1:2]
	v_add_f64 v[1:2], v[88:89], -v[1:2]
	scratch_store_b64 off, v[1:2], off offset:168
	v_cmpx_lt_u32_e32 20, v0
	s_cbranch_execz .LBB41_221
; %bb.220:
	scratch_load_b64 v[1:2], off, off offset:160
	v_mov_b32_e32 v88, 0
	s_delay_alu instid0(VALU_DEP_1)
	v_mov_b32_e32 v89, v88
	scratch_store_b64 off, v[88:89], off offset:160
	s_waitcnt vmcnt(0)
	ds_store_b64 v3, v[1:2]
.LBB41_221:
	s_or_b32 exec_lo, exec_lo, s0
	s_waitcnt lgkmcnt(0)
	s_waitcnt_vscnt null, 0x0
	s_barrier
	buffer_gl0_inv
	s_clause 0x4
	scratch_load_b128 v[88:91], off, off offset:160
	scratch_load_b128 v[92:95], off, off offset:176
	;; [unrolled: 1-line block ×5, first 2 shown]
	v_mov_b32_e32 v1, 0
	ds_load_2addr_b64 v[108:111], v1 offset0:63 offset1:64
	ds_load_2addr_b64 v[112:115], v1 offset0:65 offset1:66
	scratch_load_b128 v[116:119], off, off offset:240
	s_mov_b32 s0, exec_lo
	s_waitcnt vmcnt(5) lgkmcnt(1)
	v_fma_f64 v[90:91], v[90:91], v[108:109], 0
	s_waitcnt vmcnt(4)
	s_delay_alu instid0(VALU_DEP_1) | instskip(SKIP_1) | instid1(VALU_DEP_1)
	v_fma_f64 v[90:91], v[92:93], v[110:111], v[90:91]
	s_waitcnt lgkmcnt(0)
	v_fma_f64 v[94:95], v[94:95], v[112:113], v[90:91]
	scratch_load_b128 v[90:93], off, off offset:256
	s_waitcnt vmcnt(4)
	v_fma_f64 v[112:113], v[96:97], v[114:115], v[94:95]
	ds_load_2addr_b64 v[94:97], v1 offset0:67 offset1:68
	ds_load_2addr_b64 v[108:111], v1 offset0:69 offset1:70
	s_waitcnt lgkmcnt(1)
	v_fma_f64 v[94:95], v[98:99], v[94:95], v[112:113]
	scratch_load_b128 v[112:115], off, off offset:272
	s_waitcnt vmcnt(4)
	v_fma_f64 v[94:95], v[100:101], v[96:97], v[94:95]
	s_waitcnt lgkmcnt(0)
	s_delay_alu instid0(VALU_DEP_1)
	v_fma_f64 v[98:99], v[102:103], v[108:109], v[94:95]
	scratch_load_b128 v[94:97], off, off offset:288
	s_waitcnt vmcnt(4)
	v_fma_f64 v[108:109], v[104:105], v[110:111], v[98:99]
	ds_load_2addr_b64 v[98:101], v1 offset0:71 offset1:72
	ds_load_2addr_b64 v[102:105], v1 offset0:73 offset1:74
	s_waitcnt lgkmcnt(1)
	v_fma_f64 v[98:99], v[106:107], v[98:99], v[108:109]
	scratch_load_b128 v[106:109], off, off offset:304
	s_waitcnt vmcnt(4)
	v_fma_f64 v[98:99], v[116:117], v[100:101], v[98:99]
	s_waitcnt lgkmcnt(0)
	s_delay_alu instid0(VALU_DEP_1)
	v_fma_f64 v[102:103], v[118:119], v[102:103], v[98:99]
	scratch_load_b128 v[98:101], off, off offset:320
	s_waitcnt vmcnt(4)
	v_fma_f64 v[90:91], v[90:91], v[104:105], v[102:103]
	ds_load_2addr_b64 v[102:105], v1 offset0:75 offset1:76
	ds_load_2addr_b64 v[116:119], v1 offset0:77 offset1:78
	s_waitcnt lgkmcnt(1)
	v_fma_f64 v[90:91], v[92:93], v[102:103], v[90:91]
	s_waitcnt vmcnt(3)
	s_delay_alu instid0(VALU_DEP_1) | instskip(SKIP_1) | instid1(VALU_DEP_1)
	v_fma_f64 v[90:91], v[112:113], v[104:105], v[90:91]
	s_waitcnt lgkmcnt(0)
	v_fma_f64 v[90:91], v[114:115], v[116:117], v[90:91]
	s_waitcnt vmcnt(2)
	s_delay_alu instid0(VALU_DEP_1)
	v_fma_f64 v[94:95], v[94:95], v[118:119], v[90:91]
	ds_load_2addr_b64 v[90:93], v1 offset0:79 offset1:80
	ds_load_2addr_b64 v[102:105], v1 offset0:81 offset1:82
	s_waitcnt lgkmcnt(1)
	v_fma_f64 v[90:91], v[96:97], v[90:91], v[94:95]
	s_waitcnt vmcnt(1)
	s_delay_alu instid0(VALU_DEP_1) | instskip(SKIP_4) | instid1(VALU_DEP_1)
	v_fma_f64 v[90:91], v[106:107], v[92:93], v[90:91]
	ds_load_b64 v[92:93], v1 offset:664
	s_waitcnt lgkmcnt(1)
	v_fma_f64 v[90:91], v[108:109], v[102:103], v[90:91]
	s_waitcnt vmcnt(0)
	v_fma_f64 v[90:91], v[98:99], v[104:105], v[90:91]
	s_waitcnt lgkmcnt(0)
	s_delay_alu instid0(VALU_DEP_1) | instskip(NEXT) | instid1(VALU_DEP_1)
	v_fma_f64 v[90:91], v[100:101], v[92:93], v[90:91]
	v_add_f64 v[88:89], v[88:89], -v[90:91]
	scratch_store_b64 off, v[88:89], off offset:160
	v_cmpx_lt_u32_e32 19, v0
	s_cbranch_execz .LBB41_223
; %bb.222:
	scratch_load_b64 v[88:89], off, off offset:152
	v_mov_b32_e32 v2, v1
	scratch_store_b64 off, v[1:2], off offset:152
	s_waitcnt vmcnt(0)
	ds_store_b64 v3, v[88:89]
.LBB41_223:
	s_or_b32 exec_lo, exec_lo, s0
	s_waitcnt lgkmcnt(0)
	s_waitcnt_vscnt null, 0x0
	s_barrier
	buffer_gl0_inv
	s_clause 0x4
	scratch_load_b128 v[88:91], off, off offset:152
	scratch_load_b128 v[92:95], off, off offset:168
	;; [unrolled: 1-line block ×5, first 2 shown]
	ds_load_b128 v[108:111], v1 offset:496
	ds_load_b128 v[112:115], v1 offset:512
	scratch_load_b128 v[116:119], off, off offset:232
	s_mov_b32 s0, exec_lo
	s_waitcnt vmcnt(5) lgkmcnt(1)
	v_fma_f64 v[90:91], v[90:91], v[108:109], 0
	s_waitcnt vmcnt(4)
	s_delay_alu instid0(VALU_DEP_1) | instskip(SKIP_1) | instid1(VALU_DEP_1)
	v_fma_f64 v[90:91], v[92:93], v[110:111], v[90:91]
	s_waitcnt lgkmcnt(0)
	v_fma_f64 v[94:95], v[94:95], v[112:113], v[90:91]
	scratch_load_b128 v[90:93], off, off offset:248
	s_waitcnt vmcnt(4)
	v_fma_f64 v[112:113], v[96:97], v[114:115], v[94:95]
	ds_load_b128 v[94:97], v1 offset:528
	ds_load_b128 v[108:111], v1 offset:544
	s_waitcnt lgkmcnt(1)
	v_fma_f64 v[94:95], v[98:99], v[94:95], v[112:113]
	scratch_load_b128 v[112:115], off, off offset:264
	s_waitcnt vmcnt(4)
	v_fma_f64 v[94:95], v[100:101], v[96:97], v[94:95]
	s_waitcnt lgkmcnt(0)
	s_delay_alu instid0(VALU_DEP_1)
	v_fma_f64 v[98:99], v[102:103], v[108:109], v[94:95]
	scratch_load_b128 v[94:97], off, off offset:280
	s_waitcnt vmcnt(4)
	v_fma_f64 v[108:109], v[104:105], v[110:111], v[98:99]
	ds_load_b128 v[98:101], v1 offset:560
	ds_load_b128 v[102:105], v1 offset:576
	s_waitcnt lgkmcnt(1)
	v_fma_f64 v[98:99], v[106:107], v[98:99], v[108:109]
	scratch_load_b128 v[106:109], off, off offset:296
	s_waitcnt vmcnt(4)
	v_fma_f64 v[98:99], v[116:117], v[100:101], v[98:99]
	s_waitcnt lgkmcnt(0)
	s_delay_alu instid0(VALU_DEP_1)
	v_fma_f64 v[102:103], v[118:119], v[102:103], v[98:99]
	scratch_load_b128 v[98:101], off, off offset:312
	s_waitcnt vmcnt(4)
	v_fma_f64 v[90:91], v[90:91], v[104:105], v[102:103]
	ds_load_b128 v[102:105], v1 offset:592
	ds_load_b128 v[116:119], v1 offset:608
	scratch_load_b64 v[110:111], off, off offset:328
	s_waitcnt lgkmcnt(1)
	v_fma_f64 v[90:91], v[92:93], v[102:103], v[90:91]
	s_waitcnt vmcnt(4)
	s_delay_alu instid0(VALU_DEP_1) | instskip(SKIP_1) | instid1(VALU_DEP_1)
	v_fma_f64 v[90:91], v[112:113], v[104:105], v[90:91]
	s_waitcnt lgkmcnt(0)
	v_fma_f64 v[90:91], v[114:115], v[116:117], v[90:91]
	s_waitcnt vmcnt(3)
	s_delay_alu instid0(VALU_DEP_1)
	v_fma_f64 v[94:95], v[94:95], v[118:119], v[90:91]
	ds_load_b128 v[90:93], v1 offset:624
	ds_load_b128 v[102:105], v1 offset:640
	s_waitcnt lgkmcnt(1)
	v_fma_f64 v[90:91], v[96:97], v[90:91], v[94:95]
	s_waitcnt vmcnt(2)
	s_delay_alu instid0(VALU_DEP_1) | instskip(SKIP_1) | instid1(VALU_DEP_1)
	v_fma_f64 v[90:91], v[106:107], v[92:93], v[90:91]
	s_waitcnt lgkmcnt(0)
	v_fma_f64 v[90:91], v[108:109], v[102:103], v[90:91]
	s_waitcnt vmcnt(1)
	s_delay_alu instid0(VALU_DEP_1) | instskip(SKIP_4) | instid1(VALU_DEP_1)
	v_fma_f64 v[94:95], v[98:99], v[104:105], v[90:91]
	ds_load_b128 v[90:93], v1 offset:656
	s_waitcnt lgkmcnt(0)
	v_fma_f64 v[1:2], v[100:101], v[90:91], v[94:95]
	s_waitcnt vmcnt(0)
	v_fma_f64 v[1:2], v[110:111], v[92:93], v[1:2]
	s_delay_alu instid0(VALU_DEP_1)
	v_add_f64 v[1:2], v[88:89], -v[1:2]
	scratch_store_b64 off, v[1:2], off offset:152
	v_cmpx_lt_u32_e32 18, v0
	s_cbranch_execz .LBB41_225
; %bb.224:
	scratch_load_b64 v[1:2], off, off offset:144
	v_mov_b32_e32 v88, 0
	s_delay_alu instid0(VALU_DEP_1)
	v_mov_b32_e32 v89, v88
	scratch_store_b64 off, v[88:89], off offset:144
	s_waitcnt vmcnt(0)
	ds_store_b64 v3, v[1:2]
.LBB41_225:
	s_or_b32 exec_lo, exec_lo, s0
	s_waitcnt lgkmcnt(0)
	s_waitcnt_vscnt null, 0x0
	s_barrier
	buffer_gl0_inv
	s_clause 0x4
	scratch_load_b128 v[88:91], off, off offset:144
	scratch_load_b128 v[92:95], off, off offset:160
	;; [unrolled: 1-line block ×5, first 2 shown]
	v_mov_b32_e32 v1, 0
	ds_load_2addr_b64 v[108:111], v1 offset0:61 offset1:62
	ds_load_2addr_b64 v[112:115], v1 offset0:63 offset1:64
	scratch_load_b128 v[116:119], off, off offset:224
	s_mov_b32 s0, exec_lo
	s_waitcnt vmcnt(5) lgkmcnt(1)
	v_fma_f64 v[90:91], v[90:91], v[108:109], 0
	s_waitcnt vmcnt(4)
	s_delay_alu instid0(VALU_DEP_1) | instskip(SKIP_1) | instid1(VALU_DEP_1)
	v_fma_f64 v[90:91], v[92:93], v[110:111], v[90:91]
	s_waitcnt lgkmcnt(0)
	v_fma_f64 v[94:95], v[94:95], v[112:113], v[90:91]
	scratch_load_b128 v[90:93], off, off offset:240
	s_waitcnt vmcnt(4)
	v_fma_f64 v[112:113], v[96:97], v[114:115], v[94:95]
	ds_load_2addr_b64 v[94:97], v1 offset0:65 offset1:66
	ds_load_2addr_b64 v[108:111], v1 offset0:67 offset1:68
	s_waitcnt lgkmcnt(1)
	v_fma_f64 v[94:95], v[98:99], v[94:95], v[112:113]
	scratch_load_b128 v[112:115], off, off offset:256
	s_waitcnt vmcnt(4)
	v_fma_f64 v[94:95], v[100:101], v[96:97], v[94:95]
	s_waitcnt lgkmcnt(0)
	s_delay_alu instid0(VALU_DEP_1)
	v_fma_f64 v[98:99], v[102:103], v[108:109], v[94:95]
	scratch_load_b128 v[94:97], off, off offset:272
	s_waitcnt vmcnt(4)
	v_fma_f64 v[108:109], v[104:105], v[110:111], v[98:99]
	ds_load_2addr_b64 v[98:101], v1 offset0:69 offset1:70
	ds_load_2addr_b64 v[102:105], v1 offset0:71 offset1:72
	s_waitcnt lgkmcnt(1)
	v_fma_f64 v[98:99], v[106:107], v[98:99], v[108:109]
	scratch_load_b128 v[106:109], off, off offset:288
	s_waitcnt vmcnt(4)
	v_fma_f64 v[98:99], v[116:117], v[100:101], v[98:99]
	s_waitcnt lgkmcnt(0)
	s_delay_alu instid0(VALU_DEP_1)
	v_fma_f64 v[102:103], v[118:119], v[102:103], v[98:99]
	scratch_load_b128 v[98:101], off, off offset:304
	s_waitcnt vmcnt(4)
	v_fma_f64 v[90:91], v[90:91], v[104:105], v[102:103]
	ds_load_2addr_b64 v[102:105], v1 offset0:73 offset1:74
	ds_load_2addr_b64 v[116:119], v1 offset0:75 offset1:76
	s_waitcnt lgkmcnt(1)
	v_fma_f64 v[102:103], v[92:93], v[102:103], v[90:91]
	scratch_load_b128 v[90:93], off, off offset:320
	s_waitcnt vmcnt(4)
	v_fma_f64 v[102:103], v[112:113], v[104:105], v[102:103]
	s_waitcnt lgkmcnt(0)
	s_delay_alu instid0(VALU_DEP_1) | instskip(SKIP_1) | instid1(VALU_DEP_1)
	v_fma_f64 v[102:103], v[114:115], v[116:117], v[102:103]
	s_waitcnt vmcnt(3)
	v_fma_f64 v[94:95], v[94:95], v[118:119], v[102:103]
	ds_load_2addr_b64 v[102:105], v1 offset0:77 offset1:78
	ds_load_2addr_b64 v[110:113], v1 offset0:79 offset1:80
	s_waitcnt lgkmcnt(1)
	v_fma_f64 v[94:95], v[96:97], v[102:103], v[94:95]
	s_waitcnt vmcnt(2)
	s_delay_alu instid0(VALU_DEP_1) | instskip(SKIP_1) | instid1(VALU_DEP_1)
	v_fma_f64 v[94:95], v[106:107], v[104:105], v[94:95]
	s_waitcnt lgkmcnt(0)
	v_fma_f64 v[94:95], v[108:109], v[110:111], v[94:95]
	s_waitcnt vmcnt(1)
	s_delay_alu instid0(VALU_DEP_1)
	v_fma_f64 v[98:99], v[98:99], v[112:113], v[94:95]
	ds_load_2addr_b64 v[94:97], v1 offset0:81 offset1:82
	ds_load_b64 v[102:103], v1 offset:664
	s_waitcnt lgkmcnt(1)
	v_fma_f64 v[94:95], v[100:101], v[94:95], v[98:99]
	s_waitcnt vmcnt(0)
	s_delay_alu instid0(VALU_DEP_1) | instskip(SKIP_1) | instid1(VALU_DEP_1)
	v_fma_f64 v[90:91], v[90:91], v[96:97], v[94:95]
	s_waitcnt lgkmcnt(0)
	v_fma_f64 v[90:91], v[92:93], v[102:103], v[90:91]
	s_delay_alu instid0(VALU_DEP_1)
	v_add_f64 v[88:89], v[88:89], -v[90:91]
	scratch_store_b64 off, v[88:89], off offset:144
	v_cmpx_lt_u32_e32 17, v0
	s_cbranch_execz .LBB41_227
; %bb.226:
	scratch_load_b64 v[88:89], off, off offset:136
	v_mov_b32_e32 v2, v1
	scratch_store_b64 off, v[1:2], off offset:136
	s_waitcnt vmcnt(0)
	ds_store_b64 v3, v[88:89]
.LBB41_227:
	s_or_b32 exec_lo, exec_lo, s0
	s_waitcnt lgkmcnt(0)
	s_waitcnt_vscnt null, 0x0
	s_barrier
	buffer_gl0_inv
	s_clause 0x4
	scratch_load_b128 v[88:91], off, off offset:136
	scratch_load_b128 v[92:95], off, off offset:152
	;; [unrolled: 1-line block ×5, first 2 shown]
	ds_load_b128 v[108:111], v1 offset:480
	ds_load_b128 v[112:115], v1 offset:496
	scratch_load_b128 v[116:119], off, off offset:216
	s_mov_b32 s0, exec_lo
	s_waitcnt vmcnt(5) lgkmcnt(1)
	v_fma_f64 v[90:91], v[90:91], v[108:109], 0
	s_waitcnt vmcnt(4)
	s_delay_alu instid0(VALU_DEP_1) | instskip(SKIP_1) | instid1(VALU_DEP_1)
	v_fma_f64 v[90:91], v[92:93], v[110:111], v[90:91]
	s_waitcnt lgkmcnt(0)
	v_fma_f64 v[94:95], v[94:95], v[112:113], v[90:91]
	scratch_load_b128 v[90:93], off, off offset:232
	s_waitcnt vmcnt(4)
	v_fma_f64 v[112:113], v[96:97], v[114:115], v[94:95]
	ds_load_b128 v[94:97], v1 offset:512
	ds_load_b128 v[108:111], v1 offset:528
	s_waitcnt lgkmcnt(1)
	v_fma_f64 v[94:95], v[98:99], v[94:95], v[112:113]
	scratch_load_b128 v[112:115], off, off offset:248
	s_waitcnt vmcnt(4)
	v_fma_f64 v[94:95], v[100:101], v[96:97], v[94:95]
	s_waitcnt lgkmcnt(0)
	s_delay_alu instid0(VALU_DEP_1)
	v_fma_f64 v[98:99], v[102:103], v[108:109], v[94:95]
	scratch_load_b128 v[94:97], off, off offset:264
	s_waitcnt vmcnt(4)
	v_fma_f64 v[108:109], v[104:105], v[110:111], v[98:99]
	ds_load_b128 v[98:101], v1 offset:544
	ds_load_b128 v[102:105], v1 offset:560
	s_waitcnt lgkmcnt(1)
	v_fma_f64 v[98:99], v[106:107], v[98:99], v[108:109]
	scratch_load_b128 v[106:109], off, off offset:280
	s_waitcnt vmcnt(4)
	v_fma_f64 v[98:99], v[116:117], v[100:101], v[98:99]
	s_waitcnt lgkmcnt(0)
	s_delay_alu instid0(VALU_DEP_1)
	;; [unrolled: 13-line block ×3, first 2 shown]
	v_fma_f64 v[102:103], v[114:115], v[116:117], v[102:103]
	scratch_load_b64 v[114:115], off, off offset:328
	s_waitcnt vmcnt(4)
	v_fma_f64 v[94:95], v[94:95], v[118:119], v[102:103]
	ds_load_b128 v[102:105], v1 offset:608
	ds_load_b128 v[110:113], v1 offset:624
	s_waitcnt lgkmcnt(1)
	v_fma_f64 v[94:95], v[96:97], v[102:103], v[94:95]
	s_waitcnt vmcnt(3)
	s_delay_alu instid0(VALU_DEP_1) | instskip(SKIP_1) | instid1(VALU_DEP_1)
	v_fma_f64 v[94:95], v[106:107], v[104:105], v[94:95]
	s_waitcnt lgkmcnt(0)
	v_fma_f64 v[94:95], v[108:109], v[110:111], v[94:95]
	s_waitcnt vmcnt(2)
	s_delay_alu instid0(VALU_DEP_1)
	v_fma_f64 v[98:99], v[98:99], v[112:113], v[94:95]
	ds_load_b128 v[94:97], v1 offset:640
	ds_load_b128 v[102:105], v1 offset:656
	s_waitcnt lgkmcnt(1)
	v_fma_f64 v[1:2], v[100:101], v[94:95], v[98:99]
	s_waitcnt vmcnt(1)
	s_delay_alu instid0(VALU_DEP_1) | instskip(SKIP_1) | instid1(VALU_DEP_1)
	v_fma_f64 v[1:2], v[90:91], v[96:97], v[1:2]
	s_waitcnt lgkmcnt(0)
	v_fma_f64 v[1:2], v[92:93], v[102:103], v[1:2]
	s_waitcnt vmcnt(0)
	s_delay_alu instid0(VALU_DEP_1) | instskip(NEXT) | instid1(VALU_DEP_1)
	v_fma_f64 v[1:2], v[114:115], v[104:105], v[1:2]
	v_add_f64 v[1:2], v[88:89], -v[1:2]
	scratch_store_b64 off, v[1:2], off offset:136
	v_cmpx_lt_u32_e32 16, v0
	s_cbranch_execz .LBB41_229
; %bb.228:
	scratch_load_b64 v[1:2], off, off offset:128
	v_mov_b32_e32 v88, 0
	s_delay_alu instid0(VALU_DEP_1)
	v_mov_b32_e32 v89, v88
	scratch_store_b64 off, v[88:89], off offset:128
	s_waitcnt vmcnt(0)
	ds_store_b64 v3, v[1:2]
.LBB41_229:
	s_or_b32 exec_lo, exec_lo, s0
	s_waitcnt lgkmcnt(0)
	s_waitcnt_vscnt null, 0x0
	s_barrier
	buffer_gl0_inv
	s_clause 0x4
	scratch_load_b128 v[88:91], off, off offset:128
	scratch_load_b128 v[92:95], off, off offset:144
	;; [unrolled: 1-line block ×5, first 2 shown]
	v_mov_b32_e32 v1, 0
	ds_load_2addr_b64 v[108:111], v1 offset0:59 offset1:60
	ds_load_2addr_b64 v[112:115], v1 offset0:61 offset1:62
	scratch_load_b128 v[116:119], off, off offset:208
	s_mov_b32 s0, exec_lo
	s_waitcnt vmcnt(5) lgkmcnt(1)
	v_fma_f64 v[90:91], v[90:91], v[108:109], 0
	s_waitcnt vmcnt(4)
	s_delay_alu instid0(VALU_DEP_1) | instskip(SKIP_1) | instid1(VALU_DEP_1)
	v_fma_f64 v[90:91], v[92:93], v[110:111], v[90:91]
	s_waitcnt lgkmcnt(0)
	v_fma_f64 v[94:95], v[94:95], v[112:113], v[90:91]
	scratch_load_b128 v[90:93], off, off offset:224
	s_waitcnt vmcnt(4)
	v_fma_f64 v[112:113], v[96:97], v[114:115], v[94:95]
	ds_load_2addr_b64 v[94:97], v1 offset0:63 offset1:64
	ds_load_2addr_b64 v[108:111], v1 offset0:65 offset1:66
	s_waitcnt lgkmcnt(1)
	v_fma_f64 v[94:95], v[98:99], v[94:95], v[112:113]
	scratch_load_b128 v[112:115], off, off offset:240
	s_waitcnt vmcnt(4)
	v_fma_f64 v[94:95], v[100:101], v[96:97], v[94:95]
	s_waitcnt lgkmcnt(0)
	s_delay_alu instid0(VALU_DEP_1)
	v_fma_f64 v[98:99], v[102:103], v[108:109], v[94:95]
	scratch_load_b128 v[94:97], off, off offset:256
	s_waitcnt vmcnt(4)
	v_fma_f64 v[108:109], v[104:105], v[110:111], v[98:99]
	ds_load_2addr_b64 v[98:101], v1 offset0:67 offset1:68
	ds_load_2addr_b64 v[102:105], v1 offset0:69 offset1:70
	s_waitcnt lgkmcnt(1)
	v_fma_f64 v[98:99], v[106:107], v[98:99], v[108:109]
	scratch_load_b128 v[106:109], off, off offset:272
	s_waitcnt vmcnt(4)
	v_fma_f64 v[98:99], v[116:117], v[100:101], v[98:99]
	s_waitcnt lgkmcnt(0)
	s_delay_alu instid0(VALU_DEP_1)
	;; [unrolled: 13-line block ×3, first 2 shown]
	v_fma_f64 v[110:111], v[114:115], v[116:117], v[102:103]
	scratch_load_b128 v[102:105], off, off offset:320
	s_waitcnt vmcnt(4)
	v_fma_f64 v[94:95], v[94:95], v[118:119], v[110:111]
	ds_load_2addr_b64 v[110:113], v1 offset0:75 offset1:76
	ds_load_2addr_b64 v[114:117], v1 offset0:77 offset1:78
	s_waitcnt lgkmcnt(1)
	v_fma_f64 v[94:95], v[96:97], v[110:111], v[94:95]
	s_waitcnt vmcnt(3)
	s_delay_alu instid0(VALU_DEP_1) | instskip(SKIP_1) | instid1(VALU_DEP_1)
	v_fma_f64 v[94:95], v[106:107], v[112:113], v[94:95]
	s_waitcnt lgkmcnt(0)
	v_fma_f64 v[94:95], v[108:109], v[114:115], v[94:95]
	s_waitcnt vmcnt(2)
	s_delay_alu instid0(VALU_DEP_1)
	v_fma_f64 v[98:99], v[98:99], v[116:117], v[94:95]
	ds_load_2addr_b64 v[94:97], v1 offset0:79 offset1:80
	ds_load_2addr_b64 v[106:109], v1 offset0:81 offset1:82
	s_waitcnt lgkmcnt(1)
	v_fma_f64 v[94:95], v[100:101], v[94:95], v[98:99]
	s_waitcnt vmcnt(1)
	s_delay_alu instid0(VALU_DEP_1) | instskip(SKIP_1) | instid1(VALU_DEP_1)
	v_fma_f64 v[90:91], v[90:91], v[96:97], v[94:95]
	s_waitcnt lgkmcnt(0)
	v_fma_f64 v[90:91], v[92:93], v[106:107], v[90:91]
	ds_load_b64 v[92:93], v1 offset:664
	s_waitcnt vmcnt(0)
	v_fma_f64 v[90:91], v[102:103], v[108:109], v[90:91]
	s_waitcnt lgkmcnt(0)
	s_delay_alu instid0(VALU_DEP_1) | instskip(NEXT) | instid1(VALU_DEP_1)
	v_fma_f64 v[90:91], v[104:105], v[92:93], v[90:91]
	v_add_f64 v[88:89], v[88:89], -v[90:91]
	scratch_store_b64 off, v[88:89], off offset:128
	v_cmpx_lt_u32_e32 15, v0
	s_cbranch_execz .LBB41_231
; %bb.230:
	scratch_load_b64 v[88:89], off, off offset:120
	v_mov_b32_e32 v2, v1
	scratch_store_b64 off, v[1:2], off offset:120
	s_waitcnt vmcnt(0)
	ds_store_b64 v3, v[88:89]
.LBB41_231:
	s_or_b32 exec_lo, exec_lo, s0
	s_waitcnt lgkmcnt(0)
	s_waitcnt_vscnt null, 0x0
	s_barrier
	buffer_gl0_inv
	s_clause 0x4
	scratch_load_b128 v[88:91], off, off offset:120
	scratch_load_b128 v[92:95], off, off offset:136
	;; [unrolled: 1-line block ×5, first 2 shown]
	ds_load_b128 v[108:111], v1 offset:464
	ds_load_b128 v[112:115], v1 offset:480
	scratch_load_b128 v[116:119], off, off offset:200
	s_mov_b32 s0, exec_lo
	s_waitcnt vmcnt(5) lgkmcnt(1)
	v_fma_f64 v[90:91], v[90:91], v[108:109], 0
	s_waitcnt vmcnt(4)
	s_delay_alu instid0(VALU_DEP_1) | instskip(SKIP_1) | instid1(VALU_DEP_1)
	v_fma_f64 v[90:91], v[92:93], v[110:111], v[90:91]
	s_waitcnt lgkmcnt(0)
	v_fma_f64 v[94:95], v[94:95], v[112:113], v[90:91]
	scratch_load_b128 v[90:93], off, off offset:216
	s_waitcnt vmcnt(4)
	v_fma_f64 v[112:113], v[96:97], v[114:115], v[94:95]
	ds_load_b128 v[94:97], v1 offset:496
	ds_load_b128 v[108:111], v1 offset:512
	s_waitcnt lgkmcnt(1)
	v_fma_f64 v[94:95], v[98:99], v[94:95], v[112:113]
	scratch_load_b128 v[112:115], off, off offset:232
	s_waitcnt vmcnt(4)
	v_fma_f64 v[94:95], v[100:101], v[96:97], v[94:95]
	s_waitcnt lgkmcnt(0)
	s_delay_alu instid0(VALU_DEP_1)
	v_fma_f64 v[98:99], v[102:103], v[108:109], v[94:95]
	scratch_load_b128 v[94:97], off, off offset:248
	s_waitcnt vmcnt(4)
	v_fma_f64 v[108:109], v[104:105], v[110:111], v[98:99]
	ds_load_b128 v[98:101], v1 offset:528
	ds_load_b128 v[102:105], v1 offset:544
	s_waitcnt lgkmcnt(1)
	v_fma_f64 v[98:99], v[106:107], v[98:99], v[108:109]
	scratch_load_b128 v[106:109], off, off offset:264
	s_waitcnt vmcnt(4)
	v_fma_f64 v[98:99], v[116:117], v[100:101], v[98:99]
	s_waitcnt lgkmcnt(0)
	s_delay_alu instid0(VALU_DEP_1)
	;; [unrolled: 13-line block ×3, first 2 shown]
	v_fma_f64 v[110:111], v[114:115], v[116:117], v[102:103]
	scratch_load_b128 v[102:105], off, off offset:312
	s_waitcnt vmcnt(4)
	v_fma_f64 v[94:95], v[94:95], v[118:119], v[110:111]
	ds_load_b128 v[110:113], v1 offset:592
	ds_load_b128 v[114:117], v1 offset:608
	s_waitcnt lgkmcnt(1)
	v_fma_f64 v[94:95], v[96:97], v[110:111], v[94:95]
	scratch_load_b64 v[110:111], off, off offset:328
	s_waitcnt vmcnt(4)
	v_fma_f64 v[94:95], v[106:107], v[112:113], v[94:95]
	s_waitcnt lgkmcnt(0)
	s_delay_alu instid0(VALU_DEP_1) | instskip(SKIP_1) | instid1(VALU_DEP_1)
	v_fma_f64 v[94:95], v[108:109], v[114:115], v[94:95]
	s_waitcnt vmcnt(3)
	v_fma_f64 v[98:99], v[98:99], v[116:117], v[94:95]
	ds_load_b128 v[94:97], v1 offset:624
	ds_load_b128 v[106:109], v1 offset:640
	s_waitcnt lgkmcnt(1)
	v_fma_f64 v[94:95], v[100:101], v[94:95], v[98:99]
	s_waitcnt vmcnt(2)
	s_delay_alu instid0(VALU_DEP_1) | instskip(SKIP_1) | instid1(VALU_DEP_1)
	v_fma_f64 v[90:91], v[90:91], v[96:97], v[94:95]
	s_waitcnt lgkmcnt(0)
	v_fma_f64 v[90:91], v[92:93], v[106:107], v[90:91]
	s_waitcnt vmcnt(1)
	s_delay_alu instid0(VALU_DEP_1) | instskip(SKIP_4) | instid1(VALU_DEP_1)
	v_fma_f64 v[94:95], v[102:103], v[108:109], v[90:91]
	ds_load_b128 v[90:93], v1 offset:656
	s_waitcnt lgkmcnt(0)
	v_fma_f64 v[1:2], v[104:105], v[90:91], v[94:95]
	s_waitcnt vmcnt(0)
	v_fma_f64 v[1:2], v[110:111], v[92:93], v[1:2]
	s_delay_alu instid0(VALU_DEP_1)
	v_add_f64 v[1:2], v[88:89], -v[1:2]
	scratch_store_b64 off, v[1:2], off offset:120
	v_cmpx_lt_u32_e32 14, v0
	s_cbranch_execz .LBB41_233
; %bb.232:
	scratch_load_b64 v[1:2], off, off offset:112
	v_mov_b32_e32 v88, 0
	s_delay_alu instid0(VALU_DEP_1)
	v_mov_b32_e32 v89, v88
	scratch_store_b64 off, v[88:89], off offset:112
	s_waitcnt vmcnt(0)
	ds_store_b64 v3, v[1:2]
.LBB41_233:
	s_or_b32 exec_lo, exec_lo, s0
	s_waitcnt lgkmcnt(0)
	s_waitcnt_vscnt null, 0x0
	s_barrier
	buffer_gl0_inv
	s_clause 0x4
	scratch_load_b128 v[88:91], off, off offset:112
	scratch_load_b128 v[92:95], off, off offset:128
	;; [unrolled: 1-line block ×5, first 2 shown]
	v_mov_b32_e32 v1, 0
	ds_load_2addr_b64 v[108:111], v1 offset0:57 offset1:58
	ds_load_2addr_b64 v[112:115], v1 offset0:59 offset1:60
	scratch_load_b128 v[116:119], off, off offset:192
	s_mov_b32 s0, exec_lo
	s_waitcnt vmcnt(5) lgkmcnt(1)
	v_fma_f64 v[90:91], v[90:91], v[108:109], 0
	s_waitcnt vmcnt(4)
	s_delay_alu instid0(VALU_DEP_1) | instskip(SKIP_1) | instid1(VALU_DEP_1)
	v_fma_f64 v[90:91], v[92:93], v[110:111], v[90:91]
	s_waitcnt lgkmcnt(0)
	v_fma_f64 v[94:95], v[94:95], v[112:113], v[90:91]
	scratch_load_b128 v[90:93], off, off offset:208
	s_waitcnt vmcnt(4)
	v_fma_f64 v[112:113], v[96:97], v[114:115], v[94:95]
	ds_load_2addr_b64 v[94:97], v1 offset0:61 offset1:62
	ds_load_2addr_b64 v[108:111], v1 offset0:63 offset1:64
	s_waitcnt lgkmcnt(1)
	v_fma_f64 v[94:95], v[98:99], v[94:95], v[112:113]
	scratch_load_b128 v[112:115], off, off offset:224
	s_waitcnt vmcnt(4)
	v_fma_f64 v[94:95], v[100:101], v[96:97], v[94:95]
	s_waitcnt lgkmcnt(0)
	s_delay_alu instid0(VALU_DEP_1)
	v_fma_f64 v[98:99], v[102:103], v[108:109], v[94:95]
	scratch_load_b128 v[94:97], off, off offset:240
	s_waitcnt vmcnt(4)
	v_fma_f64 v[108:109], v[104:105], v[110:111], v[98:99]
	ds_load_2addr_b64 v[98:101], v1 offset0:65 offset1:66
	ds_load_2addr_b64 v[102:105], v1 offset0:67 offset1:68
	s_waitcnt lgkmcnt(1)
	v_fma_f64 v[98:99], v[106:107], v[98:99], v[108:109]
	scratch_load_b128 v[106:109], off, off offset:256
	s_waitcnt vmcnt(4)
	v_fma_f64 v[98:99], v[116:117], v[100:101], v[98:99]
	s_waitcnt lgkmcnt(0)
	s_delay_alu instid0(VALU_DEP_1)
	v_fma_f64 v[102:103], v[118:119], v[102:103], v[98:99]
	scratch_load_b128 v[98:101], off, off offset:272
	s_waitcnt vmcnt(4)
	v_fma_f64 v[90:91], v[90:91], v[104:105], v[102:103]
	ds_load_2addr_b64 v[102:105], v1 offset0:69 offset1:70
	ds_load_2addr_b64 v[116:119], v1 offset0:71 offset1:72
	s_waitcnt lgkmcnt(1)
	v_fma_f64 v[102:103], v[92:93], v[102:103], v[90:91]
	scratch_load_b128 v[90:93], off, off offset:288
	s_waitcnt vmcnt(4)
	v_fma_f64 v[102:103], v[112:113], v[104:105], v[102:103]
	s_waitcnt lgkmcnt(0)
	s_delay_alu instid0(VALU_DEP_1)
	v_fma_f64 v[110:111], v[114:115], v[116:117], v[102:103]
	scratch_load_b128 v[102:105], off, off offset:304
	s_waitcnt vmcnt(4)
	v_fma_f64 v[94:95], v[94:95], v[118:119], v[110:111]
	ds_load_2addr_b64 v[110:113], v1 offset0:73 offset1:74
	ds_load_2addr_b64 v[114:117], v1 offset0:75 offset1:76
	s_waitcnt lgkmcnt(1)
	v_fma_f64 v[110:111], v[96:97], v[110:111], v[94:95]
	scratch_load_b128 v[94:97], off, off offset:320
	s_waitcnt vmcnt(4)
	v_fma_f64 v[106:107], v[106:107], v[112:113], v[110:111]
	s_waitcnt lgkmcnt(0)
	s_delay_alu instid0(VALU_DEP_1) | instskip(SKIP_1) | instid1(VALU_DEP_1)
	v_fma_f64 v[106:107], v[108:109], v[114:115], v[106:107]
	s_waitcnt vmcnt(3)
	v_fma_f64 v[98:99], v[98:99], v[116:117], v[106:107]
	ds_load_2addr_b64 v[106:109], v1 offset0:77 offset1:78
	ds_load_2addr_b64 v[110:113], v1 offset0:79 offset1:80
	s_waitcnt lgkmcnt(1)
	v_fma_f64 v[98:99], v[100:101], v[106:107], v[98:99]
	s_waitcnt vmcnt(2)
	s_delay_alu instid0(VALU_DEP_1) | instskip(SKIP_1) | instid1(VALU_DEP_1)
	v_fma_f64 v[90:91], v[90:91], v[108:109], v[98:99]
	s_waitcnt lgkmcnt(0)
	v_fma_f64 v[90:91], v[92:93], v[110:111], v[90:91]
	s_waitcnt vmcnt(1)
	s_delay_alu instid0(VALU_DEP_1)
	v_fma_f64 v[98:99], v[102:103], v[112:113], v[90:91]
	ds_load_2addr_b64 v[90:93], v1 offset0:81 offset1:82
	ds_load_b64 v[100:101], v1 offset:664
	s_waitcnt lgkmcnt(1)
	v_fma_f64 v[90:91], v[104:105], v[90:91], v[98:99]
	s_waitcnt vmcnt(0)
	s_delay_alu instid0(VALU_DEP_1) | instskip(SKIP_1) | instid1(VALU_DEP_1)
	v_fma_f64 v[90:91], v[94:95], v[92:93], v[90:91]
	s_waitcnt lgkmcnt(0)
	v_fma_f64 v[90:91], v[96:97], v[100:101], v[90:91]
	s_delay_alu instid0(VALU_DEP_1)
	v_add_f64 v[88:89], v[88:89], -v[90:91]
	scratch_store_b64 off, v[88:89], off offset:112
	v_cmpx_lt_u32_e32 13, v0
	s_cbranch_execz .LBB41_235
; %bb.234:
	scratch_load_b64 v[88:89], off, off offset:104
	v_mov_b32_e32 v2, v1
	scratch_store_b64 off, v[1:2], off offset:104
	s_waitcnt vmcnt(0)
	ds_store_b64 v3, v[88:89]
.LBB41_235:
	s_or_b32 exec_lo, exec_lo, s0
	s_waitcnt lgkmcnt(0)
	s_waitcnt_vscnt null, 0x0
	s_barrier
	buffer_gl0_inv
	s_clause 0x4
	scratch_load_b128 v[88:91], off, off offset:104
	scratch_load_b128 v[92:95], off, off offset:120
	;; [unrolled: 1-line block ×5, first 2 shown]
	ds_load_b128 v[108:111], v1 offset:448
	ds_load_b128 v[112:115], v1 offset:464
	scratch_load_b128 v[116:119], off, off offset:184
	s_mov_b32 s0, exec_lo
	s_waitcnt vmcnt(5) lgkmcnt(1)
	v_fma_f64 v[90:91], v[90:91], v[108:109], 0
	s_waitcnt vmcnt(4)
	s_delay_alu instid0(VALU_DEP_1) | instskip(SKIP_1) | instid1(VALU_DEP_1)
	v_fma_f64 v[90:91], v[92:93], v[110:111], v[90:91]
	s_waitcnt lgkmcnt(0)
	v_fma_f64 v[94:95], v[94:95], v[112:113], v[90:91]
	scratch_load_b128 v[90:93], off, off offset:200
	s_waitcnt vmcnt(4)
	v_fma_f64 v[112:113], v[96:97], v[114:115], v[94:95]
	ds_load_b128 v[94:97], v1 offset:480
	ds_load_b128 v[108:111], v1 offset:496
	s_waitcnt lgkmcnt(1)
	v_fma_f64 v[94:95], v[98:99], v[94:95], v[112:113]
	scratch_load_b128 v[112:115], off, off offset:216
	s_waitcnt vmcnt(4)
	v_fma_f64 v[94:95], v[100:101], v[96:97], v[94:95]
	s_waitcnt lgkmcnt(0)
	s_delay_alu instid0(VALU_DEP_1)
	v_fma_f64 v[98:99], v[102:103], v[108:109], v[94:95]
	scratch_load_b128 v[94:97], off, off offset:232
	s_waitcnt vmcnt(4)
	v_fma_f64 v[108:109], v[104:105], v[110:111], v[98:99]
	ds_load_b128 v[98:101], v1 offset:512
	ds_load_b128 v[102:105], v1 offset:528
	s_waitcnt lgkmcnt(1)
	v_fma_f64 v[98:99], v[106:107], v[98:99], v[108:109]
	scratch_load_b128 v[106:109], off, off offset:248
	s_waitcnt vmcnt(4)
	v_fma_f64 v[98:99], v[116:117], v[100:101], v[98:99]
	s_waitcnt lgkmcnt(0)
	s_delay_alu instid0(VALU_DEP_1)
	;; [unrolled: 13-line block ×4, first 2 shown]
	v_fma_f64 v[106:107], v[108:109], v[114:115], v[106:107]
	scratch_load_b64 v[114:115], off, off offset:328
	s_waitcnt vmcnt(4)
	v_fma_f64 v[98:99], v[98:99], v[116:117], v[106:107]
	ds_load_b128 v[106:109], v1 offset:608
	ds_load_b128 v[110:113], v1 offset:624
	s_waitcnt lgkmcnt(1)
	v_fma_f64 v[98:99], v[100:101], v[106:107], v[98:99]
	s_waitcnt vmcnt(3)
	s_delay_alu instid0(VALU_DEP_1) | instskip(SKIP_1) | instid1(VALU_DEP_1)
	v_fma_f64 v[90:91], v[90:91], v[108:109], v[98:99]
	s_waitcnt lgkmcnt(0)
	v_fma_f64 v[90:91], v[92:93], v[110:111], v[90:91]
	s_waitcnt vmcnt(2)
	s_delay_alu instid0(VALU_DEP_1)
	v_fma_f64 v[102:103], v[102:103], v[112:113], v[90:91]
	ds_load_b128 v[90:93], v1 offset:640
	ds_load_b128 v[98:101], v1 offset:656
	s_waitcnt lgkmcnt(1)
	v_fma_f64 v[1:2], v[104:105], v[90:91], v[102:103]
	s_waitcnt vmcnt(1)
	s_delay_alu instid0(VALU_DEP_1) | instskip(SKIP_1) | instid1(VALU_DEP_1)
	v_fma_f64 v[1:2], v[94:95], v[92:93], v[1:2]
	s_waitcnt lgkmcnt(0)
	v_fma_f64 v[1:2], v[96:97], v[98:99], v[1:2]
	s_waitcnt vmcnt(0)
	s_delay_alu instid0(VALU_DEP_1) | instskip(NEXT) | instid1(VALU_DEP_1)
	v_fma_f64 v[1:2], v[114:115], v[100:101], v[1:2]
	v_add_f64 v[1:2], v[88:89], -v[1:2]
	scratch_store_b64 off, v[1:2], off offset:104
	v_cmpx_lt_u32_e32 12, v0
	s_cbranch_execz .LBB41_237
; %bb.236:
	scratch_load_b64 v[1:2], off, off offset:96
	v_mov_b32_e32 v88, 0
	s_delay_alu instid0(VALU_DEP_1)
	v_mov_b32_e32 v89, v88
	scratch_store_b64 off, v[88:89], off offset:96
	s_waitcnt vmcnt(0)
	ds_store_b64 v3, v[1:2]
.LBB41_237:
	s_or_b32 exec_lo, exec_lo, s0
	s_waitcnt lgkmcnt(0)
	s_waitcnt_vscnt null, 0x0
	s_barrier
	buffer_gl0_inv
	s_clause 0x4
	scratch_load_b128 v[88:91], off, off offset:96
	scratch_load_b128 v[92:95], off, off offset:112
	;; [unrolled: 1-line block ×5, first 2 shown]
	v_mov_b32_e32 v1, 0
	ds_load_2addr_b64 v[108:111], v1 offset0:55 offset1:56
	ds_load_2addr_b64 v[112:115], v1 offset0:57 offset1:58
	scratch_load_b128 v[116:119], off, off offset:176
	s_mov_b32 s0, exec_lo
	s_waitcnt vmcnt(5) lgkmcnt(1)
	v_fma_f64 v[90:91], v[90:91], v[108:109], 0
	s_waitcnt vmcnt(4)
	s_delay_alu instid0(VALU_DEP_1) | instskip(SKIP_1) | instid1(VALU_DEP_1)
	v_fma_f64 v[90:91], v[92:93], v[110:111], v[90:91]
	s_waitcnt lgkmcnt(0)
	v_fma_f64 v[94:95], v[94:95], v[112:113], v[90:91]
	scratch_load_b128 v[90:93], off, off offset:192
	s_waitcnt vmcnt(4)
	v_fma_f64 v[112:113], v[96:97], v[114:115], v[94:95]
	ds_load_2addr_b64 v[94:97], v1 offset0:59 offset1:60
	ds_load_2addr_b64 v[108:111], v1 offset0:61 offset1:62
	s_waitcnt lgkmcnt(1)
	v_fma_f64 v[94:95], v[98:99], v[94:95], v[112:113]
	scratch_load_b128 v[112:115], off, off offset:208
	s_waitcnt vmcnt(4)
	v_fma_f64 v[94:95], v[100:101], v[96:97], v[94:95]
	s_waitcnt lgkmcnt(0)
	s_delay_alu instid0(VALU_DEP_1)
	v_fma_f64 v[98:99], v[102:103], v[108:109], v[94:95]
	scratch_load_b128 v[94:97], off, off offset:224
	s_waitcnt vmcnt(4)
	v_fma_f64 v[108:109], v[104:105], v[110:111], v[98:99]
	ds_load_2addr_b64 v[98:101], v1 offset0:63 offset1:64
	ds_load_2addr_b64 v[102:105], v1 offset0:65 offset1:66
	s_waitcnt lgkmcnt(1)
	v_fma_f64 v[98:99], v[106:107], v[98:99], v[108:109]
	scratch_load_b128 v[106:109], off, off offset:240
	s_waitcnt vmcnt(4)
	v_fma_f64 v[98:99], v[116:117], v[100:101], v[98:99]
	s_waitcnt lgkmcnt(0)
	s_delay_alu instid0(VALU_DEP_1)
	;; [unrolled: 13-line block ×4, first 2 shown]
	v_fma_f64 v[110:111], v[108:109], v[114:115], v[106:107]
	scratch_load_b128 v[106:109], off, off offset:320
	s_waitcnt vmcnt(4)
	v_fma_f64 v[98:99], v[98:99], v[116:117], v[110:111]
	ds_load_2addr_b64 v[110:113], v1 offset0:75 offset1:76
	ds_load_2addr_b64 v[114:117], v1 offset0:77 offset1:78
	s_waitcnt lgkmcnt(1)
	v_fma_f64 v[98:99], v[100:101], v[110:111], v[98:99]
	s_waitcnt vmcnt(3)
	s_delay_alu instid0(VALU_DEP_1) | instskip(SKIP_1) | instid1(VALU_DEP_1)
	v_fma_f64 v[90:91], v[90:91], v[112:113], v[98:99]
	s_waitcnt lgkmcnt(0)
	v_fma_f64 v[90:91], v[92:93], v[114:115], v[90:91]
	s_waitcnt vmcnt(2)
	s_delay_alu instid0(VALU_DEP_1)
	v_fma_f64 v[102:103], v[102:103], v[116:117], v[90:91]
	ds_load_2addr_b64 v[90:93], v1 offset0:79 offset1:80
	ds_load_2addr_b64 v[98:101], v1 offset0:81 offset1:82
	s_waitcnt lgkmcnt(1)
	v_fma_f64 v[90:91], v[104:105], v[90:91], v[102:103]
	s_waitcnt vmcnt(1)
	s_delay_alu instid0(VALU_DEP_1) | instskip(SKIP_4) | instid1(VALU_DEP_1)
	v_fma_f64 v[90:91], v[94:95], v[92:93], v[90:91]
	ds_load_b64 v[92:93], v1 offset:664
	s_waitcnt lgkmcnt(1)
	v_fma_f64 v[90:91], v[96:97], v[98:99], v[90:91]
	s_waitcnt vmcnt(0)
	v_fma_f64 v[90:91], v[106:107], v[100:101], v[90:91]
	s_waitcnt lgkmcnt(0)
	s_delay_alu instid0(VALU_DEP_1) | instskip(NEXT) | instid1(VALU_DEP_1)
	v_fma_f64 v[90:91], v[108:109], v[92:93], v[90:91]
	v_add_f64 v[88:89], v[88:89], -v[90:91]
	scratch_store_b64 off, v[88:89], off offset:96
	v_cmpx_lt_u32_e32 11, v0
	s_cbranch_execz .LBB41_239
; %bb.238:
	scratch_load_b64 v[88:89], off, off offset:88
	v_mov_b32_e32 v2, v1
	scratch_store_b64 off, v[1:2], off offset:88
	s_waitcnt vmcnt(0)
	ds_store_b64 v3, v[88:89]
.LBB41_239:
	s_or_b32 exec_lo, exec_lo, s0
	s_waitcnt lgkmcnt(0)
	s_waitcnt_vscnt null, 0x0
	s_barrier
	buffer_gl0_inv
	s_clause 0x4
	scratch_load_b128 v[88:91], off, off offset:88
	scratch_load_b128 v[92:95], off, off offset:104
	;; [unrolled: 1-line block ×5, first 2 shown]
	ds_load_b128 v[108:111], v1 offset:432
	ds_load_b128 v[112:115], v1 offset:448
	scratch_load_b128 v[116:119], off, off offset:168
	s_mov_b32 s0, exec_lo
	s_waitcnt vmcnt(5) lgkmcnt(1)
	v_fma_f64 v[90:91], v[90:91], v[108:109], 0
	s_waitcnt vmcnt(4)
	s_delay_alu instid0(VALU_DEP_1) | instskip(SKIP_1) | instid1(VALU_DEP_1)
	v_fma_f64 v[90:91], v[92:93], v[110:111], v[90:91]
	s_waitcnt lgkmcnt(0)
	v_fma_f64 v[94:95], v[94:95], v[112:113], v[90:91]
	scratch_load_b128 v[90:93], off, off offset:184
	s_waitcnt vmcnt(4)
	v_fma_f64 v[112:113], v[96:97], v[114:115], v[94:95]
	ds_load_b128 v[94:97], v1 offset:464
	ds_load_b128 v[108:111], v1 offset:480
	s_waitcnt lgkmcnt(1)
	v_fma_f64 v[94:95], v[98:99], v[94:95], v[112:113]
	scratch_load_b128 v[112:115], off, off offset:200
	s_waitcnt vmcnt(4)
	v_fma_f64 v[94:95], v[100:101], v[96:97], v[94:95]
	s_waitcnt lgkmcnt(0)
	s_delay_alu instid0(VALU_DEP_1)
	v_fma_f64 v[98:99], v[102:103], v[108:109], v[94:95]
	scratch_load_b128 v[94:97], off, off offset:216
	s_waitcnt vmcnt(4)
	v_fma_f64 v[108:109], v[104:105], v[110:111], v[98:99]
	ds_load_b128 v[98:101], v1 offset:496
	ds_load_b128 v[102:105], v1 offset:512
	s_waitcnt lgkmcnt(1)
	v_fma_f64 v[98:99], v[106:107], v[98:99], v[108:109]
	scratch_load_b128 v[106:109], off, off offset:232
	s_waitcnt vmcnt(4)
	v_fma_f64 v[98:99], v[116:117], v[100:101], v[98:99]
	s_waitcnt lgkmcnt(0)
	s_delay_alu instid0(VALU_DEP_1)
	;; [unrolled: 13-line block ×4, first 2 shown]
	v_fma_f64 v[110:111], v[108:109], v[114:115], v[106:107]
	scratch_load_b128 v[106:109], off, off offset:312
	s_waitcnt vmcnt(4)
	v_fma_f64 v[98:99], v[98:99], v[116:117], v[110:111]
	ds_load_b128 v[110:113], v1 offset:592
	ds_load_b128 v[114:117], v1 offset:608
	s_waitcnt lgkmcnt(1)
	v_fma_f64 v[98:99], v[100:101], v[110:111], v[98:99]
	scratch_load_b64 v[110:111], off, off offset:328
	s_waitcnt vmcnt(4)
	v_fma_f64 v[90:91], v[90:91], v[112:113], v[98:99]
	s_waitcnt lgkmcnt(0)
	s_delay_alu instid0(VALU_DEP_1) | instskip(SKIP_1) | instid1(VALU_DEP_1)
	v_fma_f64 v[90:91], v[92:93], v[114:115], v[90:91]
	s_waitcnt vmcnt(3)
	v_fma_f64 v[102:103], v[102:103], v[116:117], v[90:91]
	ds_load_b128 v[90:93], v1 offset:624
	ds_load_b128 v[98:101], v1 offset:640
	s_waitcnt lgkmcnt(1)
	v_fma_f64 v[90:91], v[104:105], v[90:91], v[102:103]
	s_waitcnt vmcnt(2)
	s_delay_alu instid0(VALU_DEP_1) | instskip(SKIP_1) | instid1(VALU_DEP_1)
	v_fma_f64 v[90:91], v[94:95], v[92:93], v[90:91]
	s_waitcnt lgkmcnt(0)
	v_fma_f64 v[90:91], v[96:97], v[98:99], v[90:91]
	s_waitcnt vmcnt(1)
	s_delay_alu instid0(VALU_DEP_1) | instskip(SKIP_4) | instid1(VALU_DEP_1)
	v_fma_f64 v[94:95], v[106:107], v[100:101], v[90:91]
	ds_load_b128 v[90:93], v1 offset:656
	s_waitcnt lgkmcnt(0)
	v_fma_f64 v[1:2], v[108:109], v[90:91], v[94:95]
	s_waitcnt vmcnt(0)
	v_fma_f64 v[1:2], v[110:111], v[92:93], v[1:2]
	s_delay_alu instid0(VALU_DEP_1)
	v_add_f64 v[1:2], v[88:89], -v[1:2]
	scratch_store_b64 off, v[1:2], off offset:88
	v_cmpx_lt_u32_e32 10, v0
	s_cbranch_execz .LBB41_241
; %bb.240:
	scratch_load_b64 v[1:2], off, off offset:80
	v_mov_b32_e32 v88, 0
	s_delay_alu instid0(VALU_DEP_1)
	v_mov_b32_e32 v89, v88
	scratch_store_b64 off, v[88:89], off offset:80
	s_waitcnt vmcnt(0)
	ds_store_b64 v3, v[1:2]
.LBB41_241:
	s_or_b32 exec_lo, exec_lo, s0
	s_waitcnt lgkmcnt(0)
	s_waitcnt_vscnt null, 0x0
	s_barrier
	buffer_gl0_inv
	s_clause 0x4
	scratch_load_b128 v[88:91], off, off offset:80
	scratch_load_b128 v[92:95], off, off offset:96
	;; [unrolled: 1-line block ×5, first 2 shown]
	v_mov_b32_e32 v1, 0
	ds_load_2addr_b64 v[108:111], v1 offset0:53 offset1:54
	ds_load_2addr_b64 v[112:115], v1 offset0:55 offset1:56
	scratch_load_b128 v[116:119], off, off offset:160
	s_mov_b32 s0, exec_lo
	s_waitcnt vmcnt(5) lgkmcnt(1)
	v_fma_f64 v[90:91], v[90:91], v[108:109], 0
	s_waitcnt vmcnt(4)
	s_delay_alu instid0(VALU_DEP_1) | instskip(SKIP_1) | instid1(VALU_DEP_1)
	v_fma_f64 v[90:91], v[92:93], v[110:111], v[90:91]
	s_waitcnt lgkmcnt(0)
	v_fma_f64 v[94:95], v[94:95], v[112:113], v[90:91]
	scratch_load_b128 v[90:93], off, off offset:176
	s_waitcnt vmcnt(4)
	v_fma_f64 v[112:113], v[96:97], v[114:115], v[94:95]
	ds_load_2addr_b64 v[94:97], v1 offset0:57 offset1:58
	ds_load_2addr_b64 v[108:111], v1 offset0:59 offset1:60
	s_waitcnt lgkmcnt(1)
	v_fma_f64 v[94:95], v[98:99], v[94:95], v[112:113]
	scratch_load_b128 v[112:115], off, off offset:192
	s_waitcnt vmcnt(4)
	v_fma_f64 v[94:95], v[100:101], v[96:97], v[94:95]
	s_waitcnt lgkmcnt(0)
	s_delay_alu instid0(VALU_DEP_1)
	v_fma_f64 v[98:99], v[102:103], v[108:109], v[94:95]
	scratch_load_b128 v[94:97], off, off offset:208
	s_waitcnt vmcnt(4)
	v_fma_f64 v[108:109], v[104:105], v[110:111], v[98:99]
	ds_load_2addr_b64 v[98:101], v1 offset0:61 offset1:62
	ds_load_2addr_b64 v[102:105], v1 offset0:63 offset1:64
	s_waitcnt lgkmcnt(1)
	v_fma_f64 v[98:99], v[106:107], v[98:99], v[108:109]
	scratch_load_b128 v[106:109], off, off offset:224
	s_waitcnt vmcnt(4)
	v_fma_f64 v[98:99], v[116:117], v[100:101], v[98:99]
	s_waitcnt lgkmcnt(0)
	s_delay_alu instid0(VALU_DEP_1)
	;; [unrolled: 13-line block ×4, first 2 shown]
	v_fma_f64 v[110:111], v[108:109], v[114:115], v[106:107]
	scratch_load_b128 v[106:109], off, off offset:304
	s_waitcnt vmcnt(4)
	v_fma_f64 v[98:99], v[98:99], v[116:117], v[110:111]
	ds_load_2addr_b64 v[110:113], v1 offset0:73 offset1:74
	ds_load_2addr_b64 v[114:117], v1 offset0:75 offset1:76
	s_waitcnt lgkmcnt(1)
	v_fma_f64 v[110:111], v[100:101], v[110:111], v[98:99]
	scratch_load_b128 v[98:101], off, off offset:320
	s_waitcnt vmcnt(4)
	v_fma_f64 v[90:91], v[90:91], v[112:113], v[110:111]
	s_waitcnt lgkmcnt(0)
	s_delay_alu instid0(VALU_DEP_1) | instskip(SKIP_1) | instid1(VALU_DEP_1)
	v_fma_f64 v[90:91], v[92:93], v[114:115], v[90:91]
	s_waitcnt vmcnt(3)
	v_fma_f64 v[102:103], v[102:103], v[116:117], v[90:91]
	ds_load_2addr_b64 v[90:93], v1 offset0:77 offset1:78
	ds_load_2addr_b64 v[110:113], v1 offset0:79 offset1:80
	s_waitcnt lgkmcnt(1)
	v_fma_f64 v[90:91], v[104:105], v[90:91], v[102:103]
	s_waitcnt vmcnt(2)
	s_delay_alu instid0(VALU_DEP_1) | instskip(SKIP_1) | instid1(VALU_DEP_1)
	v_fma_f64 v[90:91], v[94:95], v[92:93], v[90:91]
	s_waitcnt lgkmcnt(0)
	v_fma_f64 v[90:91], v[96:97], v[110:111], v[90:91]
	s_waitcnt vmcnt(1)
	s_delay_alu instid0(VALU_DEP_1)
	v_fma_f64 v[94:95], v[106:107], v[112:113], v[90:91]
	ds_load_2addr_b64 v[90:93], v1 offset0:81 offset1:82
	ds_load_b64 v[96:97], v1 offset:664
	s_waitcnt lgkmcnt(1)
	v_fma_f64 v[90:91], v[108:109], v[90:91], v[94:95]
	s_waitcnt vmcnt(0)
	s_delay_alu instid0(VALU_DEP_1) | instskip(SKIP_1) | instid1(VALU_DEP_1)
	v_fma_f64 v[90:91], v[98:99], v[92:93], v[90:91]
	s_waitcnt lgkmcnt(0)
	v_fma_f64 v[90:91], v[100:101], v[96:97], v[90:91]
	s_delay_alu instid0(VALU_DEP_1)
	v_add_f64 v[88:89], v[88:89], -v[90:91]
	scratch_store_b64 off, v[88:89], off offset:80
	v_cmpx_lt_u32_e32 9, v0
	s_cbranch_execz .LBB41_243
; %bb.242:
	scratch_load_b64 v[88:89], off, off offset:72
	v_mov_b32_e32 v2, v1
	scratch_store_b64 off, v[1:2], off offset:72
	s_waitcnt vmcnt(0)
	ds_store_b64 v3, v[88:89]
.LBB41_243:
	s_or_b32 exec_lo, exec_lo, s0
	s_waitcnt lgkmcnt(0)
	s_waitcnt_vscnt null, 0x0
	s_barrier
	buffer_gl0_inv
	s_clause 0x4
	scratch_load_b128 v[88:91], off, off offset:72
	scratch_load_b128 v[92:95], off, off offset:88
	;; [unrolled: 1-line block ×5, first 2 shown]
	ds_load_b128 v[108:111], v1 offset:416
	ds_load_b128 v[112:115], v1 offset:432
	scratch_load_b128 v[116:119], off, off offset:152
	s_mov_b32 s0, exec_lo
	s_waitcnt vmcnt(5) lgkmcnt(1)
	v_fma_f64 v[90:91], v[90:91], v[108:109], 0
	s_waitcnt vmcnt(4)
	s_delay_alu instid0(VALU_DEP_1) | instskip(SKIP_1) | instid1(VALU_DEP_1)
	v_fma_f64 v[90:91], v[92:93], v[110:111], v[90:91]
	s_waitcnt lgkmcnt(0)
	v_fma_f64 v[94:95], v[94:95], v[112:113], v[90:91]
	scratch_load_b128 v[90:93], off, off offset:168
	s_waitcnt vmcnt(4)
	v_fma_f64 v[112:113], v[96:97], v[114:115], v[94:95]
	ds_load_b128 v[94:97], v1 offset:448
	ds_load_b128 v[108:111], v1 offset:464
	s_waitcnt lgkmcnt(1)
	v_fma_f64 v[94:95], v[98:99], v[94:95], v[112:113]
	scratch_load_b128 v[112:115], off, off offset:184
	s_waitcnt vmcnt(4)
	v_fma_f64 v[94:95], v[100:101], v[96:97], v[94:95]
	s_waitcnt lgkmcnt(0)
	s_delay_alu instid0(VALU_DEP_1)
	v_fma_f64 v[98:99], v[102:103], v[108:109], v[94:95]
	scratch_load_b128 v[94:97], off, off offset:200
	s_waitcnt vmcnt(4)
	v_fma_f64 v[108:109], v[104:105], v[110:111], v[98:99]
	ds_load_b128 v[98:101], v1 offset:480
	ds_load_b128 v[102:105], v1 offset:496
	s_waitcnt lgkmcnt(1)
	v_fma_f64 v[98:99], v[106:107], v[98:99], v[108:109]
	scratch_load_b128 v[106:109], off, off offset:216
	s_waitcnt vmcnt(4)
	v_fma_f64 v[98:99], v[116:117], v[100:101], v[98:99]
	s_waitcnt lgkmcnt(0)
	s_delay_alu instid0(VALU_DEP_1)
	;; [unrolled: 13-line block ×5, first 2 shown]
	v_fma_f64 v[90:91], v[92:93], v[114:115], v[90:91]
	scratch_load_b64 v[114:115], off, off offset:328
	s_waitcnt vmcnt(4)
	v_fma_f64 v[102:103], v[102:103], v[116:117], v[90:91]
	ds_load_b128 v[90:93], v1 offset:608
	ds_load_b128 v[110:113], v1 offset:624
	s_waitcnt lgkmcnt(1)
	v_fma_f64 v[90:91], v[104:105], v[90:91], v[102:103]
	s_waitcnt vmcnt(3)
	s_delay_alu instid0(VALU_DEP_1) | instskip(SKIP_1) | instid1(VALU_DEP_1)
	v_fma_f64 v[90:91], v[94:95], v[92:93], v[90:91]
	s_waitcnt lgkmcnt(0)
	v_fma_f64 v[90:91], v[96:97], v[110:111], v[90:91]
	s_waitcnt vmcnt(2)
	s_delay_alu instid0(VALU_DEP_1)
	v_fma_f64 v[102:103], v[106:107], v[112:113], v[90:91]
	ds_load_b128 v[90:93], v1 offset:640
	ds_load_b128 v[94:97], v1 offset:656
	s_waitcnt lgkmcnt(1)
	v_fma_f64 v[1:2], v[108:109], v[90:91], v[102:103]
	s_waitcnt vmcnt(1)
	s_delay_alu instid0(VALU_DEP_1) | instskip(SKIP_1) | instid1(VALU_DEP_1)
	v_fma_f64 v[1:2], v[98:99], v[92:93], v[1:2]
	s_waitcnt lgkmcnt(0)
	v_fma_f64 v[1:2], v[100:101], v[94:95], v[1:2]
	s_waitcnt vmcnt(0)
	s_delay_alu instid0(VALU_DEP_1) | instskip(NEXT) | instid1(VALU_DEP_1)
	v_fma_f64 v[1:2], v[114:115], v[96:97], v[1:2]
	v_add_f64 v[1:2], v[88:89], -v[1:2]
	scratch_store_b64 off, v[1:2], off offset:72
	v_cmpx_lt_u32_e32 8, v0
	s_cbranch_execz .LBB41_245
; %bb.244:
	scratch_load_b64 v[1:2], off, off offset:64
	v_mov_b32_e32 v88, 0
	s_delay_alu instid0(VALU_DEP_1)
	v_mov_b32_e32 v89, v88
	scratch_store_b64 off, v[88:89], off offset:64
	s_waitcnt vmcnt(0)
	ds_store_b64 v3, v[1:2]
.LBB41_245:
	s_or_b32 exec_lo, exec_lo, s0
	s_waitcnt lgkmcnt(0)
	s_waitcnt_vscnt null, 0x0
	s_barrier
	buffer_gl0_inv
	s_clause 0x4
	scratch_load_b128 v[88:91], off, off offset:64
	scratch_load_b128 v[92:95], off, off offset:80
	;; [unrolled: 1-line block ×5, first 2 shown]
	v_mov_b32_e32 v1, 0
	ds_load_2addr_b64 v[108:111], v1 offset0:51 offset1:52
	ds_load_2addr_b64 v[112:115], v1 offset0:53 offset1:54
	scratch_load_b128 v[116:119], off, off offset:144
	s_mov_b32 s0, exec_lo
	s_waitcnt vmcnt(5) lgkmcnt(1)
	v_fma_f64 v[90:91], v[90:91], v[108:109], 0
	s_waitcnt vmcnt(4)
	s_delay_alu instid0(VALU_DEP_1) | instskip(SKIP_1) | instid1(VALU_DEP_1)
	v_fma_f64 v[90:91], v[92:93], v[110:111], v[90:91]
	s_waitcnt lgkmcnt(0)
	v_fma_f64 v[94:95], v[94:95], v[112:113], v[90:91]
	scratch_load_b128 v[90:93], off, off offset:160
	s_waitcnt vmcnt(4)
	v_fma_f64 v[112:113], v[96:97], v[114:115], v[94:95]
	ds_load_2addr_b64 v[94:97], v1 offset0:55 offset1:56
	ds_load_2addr_b64 v[108:111], v1 offset0:57 offset1:58
	s_waitcnt lgkmcnt(1)
	v_fma_f64 v[94:95], v[98:99], v[94:95], v[112:113]
	scratch_load_b128 v[112:115], off, off offset:176
	s_waitcnt vmcnt(4)
	v_fma_f64 v[94:95], v[100:101], v[96:97], v[94:95]
	s_waitcnt lgkmcnt(0)
	s_delay_alu instid0(VALU_DEP_1)
	v_fma_f64 v[98:99], v[102:103], v[108:109], v[94:95]
	scratch_load_b128 v[94:97], off, off offset:192
	s_waitcnt vmcnt(4)
	v_fma_f64 v[108:109], v[104:105], v[110:111], v[98:99]
	ds_load_2addr_b64 v[98:101], v1 offset0:59 offset1:60
	ds_load_2addr_b64 v[102:105], v1 offset0:61 offset1:62
	s_waitcnt lgkmcnt(1)
	v_fma_f64 v[98:99], v[106:107], v[98:99], v[108:109]
	scratch_load_b128 v[106:109], off, off offset:208
	s_waitcnt vmcnt(4)
	v_fma_f64 v[98:99], v[116:117], v[100:101], v[98:99]
	s_waitcnt lgkmcnt(0)
	s_delay_alu instid0(VALU_DEP_1)
	;; [unrolled: 13-line block ×5, first 2 shown]
	v_fma_f64 v[110:111], v[92:93], v[114:115], v[90:91]
	scratch_load_b128 v[90:93], off, off offset:320
	s_waitcnt vmcnt(4)
	v_fma_f64 v[102:103], v[102:103], v[116:117], v[110:111]
	ds_load_2addr_b64 v[110:113], v1 offset0:75 offset1:76
	ds_load_2addr_b64 v[114:117], v1 offset0:77 offset1:78
	s_waitcnt lgkmcnt(1)
	v_fma_f64 v[102:103], v[104:105], v[110:111], v[102:103]
	s_waitcnt vmcnt(3)
	s_delay_alu instid0(VALU_DEP_1) | instskip(SKIP_1) | instid1(VALU_DEP_1)
	v_fma_f64 v[94:95], v[94:95], v[112:113], v[102:103]
	s_waitcnt lgkmcnt(0)
	v_fma_f64 v[94:95], v[96:97], v[114:115], v[94:95]
	s_waitcnt vmcnt(2)
	s_delay_alu instid0(VALU_DEP_1)
	v_fma_f64 v[106:107], v[106:107], v[116:117], v[94:95]
	ds_load_2addr_b64 v[94:97], v1 offset0:79 offset1:80
	ds_load_2addr_b64 v[102:105], v1 offset0:81 offset1:82
	s_waitcnt lgkmcnt(1)
	v_fma_f64 v[94:95], v[108:109], v[94:95], v[106:107]
	s_waitcnt vmcnt(1)
	s_delay_alu instid0(VALU_DEP_1) | instskip(SKIP_1) | instid1(VALU_DEP_1)
	v_fma_f64 v[94:95], v[98:99], v[96:97], v[94:95]
	s_waitcnt lgkmcnt(0)
	v_fma_f64 v[94:95], v[100:101], v[102:103], v[94:95]
	s_waitcnt vmcnt(0)
	s_delay_alu instid0(VALU_DEP_1) | instskip(SKIP_3) | instid1(VALU_DEP_1)
	v_fma_f64 v[90:91], v[90:91], v[104:105], v[94:95]
	ds_load_b64 v[94:95], v1 offset:664
	s_waitcnt lgkmcnt(0)
	v_fma_f64 v[90:91], v[92:93], v[94:95], v[90:91]
	v_add_f64 v[88:89], v[88:89], -v[90:91]
	scratch_store_b64 off, v[88:89], off offset:64
	v_cmpx_lt_u32_e32 7, v0
	s_cbranch_execz .LBB41_247
; %bb.246:
	scratch_load_b64 v[88:89], off, off offset:56
	v_mov_b32_e32 v2, v1
	scratch_store_b64 off, v[1:2], off offset:56
	s_waitcnt vmcnt(0)
	ds_store_b64 v3, v[88:89]
.LBB41_247:
	s_or_b32 exec_lo, exec_lo, s0
	s_waitcnt lgkmcnt(0)
	s_waitcnt_vscnt null, 0x0
	s_barrier
	buffer_gl0_inv
	s_clause 0x4
	scratch_load_b128 v[88:91], off, off offset:56
	scratch_load_b128 v[92:95], off, off offset:72
	;; [unrolled: 1-line block ×5, first 2 shown]
	ds_load_b128 v[108:111], v1 offset:400
	ds_load_b128 v[112:115], v1 offset:416
	scratch_load_b128 v[116:119], off, off offset:136
	s_mov_b32 s0, exec_lo
	s_waitcnt vmcnt(5) lgkmcnt(1)
	v_fma_f64 v[90:91], v[90:91], v[108:109], 0
	s_waitcnt vmcnt(4)
	s_delay_alu instid0(VALU_DEP_1) | instskip(SKIP_1) | instid1(VALU_DEP_1)
	v_fma_f64 v[90:91], v[92:93], v[110:111], v[90:91]
	s_waitcnt lgkmcnt(0)
	v_fma_f64 v[94:95], v[94:95], v[112:113], v[90:91]
	scratch_load_b128 v[90:93], off, off offset:152
	s_waitcnt vmcnt(4)
	v_fma_f64 v[112:113], v[96:97], v[114:115], v[94:95]
	ds_load_b128 v[94:97], v1 offset:432
	ds_load_b128 v[108:111], v1 offset:448
	s_waitcnt lgkmcnt(1)
	v_fma_f64 v[94:95], v[98:99], v[94:95], v[112:113]
	scratch_load_b128 v[112:115], off, off offset:168
	s_waitcnt vmcnt(4)
	v_fma_f64 v[94:95], v[100:101], v[96:97], v[94:95]
	s_waitcnt lgkmcnt(0)
	s_delay_alu instid0(VALU_DEP_1)
	v_fma_f64 v[98:99], v[102:103], v[108:109], v[94:95]
	scratch_load_b128 v[94:97], off, off offset:184
	s_waitcnt vmcnt(4)
	v_fma_f64 v[108:109], v[104:105], v[110:111], v[98:99]
	ds_load_b128 v[98:101], v1 offset:464
	ds_load_b128 v[102:105], v1 offset:480
	s_waitcnt lgkmcnt(1)
	v_fma_f64 v[98:99], v[106:107], v[98:99], v[108:109]
	scratch_load_b128 v[106:109], off, off offset:200
	s_waitcnt vmcnt(4)
	v_fma_f64 v[98:99], v[116:117], v[100:101], v[98:99]
	s_waitcnt lgkmcnt(0)
	s_delay_alu instid0(VALU_DEP_1)
	;; [unrolled: 13-line block ×5, first 2 shown]
	v_fma_f64 v[110:111], v[92:93], v[114:115], v[90:91]
	scratch_load_b128 v[90:93], off, off offset:312
	s_waitcnt vmcnt(4)
	v_fma_f64 v[102:103], v[102:103], v[116:117], v[110:111]
	ds_load_b128 v[110:113], v1 offset:592
	ds_load_b128 v[114:117], v1 offset:608
	s_waitcnt lgkmcnt(1)
	v_fma_f64 v[102:103], v[104:105], v[110:111], v[102:103]
	scratch_load_b64 v[110:111], off, off offset:328
	s_waitcnt vmcnt(4)
	v_fma_f64 v[94:95], v[94:95], v[112:113], v[102:103]
	s_waitcnt lgkmcnt(0)
	s_delay_alu instid0(VALU_DEP_1) | instskip(SKIP_1) | instid1(VALU_DEP_1)
	v_fma_f64 v[94:95], v[96:97], v[114:115], v[94:95]
	s_waitcnt vmcnt(3)
	v_fma_f64 v[106:107], v[106:107], v[116:117], v[94:95]
	ds_load_b128 v[94:97], v1 offset:624
	ds_load_b128 v[102:105], v1 offset:640
	s_waitcnt lgkmcnt(1)
	v_fma_f64 v[94:95], v[108:109], v[94:95], v[106:107]
	s_waitcnt vmcnt(2)
	s_delay_alu instid0(VALU_DEP_1) | instskip(SKIP_1) | instid1(VALU_DEP_1)
	v_fma_f64 v[94:95], v[98:99], v[96:97], v[94:95]
	s_waitcnt lgkmcnt(0)
	v_fma_f64 v[94:95], v[100:101], v[102:103], v[94:95]
	s_waitcnt vmcnt(1)
	s_delay_alu instid0(VALU_DEP_1) | instskip(SKIP_4) | instid1(VALU_DEP_1)
	v_fma_f64 v[90:91], v[90:91], v[104:105], v[94:95]
	ds_load_b128 v[94:97], v1 offset:656
	s_waitcnt lgkmcnt(0)
	v_fma_f64 v[1:2], v[92:93], v[94:95], v[90:91]
	s_waitcnt vmcnt(0)
	v_fma_f64 v[1:2], v[110:111], v[96:97], v[1:2]
	s_delay_alu instid0(VALU_DEP_1)
	v_add_f64 v[1:2], v[88:89], -v[1:2]
	scratch_store_b64 off, v[1:2], off offset:56
	v_cmpx_lt_u32_e32 6, v0
	s_cbranch_execz .LBB41_249
; %bb.248:
	scratch_load_b64 v[1:2], off, off offset:48
	v_mov_b32_e32 v88, 0
	s_delay_alu instid0(VALU_DEP_1)
	v_mov_b32_e32 v89, v88
	scratch_store_b64 off, v[88:89], off offset:48
	s_waitcnt vmcnt(0)
	ds_store_b64 v3, v[1:2]
.LBB41_249:
	s_or_b32 exec_lo, exec_lo, s0
	s_waitcnt lgkmcnt(0)
	s_waitcnt_vscnt null, 0x0
	s_barrier
	buffer_gl0_inv
	s_clause 0x4
	scratch_load_b128 v[88:91], off, off offset:48
	scratch_load_b128 v[92:95], off, off offset:64
	;; [unrolled: 1-line block ×5, first 2 shown]
	v_mov_b32_e32 v1, 0
	ds_load_2addr_b64 v[108:111], v1 offset0:49 offset1:50
	ds_load_2addr_b64 v[112:115], v1 offset0:51 offset1:52
	scratch_load_b128 v[116:119], off, off offset:128
	s_mov_b32 s0, exec_lo
	s_waitcnt vmcnt(5) lgkmcnt(1)
	v_fma_f64 v[90:91], v[90:91], v[108:109], 0
	s_waitcnt vmcnt(4)
	s_delay_alu instid0(VALU_DEP_1) | instskip(SKIP_1) | instid1(VALU_DEP_1)
	v_fma_f64 v[90:91], v[92:93], v[110:111], v[90:91]
	s_waitcnt lgkmcnt(0)
	v_fma_f64 v[94:95], v[94:95], v[112:113], v[90:91]
	scratch_load_b128 v[90:93], off, off offset:144
	s_waitcnt vmcnt(4)
	v_fma_f64 v[112:113], v[96:97], v[114:115], v[94:95]
	ds_load_2addr_b64 v[94:97], v1 offset0:53 offset1:54
	ds_load_2addr_b64 v[108:111], v1 offset0:55 offset1:56
	s_waitcnt lgkmcnt(1)
	v_fma_f64 v[94:95], v[98:99], v[94:95], v[112:113]
	scratch_load_b128 v[112:115], off, off offset:160
	s_waitcnt vmcnt(4)
	v_fma_f64 v[94:95], v[100:101], v[96:97], v[94:95]
	s_waitcnt lgkmcnt(0)
	s_delay_alu instid0(VALU_DEP_1)
	v_fma_f64 v[98:99], v[102:103], v[108:109], v[94:95]
	scratch_load_b128 v[94:97], off, off offset:176
	s_waitcnt vmcnt(4)
	v_fma_f64 v[108:109], v[104:105], v[110:111], v[98:99]
	ds_load_2addr_b64 v[98:101], v1 offset0:57 offset1:58
	ds_load_2addr_b64 v[102:105], v1 offset0:59 offset1:60
	s_waitcnt lgkmcnt(1)
	v_fma_f64 v[98:99], v[106:107], v[98:99], v[108:109]
	scratch_load_b128 v[106:109], off, off offset:192
	s_waitcnt vmcnt(4)
	v_fma_f64 v[98:99], v[116:117], v[100:101], v[98:99]
	s_waitcnt lgkmcnt(0)
	s_delay_alu instid0(VALU_DEP_1)
	;; [unrolled: 13-line block ×5, first 2 shown]
	v_fma_f64 v[110:111], v[92:93], v[114:115], v[90:91]
	scratch_load_b128 v[90:93], off, off offset:304
	s_waitcnt vmcnt(4)
	v_fma_f64 v[102:103], v[102:103], v[116:117], v[110:111]
	ds_load_2addr_b64 v[110:113], v1 offset0:73 offset1:74
	ds_load_2addr_b64 v[114:117], v1 offset0:75 offset1:76
	s_waitcnt lgkmcnt(1)
	v_fma_f64 v[110:111], v[104:105], v[110:111], v[102:103]
	scratch_load_b128 v[102:105], off, off offset:320
	s_waitcnt vmcnt(4)
	v_fma_f64 v[94:95], v[94:95], v[112:113], v[110:111]
	s_waitcnt lgkmcnt(0)
	s_delay_alu instid0(VALU_DEP_1) | instskip(SKIP_1) | instid1(VALU_DEP_1)
	v_fma_f64 v[94:95], v[96:97], v[114:115], v[94:95]
	s_waitcnt vmcnt(3)
	v_fma_f64 v[106:107], v[106:107], v[116:117], v[94:95]
	ds_load_2addr_b64 v[94:97], v1 offset0:77 offset1:78
	ds_load_2addr_b64 v[110:113], v1 offset0:79 offset1:80
	s_waitcnt lgkmcnt(1)
	v_fma_f64 v[94:95], v[108:109], v[94:95], v[106:107]
	s_waitcnt vmcnt(2)
	s_delay_alu instid0(VALU_DEP_1) | instskip(SKIP_1) | instid1(VALU_DEP_1)
	v_fma_f64 v[94:95], v[98:99], v[96:97], v[94:95]
	s_waitcnt lgkmcnt(0)
	v_fma_f64 v[94:95], v[100:101], v[110:111], v[94:95]
	s_waitcnt vmcnt(1)
	s_delay_alu instid0(VALU_DEP_1)
	v_fma_f64 v[90:91], v[90:91], v[112:113], v[94:95]
	ds_load_2addr_b64 v[94:97], v1 offset0:81 offset1:82
	ds_load_b64 v[98:99], v1 offset:664
	s_waitcnt lgkmcnt(1)
	v_fma_f64 v[90:91], v[92:93], v[94:95], v[90:91]
	s_waitcnt vmcnt(0)
	s_delay_alu instid0(VALU_DEP_1) | instskip(SKIP_1) | instid1(VALU_DEP_1)
	v_fma_f64 v[90:91], v[102:103], v[96:97], v[90:91]
	s_waitcnt lgkmcnt(0)
	v_fma_f64 v[90:91], v[104:105], v[98:99], v[90:91]
	s_delay_alu instid0(VALU_DEP_1)
	v_add_f64 v[88:89], v[88:89], -v[90:91]
	scratch_store_b64 off, v[88:89], off offset:48
	v_cmpx_lt_u32_e32 5, v0
	s_cbranch_execz .LBB41_251
; %bb.250:
	scratch_load_b64 v[88:89], off, off offset:40
	v_mov_b32_e32 v2, v1
	scratch_store_b64 off, v[1:2], off offset:40
	s_waitcnt vmcnt(0)
	ds_store_b64 v3, v[88:89]
.LBB41_251:
	s_or_b32 exec_lo, exec_lo, s0
	s_waitcnt lgkmcnt(0)
	s_waitcnt_vscnt null, 0x0
	s_barrier
	buffer_gl0_inv
	s_clause 0x4
	scratch_load_b128 v[88:91], off, off offset:40
	scratch_load_b128 v[92:95], off, off offset:56
	;; [unrolled: 1-line block ×5, first 2 shown]
	ds_load_b128 v[108:111], v1 offset:384
	ds_load_b128 v[112:115], v1 offset:400
	scratch_load_b128 v[116:119], off, off offset:120
	s_mov_b32 s0, exec_lo
	s_waitcnt vmcnt(5) lgkmcnt(1)
	v_fma_f64 v[90:91], v[90:91], v[108:109], 0
	s_waitcnt vmcnt(4)
	s_delay_alu instid0(VALU_DEP_1) | instskip(SKIP_1) | instid1(VALU_DEP_1)
	v_fma_f64 v[90:91], v[92:93], v[110:111], v[90:91]
	s_waitcnt lgkmcnt(0)
	v_fma_f64 v[94:95], v[94:95], v[112:113], v[90:91]
	scratch_load_b128 v[90:93], off, off offset:136
	s_waitcnt vmcnt(4)
	v_fma_f64 v[112:113], v[96:97], v[114:115], v[94:95]
	ds_load_b128 v[94:97], v1 offset:416
	ds_load_b128 v[108:111], v1 offset:432
	s_waitcnt lgkmcnt(1)
	v_fma_f64 v[94:95], v[98:99], v[94:95], v[112:113]
	scratch_load_b128 v[112:115], off, off offset:152
	s_waitcnt vmcnt(4)
	v_fma_f64 v[94:95], v[100:101], v[96:97], v[94:95]
	s_waitcnt lgkmcnt(0)
	s_delay_alu instid0(VALU_DEP_1)
	v_fma_f64 v[98:99], v[102:103], v[108:109], v[94:95]
	scratch_load_b128 v[94:97], off, off offset:168
	s_waitcnt vmcnt(4)
	v_fma_f64 v[108:109], v[104:105], v[110:111], v[98:99]
	ds_load_b128 v[98:101], v1 offset:448
	ds_load_b128 v[102:105], v1 offset:464
	s_waitcnt lgkmcnt(1)
	v_fma_f64 v[98:99], v[106:107], v[98:99], v[108:109]
	scratch_load_b128 v[106:109], off, off offset:184
	s_waitcnt vmcnt(4)
	v_fma_f64 v[98:99], v[116:117], v[100:101], v[98:99]
	s_waitcnt lgkmcnt(0)
	s_delay_alu instid0(VALU_DEP_1)
	;; [unrolled: 13-line block ×6, first 2 shown]
	v_fma_f64 v[94:95], v[96:97], v[114:115], v[94:95]
	scratch_load_b64 v[114:115], off, off offset:328
	s_waitcnt vmcnt(4)
	v_fma_f64 v[106:107], v[106:107], v[116:117], v[94:95]
	ds_load_b128 v[94:97], v1 offset:608
	ds_load_b128 v[110:113], v1 offset:624
	s_waitcnt lgkmcnt(1)
	v_fma_f64 v[94:95], v[108:109], v[94:95], v[106:107]
	s_waitcnt vmcnt(3)
	s_delay_alu instid0(VALU_DEP_1) | instskip(SKIP_1) | instid1(VALU_DEP_1)
	v_fma_f64 v[94:95], v[98:99], v[96:97], v[94:95]
	s_waitcnt lgkmcnt(0)
	v_fma_f64 v[94:95], v[100:101], v[110:111], v[94:95]
	s_waitcnt vmcnt(2)
	s_delay_alu instid0(VALU_DEP_1)
	v_fma_f64 v[90:91], v[90:91], v[112:113], v[94:95]
	ds_load_b128 v[94:97], v1 offset:640
	ds_load_b128 v[98:101], v1 offset:656
	s_waitcnt lgkmcnt(1)
	v_fma_f64 v[1:2], v[92:93], v[94:95], v[90:91]
	s_waitcnt vmcnt(1)
	s_delay_alu instid0(VALU_DEP_1) | instskip(SKIP_1) | instid1(VALU_DEP_1)
	v_fma_f64 v[1:2], v[102:103], v[96:97], v[1:2]
	s_waitcnt lgkmcnt(0)
	v_fma_f64 v[1:2], v[104:105], v[98:99], v[1:2]
	s_waitcnt vmcnt(0)
	s_delay_alu instid0(VALU_DEP_1) | instskip(NEXT) | instid1(VALU_DEP_1)
	v_fma_f64 v[1:2], v[114:115], v[100:101], v[1:2]
	v_add_f64 v[1:2], v[88:89], -v[1:2]
	scratch_store_b64 off, v[1:2], off offset:40
	v_cmpx_lt_u32_e32 4, v0
	s_cbranch_execz .LBB41_253
; %bb.252:
	scratch_load_b64 v[1:2], off, off offset:32
	v_mov_b32_e32 v88, 0
	s_delay_alu instid0(VALU_DEP_1)
	v_mov_b32_e32 v89, v88
	scratch_store_b64 off, v[88:89], off offset:32
	s_waitcnt vmcnt(0)
	ds_store_b64 v3, v[1:2]
.LBB41_253:
	s_or_b32 exec_lo, exec_lo, s0
	s_waitcnt lgkmcnt(0)
	s_waitcnt_vscnt null, 0x0
	s_barrier
	buffer_gl0_inv
	s_clause 0x4
	scratch_load_b128 v[88:91], off, off offset:32
	scratch_load_b128 v[92:95], off, off offset:48
	;; [unrolled: 1-line block ×5, first 2 shown]
	v_mov_b32_e32 v1, 0
	ds_load_2addr_b64 v[108:111], v1 offset0:47 offset1:48
	ds_load_2addr_b64 v[112:115], v1 offset0:49 offset1:50
	scratch_load_b128 v[116:119], off, off offset:112
	s_mov_b32 s0, exec_lo
	s_waitcnt vmcnt(5) lgkmcnt(1)
	v_fma_f64 v[90:91], v[90:91], v[108:109], 0
	s_waitcnt vmcnt(4)
	s_delay_alu instid0(VALU_DEP_1) | instskip(SKIP_1) | instid1(VALU_DEP_1)
	v_fma_f64 v[90:91], v[92:93], v[110:111], v[90:91]
	s_waitcnt lgkmcnt(0)
	v_fma_f64 v[94:95], v[94:95], v[112:113], v[90:91]
	scratch_load_b128 v[90:93], off, off offset:128
	s_waitcnt vmcnt(4)
	v_fma_f64 v[112:113], v[96:97], v[114:115], v[94:95]
	ds_load_2addr_b64 v[94:97], v1 offset0:51 offset1:52
	ds_load_2addr_b64 v[108:111], v1 offset0:53 offset1:54
	s_waitcnt lgkmcnt(1)
	v_fma_f64 v[94:95], v[98:99], v[94:95], v[112:113]
	scratch_load_b128 v[112:115], off, off offset:144
	s_waitcnt vmcnt(4)
	v_fma_f64 v[94:95], v[100:101], v[96:97], v[94:95]
	s_waitcnt lgkmcnt(0)
	s_delay_alu instid0(VALU_DEP_1)
	v_fma_f64 v[98:99], v[102:103], v[108:109], v[94:95]
	scratch_load_b128 v[94:97], off, off offset:160
	s_waitcnt vmcnt(4)
	v_fma_f64 v[108:109], v[104:105], v[110:111], v[98:99]
	ds_load_2addr_b64 v[98:101], v1 offset0:55 offset1:56
	ds_load_2addr_b64 v[102:105], v1 offset0:57 offset1:58
	s_waitcnt lgkmcnt(1)
	v_fma_f64 v[98:99], v[106:107], v[98:99], v[108:109]
	scratch_load_b128 v[106:109], off, off offset:176
	s_waitcnt vmcnt(4)
	v_fma_f64 v[98:99], v[116:117], v[100:101], v[98:99]
	s_waitcnt lgkmcnt(0)
	s_delay_alu instid0(VALU_DEP_1)
	;; [unrolled: 13-line block ×6, first 2 shown]
	v_fma_f64 v[110:111], v[96:97], v[114:115], v[94:95]
	scratch_load_b128 v[94:97], off, off offset:320
	s_waitcnt vmcnt(4)
	v_fma_f64 v[106:107], v[106:107], v[116:117], v[110:111]
	ds_load_2addr_b64 v[110:113], v1 offset0:75 offset1:76
	ds_load_2addr_b64 v[114:117], v1 offset0:77 offset1:78
	s_waitcnt lgkmcnt(1)
	v_fma_f64 v[106:107], v[108:109], v[110:111], v[106:107]
	s_waitcnt vmcnt(3)
	s_delay_alu instid0(VALU_DEP_1) | instskip(SKIP_1) | instid1(VALU_DEP_1)
	v_fma_f64 v[98:99], v[98:99], v[112:113], v[106:107]
	s_waitcnt lgkmcnt(0)
	v_fma_f64 v[98:99], v[100:101], v[114:115], v[98:99]
	s_waitcnt vmcnt(2)
	s_delay_alu instid0(VALU_DEP_1)
	v_fma_f64 v[90:91], v[90:91], v[116:117], v[98:99]
	ds_load_2addr_b64 v[98:101], v1 offset0:79 offset1:80
	ds_load_2addr_b64 v[106:109], v1 offset0:81 offset1:82
	s_waitcnt lgkmcnt(1)
	v_fma_f64 v[90:91], v[92:93], v[98:99], v[90:91]
	ds_load_b64 v[92:93], v1 offset:664
	s_waitcnt vmcnt(1)
	v_fma_f64 v[90:91], v[102:103], v[100:101], v[90:91]
	s_waitcnt lgkmcnt(1)
	s_delay_alu instid0(VALU_DEP_1) | instskip(SKIP_1) | instid1(VALU_DEP_1)
	v_fma_f64 v[90:91], v[104:105], v[106:107], v[90:91]
	s_waitcnt vmcnt(0)
	v_fma_f64 v[90:91], v[94:95], v[108:109], v[90:91]
	s_waitcnt lgkmcnt(0)
	s_delay_alu instid0(VALU_DEP_1) | instskip(NEXT) | instid1(VALU_DEP_1)
	v_fma_f64 v[90:91], v[96:97], v[92:93], v[90:91]
	v_add_f64 v[88:89], v[88:89], -v[90:91]
	scratch_store_b64 off, v[88:89], off offset:32
	v_cmpx_lt_u32_e32 3, v0
	s_cbranch_execz .LBB41_255
; %bb.254:
	scratch_load_b64 v[88:89], off, off offset:24
	v_mov_b32_e32 v2, v1
	scratch_store_b64 off, v[1:2], off offset:24
	s_waitcnt vmcnt(0)
	ds_store_b64 v3, v[88:89]
.LBB41_255:
	s_or_b32 exec_lo, exec_lo, s0
	s_waitcnt lgkmcnt(0)
	s_waitcnt_vscnt null, 0x0
	s_barrier
	buffer_gl0_inv
	s_clause 0x4
	scratch_load_b128 v[88:91], off, off offset:24
	scratch_load_b128 v[92:95], off, off offset:40
	;; [unrolled: 1-line block ×5, first 2 shown]
	ds_load_b128 v[108:111], v1 offset:368
	ds_load_b128 v[112:115], v1 offset:384
	scratch_load_b128 v[116:119], off, off offset:104
	s_mov_b32 s0, exec_lo
	s_waitcnt vmcnt(5) lgkmcnt(1)
	v_fma_f64 v[90:91], v[90:91], v[108:109], 0
	s_waitcnt vmcnt(4)
	s_delay_alu instid0(VALU_DEP_1) | instskip(SKIP_1) | instid1(VALU_DEP_1)
	v_fma_f64 v[90:91], v[92:93], v[110:111], v[90:91]
	s_waitcnt lgkmcnt(0)
	v_fma_f64 v[94:95], v[94:95], v[112:113], v[90:91]
	scratch_load_b128 v[90:93], off, off offset:120
	s_waitcnt vmcnt(4)
	v_fma_f64 v[112:113], v[96:97], v[114:115], v[94:95]
	ds_load_b128 v[94:97], v1 offset:400
	ds_load_b128 v[108:111], v1 offset:416
	s_waitcnt lgkmcnt(1)
	v_fma_f64 v[94:95], v[98:99], v[94:95], v[112:113]
	scratch_load_b128 v[112:115], off, off offset:136
	s_waitcnt vmcnt(4)
	v_fma_f64 v[94:95], v[100:101], v[96:97], v[94:95]
	s_waitcnt lgkmcnt(0)
	s_delay_alu instid0(VALU_DEP_1)
	v_fma_f64 v[98:99], v[102:103], v[108:109], v[94:95]
	scratch_load_b128 v[94:97], off, off offset:152
	s_waitcnt vmcnt(4)
	v_fma_f64 v[108:109], v[104:105], v[110:111], v[98:99]
	ds_load_b128 v[98:101], v1 offset:432
	ds_load_b128 v[102:105], v1 offset:448
	s_waitcnt lgkmcnt(1)
	v_fma_f64 v[98:99], v[106:107], v[98:99], v[108:109]
	scratch_load_b128 v[106:109], off, off offset:168
	s_waitcnt vmcnt(4)
	v_fma_f64 v[98:99], v[116:117], v[100:101], v[98:99]
	s_waitcnt lgkmcnt(0)
	s_delay_alu instid0(VALU_DEP_1)
	;; [unrolled: 13-line block ×6, first 2 shown]
	v_fma_f64 v[110:111], v[96:97], v[114:115], v[94:95]
	scratch_load_b128 v[94:97], off, off offset:312
	s_waitcnt vmcnt(4)
	v_fma_f64 v[106:107], v[106:107], v[116:117], v[110:111]
	ds_load_b128 v[110:113], v1 offset:592
	ds_load_b128 v[114:117], v1 offset:608
	s_waitcnt lgkmcnt(1)
	v_fma_f64 v[106:107], v[108:109], v[110:111], v[106:107]
	scratch_load_b64 v[110:111], off, off offset:328
	s_waitcnt vmcnt(4)
	v_fma_f64 v[98:99], v[98:99], v[112:113], v[106:107]
	s_waitcnt lgkmcnt(0)
	s_delay_alu instid0(VALU_DEP_1) | instskip(SKIP_1) | instid1(VALU_DEP_1)
	v_fma_f64 v[98:99], v[100:101], v[114:115], v[98:99]
	s_waitcnt vmcnt(3)
	v_fma_f64 v[90:91], v[90:91], v[116:117], v[98:99]
	ds_load_b128 v[98:101], v1 offset:624
	ds_load_b128 v[106:109], v1 offset:640
	s_waitcnt lgkmcnt(1)
	v_fma_f64 v[90:91], v[92:93], v[98:99], v[90:91]
	s_waitcnt vmcnt(2)
	s_delay_alu instid0(VALU_DEP_1) | instskip(SKIP_1) | instid1(VALU_DEP_1)
	v_fma_f64 v[90:91], v[102:103], v[100:101], v[90:91]
	s_waitcnt lgkmcnt(0)
	v_fma_f64 v[90:91], v[104:105], v[106:107], v[90:91]
	s_waitcnt vmcnt(1)
	s_delay_alu instid0(VALU_DEP_1) | instskip(SKIP_4) | instid1(VALU_DEP_1)
	v_fma_f64 v[94:95], v[94:95], v[108:109], v[90:91]
	ds_load_b128 v[90:93], v1 offset:656
	s_waitcnt lgkmcnt(0)
	v_fma_f64 v[1:2], v[96:97], v[90:91], v[94:95]
	s_waitcnt vmcnt(0)
	v_fma_f64 v[1:2], v[110:111], v[92:93], v[1:2]
	s_delay_alu instid0(VALU_DEP_1)
	v_add_f64 v[1:2], v[88:89], -v[1:2]
	scratch_store_b64 off, v[1:2], off offset:24
	v_cmpx_lt_u32_e32 2, v0
	s_cbranch_execz .LBB41_257
; %bb.256:
	scratch_load_b64 v[1:2], off, off offset:16
	v_mov_b32_e32 v88, 0
	s_delay_alu instid0(VALU_DEP_1)
	v_mov_b32_e32 v89, v88
	scratch_store_b64 off, v[88:89], off offset:16
	s_waitcnt vmcnt(0)
	ds_store_b64 v3, v[1:2]
.LBB41_257:
	s_or_b32 exec_lo, exec_lo, s0
	s_waitcnt lgkmcnt(0)
	s_waitcnt_vscnt null, 0x0
	s_barrier
	buffer_gl0_inv
	s_clause 0x4
	scratch_load_b128 v[88:91], off, off offset:16
	scratch_load_b128 v[92:95], off, off offset:32
	scratch_load_b128 v[96:99], off, off offset:48
	scratch_load_b128 v[100:103], off, off offset:64
	scratch_load_b128 v[104:107], off, off offset:80
	v_mov_b32_e32 v1, 0
	ds_load_2addr_b64 v[108:111], v1 offset0:45 offset1:46
	ds_load_2addr_b64 v[112:115], v1 offset0:47 offset1:48
	scratch_load_b128 v[116:119], off, off offset:96
	s_mov_b32 s0, exec_lo
	s_waitcnt vmcnt(5) lgkmcnt(1)
	v_fma_f64 v[90:91], v[90:91], v[108:109], 0
	s_waitcnt vmcnt(4)
	s_delay_alu instid0(VALU_DEP_1) | instskip(SKIP_1) | instid1(VALU_DEP_1)
	v_fma_f64 v[90:91], v[92:93], v[110:111], v[90:91]
	s_waitcnt lgkmcnt(0)
	v_fma_f64 v[94:95], v[94:95], v[112:113], v[90:91]
	scratch_load_b128 v[90:93], off, off offset:112
	s_waitcnt vmcnt(4)
	v_fma_f64 v[112:113], v[96:97], v[114:115], v[94:95]
	ds_load_2addr_b64 v[94:97], v1 offset0:49 offset1:50
	ds_load_2addr_b64 v[108:111], v1 offset0:51 offset1:52
	s_waitcnt lgkmcnt(1)
	v_fma_f64 v[94:95], v[98:99], v[94:95], v[112:113]
	scratch_load_b128 v[112:115], off, off offset:128
	s_waitcnt vmcnt(4)
	v_fma_f64 v[94:95], v[100:101], v[96:97], v[94:95]
	s_waitcnt lgkmcnt(0)
	s_delay_alu instid0(VALU_DEP_1)
	v_fma_f64 v[98:99], v[102:103], v[108:109], v[94:95]
	scratch_load_b128 v[94:97], off, off offset:144
	s_waitcnt vmcnt(4)
	v_fma_f64 v[108:109], v[104:105], v[110:111], v[98:99]
	ds_load_2addr_b64 v[98:101], v1 offset0:53 offset1:54
	ds_load_2addr_b64 v[102:105], v1 offset0:55 offset1:56
	s_waitcnt lgkmcnt(1)
	v_fma_f64 v[98:99], v[106:107], v[98:99], v[108:109]
	scratch_load_b128 v[106:109], off, off offset:160
	s_waitcnt vmcnt(4)
	v_fma_f64 v[98:99], v[116:117], v[100:101], v[98:99]
	s_waitcnt lgkmcnt(0)
	s_delay_alu instid0(VALU_DEP_1)
	;; [unrolled: 13-line block ×6, first 2 shown]
	v_fma_f64 v[110:111], v[96:97], v[114:115], v[94:95]
	scratch_load_b128 v[94:97], off, off offset:304
	s_waitcnt vmcnt(4)
	v_fma_f64 v[106:107], v[106:107], v[116:117], v[110:111]
	ds_load_2addr_b64 v[110:113], v1 offset0:73 offset1:74
	ds_load_2addr_b64 v[114:117], v1 offset0:75 offset1:76
	s_waitcnt lgkmcnt(1)
	v_fma_f64 v[110:111], v[108:109], v[110:111], v[106:107]
	scratch_load_b128 v[106:109], off, off offset:320
	s_waitcnt vmcnt(4)
	v_fma_f64 v[98:99], v[98:99], v[112:113], v[110:111]
	s_waitcnt lgkmcnt(0)
	s_delay_alu instid0(VALU_DEP_1) | instskip(SKIP_1) | instid1(VALU_DEP_1)
	v_fma_f64 v[98:99], v[100:101], v[114:115], v[98:99]
	s_waitcnt vmcnt(3)
	v_fma_f64 v[90:91], v[90:91], v[116:117], v[98:99]
	ds_load_2addr_b64 v[98:101], v1 offset0:77 offset1:78
	ds_load_2addr_b64 v[110:113], v1 offset0:79 offset1:80
	s_waitcnt lgkmcnt(1)
	v_fma_f64 v[90:91], v[92:93], v[98:99], v[90:91]
	s_waitcnt vmcnt(2)
	s_delay_alu instid0(VALU_DEP_1) | instskip(SKIP_1) | instid1(VALU_DEP_1)
	v_fma_f64 v[90:91], v[102:103], v[100:101], v[90:91]
	s_waitcnt lgkmcnt(0)
	v_fma_f64 v[90:91], v[104:105], v[110:111], v[90:91]
	s_waitcnt vmcnt(1)
	s_delay_alu instid0(VALU_DEP_1)
	v_fma_f64 v[94:95], v[94:95], v[112:113], v[90:91]
	ds_load_2addr_b64 v[90:93], v1 offset0:81 offset1:82
	ds_load_b64 v[98:99], v1 offset:664
	s_waitcnt lgkmcnt(1)
	v_fma_f64 v[90:91], v[96:97], v[90:91], v[94:95]
	s_waitcnt vmcnt(0)
	s_delay_alu instid0(VALU_DEP_1) | instskip(SKIP_1) | instid1(VALU_DEP_1)
	v_fma_f64 v[90:91], v[106:107], v[92:93], v[90:91]
	s_waitcnt lgkmcnt(0)
	v_fma_f64 v[90:91], v[108:109], v[98:99], v[90:91]
	s_delay_alu instid0(VALU_DEP_1)
	v_add_f64 v[88:89], v[88:89], -v[90:91]
	scratch_store_b64 off, v[88:89], off offset:16
	v_cmpx_lt_u32_e32 1, v0
	s_cbranch_execz .LBB41_259
; %bb.258:
	scratch_load_b64 v[88:89], off, off offset:8
	v_mov_b32_e32 v2, v1
	scratch_store_b64 off, v[1:2], off offset:8
	s_waitcnt vmcnt(0)
	ds_store_b64 v3, v[88:89]
.LBB41_259:
	s_or_b32 exec_lo, exec_lo, s0
	s_waitcnt lgkmcnt(0)
	s_waitcnt_vscnt null, 0x0
	s_barrier
	buffer_gl0_inv
	s_clause 0x4
	scratch_load_b128 v[88:91], off, off offset:8
	scratch_load_b128 v[92:95], off, off offset:24
	;; [unrolled: 1-line block ×5, first 2 shown]
	ds_load_b128 v[108:111], v1 offset:352
	ds_load_b128 v[112:115], v1 offset:368
	scratch_load_b128 v[116:119], off, off offset:88
	s_mov_b32 s0, exec_lo
	s_waitcnt vmcnt(5) lgkmcnt(1)
	v_fma_f64 v[90:91], v[90:91], v[108:109], 0
	s_waitcnt vmcnt(4)
	s_delay_alu instid0(VALU_DEP_1) | instskip(SKIP_1) | instid1(VALU_DEP_1)
	v_fma_f64 v[90:91], v[92:93], v[110:111], v[90:91]
	s_waitcnt lgkmcnt(0)
	v_fma_f64 v[94:95], v[94:95], v[112:113], v[90:91]
	scratch_load_b128 v[90:93], off, off offset:104
	s_waitcnt vmcnt(4)
	v_fma_f64 v[112:113], v[96:97], v[114:115], v[94:95]
	ds_load_b128 v[94:97], v1 offset:384
	ds_load_b128 v[108:111], v1 offset:400
	s_waitcnt lgkmcnt(1)
	v_fma_f64 v[94:95], v[98:99], v[94:95], v[112:113]
	scratch_load_b128 v[112:115], off, off offset:120
	s_waitcnt vmcnt(4)
	v_fma_f64 v[94:95], v[100:101], v[96:97], v[94:95]
	s_waitcnt lgkmcnt(0)
	s_delay_alu instid0(VALU_DEP_1)
	v_fma_f64 v[98:99], v[102:103], v[108:109], v[94:95]
	scratch_load_b128 v[94:97], off, off offset:136
	s_waitcnt vmcnt(4)
	v_fma_f64 v[108:109], v[104:105], v[110:111], v[98:99]
	ds_load_b128 v[98:101], v1 offset:416
	ds_load_b128 v[102:105], v1 offset:432
	s_waitcnt lgkmcnt(1)
	v_fma_f64 v[98:99], v[106:107], v[98:99], v[108:109]
	scratch_load_b128 v[106:109], off, off offset:152
	s_waitcnt vmcnt(4)
	v_fma_f64 v[98:99], v[116:117], v[100:101], v[98:99]
	s_waitcnt lgkmcnt(0)
	s_delay_alu instid0(VALU_DEP_1)
	;; [unrolled: 13-line block ×7, first 2 shown]
	v_fma_f64 v[98:99], v[100:101], v[114:115], v[98:99]
	scratch_load_b64 v[114:115], off, off offset:328
	s_waitcnt vmcnt(4)
	v_fma_f64 v[90:91], v[90:91], v[116:117], v[98:99]
	ds_load_b128 v[98:101], v1 offset:608
	ds_load_b128 v[110:113], v1 offset:624
	s_waitcnt lgkmcnt(1)
	v_fma_f64 v[90:91], v[92:93], v[98:99], v[90:91]
	s_waitcnt vmcnt(3)
	s_delay_alu instid0(VALU_DEP_1) | instskip(SKIP_1) | instid1(VALU_DEP_1)
	v_fma_f64 v[90:91], v[102:103], v[100:101], v[90:91]
	s_waitcnt lgkmcnt(0)
	v_fma_f64 v[90:91], v[104:105], v[110:111], v[90:91]
	s_waitcnt vmcnt(2)
	s_delay_alu instid0(VALU_DEP_1)
	v_fma_f64 v[94:95], v[94:95], v[112:113], v[90:91]
	ds_load_b128 v[90:93], v1 offset:640
	ds_load_b128 v[98:101], v1 offset:656
	s_waitcnt lgkmcnt(1)
	v_fma_f64 v[1:2], v[96:97], v[90:91], v[94:95]
	s_waitcnt vmcnt(1)
	s_delay_alu instid0(VALU_DEP_1) | instskip(SKIP_1) | instid1(VALU_DEP_1)
	v_fma_f64 v[1:2], v[106:107], v[92:93], v[1:2]
	s_waitcnt lgkmcnt(0)
	v_fma_f64 v[1:2], v[108:109], v[98:99], v[1:2]
	s_waitcnt vmcnt(0)
	s_delay_alu instid0(VALU_DEP_1) | instskip(NEXT) | instid1(VALU_DEP_1)
	v_fma_f64 v[1:2], v[114:115], v[100:101], v[1:2]
	v_add_f64 v[1:2], v[88:89], -v[1:2]
	scratch_store_b64 off, v[1:2], off offset:8
	v_cmpx_ne_u32_e32 0, v0
	s_cbranch_execz .LBB41_261
; %bb.260:
	scratch_load_b64 v[0:1], off, off
	v_mov_b32_e32 v88, 0
	s_delay_alu instid0(VALU_DEP_1)
	v_mov_b32_e32 v89, v88
	scratch_store_b64 off, v[88:89], off
	s_waitcnt vmcnt(0)
	ds_store_b64 v3, v[0:1]
.LBB41_261:
	s_or_b32 exec_lo, exec_lo, s0
	s_waitcnt lgkmcnt(0)
	s_waitcnt_vscnt null, 0x0
	s_barrier
	buffer_gl0_inv
	s_clause 0x4
	scratch_load_b128 v[88:91], off, off
	scratch_load_b128 v[0:3], off, off offset:16
	scratch_load_b128 v[92:95], off, off offset:32
	;; [unrolled: 1-line block ×4, first 2 shown]
	v_mov_b32_e32 v116, 0
	ds_load_2addr_b64 v[104:107], v116 offset0:43 offset1:44
	ds_load_2addr_b64 v[108:111], v116 offset0:45 offset1:46
	scratch_load_b128 v[112:115], off, off offset:80
	s_and_b32 vcc_lo, exec_lo, s16
	s_waitcnt vmcnt(5) lgkmcnt(1)
	v_fma_f64 v[90:91], v[90:91], v[104:105], 0
	s_waitcnt vmcnt(4)
	s_delay_alu instid0(VALU_DEP_1) | instskip(SKIP_1) | instid1(VALU_DEP_1)
	v_fma_f64 v[0:1], v[0:1], v[106:107], v[90:91]
	s_waitcnt lgkmcnt(0)
	v_fma_f64 v[90:91], v[2:3], v[108:109], v[0:1]
	scratch_load_b128 v[0:3], off, off offset:96
	s_waitcnt vmcnt(4)
	v_fma_f64 v[108:109], v[92:93], v[110:111], v[90:91]
	ds_load_2addr_b64 v[90:93], v116 offset0:47 offset1:48
	ds_load_2addr_b64 v[104:107], v116 offset0:49 offset1:50
	s_waitcnt lgkmcnt(1)
	v_fma_f64 v[90:91], v[94:95], v[90:91], v[108:109]
	scratch_load_b128 v[108:111], off, off offset:112
	s_waitcnt vmcnt(4)
	v_fma_f64 v[90:91], v[96:97], v[92:93], v[90:91]
	s_waitcnt lgkmcnt(0)
	s_delay_alu instid0(VALU_DEP_1)
	v_fma_f64 v[94:95], v[98:99], v[104:105], v[90:91]
	scratch_load_b128 v[90:93], off, off offset:128
	s_waitcnt vmcnt(4)
	v_fma_f64 v[104:105], v[100:101], v[106:107], v[94:95]
	ds_load_2addr_b64 v[94:97], v116 offset0:51 offset1:52
	ds_load_2addr_b64 v[98:101], v116 offset0:53 offset1:54
	s_waitcnt lgkmcnt(1)
	v_fma_f64 v[94:95], v[102:103], v[94:95], v[104:105]
	scratch_load_b128 v[102:105], off, off offset:144
	s_waitcnt vmcnt(4)
	v_fma_f64 v[94:95], v[112:113], v[96:97], v[94:95]
	s_waitcnt lgkmcnt(0)
	s_delay_alu instid0(VALU_DEP_1)
	;; [unrolled: 13-line block ×4, first 2 shown]
	v_fma_f64 v[106:107], v[104:105], v[110:111], v[102:103]
	scratch_load_b128 v[102:105], off, off offset:224
	s_waitcnt vmcnt(4)
	v_fma_f64 v[94:95], v[94:95], v[112:113], v[106:107]
	ds_load_2addr_b64 v[106:109], v116 offset0:63 offset1:64
	ds_load_2addr_b64 v[110:113], v116 offset0:65 offset1:66
	s_waitcnt lgkmcnt(1)
	v_fma_f64 v[106:107], v[96:97], v[106:107], v[94:95]
	scratch_load_b128 v[94:97], off, off offset:240
	s_waitcnt vmcnt(4)
	v_fma_f64 v[0:1], v[0:1], v[108:109], v[106:107]
	scratch_load_b128 v[106:109], off, off offset:256
	s_waitcnt lgkmcnt(0)
	v_fma_f64 v[0:1], v[2:3], v[110:111], v[0:1]
	s_waitcnt vmcnt(4)
	s_delay_alu instid0(VALU_DEP_1)
	v_fma_f64 v[98:99], v[98:99], v[112:113], v[0:1]
	ds_load_2addr_b64 v[0:3], v116 offset0:67 offset1:68
	ds_load_2addr_b64 v[110:113], v116 offset0:69 offset1:70
	s_waitcnt lgkmcnt(1)
	v_fma_f64 v[0:1], v[100:101], v[0:1], v[98:99]
	scratch_load_b128 v[98:101], off, off offset:272
	s_waitcnt vmcnt(4)
	v_fma_f64 v[0:1], v[90:91], v[2:3], v[0:1]
	s_waitcnt lgkmcnt(0)
	s_delay_alu instid0(VALU_DEP_1)
	v_fma_f64 v[0:1], v[92:93], v[110:111], v[0:1]
	scratch_load_b128 v[90:93], off, off offset:288
	s_waitcnt vmcnt(4)
	v_fma_f64 v[102:103], v[102:103], v[112:113], v[0:1]
	ds_load_2addr_b64 v[0:3], v116 offset0:71 offset1:72
	ds_load_2addr_b64 v[110:113], v116 offset0:73 offset1:74
	s_waitcnt lgkmcnt(1)
	v_fma_f64 v[0:1], v[104:105], v[0:1], v[102:103]
	scratch_load_b128 v[102:105], off, off offset:304
	s_waitcnt vmcnt(4)
	v_fma_f64 v[0:1], v[94:95], v[2:3], v[0:1]
	s_waitcnt lgkmcnt(0)
	s_delay_alu instid0(VALU_DEP_1)
	v_fma_f64 v[94:95], v[96:97], v[110:111], v[0:1]
	scratch_load_b128 v[0:3], off, off offset:320
	s_waitcnt vmcnt(4)
	v_fma_f64 v[106:107], v[106:107], v[112:113], v[94:95]
	ds_load_2addr_b64 v[94:97], v116 offset0:75 offset1:76
	ds_load_2addr_b64 v[110:113], v116 offset0:77 offset1:78
	s_waitcnt lgkmcnt(1)
	v_fma_f64 v[94:95], v[108:109], v[94:95], v[106:107]
	s_waitcnt vmcnt(3)
	s_delay_alu instid0(VALU_DEP_1) | instskip(SKIP_1) | instid1(VALU_DEP_1)
	v_fma_f64 v[94:95], v[98:99], v[96:97], v[94:95]
	s_waitcnt lgkmcnt(0)
	v_fma_f64 v[94:95], v[100:101], v[110:111], v[94:95]
	s_waitcnt vmcnt(2)
	s_delay_alu instid0(VALU_DEP_1)
	v_fma_f64 v[90:91], v[90:91], v[112:113], v[94:95]
	ds_load_2addr_b64 v[94:97], v116 offset0:79 offset1:80
	ds_load_2addr_b64 v[98:101], v116 offset0:81 offset1:82
	s_waitcnt lgkmcnt(1)
	v_fma_f64 v[90:91], v[92:93], v[94:95], v[90:91]
	ds_load_b64 v[92:93], v116 offset:664
	s_waitcnt vmcnt(1)
	v_fma_f64 v[90:91], v[102:103], v[96:97], v[90:91]
	s_waitcnt lgkmcnt(1)
	s_delay_alu instid0(VALU_DEP_1) | instskip(SKIP_1) | instid1(VALU_DEP_1)
	v_fma_f64 v[90:91], v[104:105], v[98:99], v[90:91]
	s_waitcnt vmcnt(0)
	v_fma_f64 v[90:91], v[0:1], v[100:101], v[90:91]
	s_waitcnt lgkmcnt(0)
	s_delay_alu instid0(VALU_DEP_1) | instskip(NEXT) | instid1(VALU_DEP_1)
	v_fma_f64 v[2:3], v[2:3], v[92:93], v[90:91]
	v_add_f64 v[2:3], v[88:89], -v[2:3]
	scratch_store_b64 off, v[2:3], off
	s_cbranch_vccz .LBB41_345
; %bb.262:
	v_dual_mov_b32 v2, s12 :: v_dual_mov_b32 v3, s13
	s_mov_b32 s0, exec_lo
	flat_load_b32 v2, v[2:3] offset:160
	s_waitcnt vmcnt(0) lgkmcnt(0)
	v_cmpx_ne_u32_e32 41, v2
	s_cbranch_execz .LBB41_264
; %bb.263:
	v_lshl_add_u32 v88, v2, 3, 0
	scratch_load_b64 v[2:3], v88, off offset:-8
	s_waitcnt vmcnt(0)
	scratch_store_b64 off, v[2:3], off offset:320
	scratch_store_b64 v88, v[0:1], off offset:-8
.LBB41_264:
	s_or_b32 exec_lo, exec_lo, s0
	v_dual_mov_b32 v0, s12 :: v_dual_mov_b32 v1, s13
	s_mov_b32 s0, exec_lo
	flat_load_b32 v0, v[0:1] offset:156
	s_waitcnt vmcnt(0) lgkmcnt(0)
	v_cmpx_ne_u32_e32 40, v0
	s_cbranch_execz .LBB41_266
; %bb.265:
	v_lshl_add_u32 v88, v0, 3, 0
	scratch_load_b64 v[0:1], v88, off offset:-8
	scratch_load_b64 v[2:3], off, off offset:312
	s_waitcnt vmcnt(1)
	scratch_store_b64 off, v[0:1], off offset:312
	s_waitcnt vmcnt(0)
	scratch_store_b64 v88, v[2:3], off offset:-8
.LBB41_266:
	s_or_b32 exec_lo, exec_lo, s0
	v_dual_mov_b32 v0, s12 :: v_dual_mov_b32 v1, s13
	s_mov_b32 s0, exec_lo
	flat_load_b32 v0, v[0:1] offset:152
	s_waitcnt vmcnt(0) lgkmcnt(0)
	v_cmpx_ne_u32_e32 39, v0
	s_cbranch_execz .LBB41_268
; %bb.267:
	v_lshl_add_u32 v88, v0, 3, 0
	scratch_load_b64 v[0:1], v88, off offset:-8
	scratch_load_b64 v[2:3], off, off offset:304
	s_waitcnt vmcnt(1)
	scratch_store_b64 off, v[0:1], off offset:304
	s_waitcnt vmcnt(0)
	scratch_store_b64 v88, v[2:3], off offset:-8
.LBB41_268:
	;; [unrolled: 16-line block ×39, first 2 shown]
	s_or_b32 exec_lo, exec_lo, s0
	v_dual_mov_b32 v0, s12 :: v_dual_mov_b32 v1, s13
	s_mov_b32 s0, exec_lo
	flat_load_b32 v0, v[0:1]
	scratch_load_b64 v[2:3], off, off
	s_waitcnt vmcnt(1) lgkmcnt(0)
	v_cmpx_ne_u32_e32 1, v0
	s_cbranch_execz .LBB41_344
; %bb.343:
	v_lshl_add_u32 v88, v0, 3, 0
	scratch_load_b64 v[0:1], v88, off offset:-8
	s_waitcnt vmcnt(0)
	scratch_store_b64 off, v[0:1], off
	scratch_store_b64 v88, v[2:3], off offset:-8
	scratch_load_b64 v[2:3], off, off
.LBB41_344:
	s_or_b32 exec_lo, exec_lo, s0
.LBB41_345:
	s_clause 0x6
	scratch_load_b128 v[88:91], off, off offset:8
	scratch_load_b128 v[92:95], off, off offset:24
	;; [unrolled: 1-line block ×7, first 2 shown]
	s_waitcnt vmcnt(7)
	global_store_b64 v[4:5], v[2:3], off
	s_clause 0x3
	scratch_load_b128 v[0:3], off, off offset:120
	scratch_load_b128 v[116:119], off, off offset:232
	;; [unrolled: 1-line block ×4, first 2 shown]
	s_waitcnt vmcnt(10)
	global_store_b64 v[6:7], v[88:89], off
	scratch_load_b128 v[4:7], off, off offset:136
	global_store_b64 v[10:11], v[90:91], off
	s_waitcnt vmcnt(10)
	s_clause 0x1
	global_store_b64 v[8:9], v[92:93], off
	global_store_b64 v[20:21], v[94:95], off
	s_waitcnt vmcnt(9)
	s_clause 0x1
	global_store_b64 v[18:19], v[96:97], off
	;; [unrolled: 4-line block ×5, first 2 shown]
	global_store_b64 v[28:29], v[110:111], off
	s_clause 0x8
	scratch_load_b128 v[88:91], off, off offset:152
	scratch_load_b128 v[8:11], off, off offset:168
	;; [unrolled: 1-line block ×8, first 2 shown]
	scratch_load_b64 v[12:13], off, off offset:328
	s_waitcnt vmcnt(14)
	s_clause 0x1
	global_store_b64 v[22:23], v[112:113], off
	global_store_b64 v[24:25], v[114:115], off
	s_waitcnt vmcnt(13)
	s_clause 0x1
	global_store_b64 v[26:27], v[0:1], off
	global_store_b64 v[32:33], v[2:3], off
	;; [unrolled: 4-line block ×8, first 2 shown]
	global_store_b64 v[64:65], v[116:117], off
	global_store_b64 v[66:67], v[118:119], off
	s_waitcnt vmcnt(3)
	s_clause 0x3
	global_store_b64 v[68:69], v[100:101], off
	global_store_b64 v[70:71], v[102:103], off
	global_store_b64 v[72:73], v[120:121], off
	global_store_b64 v[74:75], v[122:123], off
	s_waitcnt vmcnt(2)
	s_clause 0x3
	global_store_b64 v[76:77], v[104:105], off
	global_store_b64 v[78:79], v[106:107], off
	;; [unrolled: 6-line block ×3, first 2 shown]
	s_waitcnt vmcnt(0)
	global_store_b64 v[14:15], v[12:13], off
	s_endpgm
	.section	.rodata,"a",@progbits
	.p2align	6, 0x0
	.amdhsa_kernel _ZN9rocsolver6v33100L18getri_kernel_smallILi42EdPdEEvT1_iilPiilS4_bb
		.amdhsa_group_segment_fixed_size 680
		.amdhsa_private_segment_fixed_size 352
		.amdhsa_kernarg_size 60
		.amdhsa_user_sgpr_count 15
		.amdhsa_user_sgpr_dispatch_ptr 0
		.amdhsa_user_sgpr_queue_ptr 0
		.amdhsa_user_sgpr_kernarg_segment_ptr 1
		.amdhsa_user_sgpr_dispatch_id 0
		.amdhsa_user_sgpr_private_segment_size 0
		.amdhsa_wavefront_size32 1
		.amdhsa_uses_dynamic_stack 0
		.amdhsa_enable_private_segment 1
		.amdhsa_system_sgpr_workgroup_id_x 1
		.amdhsa_system_sgpr_workgroup_id_y 0
		.amdhsa_system_sgpr_workgroup_id_z 0
		.amdhsa_system_sgpr_workgroup_info 0
		.amdhsa_system_vgpr_workitem_id 0
		.amdhsa_next_free_vgpr 128
		.amdhsa_next_free_sgpr 18
		.amdhsa_reserve_vcc 1
		.amdhsa_float_round_mode_32 0
		.amdhsa_float_round_mode_16_64 0
		.amdhsa_float_denorm_mode_32 3
		.amdhsa_float_denorm_mode_16_64 3
		.amdhsa_dx10_clamp 1
		.amdhsa_ieee_mode 1
		.amdhsa_fp16_overflow 0
		.amdhsa_workgroup_processor_mode 1
		.amdhsa_memory_ordered 1
		.amdhsa_forward_progress 0
		.amdhsa_shared_vgpr_count 0
		.amdhsa_exception_fp_ieee_invalid_op 0
		.amdhsa_exception_fp_denorm_src 0
		.amdhsa_exception_fp_ieee_div_zero 0
		.amdhsa_exception_fp_ieee_overflow 0
		.amdhsa_exception_fp_ieee_underflow 0
		.amdhsa_exception_fp_ieee_inexact 0
		.amdhsa_exception_int_div_zero 0
	.end_amdhsa_kernel
	.section	.text._ZN9rocsolver6v33100L18getri_kernel_smallILi42EdPdEEvT1_iilPiilS4_bb,"axG",@progbits,_ZN9rocsolver6v33100L18getri_kernel_smallILi42EdPdEEvT1_iilPiilS4_bb,comdat
.Lfunc_end41:
	.size	_ZN9rocsolver6v33100L18getri_kernel_smallILi42EdPdEEvT1_iilPiilS4_bb, .Lfunc_end41-_ZN9rocsolver6v33100L18getri_kernel_smallILi42EdPdEEvT1_iilPiilS4_bb
                                        ; -- End function
	.section	.AMDGPU.csdata,"",@progbits
; Kernel info:
; codeLenInByte = 37088
; NumSgprs: 20
; NumVgprs: 128
; ScratchSize: 352
; MemoryBound: 0
; FloatMode: 240
; IeeeMode: 1
; LDSByteSize: 680 bytes/workgroup (compile time only)
; SGPRBlocks: 2
; VGPRBlocks: 15
; NumSGPRsForWavesPerEU: 20
; NumVGPRsForWavesPerEU: 128
; Occupancy: 10
; WaveLimiterHint : 1
; COMPUTE_PGM_RSRC2:SCRATCH_EN: 1
; COMPUTE_PGM_RSRC2:USER_SGPR: 15
; COMPUTE_PGM_RSRC2:TRAP_HANDLER: 0
; COMPUTE_PGM_RSRC2:TGID_X_EN: 1
; COMPUTE_PGM_RSRC2:TGID_Y_EN: 0
; COMPUTE_PGM_RSRC2:TGID_Z_EN: 0
; COMPUTE_PGM_RSRC2:TIDIG_COMP_CNT: 0
	.section	.text._ZN9rocsolver6v33100L18getri_kernel_smallILi43EdPdEEvT1_iilPiilS4_bb,"axG",@progbits,_ZN9rocsolver6v33100L18getri_kernel_smallILi43EdPdEEvT1_iilPiilS4_bb,comdat
	.globl	_ZN9rocsolver6v33100L18getri_kernel_smallILi43EdPdEEvT1_iilPiilS4_bb ; -- Begin function _ZN9rocsolver6v33100L18getri_kernel_smallILi43EdPdEEvT1_iilPiilS4_bb
	.p2align	8
	.type	_ZN9rocsolver6v33100L18getri_kernel_smallILi43EdPdEEvT1_iilPiilS4_bb,@function
_ZN9rocsolver6v33100L18getri_kernel_smallILi43EdPdEEvT1_iilPiilS4_bb: ; @_ZN9rocsolver6v33100L18getri_kernel_smallILi43EdPdEEvT1_iilPiilS4_bb
; %bb.0:
	s_mov_b32 s2, exec_lo
	v_cmpx_gt_u32_e32 43, v0
	s_cbranch_execz .LBB42_182
; %bb.1:
	s_clause 0x2
	s_load_b32 s17, s[0:1], 0x38
	s_load_b128 s[8:11], s[0:1], 0x10
	s_load_b128 s[4:7], s[0:1], 0x28
	s_mov_b32 s14, s15
                                        ; implicit-def: $sgpr12_sgpr13
	s_waitcnt lgkmcnt(0)
	s_bitcmp1_b32 s17, 8
	s_cselect_b32 s16, -1, 0
	s_bfe_u32 s2, s17, 0x10008
	s_ashr_i32 s15, s15, 31
	s_cmp_eq_u32 s2, 0
	s_cbranch_scc1 .LBB42_3
; %bb.2:
	s_load_b32 s2, s[0:1], 0x20
	s_mul_i32 s3, s14, s5
	s_mul_hi_u32 s5, s14, s4
	s_mul_i32 s12, s15, s4
	s_add_i32 s3, s5, s3
	s_mul_i32 s4, s14, s4
	s_add_i32 s5, s3, s12
	s_delay_alu instid0(SALU_CYCLE_1)
	s_lshl_b64 s[4:5], s[4:5], 2
	s_waitcnt lgkmcnt(0)
	s_ashr_i32 s3, s2, 31
	s_add_u32 s4, s10, s4
	s_addc_u32 s5, s11, s5
	s_lshl_b64 s[2:3], s[2:3], 2
	s_delay_alu instid0(SALU_CYCLE_1)
	s_add_u32 s12, s4, s2
	s_addc_u32 s13, s5, s3
.LBB42_3:
	s_load_b128 s[0:3], s[0:1], 0x0
	s_mul_i32 s4, s14, s9
	s_mul_hi_u32 s5, s14, s8
	s_mul_i32 s9, s15, s8
	s_add_i32 s5, s5, s4
	s_mul_i32 s4, s14, s8
	s_add_i32 s5, s5, s9
	v_lshlrev_b32_e32 v3, 3, v0
	s_lshl_b64 s[4:5], s[4:5], 3
	s_waitcnt lgkmcnt(0)
	s_ashr_i32 s9, s2, 31
	s_mov_b32 s8, s2
	v_add3_u32 v1, s3, s3, v0
	s_add_u32 s2, s0, s4
	s_addc_u32 s5, s1, s5
	s_lshl_b64 s[0:1], s[8:9], 3
	s_mov_b32 s4, s3
	s_add_u32 s0, s2, s0
	v_add_nc_u32_e32 v8, s3, v1
	s_addc_u32 s1, s5, s1
	v_add_co_u32 v4, s2, s0, v3
	s_ashr_i32 s5, s3, 31
	v_add_co_ci_u32_e64 v5, null, s1, 0, s2
	s_lshl_b64 s[4:5], s[4:5], 3
	v_ashrrev_i32_e32 v2, 31, v1
	v_add_co_u32 v6, vcc_lo, v4, s4
	v_add_nc_u32_e32 v10, s3, v8
	v_add_co_ci_u32_e32 v7, vcc_lo, s5, v5, vcc_lo
	v_ashrrev_i32_e32 v9, 31, v8
	v_lshlrev_b64 v[1:2], 3, v[1:2]
	s_delay_alu instid0(VALU_DEP_4)
	v_add_nc_u32_e32 v16, s3, v10
	s_clause 0x1
	global_load_b64 v[34:35], v3, s[0:1]
	global_load_b64 v[36:37], v[6:7], off
	v_lshlrev_b64 v[8:9], 3, v[8:9]
	v_ashrrev_i32_e32 v11, 31, v10
	v_add_co_u32 v18, vcc_lo, s0, v1
	v_ashrrev_i32_e32 v17, 31, v16
	v_add_co_ci_u32_e32 v19, vcc_lo, s1, v2, vcc_lo
	s_delay_alu instid0(VALU_DEP_4) | instskip(SKIP_3) | instid1(VALU_DEP_4)
	v_lshlrev_b64 v[1:2], 3, v[10:11]
	v_add_co_u32 v12, vcc_lo, s0, v8
	v_add_co_ci_u32_e32 v13, vcc_lo, s1, v9, vcc_lo
	v_lshlrev_b64 v[8:9], 3, v[16:17]
	v_add_co_u32 v14, vcc_lo, s0, v1
	v_add_co_ci_u32_e32 v15, vcc_lo, s1, v2, vcc_lo
	v_add_nc_u32_e32 v1, s3, v16
	s_delay_alu instid0(VALU_DEP_4)
	v_add_co_u32 v8, vcc_lo, s0, v8
	v_add_co_ci_u32_e32 v9, vcc_lo, s1, v9, vcc_lo
	s_clause 0x3
	global_load_b64 v[42:43], v[18:19], off
	global_load_b64 v[44:45], v[12:13], off
	;; [unrolled: 1-line block ×4, first 2 shown]
	v_add_nc_u32_e32 v10, s3, v1
	v_ashrrev_i32_e32 v2, 31, v1
	s_bitcmp0_b32 s17, 0
	s_delay_alu instid0(VALU_DEP_2) | instskip(SKIP_1) | instid1(VALU_DEP_3)
	v_add_nc_u32_e32 v16, s3, v10
	v_ashrrev_i32_e32 v11, 31, v10
	v_lshlrev_b64 v[1:2], 3, v[1:2]
	s_delay_alu instid0(VALU_DEP_3) | instskip(NEXT) | instid1(VALU_DEP_3)
	v_add_nc_u32_e32 v20, s3, v16
	v_lshlrev_b64 v[10:11], 3, v[10:11]
	v_ashrrev_i32_e32 v17, 31, v16
	s_delay_alu instid0(VALU_DEP_4) | instskip(NEXT) | instid1(VALU_DEP_4)
	v_add_co_u32 v28, vcc_lo, s0, v1
	v_add_nc_u32_e32 v24, s3, v20
	v_ashrrev_i32_e32 v21, 31, v20
	v_add_co_ci_u32_e32 v29, vcc_lo, s1, v2, vcc_lo
	v_lshlrev_b64 v[1:2], 3, v[16:17]
	s_delay_alu instid0(VALU_DEP_4) | instskip(SKIP_2) | instid1(VALU_DEP_3)
	v_add_nc_u32_e32 v26, s3, v24
	v_add_co_u32 v16, vcc_lo, s0, v10
	v_add_co_ci_u32_e32 v17, vcc_lo, s1, v11, vcc_lo
	v_add_nc_u32_e32 v30, s3, v26
	v_lshlrev_b64 v[10:11], 3, v[20:21]
	v_ashrrev_i32_e32 v25, 31, v24
	v_add_co_u32 v22, vcc_lo, s0, v1
	s_delay_alu instid0(VALU_DEP_4) | instskip(SKIP_3) | instid1(VALU_DEP_4)
	v_add_nc_u32_e32 v32, s3, v30
	v_ashrrev_i32_e32 v27, 31, v26
	v_add_co_ci_u32_e32 v23, vcc_lo, s1, v2, vcc_lo
	v_lshlrev_b64 v[1:2], 3, v[24:25]
	v_add_nc_u32_e32 v38, s3, v32
	v_add_co_u32 v20, vcc_lo, s0, v10
	v_add_co_ci_u32_e32 v21, vcc_lo, s1, v11, vcc_lo
	s_delay_alu instid0(VALU_DEP_3) | instskip(SKIP_3) | instid1(VALU_DEP_4)
	v_add_nc_u32_e32 v40, s3, v38
	v_lshlrev_b64 v[10:11], 3, v[26:27]
	v_ashrrev_i32_e32 v31, 31, v30
	v_add_co_u32 v24, vcc_lo, s0, v1
	v_add_nc_u32_e32 v66, s3, v40
	v_add_co_ci_u32_e32 v25, vcc_lo, s1, v2, vcc_lo
	s_delay_alu instid0(VALU_DEP_4) | instskip(SKIP_1) | instid1(VALU_DEP_4)
	v_lshlrev_b64 v[1:2], 3, v[30:31]
	v_ashrrev_i32_e32 v33, 31, v32
	v_add_nc_u32_e32 v68, s3, v66
	v_add_co_u32 v26, vcc_lo, s0, v10
	s_clause 0x2
	global_load_b64 v[50:51], v[28:29], off
	global_load_b64 v[52:53], v[16:17], off
	;; [unrolled: 1-line block ×3, first 2 shown]
	v_add_co_ci_u32_e32 v27, vcc_lo, s1, v11, vcc_lo
	v_add_nc_u32_e32 v74, s3, v68
	global_load_b64 v[56:57], v[20:21], off
	v_lshlrev_b64 v[32:33], 3, v[32:33]
	v_add_co_u32 v30, vcc_lo, s0, v1
	v_add_nc_u32_e32 v76, s3, v74
	v_add_co_ci_u32_e32 v31, vcc_lo, s1, v2, vcc_lo
	v_ashrrev_i32_e32 v39, 31, v38
	v_ashrrev_i32_e32 v41, 31, v40
	s_delay_alu instid0(VALU_DEP_4)
	v_add_nc_u32_e32 v78, s3, v76
	v_ashrrev_i32_e32 v67, 31, v66
	v_ashrrev_i32_e32 v69, 31, v68
	;; [unrolled: 1-line block ×4, first 2 shown]
	v_add_nc_u32_e32 v80, s3, v78
	v_ashrrev_i32_e32 v79, 31, v78
	s_delay_alu instid0(VALU_DEP_2) | instskip(SKIP_1) | instid1(VALU_DEP_2)
	v_add_nc_u32_e32 v82, s3, v80
	v_ashrrev_i32_e32 v81, 31, v80
	v_add_nc_u32_e32 v84, s3, v82
	v_ashrrev_i32_e32 v83, 31, v82
	s_delay_alu instid0(VALU_DEP_2) | instskip(SKIP_1) | instid1(VALU_DEP_3)
	v_add_nc_u32_e32 v86, s3, v84
	v_ashrrev_i32_e32 v85, 31, v84
	v_lshlrev_b64 v[82:83], 3, v[82:83]
	s_delay_alu instid0(VALU_DEP_3) | instskip(SKIP_1) | instid1(VALU_DEP_2)
	v_add_nc_u32_e32 v88, s3, v86
	v_ashrrev_i32_e32 v87, 31, v86
	v_add_nc_u32_e32 v90, s3, v88
	v_ashrrev_i32_e32 v89, 31, v88
	s_delay_alu instid0(VALU_DEP_2) | instskip(SKIP_1) | instid1(VALU_DEP_2)
	v_add_nc_u32_e32 v92, s3, v90
	v_ashrrev_i32_e32 v91, 31, v90
	v_add_nc_u32_e32 v94, s3, v92
	v_ashrrev_i32_e32 v93, 31, v92
	s_delay_alu instid0(VALU_DEP_2) | instskip(SKIP_1) | instid1(VALU_DEP_2)
	;; [unrolled: 5-line block ×8, first 2 shown]
	v_add_nc_u32_e32 v120, s3, v118
	v_ashrrev_i32_e32 v119, 31, v118
	v_add_nc_u32_e32 v58, s3, v120
	v_ashrrev_i32_e32 v121, 31, v120
	s_delay_alu instid0(VALU_DEP_2) | instskip(NEXT) | instid1(VALU_DEP_1)
	v_ashrrev_i32_e32 v59, 31, v58
	v_lshlrev_b64 v[10:11], 3, v[58:59]
	s_delay_alu instid0(VALU_DEP_1) | instskip(NEXT) | instid1(VALU_DEP_2)
	v_add_co_u32 v10, vcc_lo, s0, v10
	v_add_co_ci_u32_e32 v11, vcc_lo, s1, v11, vcc_lo
	v_add_co_u32 v32, vcc_lo, s0, v32
	v_add_co_ci_u32_e32 v33, vcc_lo, s1, v33, vcc_lo
	global_load_b64 v[1:2], v[10:11], off
	s_waitcnt vmcnt(9)
	scratch_store_b128 off, v[34:37], off
	v_lshlrev_b64 v[34:35], 3, v[38:39]
	s_clause 0x3
	global_load_b64 v[58:59], v[24:25], off
	global_load_b64 v[60:61], v[26:27], off
	;; [unrolled: 1-line block ×4, first 2 shown]
	v_lshlrev_b64 v[36:37], 3, v[40:41]
	v_lshlrev_b64 v[38:39], 3, v[66:67]
	;; [unrolled: 1-line block ×3, first 2 shown]
	s_waitcnt vmcnt(11)
	scratch_store_b128 off, v[42:45], off offset:16
	s_waitcnt vmcnt(9)
	scratch_store_b128 off, v[46:49], off offset:32
	v_add_co_u32 v34, vcc_lo, s0, v34
	v_add_co_ci_u32_e32 v35, vcc_lo, s1, v35, vcc_lo
	v_add_co_u32 v36, vcc_lo, s0, v36
	v_add_co_ci_u32_e32 v37, vcc_lo, s1, v37, vcc_lo
	;; [unrolled: 2-line block ×4, first 2 shown]
	s_clause 0x3
	global_load_b64 v[66:67], v[34:35], off
	global_load_b64 v[68:69], v[36:37], off
	;; [unrolled: 1-line block ×4, first 2 shown]
	v_lshlrev_b64 v[42:43], 3, v[74:75]
	v_lshlrev_b64 v[44:45], 3, v[76:77]
	;; [unrolled: 1-line block ×4, first 2 shown]
	s_waitcnt vmcnt(11)
	scratch_store_b128 off, v[50:53], off offset:48
	s_waitcnt vmcnt(9)
	scratch_store_b128 off, v[54:57], off offset:64
	v_add_co_u32 v42, vcc_lo, s0, v42
	v_add_co_ci_u32_e32 v43, vcc_lo, s1, v43, vcc_lo
	v_add_co_u32 v44, vcc_lo, s0, v44
	v_add_co_ci_u32_e32 v45, vcc_lo, s1, v45, vcc_lo
	;; [unrolled: 2-line block ×3, first 2 shown]
	v_add_co_u32 v48, vcc_lo, s0, v48
	v_lshlrev_b64 v[52:53], 3, v[84:85]
	v_add_co_ci_u32_e32 v49, vcc_lo, s1, v49, vcc_lo
	v_add_co_u32 v50, vcc_lo, s0, v82
	v_lshlrev_b64 v[54:55], 3, v[86:87]
	s_clause 0x3
	global_load_b64 v[74:75], v[42:43], off
	global_load_b64 v[76:77], v[44:45], off
	;; [unrolled: 1-line block ×4, first 2 shown]
	v_add_co_ci_u32_e32 v51, vcc_lo, s1, v83, vcc_lo
	v_add_co_u32 v52, vcc_lo, s0, v52
	v_lshlrev_b64 v[56:57], 3, v[88:89]
	v_add_co_ci_u32_e32 v53, vcc_lo, s1, v53, vcc_lo
	v_add_co_u32 v54, vcc_lo, s0, v54
	v_add_co_ci_u32_e32 v55, vcc_lo, s1, v55, vcc_lo
	s_delay_alu instid0(VALU_DEP_4)
	v_add_co_u32 v56, vcc_lo, s0, v56
	v_add_co_ci_u32_e32 v57, vcc_lo, s1, v57, vcc_lo
	s_waitcnt vmcnt(10)
	scratch_store_b128 off, v[58:61], off offset:80
	s_waitcnt vmcnt(8)
	scratch_store_b128 off, v[62:65], off offset:96
	v_lshlrev_b64 v[58:59], 3, v[90:91]
	s_clause 0x3
	global_load_b64 v[82:83], v[50:51], off
	global_load_b64 v[84:85], v[52:53], off
	;; [unrolled: 1-line block ×4, first 2 shown]
	v_lshlrev_b64 v[60:61], 3, v[92:93]
	v_lshlrev_b64 v[62:63], 3, v[94:95]
	;; [unrolled: 1-line block ×3, first 2 shown]
	s_waitcnt vmcnt(10)
	scratch_store_b128 off, v[66:69], off offset:112
	s_waitcnt vmcnt(8)
	scratch_store_b128 off, v[70:73], off offset:128
	v_add_co_u32 v58, vcc_lo, s0, v58
	v_add_co_ci_u32_e32 v59, vcc_lo, s1, v59, vcc_lo
	v_add_co_u32 v60, vcc_lo, s0, v60
	v_add_co_ci_u32_e32 v61, vcc_lo, s1, v61, vcc_lo
	;; [unrolled: 2-line block ×4, first 2 shown]
	s_clause 0x3
	global_load_b64 v[90:91], v[58:59], off
	global_load_b64 v[92:93], v[60:61], off
	global_load_b64 v[94:95], v[62:63], off
	global_load_b64 v[96:97], v[64:65], off
	v_lshlrev_b64 v[66:67], 3, v[98:99]
	v_lshlrev_b64 v[68:69], 3, v[100:101]
	;; [unrolled: 1-line block ×5, first 2 shown]
	s_waitcnt vmcnt(10)
	scratch_store_b128 off, v[74:77], off offset:144
	s_waitcnt vmcnt(8)
	scratch_store_b128 off, v[78:81], off offset:160
	v_add_co_u32 v66, vcc_lo, s0, v66
	v_add_co_ci_u32_e32 v67, vcc_lo, s1, v67, vcc_lo
	v_add_co_u32 v68, vcc_lo, s0, v68
	v_add_co_ci_u32_e32 v69, vcc_lo, s1, v69, vcc_lo
	;; [unrolled: 2-line block ×3, first 2 shown]
	v_add_co_u32 v72, vcc_lo, s0, v72
	v_lshlrev_b64 v[76:77], 3, v[108:109]
	v_add_co_ci_u32_e32 v73, vcc_lo, s1, v73, vcc_lo
	v_add_co_u32 v74, vcc_lo, s0, v104
	v_lshlrev_b64 v[78:79], 3, v[110:111]
	v_add_co_ci_u32_e32 v75, vcc_lo, s1, v105, vcc_lo
	;; [unrolled: 3-line block ×4, first 2 shown]
	s_clause 0x2
	global_load_b64 v[98:99], v[66:67], off
	global_load_b64 v[100:101], v[68:69], off
	;; [unrolled: 1-line block ×3, first 2 shown]
	v_add_co_u32 v80, vcc_lo, s0, v80
	v_add_co_ci_u32_e32 v81, vcc_lo, s1, v81, vcc_lo
	s_waitcnt vmcnt(9)
	scratch_store_b128 off, v[82:85], off offset:176
	s_waitcnt vmcnt(7)
	scratch_store_b128 off, v[86:89], off offset:192
	v_lshlrev_b64 v[84:85], 3, v[116:117]
	v_add_co_u32 v82, vcc_lo, s0, v112
	v_add_co_ci_u32_e32 v83, vcc_lo, s1, v113, vcc_lo
	v_lshlrev_b64 v[88:89], 3, v[118:119]
	s_delay_alu instid0(VALU_DEP_4) | instskip(SKIP_2) | instid1(VALU_DEP_4)
	v_add_co_u32 v86, vcc_lo, s0, v84
	v_add_co_ci_u32_e32 v87, vcc_lo, s1, v85, vcc_lo
	v_lshlrev_b64 v[84:85], 3, v[120:121]
	v_add_co_u32 v88, vcc_lo, s0, v88
	v_add_co_ci_u32_e32 v89, vcc_lo, s1, v89, vcc_lo
	s_clause 0x3
	global_load_b64 v[104:105], v[72:73], off
	global_load_b64 v[106:107], v[74:75], off
	;; [unrolled: 1-line block ×4, first 2 shown]
	v_add_co_u32 v84, vcc_lo, s0, v84
	v_add_co_ci_u32_e32 v85, vcc_lo, s1, v85, vcc_lo
	s_waitcnt vmcnt(9)
	scratch_store_b128 off, v[90:93], off offset:208
	s_waitcnt vmcnt(7)
	scratch_store_b128 off, v[94:97], off offset:224
	s_clause 0x4
	global_load_b64 v[112:113], v[80:81], off
	global_load_b64 v[90:91], v[82:83], off
	;; [unrolled: 1-line block ×5, first 2 shown]
	s_mov_b32 s1, -1
	s_waitcnt vmcnt(10)
	scratch_store_b128 off, v[98:101], off offset:240
	s_waitcnt vmcnt(8)
	scratch_store_b128 off, v[102:105], off offset:256
	s_waitcnt vmcnt(6)
	scratch_store_b128 off, v[106:109], off offset:272
	s_waitcnt vmcnt(4)
	scratch_store_b128 off, v[110:113], off offset:288
	s_waitcnt vmcnt(2)
	scratch_store_b128 off, v[90:93], off offset:304
	s_waitcnt vmcnt(0)
	s_clause 0x1
	scratch_store_b128 off, v[94:97], off offset:320
	scratch_store_b64 off, v[1:2], off offset:336
	s_cbranch_scc1 .LBB42_180
; %bb.4:
	v_cmp_eq_u32_e64 s0, 0, v0
	s_delay_alu instid0(VALU_DEP_1)
	s_and_saveexec_b32 s1, s0
	s_cbranch_execz .LBB42_6
; %bb.5:
	v_mov_b32_e32 v1, 0
	ds_store_b32 v1, v1 offset:344
.LBB42_6:
	s_or_b32 exec_lo, exec_lo, s1
	s_waitcnt lgkmcnt(0)
	s_waitcnt_vscnt null, 0x0
	s_barrier
	buffer_gl0_inv
	scratch_load_b64 v[1:2], v3, off
	s_mov_b32 s2, exec_lo
	s_waitcnt vmcnt(0)
	v_cmpx_eq_f64_e32 0, v[1:2]
	s_cbranch_execz .LBB42_10
; %bb.7:
	v_mov_b32_e32 v1, 0
	s_mov_b32 s3, 0
	ds_load_b32 v2, v1 offset:344
	s_waitcnt lgkmcnt(0)
	v_readfirstlane_b32 s1, v2
	v_add_nc_u32_e32 v2, 1, v0
	s_delay_alu instid0(VALU_DEP_2) | instskip(NEXT) | instid1(VALU_DEP_1)
	s_cmp_eq_u32 s1, 0
	v_cmp_gt_i32_e32 vcc_lo, s1, v2
	s_cselect_b32 s4, -1, 0
	s_delay_alu instid0(SALU_CYCLE_1) | instskip(NEXT) | instid1(SALU_CYCLE_1)
	s_or_b32 s4, s4, vcc_lo
	s_and_b32 exec_lo, exec_lo, s4
	s_cbranch_execz .LBB42_10
; %bb.8:
	v_mov_b32_e32 v90, s1
.LBB42_9:                               ; =>This Inner Loop Header: Depth=1
	ds_cmpstore_rtn_b32 v90, v1, v2, v90 offset:344
	s_waitcnt lgkmcnt(0)
	v_cmp_ne_u32_e32 vcc_lo, 0, v90
	v_cmp_le_i32_e64 s1, v90, v2
	s_delay_alu instid0(VALU_DEP_1) | instskip(NEXT) | instid1(SALU_CYCLE_1)
	s_and_b32 s1, vcc_lo, s1
	s_and_b32 s1, exec_lo, s1
	s_delay_alu instid0(SALU_CYCLE_1) | instskip(NEXT) | instid1(SALU_CYCLE_1)
	s_or_b32 s3, s1, s3
	s_and_not1_b32 exec_lo, exec_lo, s3
	s_cbranch_execnz .LBB42_9
.LBB42_10:
	s_or_b32 exec_lo, exec_lo, s2
	v_mov_b32_e32 v1, 0
	s_barrier
	buffer_gl0_inv
	ds_load_b32 v2, v1 offset:344
	s_and_saveexec_b32 s1, s0
	s_cbranch_execz .LBB42_12
; %bb.11:
	s_lshl_b64 s[2:3], s[14:15], 2
	s_delay_alu instid0(SALU_CYCLE_1)
	s_add_u32 s2, s6, s2
	s_addc_u32 s3, s7, s3
	s_waitcnt lgkmcnt(0)
	global_store_b32 v1, v2, s[2:3]
.LBB42_12:
	s_or_b32 exec_lo, exec_lo, s1
	s_waitcnt lgkmcnt(0)
	v_cmp_ne_u32_e32 vcc_lo, 0, v2
	s_mov_b32 s1, 0
	s_cbranch_vccnz .LBB42_180
; %bb.13:
	v_add_nc_u32_e32 v90, 0, v3
	scratch_load_b64 v[1:2], v90, off
	s_waitcnt vmcnt(0)
	v_div_scale_f64 v[91:92], null, v[1:2], v[1:2], 1.0
	v_div_scale_f64 v[97:98], vcc_lo, 1.0, v[1:2], 1.0
	s_delay_alu instid0(VALU_DEP_2) | instskip(SKIP_2) | instid1(VALU_DEP_1)
	v_rcp_f64_e32 v[93:94], v[91:92]
	s_waitcnt_depctr 0xfff
	v_fma_f64 v[95:96], -v[91:92], v[93:94], 1.0
	v_fma_f64 v[93:94], v[93:94], v[95:96], v[93:94]
	s_delay_alu instid0(VALU_DEP_1) | instskip(NEXT) | instid1(VALU_DEP_1)
	v_fma_f64 v[95:96], -v[91:92], v[93:94], 1.0
	v_fma_f64 v[93:94], v[93:94], v[95:96], v[93:94]
	s_delay_alu instid0(VALU_DEP_1) | instskip(NEXT) | instid1(VALU_DEP_1)
	v_mul_f64 v[95:96], v[97:98], v[93:94]
	v_fma_f64 v[91:92], -v[91:92], v[95:96], v[97:98]
	s_delay_alu instid0(VALU_DEP_1) | instskip(NEXT) | instid1(VALU_DEP_1)
	v_div_fmas_f64 v[91:92], v[91:92], v[93:94], v[95:96]
	v_div_fixup_f64 v[1:2], v[91:92], v[1:2], 1.0
	v_add_nc_u32_e32 v91, 0x160, v3
	scratch_store_b64 v90, v[1:2], off
	scratch_load_b64 v[92:93], off, off offset:8
	v_xor_b32_e32 v2, 0x80000000, v2
	s_waitcnt vmcnt(0)
	ds_store_2addr_b64 v3, v[1:2], v[92:93] offset1:44
	s_waitcnt lgkmcnt(0)
	s_waitcnt_vscnt null, 0x0
	s_barrier
	buffer_gl0_inv
	s_and_saveexec_b32 s1, s0
	s_cbranch_execz .LBB42_15
; %bb.14:
	scratch_load_b64 v[1:2], v90, off
	ds_load_b64 v[92:93], v91
	s_waitcnt vmcnt(0) lgkmcnt(0)
	v_fma_f64 v[1:2], v[1:2], v[92:93], 0
	v_mov_b32_e32 v92, 0
	ds_load_b64 v[92:93], v92 offset:8
	s_waitcnt lgkmcnt(0)
	v_mul_f64 v[1:2], v[1:2], v[92:93]
	scratch_store_b64 off, v[1:2], off offset:8
.LBB42_15:
	s_or_b32 exec_lo, exec_lo, s1
	s_waitcnt_vscnt null, 0x0
	s_barrier
	buffer_gl0_inv
	scratch_load_b64 v[1:2], off, off offset:16
	s_mov_b32 s1, exec_lo
	s_waitcnt vmcnt(0)
	ds_store_b64 v91, v[1:2]
	s_waitcnt lgkmcnt(0)
	s_barrier
	buffer_gl0_inv
	v_cmpx_gt_u32_e32 2, v0
	s_cbranch_execz .LBB42_19
; %bb.16:
	scratch_load_b64 v[1:2], v90, off
	ds_load_b64 v[92:93], v91
	s_waitcnt vmcnt(0) lgkmcnt(0)
	v_fma_f64 v[1:2], v[1:2], v[92:93], 0
	s_and_saveexec_b32 s2, s0
	s_cbranch_execz .LBB42_18
; %bb.17:
	scratch_load_b64 v[92:93], off, off offset:8
	v_mov_b32_e32 v94, 0
	ds_load_b64 v[94:95], v94 offset:360
	s_waitcnt vmcnt(0) lgkmcnt(0)
	v_fma_f64 v[1:2], v[92:93], v[94:95], v[1:2]
.LBB42_18:
	s_or_b32 exec_lo, exec_lo, s2
	v_mov_b32_e32 v92, 0
	ds_load_b64 v[92:93], v92 offset:16
	s_waitcnt lgkmcnt(0)
	v_mul_f64 v[1:2], v[1:2], v[92:93]
	scratch_store_b64 off, v[1:2], off offset:16
.LBB42_19:
	s_or_b32 exec_lo, exec_lo, s1
	s_waitcnt_vscnt null, 0x0
	s_barrier
	buffer_gl0_inv
	scratch_load_b64 v[1:2], off, off offset:24
	v_add_nc_u32_e32 v92, -1, v0
	s_mov_b32 s0, exec_lo
	s_waitcnt vmcnt(0)
	ds_store_b64 v91, v[1:2]
	s_waitcnt lgkmcnt(0)
	s_barrier
	buffer_gl0_inv
	v_cmpx_gt_u32_e32 3, v0
	s_cbranch_execz .LBB42_23
; %bb.20:
	v_dual_mov_b32 v1, 0 :: v_dual_add_nc_u32 v94, 0x160, v3
	v_dual_mov_b32 v2, 0 :: v_dual_add_nc_u32 v93, -1, v0
	v_add_nc_u32_e32 v95, 0, v3
	s_mov_b32 s1, 0
.LBB42_21:                              ; =>This Inner Loop Header: Depth=1
	scratch_load_b64 v[96:97], v95, off
	ds_load_b64 v[98:99], v94
	v_add_nc_u32_e32 v93, 1, v93
	v_add_nc_u32_e32 v94, 8, v94
	v_add_nc_u32_e32 v95, 8, v95
	s_delay_alu instid0(VALU_DEP_3)
	v_cmp_lt_u32_e32 vcc_lo, 1, v93
	s_or_b32 s1, vcc_lo, s1
	s_waitcnt vmcnt(0) lgkmcnt(0)
	v_fma_f64 v[1:2], v[96:97], v[98:99], v[1:2]
	s_and_not1_b32 exec_lo, exec_lo, s1
	s_cbranch_execnz .LBB42_21
; %bb.22:
	s_or_b32 exec_lo, exec_lo, s1
	v_mov_b32_e32 v93, 0
	ds_load_b64 v[93:94], v93 offset:24
	s_waitcnt lgkmcnt(0)
	v_mul_f64 v[1:2], v[1:2], v[93:94]
	scratch_store_b64 off, v[1:2], off offset:24
.LBB42_23:
	s_or_b32 exec_lo, exec_lo, s0
	s_waitcnt_vscnt null, 0x0
	s_barrier
	buffer_gl0_inv
	scratch_load_b64 v[1:2], off, off offset:32
	s_mov_b32 s0, exec_lo
	s_waitcnt vmcnt(0)
	ds_store_b64 v91, v[1:2]
	s_waitcnt lgkmcnt(0)
	s_barrier
	buffer_gl0_inv
	v_cmpx_gt_u32_e32 4, v0
	s_cbranch_execz .LBB42_27
; %bb.24:
	v_dual_mov_b32 v1, 0 :: v_dual_add_nc_u32 v94, 0x160, v3
	v_dual_mov_b32 v2, 0 :: v_dual_add_nc_u32 v93, -1, v0
	v_add_nc_u32_e32 v95, 0, v3
	s_mov_b32 s1, 0
.LBB42_25:                              ; =>This Inner Loop Header: Depth=1
	scratch_load_b64 v[96:97], v95, off
	ds_load_b64 v[98:99], v94
	v_add_nc_u32_e32 v93, 1, v93
	v_add_nc_u32_e32 v94, 8, v94
	v_add_nc_u32_e32 v95, 8, v95
	s_delay_alu instid0(VALU_DEP_3)
	v_cmp_lt_u32_e32 vcc_lo, 2, v93
	s_or_b32 s1, vcc_lo, s1
	s_waitcnt vmcnt(0) lgkmcnt(0)
	v_fma_f64 v[1:2], v[96:97], v[98:99], v[1:2]
	s_and_not1_b32 exec_lo, exec_lo, s1
	s_cbranch_execnz .LBB42_25
; %bb.26:
	s_or_b32 exec_lo, exec_lo, s1
	v_mov_b32_e32 v93, 0
	ds_load_b64 v[93:94], v93 offset:32
	s_waitcnt lgkmcnt(0)
	v_mul_f64 v[1:2], v[1:2], v[93:94]
	scratch_store_b64 off, v[1:2], off offset:32
.LBB42_27:
	s_or_b32 exec_lo, exec_lo, s0
	s_waitcnt_vscnt null, 0x0
	s_barrier
	buffer_gl0_inv
	scratch_load_b64 v[1:2], off, off offset:40
	;; [unrolled: 39-line block ×20, first 2 shown]
	s_mov_b32 s0, exec_lo
	s_waitcnt vmcnt(0)
	ds_store_b64 v91, v[1:2]
	s_waitcnt lgkmcnt(0)
	s_barrier
	buffer_gl0_inv
	v_cmpx_gt_u32_e32 23, v0
	s_cbranch_execz .LBB42_103
; %bb.100:
	v_dual_mov_b32 v1, 0 :: v_dual_add_nc_u32 v94, 0x160, v3
	v_dual_mov_b32 v2, 0 :: v_dual_add_nc_u32 v93, -1, v0
	v_add_nc_u32_e32 v95, 0, v3
	s_mov_b32 s1, 0
.LBB42_101:                             ; =>This Inner Loop Header: Depth=1
	scratch_load_b64 v[96:97], v95, off
	ds_load_b64 v[98:99], v94
	v_add_nc_u32_e32 v93, 1, v93
	v_add_nc_u32_e32 v94, 8, v94
	v_add_nc_u32_e32 v95, 8, v95
	s_delay_alu instid0(VALU_DEP_3)
	v_cmp_lt_u32_e32 vcc_lo, 21, v93
	s_or_b32 s1, vcc_lo, s1
	s_waitcnt vmcnt(0) lgkmcnt(0)
	v_fma_f64 v[1:2], v[96:97], v[98:99], v[1:2]
	s_and_not1_b32 exec_lo, exec_lo, s1
	s_cbranch_execnz .LBB42_101
; %bb.102:
	s_or_b32 exec_lo, exec_lo, s1
	v_mov_b32_e32 v93, 0
	ds_load_b64 v[93:94], v93 offset:184
	s_waitcnt lgkmcnt(0)
	v_mul_f64 v[1:2], v[1:2], v[93:94]
	scratch_store_b64 off, v[1:2], off offset:184
.LBB42_103:
	s_or_b32 exec_lo, exec_lo, s0
	s_waitcnt_vscnt null, 0x0
	s_barrier
	buffer_gl0_inv
	scratch_load_b64 v[1:2], off, off offset:192
	s_mov_b32 s0, exec_lo
	s_waitcnt vmcnt(0)
	ds_store_b64 v91, v[1:2]
	s_waitcnt lgkmcnt(0)
	s_barrier
	buffer_gl0_inv
	v_cmpx_gt_u32_e32 24, v0
	s_cbranch_execz .LBB42_107
; %bb.104:
	v_dual_mov_b32 v1, 0 :: v_dual_add_nc_u32 v94, 0x160, v3
	v_dual_mov_b32 v2, 0 :: v_dual_add_nc_u32 v93, -1, v0
	v_add_nc_u32_e32 v95, 0, v3
	s_mov_b32 s1, 0
.LBB42_105:                             ; =>This Inner Loop Header: Depth=1
	scratch_load_b64 v[96:97], v95, off
	ds_load_b64 v[98:99], v94
	v_add_nc_u32_e32 v93, 1, v93
	v_add_nc_u32_e32 v94, 8, v94
	v_add_nc_u32_e32 v95, 8, v95
	s_delay_alu instid0(VALU_DEP_3)
	v_cmp_lt_u32_e32 vcc_lo, 22, v93
	s_or_b32 s1, vcc_lo, s1
	s_waitcnt vmcnt(0) lgkmcnt(0)
	v_fma_f64 v[1:2], v[96:97], v[98:99], v[1:2]
	s_and_not1_b32 exec_lo, exec_lo, s1
	s_cbranch_execnz .LBB42_105
; %bb.106:
	s_or_b32 exec_lo, exec_lo, s1
	v_mov_b32_e32 v93, 0
	ds_load_b64 v[93:94], v93 offset:192
	s_waitcnt lgkmcnt(0)
	v_mul_f64 v[1:2], v[1:2], v[93:94]
	scratch_store_b64 off, v[1:2], off offset:192
.LBB42_107:
	s_or_b32 exec_lo, exec_lo, s0
	s_waitcnt_vscnt null, 0x0
	s_barrier
	buffer_gl0_inv
	scratch_load_b64 v[1:2], off, off offset:200
	;; [unrolled: 39-line block ×19, first 2 shown]
	s_mov_b32 s0, exec_lo
	s_waitcnt vmcnt(0)
	ds_store_b64 v91, v[1:2]
	s_waitcnt lgkmcnt(0)
	s_barrier
	buffer_gl0_inv
	v_cmpx_ne_u32_e32 42, v0
	s_cbranch_execz .LBB42_179
; %bb.176:
	v_mov_b32_e32 v1, 0
	v_mov_b32_e32 v2, 0
	s_mov_b32 s1, 0
.LBB42_177:                             ; =>This Inner Loop Header: Depth=1
	scratch_load_b64 v[93:94], v90, off
	ds_load_b64 v[95:96], v91
	v_add_nc_u32_e32 v92, 1, v92
	v_add_nc_u32_e32 v91, 8, v91
	;; [unrolled: 1-line block ×3, first 2 shown]
	s_delay_alu instid0(VALU_DEP_3)
	v_cmp_lt_u32_e32 vcc_lo, 40, v92
	s_or_b32 s1, vcc_lo, s1
	s_waitcnt vmcnt(0) lgkmcnt(0)
	v_fma_f64 v[1:2], v[93:94], v[95:96], v[1:2]
	s_and_not1_b32 exec_lo, exec_lo, s1
	s_cbranch_execnz .LBB42_177
; %bb.178:
	s_or_b32 exec_lo, exec_lo, s1
	v_mov_b32_e32 v3, 0
	ds_load_b64 v[90:91], v3 offset:336
	s_waitcnt lgkmcnt(0)
	v_mul_f64 v[1:2], v[1:2], v[90:91]
	scratch_store_b64 off, v[1:2], off offset:336
.LBB42_179:
	s_or_b32 exec_lo, exec_lo, s0
	s_mov_b32 s1, -1
	s_waitcnt_vscnt null, 0x0
	s_barrier
	buffer_gl0_inv
.LBB42_180:
	s_and_b32 vcc_lo, exec_lo, s1
	s_cbranch_vccz .LBB42_182
; %bb.181:
	s_lshl_b64 s[0:1], s[14:15], 2
	v_mov_b32_e32 v1, 0
	s_add_u32 s0, s6, s0
	s_addc_u32 s1, s7, s1
	global_load_b32 v1, v1, s[0:1]
	s_waitcnt vmcnt(0)
	v_cmp_ne_u32_e32 vcc_lo, 0, v1
	s_cbranch_vccz .LBB42_183
.LBB42_182:
	s_endpgm
.LBB42_183:
	v_lshl_add_u32 v3, v0, 3, 0x160
	s_mov_b32 s0, exec_lo
	v_cmpx_eq_u32_e32 42, v0
	s_cbranch_execz .LBB42_185
; %bb.184:
	scratch_load_b64 v[1:2], off, off offset:328
	v_mov_b32_e32 v90, 0
	s_delay_alu instid0(VALU_DEP_1)
	v_mov_b32_e32 v91, v90
	scratch_store_b64 off, v[90:91], off offset:328
	s_waitcnt vmcnt(0)
	ds_store_b64 v3, v[1:2]
.LBB42_185:
	s_or_b32 exec_lo, exec_lo, s0
	s_waitcnt lgkmcnt(0)
	s_waitcnt_vscnt null, 0x0
	s_barrier
	buffer_gl0_inv
	scratch_load_b128 v[90:93], off, off offset:328
	v_mov_b32_e32 v1, 0
	s_mov_b32 s0, exec_lo
	ds_load_b64 v[94:95], v1 offset:688
	s_waitcnt vmcnt(0) lgkmcnt(0)
	v_fma_f64 v[92:93], v[92:93], v[94:95], 0
	s_delay_alu instid0(VALU_DEP_1)
	v_add_f64 v[90:91], v[90:91], -v[92:93]
	scratch_store_b64 off, v[90:91], off offset:328
	v_cmpx_lt_u32_e32 40, v0
	s_cbranch_execz .LBB42_187
; %bb.186:
	scratch_load_b64 v[90:91], off, off offset:320
	v_mov_b32_e32 v2, v1
	scratch_store_b64 off, v[1:2], off offset:320
	s_waitcnt vmcnt(0)
	ds_store_b64 v3, v[90:91]
.LBB42_187:
	s_or_b32 exec_lo, exec_lo, s0
	s_waitcnt lgkmcnt(0)
	s_waitcnt_vscnt null, 0x0
	s_barrier
	buffer_gl0_inv
	s_clause 0x1
	scratch_load_b128 v[90:93], off, off offset:320
	scratch_load_b64 v[98:99], off, off offset:336
	ds_load_2addr_b64 v[94:97], v1 offset0:85 offset1:86
	s_mov_b32 s0, exec_lo
	s_waitcnt vmcnt(1) lgkmcnt(0)
	v_fma_f64 v[1:2], v[92:93], v[94:95], 0
	s_waitcnt vmcnt(0)
	s_delay_alu instid0(VALU_DEP_1) | instskip(NEXT) | instid1(VALU_DEP_1)
	v_fma_f64 v[1:2], v[98:99], v[96:97], v[1:2]
	v_add_f64 v[1:2], v[90:91], -v[1:2]
	scratch_store_b64 off, v[1:2], off offset:320
	v_cmpx_lt_u32_e32 39, v0
	s_cbranch_execz .LBB42_189
; %bb.188:
	scratch_load_b64 v[1:2], off, off offset:312
	v_mov_b32_e32 v90, 0
	s_delay_alu instid0(VALU_DEP_1)
	v_mov_b32_e32 v91, v90
	scratch_store_b64 off, v[90:91], off offset:312
	s_waitcnt vmcnt(0)
	ds_store_b64 v3, v[1:2]
.LBB42_189:
	s_or_b32 exec_lo, exec_lo, s0
	s_waitcnt lgkmcnt(0)
	s_waitcnt_vscnt null, 0x0
	s_barrier
	buffer_gl0_inv
	s_clause 0x1
	scratch_load_b128 v[90:93], off, off offset:312
	scratch_load_b128 v[94:97], off, off offset:328
	v_mov_b32_e32 v1, 0
	ds_load_b128 v[98:101], v1 offset:672
	ds_load_b64 v[102:103], v1 offset:688
	s_mov_b32 s0, exec_lo
	s_waitcnt vmcnt(1) lgkmcnt(1)
	v_fma_f64 v[92:93], v[92:93], v[98:99], 0
	s_waitcnt vmcnt(0)
	s_delay_alu instid0(VALU_DEP_1) | instskip(SKIP_1) | instid1(VALU_DEP_1)
	v_fma_f64 v[92:93], v[94:95], v[100:101], v[92:93]
	s_waitcnt lgkmcnt(0)
	v_fma_f64 v[92:93], v[96:97], v[102:103], v[92:93]
	s_delay_alu instid0(VALU_DEP_1)
	v_add_f64 v[90:91], v[90:91], -v[92:93]
	scratch_store_b64 off, v[90:91], off offset:312
	v_cmpx_lt_u32_e32 38, v0
	s_cbranch_execz .LBB42_191
; %bb.190:
	scratch_load_b64 v[90:91], off, off offset:304
	v_mov_b32_e32 v2, v1
	scratch_store_b64 off, v[1:2], off offset:304
	s_waitcnt vmcnt(0)
	ds_store_b64 v3, v[90:91]
.LBB42_191:
	s_or_b32 exec_lo, exec_lo, s0
	s_waitcnt lgkmcnt(0)
	s_waitcnt_vscnt null, 0x0
	s_barrier
	buffer_gl0_inv
	s_clause 0x2
	scratch_load_b128 v[90:93], off, off offset:304
	scratch_load_b128 v[94:97], off, off offset:320
	scratch_load_b64 v[106:107], off, off offset:336
	ds_load_2addr_b64 v[98:101], v1 offset0:83 offset1:84
	ds_load_2addr_b64 v[102:105], v1 offset0:85 offset1:86
	s_mov_b32 s0, exec_lo
	s_waitcnt vmcnt(2) lgkmcnt(1)
	v_fma_f64 v[1:2], v[92:93], v[98:99], 0
	s_waitcnt vmcnt(1)
	s_delay_alu instid0(VALU_DEP_1) | instskip(SKIP_1) | instid1(VALU_DEP_1)
	v_fma_f64 v[1:2], v[94:95], v[100:101], v[1:2]
	s_waitcnt lgkmcnt(0)
	v_fma_f64 v[1:2], v[96:97], v[102:103], v[1:2]
	s_waitcnt vmcnt(0)
	s_delay_alu instid0(VALU_DEP_1) | instskip(NEXT) | instid1(VALU_DEP_1)
	v_fma_f64 v[1:2], v[106:107], v[104:105], v[1:2]
	v_add_f64 v[1:2], v[90:91], -v[1:2]
	scratch_store_b64 off, v[1:2], off offset:304
	v_cmpx_lt_u32_e32 37, v0
	s_cbranch_execz .LBB42_193
; %bb.192:
	scratch_load_b64 v[1:2], off, off offset:296
	v_mov_b32_e32 v90, 0
	s_delay_alu instid0(VALU_DEP_1)
	v_mov_b32_e32 v91, v90
	scratch_store_b64 off, v[90:91], off offset:296
	s_waitcnt vmcnt(0)
	ds_store_b64 v3, v[1:2]
.LBB42_193:
	s_or_b32 exec_lo, exec_lo, s0
	s_waitcnt lgkmcnt(0)
	s_waitcnt_vscnt null, 0x0
	s_barrier
	buffer_gl0_inv
	s_clause 0x2
	scratch_load_b128 v[90:93], off, off offset:296
	scratch_load_b128 v[94:97], off, off offset:312
	;; [unrolled: 1-line block ×3, first 2 shown]
	v_mov_b32_e32 v1, 0
	ds_load_b128 v[102:105], v1 offset:656
	ds_load_b128 v[106:109], v1 offset:672
	s_mov_b32 s0, exec_lo
	s_waitcnt vmcnt(2) lgkmcnt(1)
	v_fma_f64 v[92:93], v[92:93], v[102:103], 0
	s_waitcnt vmcnt(1)
	s_delay_alu instid0(VALU_DEP_1) | instskip(SKIP_4) | instid1(VALU_DEP_1)
	v_fma_f64 v[92:93], v[94:95], v[104:105], v[92:93]
	ds_load_b64 v[94:95], v1 offset:688
	s_waitcnt lgkmcnt(1)
	v_fma_f64 v[92:93], v[96:97], v[106:107], v[92:93]
	s_waitcnt vmcnt(0)
	v_fma_f64 v[92:93], v[98:99], v[108:109], v[92:93]
	s_waitcnt lgkmcnt(0)
	s_delay_alu instid0(VALU_DEP_1) | instskip(NEXT) | instid1(VALU_DEP_1)
	v_fma_f64 v[92:93], v[100:101], v[94:95], v[92:93]
	v_add_f64 v[90:91], v[90:91], -v[92:93]
	scratch_store_b64 off, v[90:91], off offset:296
	v_cmpx_lt_u32_e32 36, v0
	s_cbranch_execz .LBB42_195
; %bb.194:
	scratch_load_b64 v[90:91], off, off offset:288
	v_mov_b32_e32 v2, v1
	scratch_store_b64 off, v[1:2], off offset:288
	s_waitcnt vmcnt(0)
	ds_store_b64 v3, v[90:91]
.LBB42_195:
	s_or_b32 exec_lo, exec_lo, s0
	s_waitcnt lgkmcnt(0)
	s_waitcnt_vscnt null, 0x0
	s_barrier
	buffer_gl0_inv
	s_clause 0x3
	scratch_load_b128 v[90:93], off, off offset:288
	scratch_load_b128 v[94:97], off, off offset:304
	;; [unrolled: 1-line block ×3, first 2 shown]
	scratch_load_b64 v[110:111], off, off offset:336
	ds_load_2addr_b64 v[102:105], v1 offset0:81 offset1:82
	ds_load_2addr_b64 v[106:109], v1 offset0:83 offset1:84
	s_mov_b32 s0, exec_lo
	s_waitcnt vmcnt(3) lgkmcnt(1)
	v_fma_f64 v[92:93], v[92:93], v[102:103], 0
	s_waitcnt vmcnt(2)
	s_delay_alu instid0(VALU_DEP_1) | instskip(SKIP_1) | instid1(VALU_DEP_1)
	v_fma_f64 v[92:93], v[94:95], v[104:105], v[92:93]
	s_waitcnt lgkmcnt(0)
	v_fma_f64 v[92:93], v[96:97], v[106:107], v[92:93]
	s_waitcnt vmcnt(1)
	s_delay_alu instid0(VALU_DEP_1) | instskip(SKIP_4) | instid1(VALU_DEP_1)
	v_fma_f64 v[96:97], v[98:99], v[108:109], v[92:93]
	ds_load_2addr_b64 v[92:95], v1 offset0:85 offset1:86
	s_waitcnt lgkmcnt(0)
	v_fma_f64 v[1:2], v[100:101], v[92:93], v[96:97]
	s_waitcnt vmcnt(0)
	v_fma_f64 v[1:2], v[110:111], v[94:95], v[1:2]
	s_delay_alu instid0(VALU_DEP_1)
	v_add_f64 v[1:2], v[90:91], -v[1:2]
	scratch_store_b64 off, v[1:2], off offset:288
	v_cmpx_lt_u32_e32 35, v0
	s_cbranch_execz .LBB42_197
; %bb.196:
	scratch_load_b64 v[1:2], off, off offset:280
	v_mov_b32_e32 v90, 0
	s_delay_alu instid0(VALU_DEP_1)
	v_mov_b32_e32 v91, v90
	scratch_store_b64 off, v[90:91], off offset:280
	s_waitcnt vmcnt(0)
	ds_store_b64 v3, v[1:2]
.LBB42_197:
	s_or_b32 exec_lo, exec_lo, s0
	s_waitcnt lgkmcnt(0)
	s_waitcnt_vscnt null, 0x0
	s_barrier
	buffer_gl0_inv
	s_clause 0x3
	scratch_load_b128 v[90:93], off, off offset:280
	scratch_load_b128 v[94:97], off, off offset:296
	;; [unrolled: 1-line block ×4, first 2 shown]
	v_mov_b32_e32 v1, 0
	ds_load_b128 v[106:109], v1 offset:640
	ds_load_b128 v[110:113], v1 offset:656
	s_mov_b32 s0, exec_lo
	s_waitcnt vmcnt(3) lgkmcnt(1)
	v_fma_f64 v[92:93], v[92:93], v[106:107], 0
	s_waitcnt vmcnt(2)
	s_delay_alu instid0(VALU_DEP_1) | instskip(SKIP_1) | instid1(VALU_DEP_1)
	v_fma_f64 v[92:93], v[94:95], v[108:109], v[92:93]
	s_waitcnt lgkmcnt(0)
	v_fma_f64 v[92:93], v[96:97], v[110:111], v[92:93]
	s_waitcnt vmcnt(1)
	s_delay_alu instid0(VALU_DEP_1)
	v_fma_f64 v[96:97], v[98:99], v[112:113], v[92:93]
	ds_load_b128 v[92:95], v1 offset:672
	ds_load_b64 v[98:99], v1 offset:688
	s_waitcnt lgkmcnt(1)
	v_fma_f64 v[92:93], v[100:101], v[92:93], v[96:97]
	s_waitcnt vmcnt(0)
	s_delay_alu instid0(VALU_DEP_1) | instskip(SKIP_1) | instid1(VALU_DEP_1)
	v_fma_f64 v[92:93], v[102:103], v[94:95], v[92:93]
	s_waitcnt lgkmcnt(0)
	v_fma_f64 v[92:93], v[104:105], v[98:99], v[92:93]
	s_delay_alu instid0(VALU_DEP_1)
	v_add_f64 v[90:91], v[90:91], -v[92:93]
	scratch_store_b64 off, v[90:91], off offset:280
	v_cmpx_lt_u32_e32 34, v0
	s_cbranch_execz .LBB42_199
; %bb.198:
	scratch_load_b64 v[90:91], off, off offset:272
	v_mov_b32_e32 v2, v1
	scratch_store_b64 off, v[1:2], off offset:272
	s_waitcnt vmcnt(0)
	ds_store_b64 v3, v[90:91]
.LBB42_199:
	s_or_b32 exec_lo, exec_lo, s0
	s_waitcnt lgkmcnt(0)
	s_waitcnt_vscnt null, 0x0
	s_barrier
	buffer_gl0_inv
	s_clause 0x4
	scratch_load_b128 v[90:93], off, off offset:272
	scratch_load_b128 v[94:97], off, off offset:288
	;; [unrolled: 1-line block ×4, first 2 shown]
	scratch_load_b64 v[114:115], off, off offset:336
	ds_load_2addr_b64 v[106:109], v1 offset0:79 offset1:80
	ds_load_2addr_b64 v[110:113], v1 offset0:81 offset1:82
	s_mov_b32 s0, exec_lo
	s_waitcnt vmcnt(4) lgkmcnt(1)
	v_fma_f64 v[92:93], v[92:93], v[106:107], 0
	s_waitcnt vmcnt(3)
	s_delay_alu instid0(VALU_DEP_1) | instskip(SKIP_1) | instid1(VALU_DEP_1)
	v_fma_f64 v[92:93], v[94:95], v[108:109], v[92:93]
	s_waitcnt lgkmcnt(0)
	v_fma_f64 v[92:93], v[96:97], v[110:111], v[92:93]
	s_waitcnt vmcnt(2)
	s_delay_alu instid0(VALU_DEP_1)
	v_fma_f64 v[106:107], v[98:99], v[112:113], v[92:93]
	ds_load_2addr_b64 v[92:95], v1 offset0:83 offset1:84
	ds_load_2addr_b64 v[96:99], v1 offset0:85 offset1:86
	s_waitcnt lgkmcnt(1)
	v_fma_f64 v[1:2], v[100:101], v[92:93], v[106:107]
	s_waitcnt vmcnt(1)
	s_delay_alu instid0(VALU_DEP_1) | instskip(SKIP_1) | instid1(VALU_DEP_1)
	v_fma_f64 v[1:2], v[102:103], v[94:95], v[1:2]
	s_waitcnt lgkmcnt(0)
	v_fma_f64 v[1:2], v[104:105], v[96:97], v[1:2]
	s_waitcnt vmcnt(0)
	s_delay_alu instid0(VALU_DEP_1) | instskip(NEXT) | instid1(VALU_DEP_1)
	v_fma_f64 v[1:2], v[114:115], v[98:99], v[1:2]
	v_add_f64 v[1:2], v[90:91], -v[1:2]
	scratch_store_b64 off, v[1:2], off offset:272
	v_cmpx_lt_u32_e32 33, v0
	s_cbranch_execz .LBB42_201
; %bb.200:
	scratch_load_b64 v[1:2], off, off offset:264
	v_mov_b32_e32 v90, 0
	s_delay_alu instid0(VALU_DEP_1)
	v_mov_b32_e32 v91, v90
	scratch_store_b64 off, v[90:91], off offset:264
	s_waitcnt vmcnt(0)
	ds_store_b64 v3, v[1:2]
.LBB42_201:
	s_or_b32 exec_lo, exec_lo, s0
	s_waitcnt lgkmcnt(0)
	s_waitcnt_vscnt null, 0x0
	s_barrier
	buffer_gl0_inv
	s_clause 0x4
	scratch_load_b128 v[90:93], off, off offset:264
	scratch_load_b128 v[94:97], off, off offset:280
	scratch_load_b128 v[98:101], off, off offset:296
	scratch_load_b128 v[102:105], off, off offset:312
	scratch_load_b128 v[106:109], off, off offset:328
	v_mov_b32_e32 v1, 0
	ds_load_b128 v[110:113], v1 offset:624
	ds_load_b128 v[114:117], v1 offset:640
	s_mov_b32 s0, exec_lo
	s_waitcnt vmcnt(4) lgkmcnt(1)
	v_fma_f64 v[92:93], v[92:93], v[110:111], 0
	s_waitcnt vmcnt(3)
	s_delay_alu instid0(VALU_DEP_1) | instskip(SKIP_1) | instid1(VALU_DEP_1)
	v_fma_f64 v[92:93], v[94:95], v[112:113], v[92:93]
	s_waitcnt lgkmcnt(0)
	v_fma_f64 v[92:93], v[96:97], v[114:115], v[92:93]
	s_waitcnt vmcnt(2)
	s_delay_alu instid0(VALU_DEP_1)
	v_fma_f64 v[110:111], v[98:99], v[116:117], v[92:93]
	ds_load_b128 v[92:95], v1 offset:656
	ds_load_b128 v[96:99], v1 offset:672
	s_waitcnt lgkmcnt(1)
	v_fma_f64 v[92:93], v[100:101], v[92:93], v[110:111]
	s_waitcnt vmcnt(1)
	s_delay_alu instid0(VALU_DEP_1) | instskip(SKIP_4) | instid1(VALU_DEP_1)
	v_fma_f64 v[92:93], v[102:103], v[94:95], v[92:93]
	ds_load_b64 v[94:95], v1 offset:688
	s_waitcnt lgkmcnt(1)
	v_fma_f64 v[92:93], v[104:105], v[96:97], v[92:93]
	s_waitcnt vmcnt(0)
	v_fma_f64 v[92:93], v[106:107], v[98:99], v[92:93]
	s_waitcnt lgkmcnt(0)
	s_delay_alu instid0(VALU_DEP_1) | instskip(NEXT) | instid1(VALU_DEP_1)
	v_fma_f64 v[92:93], v[108:109], v[94:95], v[92:93]
	v_add_f64 v[90:91], v[90:91], -v[92:93]
	scratch_store_b64 off, v[90:91], off offset:264
	v_cmpx_lt_u32_e32 32, v0
	s_cbranch_execz .LBB42_203
; %bb.202:
	scratch_load_b64 v[90:91], off, off offset:256
	v_mov_b32_e32 v2, v1
	scratch_store_b64 off, v[1:2], off offset:256
	s_waitcnt vmcnt(0)
	ds_store_b64 v3, v[90:91]
.LBB42_203:
	s_or_b32 exec_lo, exec_lo, s0
	s_waitcnt lgkmcnt(0)
	s_waitcnt_vscnt null, 0x0
	s_barrier
	buffer_gl0_inv
	s_clause 0x4
	scratch_load_b128 v[90:93], off, off offset:256
	scratch_load_b128 v[94:97], off, off offset:272
	;; [unrolled: 1-line block ×5, first 2 shown]
	ds_load_2addr_b64 v[110:113], v1 offset0:77 offset1:78
	ds_load_2addr_b64 v[114:117], v1 offset0:79 offset1:80
	s_mov_b32 s0, exec_lo
	s_waitcnt vmcnt(4) lgkmcnt(1)
	v_fma_f64 v[92:93], v[92:93], v[110:111], 0
	scratch_load_b64 v[110:111], off, off offset:336
	s_waitcnt vmcnt(4)
	v_fma_f64 v[92:93], v[94:95], v[112:113], v[92:93]
	s_waitcnt lgkmcnt(0)
	s_delay_alu instid0(VALU_DEP_1) | instskip(SKIP_1) | instid1(VALU_DEP_1)
	v_fma_f64 v[92:93], v[96:97], v[114:115], v[92:93]
	s_waitcnt vmcnt(3)
	v_fma_f64 v[112:113], v[98:99], v[116:117], v[92:93]
	ds_load_2addr_b64 v[92:95], v1 offset0:81 offset1:82
	ds_load_2addr_b64 v[96:99], v1 offset0:83 offset1:84
	s_waitcnt lgkmcnt(1)
	v_fma_f64 v[92:93], v[100:101], v[92:93], v[112:113]
	s_waitcnt vmcnt(2)
	s_delay_alu instid0(VALU_DEP_1) | instskip(SKIP_1) | instid1(VALU_DEP_1)
	v_fma_f64 v[92:93], v[102:103], v[94:95], v[92:93]
	s_waitcnt lgkmcnt(0)
	v_fma_f64 v[92:93], v[104:105], v[96:97], v[92:93]
	s_waitcnt vmcnt(1)
	s_delay_alu instid0(VALU_DEP_1) | instskip(SKIP_4) | instid1(VALU_DEP_1)
	v_fma_f64 v[96:97], v[106:107], v[98:99], v[92:93]
	ds_load_2addr_b64 v[92:95], v1 offset0:85 offset1:86
	s_waitcnt lgkmcnt(0)
	v_fma_f64 v[1:2], v[108:109], v[92:93], v[96:97]
	s_waitcnt vmcnt(0)
	v_fma_f64 v[1:2], v[110:111], v[94:95], v[1:2]
	s_delay_alu instid0(VALU_DEP_1)
	v_add_f64 v[1:2], v[90:91], -v[1:2]
	scratch_store_b64 off, v[1:2], off offset:256
	v_cmpx_lt_u32_e32 31, v0
	s_cbranch_execz .LBB42_205
; %bb.204:
	scratch_load_b64 v[1:2], off, off offset:248
	v_mov_b32_e32 v90, 0
	s_delay_alu instid0(VALU_DEP_1)
	v_mov_b32_e32 v91, v90
	scratch_store_b64 off, v[90:91], off offset:248
	s_waitcnt vmcnt(0)
	ds_store_b64 v3, v[1:2]
.LBB42_205:
	s_or_b32 exec_lo, exec_lo, s0
	s_waitcnt lgkmcnt(0)
	s_waitcnt_vscnt null, 0x0
	s_barrier
	buffer_gl0_inv
	s_clause 0x4
	scratch_load_b128 v[90:93], off, off offset:248
	scratch_load_b128 v[94:97], off, off offset:264
	;; [unrolled: 1-line block ×5, first 2 shown]
	v_mov_b32_e32 v1, 0
	scratch_load_b128 v[114:117], off, off offset:328
	s_mov_b32 s0, exec_lo
	ds_load_b128 v[110:113], v1 offset:608
	s_waitcnt vmcnt(5) lgkmcnt(0)
	v_fma_f64 v[92:93], v[92:93], v[110:111], 0
	s_waitcnt vmcnt(4)
	s_delay_alu instid0(VALU_DEP_1) | instskip(SKIP_4) | instid1(VALU_DEP_1)
	v_fma_f64 v[110:111], v[94:95], v[112:113], v[92:93]
	ds_load_b128 v[92:95], v1 offset:624
	s_waitcnt lgkmcnt(0)
	v_fma_f64 v[92:93], v[96:97], v[92:93], v[110:111]
	s_waitcnt vmcnt(3)
	v_fma_f64 v[96:97], v[98:99], v[94:95], v[92:93]
	ds_load_b128 v[92:95], v1 offset:640
	s_waitcnt lgkmcnt(0)
	v_fma_f64 v[92:93], v[100:101], v[92:93], v[96:97]
	s_waitcnt vmcnt(2)
	s_delay_alu instid0(VALU_DEP_1) | instskip(SKIP_4) | instid1(VALU_DEP_1)
	v_fma_f64 v[96:97], v[102:103], v[94:95], v[92:93]
	ds_load_b128 v[92:95], v1 offset:656
	s_waitcnt lgkmcnt(0)
	v_fma_f64 v[92:93], v[104:105], v[92:93], v[96:97]
	s_waitcnt vmcnt(1)
	v_fma_f64 v[96:97], v[106:107], v[94:95], v[92:93]
	ds_load_b128 v[92:95], v1 offset:672
	s_waitcnt lgkmcnt(0)
	v_fma_f64 v[92:93], v[108:109], v[92:93], v[96:97]
	s_waitcnt vmcnt(0)
	s_delay_alu instid0(VALU_DEP_1) | instskip(SKIP_3) | instid1(VALU_DEP_1)
	v_fma_f64 v[92:93], v[114:115], v[94:95], v[92:93]
	ds_load_b64 v[94:95], v1 offset:688
	s_waitcnt lgkmcnt(0)
	v_fma_f64 v[92:93], v[116:117], v[94:95], v[92:93]
	v_add_f64 v[90:91], v[90:91], -v[92:93]
	scratch_store_b64 off, v[90:91], off offset:248
	v_cmpx_lt_u32_e32 30, v0
	s_cbranch_execz .LBB42_207
; %bb.206:
	scratch_load_b64 v[90:91], off, off offset:240
	v_mov_b32_e32 v2, v1
	scratch_store_b64 off, v[1:2], off offset:240
	s_waitcnt vmcnt(0)
	ds_store_b64 v3, v[90:91]
.LBB42_207:
	s_or_b32 exec_lo, exec_lo, s0
	s_waitcnt lgkmcnt(0)
	s_waitcnt_vscnt null, 0x0
	s_barrier
	buffer_gl0_inv
	s_clause 0x4
	scratch_load_b128 v[90:93], off, off offset:240
	scratch_load_b128 v[94:97], off, off offset:256
	;; [unrolled: 1-line block ×5, first 2 shown]
	ds_load_2addr_b64 v[110:113], v1 offset0:75 offset1:76
	scratch_load_b128 v[114:117], off, off offset:320
	s_mov_b32 s0, exec_lo
	s_waitcnt vmcnt(5) lgkmcnt(0)
	v_fma_f64 v[92:93], v[92:93], v[110:111], 0
	s_waitcnt vmcnt(4)
	s_delay_alu instid0(VALU_DEP_1)
	v_fma_f64 v[110:111], v[94:95], v[112:113], v[92:93]
	ds_load_2addr_b64 v[92:95], v1 offset0:77 offset1:78
	s_waitcnt lgkmcnt(0)
	v_fma_f64 v[92:93], v[96:97], v[92:93], v[110:111]
	scratch_load_b64 v[96:97], off, off offset:336
	s_waitcnt vmcnt(4)
	v_fma_f64 v[98:99], v[98:99], v[94:95], v[92:93]
	ds_load_2addr_b64 v[92:95], v1 offset0:79 offset1:80
	s_waitcnt lgkmcnt(0)
	v_fma_f64 v[92:93], v[100:101], v[92:93], v[98:99]
	s_waitcnt vmcnt(3)
	s_delay_alu instid0(VALU_DEP_1) | instskip(SKIP_4) | instid1(VALU_DEP_1)
	v_fma_f64 v[98:99], v[102:103], v[94:95], v[92:93]
	ds_load_2addr_b64 v[92:95], v1 offset0:81 offset1:82
	s_waitcnt lgkmcnt(0)
	v_fma_f64 v[92:93], v[104:105], v[92:93], v[98:99]
	s_waitcnt vmcnt(2)
	v_fma_f64 v[98:99], v[106:107], v[94:95], v[92:93]
	ds_load_2addr_b64 v[92:95], v1 offset0:83 offset1:84
	s_waitcnt lgkmcnt(0)
	v_fma_f64 v[92:93], v[108:109], v[92:93], v[98:99]
	s_waitcnt vmcnt(1)
	s_delay_alu instid0(VALU_DEP_1) | instskip(SKIP_4) | instid1(VALU_DEP_1)
	v_fma_f64 v[98:99], v[114:115], v[94:95], v[92:93]
	ds_load_2addr_b64 v[92:95], v1 offset0:85 offset1:86
	s_waitcnt lgkmcnt(0)
	v_fma_f64 v[1:2], v[116:117], v[92:93], v[98:99]
	s_waitcnt vmcnt(0)
	v_fma_f64 v[1:2], v[96:97], v[94:95], v[1:2]
	s_delay_alu instid0(VALU_DEP_1)
	v_add_f64 v[1:2], v[90:91], -v[1:2]
	scratch_store_b64 off, v[1:2], off offset:240
	v_cmpx_lt_u32_e32 29, v0
	s_cbranch_execz .LBB42_209
; %bb.208:
	scratch_load_b64 v[1:2], off, off offset:232
	v_mov_b32_e32 v90, 0
	s_delay_alu instid0(VALU_DEP_1)
	v_mov_b32_e32 v91, v90
	scratch_store_b64 off, v[90:91], off offset:232
	s_waitcnt vmcnt(0)
	ds_store_b64 v3, v[1:2]
.LBB42_209:
	s_or_b32 exec_lo, exec_lo, s0
	s_waitcnt lgkmcnt(0)
	s_waitcnt_vscnt null, 0x0
	s_barrier
	buffer_gl0_inv
	s_clause 0x4
	scratch_load_b128 v[90:93], off, off offset:232
	scratch_load_b128 v[94:97], off, off offset:248
	;; [unrolled: 1-line block ×5, first 2 shown]
	v_mov_b32_e32 v1, 0
	scratch_load_b128 v[114:117], off, off offset:312
	s_mov_b32 s0, exec_lo
	ds_load_b128 v[110:113], v1 offset:592
	s_waitcnt vmcnt(5) lgkmcnt(0)
	v_fma_f64 v[92:93], v[92:93], v[110:111], 0
	s_waitcnt vmcnt(4)
	s_delay_alu instid0(VALU_DEP_1)
	v_fma_f64 v[110:111], v[94:95], v[112:113], v[92:93]
	ds_load_b128 v[92:95], v1 offset:608
	s_waitcnt lgkmcnt(0)
	v_fma_f64 v[92:93], v[96:97], v[92:93], v[110:111]
	scratch_load_b128 v[110:113], off, off offset:328
	s_waitcnt vmcnt(4)
	v_fma_f64 v[96:97], v[98:99], v[94:95], v[92:93]
	ds_load_b128 v[92:95], v1 offset:624
	s_waitcnt lgkmcnt(0)
	v_fma_f64 v[92:93], v[100:101], v[92:93], v[96:97]
	s_waitcnt vmcnt(3)
	s_delay_alu instid0(VALU_DEP_1) | instskip(SKIP_4) | instid1(VALU_DEP_1)
	v_fma_f64 v[96:97], v[102:103], v[94:95], v[92:93]
	ds_load_b128 v[92:95], v1 offset:640
	s_waitcnt lgkmcnt(0)
	v_fma_f64 v[92:93], v[104:105], v[92:93], v[96:97]
	s_waitcnt vmcnt(2)
	v_fma_f64 v[96:97], v[106:107], v[94:95], v[92:93]
	ds_load_b128 v[92:95], v1 offset:656
	s_waitcnt lgkmcnt(0)
	v_fma_f64 v[92:93], v[108:109], v[92:93], v[96:97]
	s_waitcnt vmcnt(1)
	s_delay_alu instid0(VALU_DEP_1) | instskip(SKIP_4) | instid1(VALU_DEP_1)
	v_fma_f64 v[96:97], v[114:115], v[94:95], v[92:93]
	ds_load_b128 v[92:95], v1 offset:672
	s_waitcnt lgkmcnt(0)
	v_fma_f64 v[92:93], v[116:117], v[92:93], v[96:97]
	s_waitcnt vmcnt(0)
	v_fma_f64 v[92:93], v[110:111], v[94:95], v[92:93]
	ds_load_b64 v[94:95], v1 offset:688
	s_waitcnt lgkmcnt(0)
	v_fma_f64 v[92:93], v[112:113], v[94:95], v[92:93]
	s_delay_alu instid0(VALU_DEP_1)
	v_add_f64 v[90:91], v[90:91], -v[92:93]
	scratch_store_b64 off, v[90:91], off offset:232
	v_cmpx_lt_u32_e32 28, v0
	s_cbranch_execz .LBB42_211
; %bb.210:
	scratch_load_b64 v[90:91], off, off offset:224
	v_mov_b32_e32 v2, v1
	scratch_store_b64 off, v[1:2], off offset:224
	s_waitcnt vmcnt(0)
	ds_store_b64 v3, v[90:91]
.LBB42_211:
	s_or_b32 exec_lo, exec_lo, s0
	s_waitcnt lgkmcnt(0)
	s_waitcnt_vscnt null, 0x0
	s_barrier
	buffer_gl0_inv
	s_clause 0x4
	scratch_load_b128 v[90:93], off, off offset:224
	scratch_load_b128 v[94:97], off, off offset:240
	scratch_load_b128 v[98:101], off, off offset:256
	scratch_load_b128 v[102:105], off, off offset:272
	scratch_load_b128 v[106:109], off, off offset:288
	ds_load_2addr_b64 v[110:113], v1 offset0:73 offset1:74
	scratch_load_b128 v[114:117], off, off offset:304
	s_mov_b32 s0, exec_lo
	s_waitcnt vmcnt(5) lgkmcnt(0)
	v_fma_f64 v[92:93], v[92:93], v[110:111], 0
	s_waitcnt vmcnt(4)
	s_delay_alu instid0(VALU_DEP_1)
	v_fma_f64 v[110:111], v[94:95], v[112:113], v[92:93]
	ds_load_2addr_b64 v[92:95], v1 offset0:75 offset1:76
	s_waitcnt lgkmcnt(0)
	v_fma_f64 v[92:93], v[96:97], v[92:93], v[110:111]
	scratch_load_b128 v[110:113], off, off offset:320
	s_waitcnt vmcnt(4)
	v_fma_f64 v[96:97], v[98:99], v[94:95], v[92:93]
	ds_load_2addr_b64 v[92:95], v1 offset0:77 offset1:78
	s_waitcnt lgkmcnt(0)
	v_fma_f64 v[92:93], v[100:101], v[92:93], v[96:97]
	scratch_load_b64 v[96:97], off, off offset:336
	s_waitcnt vmcnt(4)
	v_fma_f64 v[98:99], v[102:103], v[94:95], v[92:93]
	ds_load_2addr_b64 v[92:95], v1 offset0:79 offset1:80
	s_waitcnt lgkmcnt(0)
	v_fma_f64 v[92:93], v[104:105], v[92:93], v[98:99]
	s_waitcnt vmcnt(3)
	s_delay_alu instid0(VALU_DEP_1) | instskip(SKIP_4) | instid1(VALU_DEP_1)
	v_fma_f64 v[98:99], v[106:107], v[94:95], v[92:93]
	ds_load_2addr_b64 v[92:95], v1 offset0:81 offset1:82
	s_waitcnt lgkmcnt(0)
	v_fma_f64 v[92:93], v[108:109], v[92:93], v[98:99]
	s_waitcnt vmcnt(2)
	v_fma_f64 v[98:99], v[114:115], v[94:95], v[92:93]
	ds_load_2addr_b64 v[92:95], v1 offset0:83 offset1:84
	s_waitcnt lgkmcnt(0)
	v_fma_f64 v[92:93], v[116:117], v[92:93], v[98:99]
	s_waitcnt vmcnt(1)
	s_delay_alu instid0(VALU_DEP_1) | instskip(SKIP_4) | instid1(VALU_DEP_1)
	v_fma_f64 v[98:99], v[110:111], v[94:95], v[92:93]
	ds_load_2addr_b64 v[92:95], v1 offset0:85 offset1:86
	s_waitcnt lgkmcnt(0)
	v_fma_f64 v[1:2], v[112:113], v[92:93], v[98:99]
	s_waitcnt vmcnt(0)
	v_fma_f64 v[1:2], v[96:97], v[94:95], v[1:2]
	s_delay_alu instid0(VALU_DEP_1)
	v_add_f64 v[1:2], v[90:91], -v[1:2]
	scratch_store_b64 off, v[1:2], off offset:224
	v_cmpx_lt_u32_e32 27, v0
	s_cbranch_execz .LBB42_213
; %bb.212:
	scratch_load_b64 v[1:2], off, off offset:216
	v_mov_b32_e32 v90, 0
	s_delay_alu instid0(VALU_DEP_1)
	v_mov_b32_e32 v91, v90
	scratch_store_b64 off, v[90:91], off offset:216
	s_waitcnt vmcnt(0)
	ds_store_b64 v3, v[1:2]
.LBB42_213:
	s_or_b32 exec_lo, exec_lo, s0
	s_waitcnt lgkmcnt(0)
	s_waitcnt_vscnt null, 0x0
	s_barrier
	buffer_gl0_inv
	s_clause 0x4
	scratch_load_b128 v[90:93], off, off offset:216
	scratch_load_b128 v[94:97], off, off offset:232
	;; [unrolled: 1-line block ×5, first 2 shown]
	v_mov_b32_e32 v1, 0
	scratch_load_b128 v[114:117], off, off offset:296
	s_mov_b32 s0, exec_lo
	ds_load_b128 v[110:113], v1 offset:576
	s_waitcnt vmcnt(5) lgkmcnt(0)
	v_fma_f64 v[92:93], v[92:93], v[110:111], 0
	s_waitcnt vmcnt(4)
	s_delay_alu instid0(VALU_DEP_1)
	v_fma_f64 v[110:111], v[94:95], v[112:113], v[92:93]
	ds_load_b128 v[92:95], v1 offset:592
	s_waitcnt lgkmcnt(0)
	v_fma_f64 v[92:93], v[96:97], v[92:93], v[110:111]
	scratch_load_b128 v[110:113], off, off offset:312
	s_waitcnt vmcnt(4)
	v_fma_f64 v[96:97], v[98:99], v[94:95], v[92:93]
	ds_load_b128 v[92:95], v1 offset:608
	s_waitcnt lgkmcnt(0)
	v_fma_f64 v[92:93], v[100:101], v[92:93], v[96:97]
	scratch_load_b128 v[96:99], off, off offset:328
	s_waitcnt vmcnt(4)
	v_fma_f64 v[100:101], v[102:103], v[94:95], v[92:93]
	ds_load_b128 v[92:95], v1 offset:624
	s_waitcnt lgkmcnt(0)
	v_fma_f64 v[92:93], v[104:105], v[92:93], v[100:101]
	s_waitcnt vmcnt(3)
	s_delay_alu instid0(VALU_DEP_1) | instskip(SKIP_4) | instid1(VALU_DEP_1)
	v_fma_f64 v[100:101], v[106:107], v[94:95], v[92:93]
	ds_load_b128 v[92:95], v1 offset:640
	s_waitcnt lgkmcnt(0)
	v_fma_f64 v[92:93], v[108:109], v[92:93], v[100:101]
	s_waitcnt vmcnt(2)
	v_fma_f64 v[100:101], v[114:115], v[94:95], v[92:93]
	ds_load_b128 v[92:95], v1 offset:656
	s_waitcnt lgkmcnt(0)
	v_fma_f64 v[92:93], v[116:117], v[92:93], v[100:101]
	s_waitcnt vmcnt(1)
	s_delay_alu instid0(VALU_DEP_1) | instskip(SKIP_4) | instid1(VALU_DEP_1)
	v_fma_f64 v[100:101], v[110:111], v[94:95], v[92:93]
	ds_load_b128 v[92:95], v1 offset:672
	s_waitcnt lgkmcnt(0)
	v_fma_f64 v[92:93], v[112:113], v[92:93], v[100:101]
	s_waitcnt vmcnt(0)
	v_fma_f64 v[92:93], v[96:97], v[94:95], v[92:93]
	ds_load_b64 v[94:95], v1 offset:688
	s_waitcnt lgkmcnt(0)
	v_fma_f64 v[92:93], v[98:99], v[94:95], v[92:93]
	s_delay_alu instid0(VALU_DEP_1)
	v_add_f64 v[90:91], v[90:91], -v[92:93]
	scratch_store_b64 off, v[90:91], off offset:216
	v_cmpx_lt_u32_e32 26, v0
	s_cbranch_execz .LBB42_215
; %bb.214:
	scratch_load_b64 v[90:91], off, off offset:208
	v_mov_b32_e32 v2, v1
	scratch_store_b64 off, v[1:2], off offset:208
	s_waitcnt vmcnt(0)
	ds_store_b64 v3, v[90:91]
.LBB42_215:
	s_or_b32 exec_lo, exec_lo, s0
	s_waitcnt lgkmcnt(0)
	s_waitcnt_vscnt null, 0x0
	s_barrier
	buffer_gl0_inv
	s_clause 0x4
	scratch_load_b128 v[90:93], off, off offset:208
	scratch_load_b128 v[94:97], off, off offset:224
	scratch_load_b128 v[98:101], off, off offset:240
	scratch_load_b128 v[102:105], off, off offset:256
	scratch_load_b128 v[106:109], off, off offset:272
	ds_load_2addr_b64 v[110:113], v1 offset0:71 offset1:72
	scratch_load_b128 v[114:117], off, off offset:288
	s_mov_b32 s0, exec_lo
	s_waitcnt vmcnt(5) lgkmcnt(0)
	v_fma_f64 v[92:93], v[92:93], v[110:111], 0
	s_waitcnt vmcnt(4)
	s_delay_alu instid0(VALU_DEP_1)
	v_fma_f64 v[110:111], v[94:95], v[112:113], v[92:93]
	ds_load_2addr_b64 v[92:95], v1 offset0:73 offset1:74
	s_waitcnt lgkmcnt(0)
	v_fma_f64 v[92:93], v[96:97], v[92:93], v[110:111]
	scratch_load_b128 v[110:113], off, off offset:304
	s_waitcnt vmcnt(4)
	v_fma_f64 v[96:97], v[98:99], v[94:95], v[92:93]
	ds_load_2addr_b64 v[92:95], v1 offset0:75 offset1:76
	s_waitcnt lgkmcnt(0)
	v_fma_f64 v[92:93], v[100:101], v[92:93], v[96:97]
	scratch_load_b128 v[96:99], off, off offset:320
	s_waitcnt vmcnt(4)
	v_fma_f64 v[100:101], v[102:103], v[94:95], v[92:93]
	ds_load_2addr_b64 v[92:95], v1 offset0:77 offset1:78
	s_waitcnt lgkmcnt(0)
	v_fma_f64 v[92:93], v[104:105], v[92:93], v[100:101]
	scratch_load_b64 v[100:101], off, off offset:336
	s_waitcnt vmcnt(4)
	v_fma_f64 v[102:103], v[106:107], v[94:95], v[92:93]
	ds_load_2addr_b64 v[92:95], v1 offset0:79 offset1:80
	s_waitcnt lgkmcnt(0)
	v_fma_f64 v[92:93], v[108:109], v[92:93], v[102:103]
	s_waitcnt vmcnt(3)
	s_delay_alu instid0(VALU_DEP_1) | instskip(SKIP_4) | instid1(VALU_DEP_1)
	v_fma_f64 v[102:103], v[114:115], v[94:95], v[92:93]
	ds_load_2addr_b64 v[92:95], v1 offset0:81 offset1:82
	s_waitcnt lgkmcnt(0)
	v_fma_f64 v[92:93], v[116:117], v[92:93], v[102:103]
	s_waitcnt vmcnt(2)
	v_fma_f64 v[102:103], v[110:111], v[94:95], v[92:93]
	ds_load_2addr_b64 v[92:95], v1 offset0:83 offset1:84
	s_waitcnt lgkmcnt(0)
	v_fma_f64 v[92:93], v[112:113], v[92:93], v[102:103]
	s_waitcnt vmcnt(1)
	s_delay_alu instid0(VALU_DEP_1) | instskip(SKIP_4) | instid1(VALU_DEP_1)
	v_fma_f64 v[96:97], v[96:97], v[94:95], v[92:93]
	ds_load_2addr_b64 v[92:95], v1 offset0:85 offset1:86
	s_waitcnt lgkmcnt(0)
	v_fma_f64 v[1:2], v[98:99], v[92:93], v[96:97]
	s_waitcnt vmcnt(0)
	v_fma_f64 v[1:2], v[100:101], v[94:95], v[1:2]
	s_delay_alu instid0(VALU_DEP_1)
	v_add_f64 v[1:2], v[90:91], -v[1:2]
	scratch_store_b64 off, v[1:2], off offset:208
	v_cmpx_lt_u32_e32 25, v0
	s_cbranch_execz .LBB42_217
; %bb.216:
	scratch_load_b64 v[1:2], off, off offset:200
	v_mov_b32_e32 v90, 0
	s_delay_alu instid0(VALU_DEP_1)
	v_mov_b32_e32 v91, v90
	scratch_store_b64 off, v[90:91], off offset:200
	s_waitcnt vmcnt(0)
	ds_store_b64 v3, v[1:2]
.LBB42_217:
	s_or_b32 exec_lo, exec_lo, s0
	s_waitcnt lgkmcnt(0)
	s_waitcnt_vscnt null, 0x0
	s_barrier
	buffer_gl0_inv
	s_clause 0x4
	scratch_load_b128 v[90:93], off, off offset:200
	scratch_load_b128 v[94:97], off, off offset:216
	;; [unrolled: 1-line block ×5, first 2 shown]
	v_mov_b32_e32 v1, 0
	scratch_load_b128 v[114:117], off, off offset:280
	s_mov_b32 s0, exec_lo
	ds_load_b128 v[110:113], v1 offset:560
	s_waitcnt vmcnt(5) lgkmcnt(0)
	v_fma_f64 v[92:93], v[92:93], v[110:111], 0
	s_waitcnt vmcnt(4)
	s_delay_alu instid0(VALU_DEP_1)
	v_fma_f64 v[110:111], v[94:95], v[112:113], v[92:93]
	ds_load_b128 v[92:95], v1 offset:576
	s_waitcnt lgkmcnt(0)
	v_fma_f64 v[92:93], v[96:97], v[92:93], v[110:111]
	scratch_load_b128 v[110:113], off, off offset:296
	s_waitcnt vmcnt(4)
	v_fma_f64 v[96:97], v[98:99], v[94:95], v[92:93]
	ds_load_b128 v[92:95], v1 offset:592
	s_waitcnt lgkmcnt(0)
	v_fma_f64 v[92:93], v[100:101], v[92:93], v[96:97]
	scratch_load_b128 v[96:99], off, off offset:312
	s_waitcnt vmcnt(4)
	;; [unrolled: 6-line block ×3, first 2 shown]
	v_fma_f64 v[104:105], v[106:107], v[94:95], v[92:93]
	ds_load_b128 v[92:95], v1 offset:624
	s_waitcnt lgkmcnt(0)
	v_fma_f64 v[92:93], v[108:109], v[92:93], v[104:105]
	s_waitcnt vmcnt(3)
	s_delay_alu instid0(VALU_DEP_1) | instskip(SKIP_4) | instid1(VALU_DEP_1)
	v_fma_f64 v[104:105], v[114:115], v[94:95], v[92:93]
	ds_load_b128 v[92:95], v1 offset:640
	s_waitcnt lgkmcnt(0)
	v_fma_f64 v[92:93], v[116:117], v[92:93], v[104:105]
	s_waitcnt vmcnt(2)
	v_fma_f64 v[104:105], v[110:111], v[94:95], v[92:93]
	ds_load_b128 v[92:95], v1 offset:656
	s_waitcnt lgkmcnt(0)
	v_fma_f64 v[92:93], v[112:113], v[92:93], v[104:105]
	s_waitcnt vmcnt(1)
	s_delay_alu instid0(VALU_DEP_1) | instskip(SKIP_4) | instid1(VALU_DEP_1)
	v_fma_f64 v[96:97], v[96:97], v[94:95], v[92:93]
	ds_load_b128 v[92:95], v1 offset:672
	s_waitcnt lgkmcnt(0)
	v_fma_f64 v[92:93], v[98:99], v[92:93], v[96:97]
	s_waitcnt vmcnt(0)
	v_fma_f64 v[92:93], v[100:101], v[94:95], v[92:93]
	ds_load_b64 v[94:95], v1 offset:688
	s_waitcnt lgkmcnt(0)
	v_fma_f64 v[92:93], v[102:103], v[94:95], v[92:93]
	s_delay_alu instid0(VALU_DEP_1)
	v_add_f64 v[90:91], v[90:91], -v[92:93]
	scratch_store_b64 off, v[90:91], off offset:200
	v_cmpx_lt_u32_e32 24, v0
	s_cbranch_execz .LBB42_219
; %bb.218:
	scratch_load_b64 v[90:91], off, off offset:192
	v_mov_b32_e32 v2, v1
	scratch_store_b64 off, v[1:2], off offset:192
	s_waitcnt vmcnt(0)
	ds_store_b64 v3, v[90:91]
.LBB42_219:
	s_or_b32 exec_lo, exec_lo, s0
	s_waitcnt lgkmcnt(0)
	s_waitcnt_vscnt null, 0x0
	s_barrier
	buffer_gl0_inv
	s_clause 0x4
	scratch_load_b128 v[90:93], off, off offset:192
	scratch_load_b128 v[94:97], off, off offset:208
	;; [unrolled: 1-line block ×5, first 2 shown]
	ds_load_2addr_b64 v[110:113], v1 offset0:69 offset1:70
	scratch_load_b128 v[114:117], off, off offset:272
	s_mov_b32 s0, exec_lo
	s_waitcnt vmcnt(5) lgkmcnt(0)
	v_fma_f64 v[92:93], v[92:93], v[110:111], 0
	s_waitcnt vmcnt(4)
	s_delay_alu instid0(VALU_DEP_1)
	v_fma_f64 v[110:111], v[94:95], v[112:113], v[92:93]
	ds_load_2addr_b64 v[92:95], v1 offset0:71 offset1:72
	s_waitcnt lgkmcnt(0)
	v_fma_f64 v[92:93], v[96:97], v[92:93], v[110:111]
	scratch_load_b128 v[110:113], off, off offset:288
	s_waitcnt vmcnt(4)
	v_fma_f64 v[96:97], v[98:99], v[94:95], v[92:93]
	ds_load_2addr_b64 v[92:95], v1 offset0:73 offset1:74
	s_waitcnt lgkmcnt(0)
	v_fma_f64 v[92:93], v[100:101], v[92:93], v[96:97]
	scratch_load_b128 v[96:99], off, off offset:304
	s_waitcnt vmcnt(4)
	;; [unrolled: 6-line block ×3, first 2 shown]
	v_fma_f64 v[104:105], v[106:107], v[94:95], v[92:93]
	ds_load_2addr_b64 v[92:95], v1 offset0:77 offset1:78
	s_waitcnt lgkmcnt(0)
	v_fma_f64 v[92:93], v[108:109], v[92:93], v[104:105]
	scratch_load_b64 v[104:105], off, off offset:336
	s_waitcnt vmcnt(4)
	v_fma_f64 v[106:107], v[114:115], v[94:95], v[92:93]
	ds_load_2addr_b64 v[92:95], v1 offset0:79 offset1:80
	s_waitcnt lgkmcnt(0)
	v_fma_f64 v[92:93], v[116:117], v[92:93], v[106:107]
	s_waitcnt vmcnt(3)
	s_delay_alu instid0(VALU_DEP_1) | instskip(SKIP_4) | instid1(VALU_DEP_1)
	v_fma_f64 v[106:107], v[110:111], v[94:95], v[92:93]
	ds_load_2addr_b64 v[92:95], v1 offset0:81 offset1:82
	s_waitcnt lgkmcnt(0)
	v_fma_f64 v[92:93], v[112:113], v[92:93], v[106:107]
	s_waitcnt vmcnt(2)
	v_fma_f64 v[96:97], v[96:97], v[94:95], v[92:93]
	ds_load_2addr_b64 v[92:95], v1 offset0:83 offset1:84
	s_waitcnt lgkmcnt(0)
	v_fma_f64 v[92:93], v[98:99], v[92:93], v[96:97]
	s_waitcnt vmcnt(1)
	s_delay_alu instid0(VALU_DEP_1) | instskip(SKIP_4) | instid1(VALU_DEP_1)
	v_fma_f64 v[96:97], v[100:101], v[94:95], v[92:93]
	ds_load_2addr_b64 v[92:95], v1 offset0:85 offset1:86
	s_waitcnt lgkmcnt(0)
	v_fma_f64 v[1:2], v[102:103], v[92:93], v[96:97]
	s_waitcnt vmcnt(0)
	v_fma_f64 v[1:2], v[104:105], v[94:95], v[1:2]
	s_delay_alu instid0(VALU_DEP_1)
	v_add_f64 v[1:2], v[90:91], -v[1:2]
	scratch_store_b64 off, v[1:2], off offset:192
	v_cmpx_lt_u32_e32 23, v0
	s_cbranch_execz .LBB42_221
; %bb.220:
	scratch_load_b64 v[1:2], off, off offset:184
	v_mov_b32_e32 v90, 0
	s_delay_alu instid0(VALU_DEP_1)
	v_mov_b32_e32 v91, v90
	scratch_store_b64 off, v[90:91], off offset:184
	s_waitcnt vmcnt(0)
	ds_store_b64 v3, v[1:2]
.LBB42_221:
	s_or_b32 exec_lo, exec_lo, s0
	s_waitcnt lgkmcnt(0)
	s_waitcnt_vscnt null, 0x0
	s_barrier
	buffer_gl0_inv
	s_clause 0x4
	scratch_load_b128 v[90:93], off, off offset:184
	scratch_load_b128 v[94:97], off, off offset:200
	;; [unrolled: 1-line block ×5, first 2 shown]
	v_mov_b32_e32 v1, 0
	scratch_load_b128 v[114:117], off, off offset:264
	s_mov_b32 s0, exec_lo
	ds_load_b128 v[110:113], v1 offset:544
	s_waitcnt vmcnt(5) lgkmcnt(0)
	v_fma_f64 v[92:93], v[92:93], v[110:111], 0
	s_waitcnt vmcnt(4)
	s_delay_alu instid0(VALU_DEP_1)
	v_fma_f64 v[110:111], v[94:95], v[112:113], v[92:93]
	ds_load_b128 v[92:95], v1 offset:560
	s_waitcnt lgkmcnt(0)
	v_fma_f64 v[92:93], v[96:97], v[92:93], v[110:111]
	scratch_load_b128 v[110:113], off, off offset:280
	s_waitcnt vmcnt(4)
	v_fma_f64 v[96:97], v[98:99], v[94:95], v[92:93]
	ds_load_b128 v[92:95], v1 offset:576
	s_waitcnt lgkmcnt(0)
	v_fma_f64 v[92:93], v[100:101], v[92:93], v[96:97]
	scratch_load_b128 v[96:99], off, off offset:296
	s_waitcnt vmcnt(4)
	;; [unrolled: 6-line block ×4, first 2 shown]
	v_fma_f64 v[108:109], v[114:115], v[94:95], v[92:93]
	ds_load_b128 v[92:95], v1 offset:624
	s_waitcnt lgkmcnt(0)
	v_fma_f64 v[92:93], v[116:117], v[92:93], v[108:109]
	s_waitcnt vmcnt(3)
	s_delay_alu instid0(VALU_DEP_1) | instskip(SKIP_4) | instid1(VALU_DEP_1)
	v_fma_f64 v[108:109], v[110:111], v[94:95], v[92:93]
	ds_load_b128 v[92:95], v1 offset:640
	s_waitcnt lgkmcnt(0)
	v_fma_f64 v[92:93], v[112:113], v[92:93], v[108:109]
	s_waitcnt vmcnt(2)
	v_fma_f64 v[96:97], v[96:97], v[94:95], v[92:93]
	ds_load_b128 v[92:95], v1 offset:656
	s_waitcnt lgkmcnt(0)
	v_fma_f64 v[92:93], v[98:99], v[92:93], v[96:97]
	s_waitcnt vmcnt(1)
	s_delay_alu instid0(VALU_DEP_1) | instskip(SKIP_4) | instid1(VALU_DEP_1)
	v_fma_f64 v[96:97], v[100:101], v[94:95], v[92:93]
	ds_load_b128 v[92:95], v1 offset:672
	s_waitcnt lgkmcnt(0)
	v_fma_f64 v[92:93], v[102:103], v[92:93], v[96:97]
	s_waitcnt vmcnt(0)
	v_fma_f64 v[92:93], v[104:105], v[94:95], v[92:93]
	ds_load_b64 v[94:95], v1 offset:688
	s_waitcnt lgkmcnt(0)
	v_fma_f64 v[92:93], v[106:107], v[94:95], v[92:93]
	s_delay_alu instid0(VALU_DEP_1)
	v_add_f64 v[90:91], v[90:91], -v[92:93]
	scratch_store_b64 off, v[90:91], off offset:184
	v_cmpx_lt_u32_e32 22, v0
	s_cbranch_execz .LBB42_223
; %bb.222:
	scratch_load_b64 v[90:91], off, off offset:176
	v_mov_b32_e32 v2, v1
	scratch_store_b64 off, v[1:2], off offset:176
	s_waitcnt vmcnt(0)
	ds_store_b64 v3, v[90:91]
.LBB42_223:
	s_or_b32 exec_lo, exec_lo, s0
	s_waitcnt lgkmcnt(0)
	s_waitcnt_vscnt null, 0x0
	s_barrier
	buffer_gl0_inv
	s_clause 0x4
	scratch_load_b128 v[90:93], off, off offset:176
	scratch_load_b128 v[94:97], off, off offset:192
	scratch_load_b128 v[98:101], off, off offset:208
	scratch_load_b128 v[102:105], off, off offset:224
	scratch_load_b128 v[106:109], off, off offset:240
	ds_load_2addr_b64 v[110:113], v1 offset0:67 offset1:68
	scratch_load_b128 v[114:117], off, off offset:256
	s_mov_b32 s0, exec_lo
	s_waitcnt vmcnt(5) lgkmcnt(0)
	v_fma_f64 v[92:93], v[92:93], v[110:111], 0
	s_waitcnt vmcnt(4)
	s_delay_alu instid0(VALU_DEP_1)
	v_fma_f64 v[110:111], v[94:95], v[112:113], v[92:93]
	ds_load_2addr_b64 v[92:95], v1 offset0:69 offset1:70
	s_waitcnt lgkmcnt(0)
	v_fma_f64 v[92:93], v[96:97], v[92:93], v[110:111]
	scratch_load_b128 v[110:113], off, off offset:272
	s_waitcnt vmcnt(4)
	v_fma_f64 v[96:97], v[98:99], v[94:95], v[92:93]
	ds_load_2addr_b64 v[92:95], v1 offset0:71 offset1:72
	s_waitcnt lgkmcnt(0)
	v_fma_f64 v[92:93], v[100:101], v[92:93], v[96:97]
	scratch_load_b128 v[96:99], off, off offset:288
	s_waitcnt vmcnt(4)
	;; [unrolled: 6-line block ×4, first 2 shown]
	v_fma_f64 v[108:109], v[114:115], v[94:95], v[92:93]
	ds_load_2addr_b64 v[92:95], v1 offset0:77 offset1:78
	s_waitcnt lgkmcnt(0)
	v_fma_f64 v[92:93], v[116:117], v[92:93], v[108:109]
	scratch_load_b64 v[108:109], off, off offset:336
	s_waitcnt vmcnt(4)
	v_fma_f64 v[110:111], v[110:111], v[94:95], v[92:93]
	ds_load_2addr_b64 v[92:95], v1 offset0:79 offset1:80
	s_waitcnt lgkmcnt(0)
	v_fma_f64 v[92:93], v[112:113], v[92:93], v[110:111]
	s_waitcnt vmcnt(3)
	s_delay_alu instid0(VALU_DEP_1) | instskip(SKIP_4) | instid1(VALU_DEP_1)
	v_fma_f64 v[96:97], v[96:97], v[94:95], v[92:93]
	ds_load_2addr_b64 v[92:95], v1 offset0:81 offset1:82
	s_waitcnt lgkmcnt(0)
	v_fma_f64 v[92:93], v[98:99], v[92:93], v[96:97]
	s_waitcnt vmcnt(2)
	v_fma_f64 v[96:97], v[100:101], v[94:95], v[92:93]
	ds_load_2addr_b64 v[92:95], v1 offset0:83 offset1:84
	s_waitcnt lgkmcnt(0)
	v_fma_f64 v[92:93], v[102:103], v[92:93], v[96:97]
	s_waitcnt vmcnt(1)
	s_delay_alu instid0(VALU_DEP_1) | instskip(SKIP_4) | instid1(VALU_DEP_1)
	v_fma_f64 v[96:97], v[104:105], v[94:95], v[92:93]
	ds_load_2addr_b64 v[92:95], v1 offset0:85 offset1:86
	s_waitcnt lgkmcnt(0)
	v_fma_f64 v[1:2], v[106:107], v[92:93], v[96:97]
	s_waitcnt vmcnt(0)
	v_fma_f64 v[1:2], v[108:109], v[94:95], v[1:2]
	s_delay_alu instid0(VALU_DEP_1)
	v_add_f64 v[1:2], v[90:91], -v[1:2]
	scratch_store_b64 off, v[1:2], off offset:176
	v_cmpx_lt_u32_e32 21, v0
	s_cbranch_execz .LBB42_225
; %bb.224:
	scratch_load_b64 v[1:2], off, off offset:168
	v_mov_b32_e32 v90, 0
	s_delay_alu instid0(VALU_DEP_1)
	v_mov_b32_e32 v91, v90
	scratch_store_b64 off, v[90:91], off offset:168
	s_waitcnt vmcnt(0)
	ds_store_b64 v3, v[1:2]
.LBB42_225:
	s_or_b32 exec_lo, exec_lo, s0
	s_waitcnt lgkmcnt(0)
	s_waitcnt_vscnt null, 0x0
	s_barrier
	buffer_gl0_inv
	s_clause 0x4
	scratch_load_b128 v[90:93], off, off offset:168
	scratch_load_b128 v[94:97], off, off offset:184
	;; [unrolled: 1-line block ×5, first 2 shown]
	v_mov_b32_e32 v1, 0
	scratch_load_b128 v[114:117], off, off offset:248
	s_mov_b32 s0, exec_lo
	ds_load_b128 v[110:113], v1 offset:528
	s_waitcnt vmcnt(5) lgkmcnt(0)
	v_fma_f64 v[92:93], v[92:93], v[110:111], 0
	s_waitcnt vmcnt(4)
	s_delay_alu instid0(VALU_DEP_1)
	v_fma_f64 v[110:111], v[94:95], v[112:113], v[92:93]
	ds_load_b128 v[92:95], v1 offset:544
	s_waitcnt lgkmcnt(0)
	v_fma_f64 v[92:93], v[96:97], v[92:93], v[110:111]
	scratch_load_b128 v[110:113], off, off offset:264
	s_waitcnt vmcnt(4)
	v_fma_f64 v[96:97], v[98:99], v[94:95], v[92:93]
	ds_load_b128 v[92:95], v1 offset:560
	s_waitcnt lgkmcnt(0)
	v_fma_f64 v[92:93], v[100:101], v[92:93], v[96:97]
	scratch_load_b128 v[96:99], off, off offset:280
	s_waitcnt vmcnt(4)
	;; [unrolled: 6-line block ×5, first 2 shown]
	v_fma_f64 v[108:109], v[110:111], v[94:95], v[92:93]
	ds_load_b128 v[92:95], v1 offset:624
	s_waitcnt lgkmcnt(0)
	v_fma_f64 v[92:93], v[112:113], v[92:93], v[108:109]
	s_waitcnt vmcnt(3)
	s_delay_alu instid0(VALU_DEP_1) | instskip(SKIP_4) | instid1(VALU_DEP_1)
	v_fma_f64 v[96:97], v[96:97], v[94:95], v[92:93]
	ds_load_b128 v[92:95], v1 offset:640
	s_waitcnt lgkmcnt(0)
	v_fma_f64 v[92:93], v[98:99], v[92:93], v[96:97]
	s_waitcnt vmcnt(2)
	v_fma_f64 v[96:97], v[100:101], v[94:95], v[92:93]
	ds_load_b128 v[92:95], v1 offset:656
	s_waitcnt lgkmcnt(0)
	v_fma_f64 v[92:93], v[102:103], v[92:93], v[96:97]
	s_waitcnt vmcnt(1)
	s_delay_alu instid0(VALU_DEP_1) | instskip(SKIP_4) | instid1(VALU_DEP_1)
	v_fma_f64 v[96:97], v[104:105], v[94:95], v[92:93]
	ds_load_b128 v[92:95], v1 offset:672
	s_waitcnt lgkmcnt(0)
	v_fma_f64 v[92:93], v[106:107], v[92:93], v[96:97]
	s_waitcnt vmcnt(0)
	v_fma_f64 v[92:93], v[114:115], v[94:95], v[92:93]
	ds_load_b64 v[94:95], v1 offset:688
	s_waitcnt lgkmcnt(0)
	v_fma_f64 v[92:93], v[116:117], v[94:95], v[92:93]
	s_delay_alu instid0(VALU_DEP_1)
	v_add_f64 v[90:91], v[90:91], -v[92:93]
	scratch_store_b64 off, v[90:91], off offset:168
	v_cmpx_lt_u32_e32 20, v0
	s_cbranch_execz .LBB42_227
; %bb.226:
	scratch_load_b64 v[90:91], off, off offset:160
	v_mov_b32_e32 v2, v1
	scratch_store_b64 off, v[1:2], off offset:160
	s_waitcnt vmcnt(0)
	ds_store_b64 v3, v[90:91]
.LBB42_227:
	s_or_b32 exec_lo, exec_lo, s0
	s_waitcnt lgkmcnt(0)
	s_waitcnt_vscnt null, 0x0
	s_barrier
	buffer_gl0_inv
	s_clause 0x4
	scratch_load_b128 v[90:93], off, off offset:160
	scratch_load_b128 v[94:97], off, off offset:176
	;; [unrolled: 1-line block ×5, first 2 shown]
	ds_load_2addr_b64 v[110:113], v1 offset0:65 offset1:66
	scratch_load_b128 v[114:117], off, off offset:240
	s_mov_b32 s0, exec_lo
	s_waitcnt vmcnt(5) lgkmcnt(0)
	v_fma_f64 v[92:93], v[92:93], v[110:111], 0
	s_waitcnt vmcnt(4)
	s_delay_alu instid0(VALU_DEP_1)
	v_fma_f64 v[110:111], v[94:95], v[112:113], v[92:93]
	ds_load_2addr_b64 v[92:95], v1 offset0:67 offset1:68
	s_waitcnt lgkmcnt(0)
	v_fma_f64 v[92:93], v[96:97], v[92:93], v[110:111]
	scratch_load_b128 v[110:113], off, off offset:256
	s_waitcnt vmcnt(4)
	v_fma_f64 v[96:97], v[98:99], v[94:95], v[92:93]
	ds_load_2addr_b64 v[92:95], v1 offset0:69 offset1:70
	s_waitcnt lgkmcnt(0)
	v_fma_f64 v[92:93], v[100:101], v[92:93], v[96:97]
	scratch_load_b128 v[96:99], off, off offset:272
	s_waitcnt vmcnt(4)
	;; [unrolled: 6-line block ×5, first 2 shown]
	v_fma_f64 v[108:109], v[110:111], v[94:95], v[92:93]
	ds_load_2addr_b64 v[92:95], v1 offset0:77 offset1:78
	s_waitcnt lgkmcnt(0)
	v_fma_f64 v[92:93], v[112:113], v[92:93], v[108:109]
	scratch_load_b64 v[108:109], off, off offset:336
	s_waitcnt vmcnt(4)
	v_fma_f64 v[96:97], v[96:97], v[94:95], v[92:93]
	ds_load_2addr_b64 v[92:95], v1 offset0:79 offset1:80
	s_waitcnt lgkmcnt(0)
	v_fma_f64 v[92:93], v[98:99], v[92:93], v[96:97]
	s_waitcnt vmcnt(3)
	s_delay_alu instid0(VALU_DEP_1) | instskip(SKIP_4) | instid1(VALU_DEP_1)
	v_fma_f64 v[96:97], v[100:101], v[94:95], v[92:93]
	ds_load_2addr_b64 v[92:95], v1 offset0:81 offset1:82
	s_waitcnt lgkmcnt(0)
	v_fma_f64 v[92:93], v[102:103], v[92:93], v[96:97]
	s_waitcnt vmcnt(2)
	v_fma_f64 v[96:97], v[104:105], v[94:95], v[92:93]
	ds_load_2addr_b64 v[92:95], v1 offset0:83 offset1:84
	s_waitcnt lgkmcnt(0)
	v_fma_f64 v[92:93], v[106:107], v[92:93], v[96:97]
	s_waitcnt vmcnt(1)
	s_delay_alu instid0(VALU_DEP_1) | instskip(SKIP_4) | instid1(VALU_DEP_1)
	v_fma_f64 v[96:97], v[114:115], v[94:95], v[92:93]
	ds_load_2addr_b64 v[92:95], v1 offset0:85 offset1:86
	s_waitcnt lgkmcnt(0)
	v_fma_f64 v[1:2], v[116:117], v[92:93], v[96:97]
	s_waitcnt vmcnt(0)
	v_fma_f64 v[1:2], v[108:109], v[94:95], v[1:2]
	s_delay_alu instid0(VALU_DEP_1)
	v_add_f64 v[1:2], v[90:91], -v[1:2]
	scratch_store_b64 off, v[1:2], off offset:160
	v_cmpx_lt_u32_e32 19, v0
	s_cbranch_execz .LBB42_229
; %bb.228:
	scratch_load_b64 v[1:2], off, off offset:152
	v_mov_b32_e32 v90, 0
	s_delay_alu instid0(VALU_DEP_1)
	v_mov_b32_e32 v91, v90
	scratch_store_b64 off, v[90:91], off offset:152
	s_waitcnt vmcnt(0)
	ds_store_b64 v3, v[1:2]
.LBB42_229:
	s_or_b32 exec_lo, exec_lo, s0
	s_waitcnt lgkmcnt(0)
	s_waitcnt_vscnt null, 0x0
	s_barrier
	buffer_gl0_inv
	s_clause 0x4
	scratch_load_b128 v[90:93], off, off offset:152
	scratch_load_b128 v[94:97], off, off offset:168
	;; [unrolled: 1-line block ×5, first 2 shown]
	v_mov_b32_e32 v1, 0
	scratch_load_b128 v[114:117], off, off offset:232
	s_mov_b32 s0, exec_lo
	ds_load_b128 v[110:113], v1 offset:512
	s_waitcnt vmcnt(5) lgkmcnt(0)
	v_fma_f64 v[92:93], v[92:93], v[110:111], 0
	s_waitcnt vmcnt(4)
	s_delay_alu instid0(VALU_DEP_1)
	v_fma_f64 v[110:111], v[94:95], v[112:113], v[92:93]
	ds_load_b128 v[92:95], v1 offset:528
	s_waitcnt lgkmcnt(0)
	v_fma_f64 v[92:93], v[96:97], v[92:93], v[110:111]
	scratch_load_b128 v[110:113], off, off offset:248
	s_waitcnt vmcnt(4)
	v_fma_f64 v[96:97], v[98:99], v[94:95], v[92:93]
	ds_load_b128 v[92:95], v1 offset:544
	s_waitcnt lgkmcnt(0)
	v_fma_f64 v[92:93], v[100:101], v[92:93], v[96:97]
	scratch_load_b128 v[96:99], off, off offset:264
	s_waitcnt vmcnt(4)
	;; [unrolled: 6-line block ×6, first 2 shown]
	v_fma_f64 v[96:97], v[96:97], v[94:95], v[92:93]
	ds_load_b128 v[92:95], v1 offset:624
	s_waitcnt lgkmcnt(0)
	v_fma_f64 v[92:93], v[98:99], v[92:93], v[96:97]
	s_waitcnt vmcnt(3)
	s_delay_alu instid0(VALU_DEP_1) | instskip(SKIP_4) | instid1(VALU_DEP_1)
	v_fma_f64 v[96:97], v[100:101], v[94:95], v[92:93]
	ds_load_b128 v[92:95], v1 offset:640
	s_waitcnt lgkmcnt(0)
	v_fma_f64 v[92:93], v[102:103], v[92:93], v[96:97]
	s_waitcnt vmcnt(2)
	v_fma_f64 v[96:97], v[104:105], v[94:95], v[92:93]
	ds_load_b128 v[92:95], v1 offset:656
	s_waitcnt lgkmcnt(0)
	v_fma_f64 v[92:93], v[106:107], v[92:93], v[96:97]
	s_waitcnt vmcnt(1)
	s_delay_alu instid0(VALU_DEP_1) | instskip(SKIP_4) | instid1(VALU_DEP_1)
	v_fma_f64 v[96:97], v[114:115], v[94:95], v[92:93]
	ds_load_b128 v[92:95], v1 offset:672
	s_waitcnt lgkmcnt(0)
	v_fma_f64 v[92:93], v[116:117], v[92:93], v[96:97]
	s_waitcnt vmcnt(0)
	v_fma_f64 v[92:93], v[108:109], v[94:95], v[92:93]
	ds_load_b64 v[94:95], v1 offset:688
	s_waitcnt lgkmcnt(0)
	v_fma_f64 v[92:93], v[110:111], v[94:95], v[92:93]
	s_delay_alu instid0(VALU_DEP_1)
	v_add_f64 v[90:91], v[90:91], -v[92:93]
	scratch_store_b64 off, v[90:91], off offset:152
	v_cmpx_lt_u32_e32 18, v0
	s_cbranch_execz .LBB42_231
; %bb.230:
	scratch_load_b64 v[90:91], off, off offset:144
	v_mov_b32_e32 v2, v1
	scratch_store_b64 off, v[1:2], off offset:144
	s_waitcnt vmcnt(0)
	ds_store_b64 v3, v[90:91]
.LBB42_231:
	s_or_b32 exec_lo, exec_lo, s0
	s_waitcnt lgkmcnt(0)
	s_waitcnt_vscnt null, 0x0
	s_barrier
	buffer_gl0_inv
	s_clause 0x4
	scratch_load_b128 v[90:93], off, off offset:144
	scratch_load_b128 v[94:97], off, off offset:160
	scratch_load_b128 v[98:101], off, off offset:176
	scratch_load_b128 v[102:105], off, off offset:192
	scratch_load_b128 v[106:109], off, off offset:208
	ds_load_2addr_b64 v[110:113], v1 offset0:63 offset1:64
	scratch_load_b128 v[114:117], off, off offset:224
	s_mov_b32 s0, exec_lo
	s_waitcnt vmcnt(5) lgkmcnt(0)
	v_fma_f64 v[92:93], v[92:93], v[110:111], 0
	s_waitcnt vmcnt(4)
	s_delay_alu instid0(VALU_DEP_1)
	v_fma_f64 v[110:111], v[94:95], v[112:113], v[92:93]
	ds_load_2addr_b64 v[92:95], v1 offset0:65 offset1:66
	s_waitcnt lgkmcnt(0)
	v_fma_f64 v[92:93], v[96:97], v[92:93], v[110:111]
	scratch_load_b128 v[110:113], off, off offset:240
	s_waitcnt vmcnt(4)
	v_fma_f64 v[96:97], v[98:99], v[94:95], v[92:93]
	ds_load_2addr_b64 v[92:95], v1 offset0:67 offset1:68
	s_waitcnt lgkmcnt(0)
	v_fma_f64 v[92:93], v[100:101], v[92:93], v[96:97]
	scratch_load_b128 v[96:99], off, off offset:256
	s_waitcnt vmcnt(4)
	;; [unrolled: 6-line block ×6, first 2 shown]
	v_fma_f64 v[96:97], v[96:97], v[94:95], v[92:93]
	ds_load_2addr_b64 v[92:95], v1 offset0:77 offset1:78
	s_waitcnt lgkmcnt(0)
	v_fma_f64 v[92:93], v[98:99], v[92:93], v[96:97]
	scratch_load_b64 v[96:97], off, off offset:336
	s_waitcnt vmcnt(4)
	v_fma_f64 v[98:99], v[100:101], v[94:95], v[92:93]
	ds_load_2addr_b64 v[92:95], v1 offset0:79 offset1:80
	s_waitcnt lgkmcnt(0)
	v_fma_f64 v[92:93], v[102:103], v[92:93], v[98:99]
	s_waitcnt vmcnt(3)
	s_delay_alu instid0(VALU_DEP_1) | instskip(SKIP_4) | instid1(VALU_DEP_1)
	v_fma_f64 v[98:99], v[104:105], v[94:95], v[92:93]
	ds_load_2addr_b64 v[92:95], v1 offset0:81 offset1:82
	s_waitcnt lgkmcnt(0)
	v_fma_f64 v[92:93], v[106:107], v[92:93], v[98:99]
	s_waitcnt vmcnt(2)
	v_fma_f64 v[98:99], v[114:115], v[94:95], v[92:93]
	ds_load_2addr_b64 v[92:95], v1 offset0:83 offset1:84
	s_waitcnt lgkmcnt(0)
	v_fma_f64 v[92:93], v[116:117], v[92:93], v[98:99]
	s_waitcnt vmcnt(1)
	s_delay_alu instid0(VALU_DEP_1) | instskip(SKIP_4) | instid1(VALU_DEP_1)
	v_fma_f64 v[98:99], v[108:109], v[94:95], v[92:93]
	ds_load_2addr_b64 v[92:95], v1 offset0:85 offset1:86
	s_waitcnt lgkmcnt(0)
	v_fma_f64 v[1:2], v[110:111], v[92:93], v[98:99]
	s_waitcnt vmcnt(0)
	v_fma_f64 v[1:2], v[96:97], v[94:95], v[1:2]
	s_delay_alu instid0(VALU_DEP_1)
	v_add_f64 v[1:2], v[90:91], -v[1:2]
	scratch_store_b64 off, v[1:2], off offset:144
	v_cmpx_lt_u32_e32 17, v0
	s_cbranch_execz .LBB42_233
; %bb.232:
	scratch_load_b64 v[1:2], off, off offset:136
	v_mov_b32_e32 v90, 0
	s_delay_alu instid0(VALU_DEP_1)
	v_mov_b32_e32 v91, v90
	scratch_store_b64 off, v[90:91], off offset:136
	s_waitcnt vmcnt(0)
	ds_store_b64 v3, v[1:2]
.LBB42_233:
	s_or_b32 exec_lo, exec_lo, s0
	s_waitcnt lgkmcnt(0)
	s_waitcnt_vscnt null, 0x0
	s_barrier
	buffer_gl0_inv
	s_clause 0x4
	scratch_load_b128 v[90:93], off, off offset:136
	scratch_load_b128 v[94:97], off, off offset:152
	scratch_load_b128 v[98:101], off, off offset:168
	scratch_load_b128 v[102:105], off, off offset:184
	scratch_load_b128 v[106:109], off, off offset:200
	v_mov_b32_e32 v1, 0
	scratch_load_b128 v[114:117], off, off offset:216
	s_mov_b32 s0, exec_lo
	ds_load_b128 v[110:113], v1 offset:496
	s_waitcnt vmcnt(5) lgkmcnt(0)
	v_fma_f64 v[92:93], v[92:93], v[110:111], 0
	s_waitcnt vmcnt(4)
	s_delay_alu instid0(VALU_DEP_1)
	v_fma_f64 v[110:111], v[94:95], v[112:113], v[92:93]
	ds_load_b128 v[92:95], v1 offset:512
	s_waitcnt lgkmcnt(0)
	v_fma_f64 v[92:93], v[96:97], v[92:93], v[110:111]
	scratch_load_b128 v[110:113], off, off offset:232
	s_waitcnt vmcnt(4)
	v_fma_f64 v[96:97], v[98:99], v[94:95], v[92:93]
	ds_load_b128 v[92:95], v1 offset:528
	s_waitcnt lgkmcnt(0)
	v_fma_f64 v[92:93], v[100:101], v[92:93], v[96:97]
	scratch_load_b128 v[96:99], off, off offset:248
	s_waitcnt vmcnt(4)
	;; [unrolled: 6-line block ×7, first 2 shown]
	v_fma_f64 v[100:101], v[100:101], v[94:95], v[92:93]
	ds_load_b128 v[92:95], v1 offset:624
	s_waitcnt lgkmcnt(0)
	v_fma_f64 v[92:93], v[102:103], v[92:93], v[100:101]
	s_waitcnt vmcnt(3)
	s_delay_alu instid0(VALU_DEP_1) | instskip(SKIP_4) | instid1(VALU_DEP_1)
	v_fma_f64 v[100:101], v[104:105], v[94:95], v[92:93]
	ds_load_b128 v[92:95], v1 offset:640
	s_waitcnt lgkmcnt(0)
	v_fma_f64 v[92:93], v[106:107], v[92:93], v[100:101]
	s_waitcnt vmcnt(2)
	v_fma_f64 v[100:101], v[114:115], v[94:95], v[92:93]
	ds_load_b128 v[92:95], v1 offset:656
	s_waitcnt lgkmcnt(0)
	v_fma_f64 v[92:93], v[116:117], v[92:93], v[100:101]
	s_waitcnt vmcnt(1)
	s_delay_alu instid0(VALU_DEP_1) | instskip(SKIP_4) | instid1(VALU_DEP_1)
	v_fma_f64 v[100:101], v[108:109], v[94:95], v[92:93]
	ds_load_b128 v[92:95], v1 offset:672
	s_waitcnt lgkmcnt(0)
	v_fma_f64 v[92:93], v[110:111], v[92:93], v[100:101]
	s_waitcnt vmcnt(0)
	v_fma_f64 v[92:93], v[96:97], v[94:95], v[92:93]
	ds_load_b64 v[94:95], v1 offset:688
	s_waitcnt lgkmcnt(0)
	v_fma_f64 v[92:93], v[98:99], v[94:95], v[92:93]
	s_delay_alu instid0(VALU_DEP_1)
	v_add_f64 v[90:91], v[90:91], -v[92:93]
	scratch_store_b64 off, v[90:91], off offset:136
	v_cmpx_lt_u32_e32 16, v0
	s_cbranch_execz .LBB42_235
; %bb.234:
	scratch_load_b64 v[90:91], off, off offset:128
	v_mov_b32_e32 v2, v1
	scratch_store_b64 off, v[1:2], off offset:128
	s_waitcnt vmcnt(0)
	ds_store_b64 v3, v[90:91]
.LBB42_235:
	s_or_b32 exec_lo, exec_lo, s0
	s_waitcnt lgkmcnt(0)
	s_waitcnt_vscnt null, 0x0
	s_barrier
	buffer_gl0_inv
	s_clause 0x4
	scratch_load_b128 v[90:93], off, off offset:128
	scratch_load_b128 v[94:97], off, off offset:144
	;; [unrolled: 1-line block ×5, first 2 shown]
	ds_load_2addr_b64 v[110:113], v1 offset0:61 offset1:62
	scratch_load_b128 v[114:117], off, off offset:208
	s_mov_b32 s0, exec_lo
	s_waitcnt vmcnt(5) lgkmcnt(0)
	v_fma_f64 v[92:93], v[92:93], v[110:111], 0
	s_waitcnt vmcnt(4)
	s_delay_alu instid0(VALU_DEP_1)
	v_fma_f64 v[110:111], v[94:95], v[112:113], v[92:93]
	ds_load_2addr_b64 v[92:95], v1 offset0:63 offset1:64
	s_waitcnt lgkmcnt(0)
	v_fma_f64 v[92:93], v[96:97], v[92:93], v[110:111]
	scratch_load_b128 v[110:113], off, off offset:224
	s_waitcnt vmcnt(4)
	v_fma_f64 v[96:97], v[98:99], v[94:95], v[92:93]
	ds_load_2addr_b64 v[92:95], v1 offset0:65 offset1:66
	s_waitcnt lgkmcnt(0)
	v_fma_f64 v[92:93], v[100:101], v[92:93], v[96:97]
	scratch_load_b128 v[96:99], off, off offset:240
	s_waitcnt vmcnt(4)
	;; [unrolled: 6-line block ×7, first 2 shown]
	v_fma_f64 v[100:101], v[100:101], v[94:95], v[92:93]
	ds_load_2addr_b64 v[92:95], v1 offset0:77 offset1:78
	s_waitcnt lgkmcnt(0)
	v_fma_f64 v[92:93], v[102:103], v[92:93], v[100:101]
	scratch_load_b64 v[100:101], off, off offset:336
	s_waitcnt vmcnt(4)
	v_fma_f64 v[102:103], v[104:105], v[94:95], v[92:93]
	ds_load_2addr_b64 v[92:95], v1 offset0:79 offset1:80
	s_waitcnt lgkmcnt(0)
	v_fma_f64 v[92:93], v[106:107], v[92:93], v[102:103]
	s_waitcnt vmcnt(3)
	s_delay_alu instid0(VALU_DEP_1) | instskip(SKIP_4) | instid1(VALU_DEP_1)
	v_fma_f64 v[102:103], v[114:115], v[94:95], v[92:93]
	ds_load_2addr_b64 v[92:95], v1 offset0:81 offset1:82
	s_waitcnt lgkmcnt(0)
	v_fma_f64 v[92:93], v[116:117], v[92:93], v[102:103]
	s_waitcnt vmcnt(2)
	v_fma_f64 v[102:103], v[108:109], v[94:95], v[92:93]
	ds_load_2addr_b64 v[92:95], v1 offset0:83 offset1:84
	s_waitcnt lgkmcnt(0)
	v_fma_f64 v[92:93], v[110:111], v[92:93], v[102:103]
	s_waitcnt vmcnt(1)
	s_delay_alu instid0(VALU_DEP_1) | instskip(SKIP_4) | instid1(VALU_DEP_1)
	v_fma_f64 v[96:97], v[96:97], v[94:95], v[92:93]
	ds_load_2addr_b64 v[92:95], v1 offset0:85 offset1:86
	s_waitcnt lgkmcnt(0)
	v_fma_f64 v[1:2], v[98:99], v[92:93], v[96:97]
	s_waitcnt vmcnt(0)
	v_fma_f64 v[1:2], v[100:101], v[94:95], v[1:2]
	s_delay_alu instid0(VALU_DEP_1)
	v_add_f64 v[1:2], v[90:91], -v[1:2]
	scratch_store_b64 off, v[1:2], off offset:128
	v_cmpx_lt_u32_e32 15, v0
	s_cbranch_execz .LBB42_237
; %bb.236:
	scratch_load_b64 v[1:2], off, off offset:120
	v_mov_b32_e32 v90, 0
	s_delay_alu instid0(VALU_DEP_1)
	v_mov_b32_e32 v91, v90
	scratch_store_b64 off, v[90:91], off offset:120
	s_waitcnt vmcnt(0)
	ds_store_b64 v3, v[1:2]
.LBB42_237:
	s_or_b32 exec_lo, exec_lo, s0
	s_waitcnt lgkmcnt(0)
	s_waitcnt_vscnt null, 0x0
	s_barrier
	buffer_gl0_inv
	s_clause 0x4
	scratch_load_b128 v[90:93], off, off offset:120
	scratch_load_b128 v[94:97], off, off offset:136
	;; [unrolled: 1-line block ×5, first 2 shown]
	v_mov_b32_e32 v1, 0
	scratch_load_b128 v[114:117], off, off offset:200
	s_mov_b32 s0, exec_lo
	ds_load_b128 v[110:113], v1 offset:480
	s_waitcnt vmcnt(5) lgkmcnt(0)
	v_fma_f64 v[92:93], v[92:93], v[110:111], 0
	s_waitcnt vmcnt(4)
	s_delay_alu instid0(VALU_DEP_1)
	v_fma_f64 v[110:111], v[94:95], v[112:113], v[92:93]
	ds_load_b128 v[92:95], v1 offset:496
	s_waitcnt lgkmcnt(0)
	v_fma_f64 v[92:93], v[96:97], v[92:93], v[110:111]
	scratch_load_b128 v[110:113], off, off offset:216
	s_waitcnt vmcnt(4)
	v_fma_f64 v[96:97], v[98:99], v[94:95], v[92:93]
	ds_load_b128 v[92:95], v1 offset:512
	s_waitcnt lgkmcnt(0)
	v_fma_f64 v[92:93], v[100:101], v[92:93], v[96:97]
	scratch_load_b128 v[96:99], off, off offset:232
	s_waitcnt vmcnt(4)
	;; [unrolled: 6-line block ×8, first 2 shown]
	v_fma_f64 v[104:105], v[104:105], v[94:95], v[92:93]
	ds_load_b128 v[92:95], v1 offset:624
	s_waitcnt lgkmcnt(0)
	v_fma_f64 v[92:93], v[106:107], v[92:93], v[104:105]
	s_waitcnt vmcnt(3)
	s_delay_alu instid0(VALU_DEP_1) | instskip(SKIP_4) | instid1(VALU_DEP_1)
	v_fma_f64 v[104:105], v[114:115], v[94:95], v[92:93]
	ds_load_b128 v[92:95], v1 offset:640
	s_waitcnt lgkmcnt(0)
	v_fma_f64 v[92:93], v[116:117], v[92:93], v[104:105]
	s_waitcnt vmcnt(2)
	v_fma_f64 v[104:105], v[108:109], v[94:95], v[92:93]
	ds_load_b128 v[92:95], v1 offset:656
	s_waitcnt lgkmcnt(0)
	v_fma_f64 v[92:93], v[110:111], v[92:93], v[104:105]
	s_waitcnt vmcnt(1)
	s_delay_alu instid0(VALU_DEP_1) | instskip(SKIP_4) | instid1(VALU_DEP_1)
	v_fma_f64 v[96:97], v[96:97], v[94:95], v[92:93]
	ds_load_b128 v[92:95], v1 offset:672
	s_waitcnt lgkmcnt(0)
	v_fma_f64 v[92:93], v[98:99], v[92:93], v[96:97]
	s_waitcnt vmcnt(0)
	v_fma_f64 v[92:93], v[100:101], v[94:95], v[92:93]
	ds_load_b64 v[94:95], v1 offset:688
	s_waitcnt lgkmcnt(0)
	v_fma_f64 v[92:93], v[102:103], v[94:95], v[92:93]
	s_delay_alu instid0(VALU_DEP_1)
	v_add_f64 v[90:91], v[90:91], -v[92:93]
	scratch_store_b64 off, v[90:91], off offset:120
	v_cmpx_lt_u32_e32 14, v0
	s_cbranch_execz .LBB42_239
; %bb.238:
	scratch_load_b64 v[90:91], off, off offset:112
	v_mov_b32_e32 v2, v1
	scratch_store_b64 off, v[1:2], off offset:112
	s_waitcnt vmcnt(0)
	ds_store_b64 v3, v[90:91]
.LBB42_239:
	s_or_b32 exec_lo, exec_lo, s0
	s_waitcnt lgkmcnt(0)
	s_waitcnt_vscnt null, 0x0
	s_barrier
	buffer_gl0_inv
	s_clause 0x4
	scratch_load_b128 v[90:93], off, off offset:112
	scratch_load_b128 v[94:97], off, off offset:128
	;; [unrolled: 1-line block ×5, first 2 shown]
	ds_load_2addr_b64 v[110:113], v1 offset0:59 offset1:60
	scratch_load_b128 v[114:117], off, off offset:192
	s_mov_b32 s0, exec_lo
	s_waitcnt vmcnt(5) lgkmcnt(0)
	v_fma_f64 v[92:93], v[92:93], v[110:111], 0
	s_waitcnt vmcnt(4)
	s_delay_alu instid0(VALU_DEP_1)
	v_fma_f64 v[110:111], v[94:95], v[112:113], v[92:93]
	ds_load_2addr_b64 v[92:95], v1 offset0:61 offset1:62
	s_waitcnt lgkmcnt(0)
	v_fma_f64 v[92:93], v[96:97], v[92:93], v[110:111]
	scratch_load_b128 v[110:113], off, off offset:208
	s_waitcnt vmcnt(4)
	v_fma_f64 v[96:97], v[98:99], v[94:95], v[92:93]
	ds_load_2addr_b64 v[92:95], v1 offset0:63 offset1:64
	s_waitcnt lgkmcnt(0)
	v_fma_f64 v[92:93], v[100:101], v[92:93], v[96:97]
	scratch_load_b128 v[96:99], off, off offset:224
	s_waitcnt vmcnt(4)
	;; [unrolled: 6-line block ×8, first 2 shown]
	v_fma_f64 v[104:105], v[104:105], v[94:95], v[92:93]
	ds_load_2addr_b64 v[92:95], v1 offset0:77 offset1:78
	s_waitcnt lgkmcnt(0)
	v_fma_f64 v[92:93], v[106:107], v[92:93], v[104:105]
	scratch_load_b64 v[104:105], off, off offset:336
	s_waitcnt vmcnt(4)
	v_fma_f64 v[106:107], v[114:115], v[94:95], v[92:93]
	ds_load_2addr_b64 v[92:95], v1 offset0:79 offset1:80
	s_waitcnt lgkmcnt(0)
	v_fma_f64 v[92:93], v[116:117], v[92:93], v[106:107]
	s_waitcnt vmcnt(3)
	s_delay_alu instid0(VALU_DEP_1) | instskip(SKIP_4) | instid1(VALU_DEP_1)
	v_fma_f64 v[106:107], v[108:109], v[94:95], v[92:93]
	ds_load_2addr_b64 v[92:95], v1 offset0:81 offset1:82
	s_waitcnt lgkmcnt(0)
	v_fma_f64 v[92:93], v[110:111], v[92:93], v[106:107]
	s_waitcnt vmcnt(2)
	v_fma_f64 v[96:97], v[96:97], v[94:95], v[92:93]
	ds_load_2addr_b64 v[92:95], v1 offset0:83 offset1:84
	s_waitcnt lgkmcnt(0)
	v_fma_f64 v[92:93], v[98:99], v[92:93], v[96:97]
	s_waitcnt vmcnt(1)
	s_delay_alu instid0(VALU_DEP_1) | instskip(SKIP_4) | instid1(VALU_DEP_1)
	v_fma_f64 v[96:97], v[100:101], v[94:95], v[92:93]
	ds_load_2addr_b64 v[92:95], v1 offset0:85 offset1:86
	s_waitcnt lgkmcnt(0)
	v_fma_f64 v[1:2], v[102:103], v[92:93], v[96:97]
	s_waitcnt vmcnt(0)
	v_fma_f64 v[1:2], v[104:105], v[94:95], v[1:2]
	s_delay_alu instid0(VALU_DEP_1)
	v_add_f64 v[1:2], v[90:91], -v[1:2]
	scratch_store_b64 off, v[1:2], off offset:112
	v_cmpx_lt_u32_e32 13, v0
	s_cbranch_execz .LBB42_241
; %bb.240:
	scratch_load_b64 v[1:2], off, off offset:104
	v_mov_b32_e32 v90, 0
	s_delay_alu instid0(VALU_DEP_1)
	v_mov_b32_e32 v91, v90
	scratch_store_b64 off, v[90:91], off offset:104
	s_waitcnt vmcnt(0)
	ds_store_b64 v3, v[1:2]
.LBB42_241:
	s_or_b32 exec_lo, exec_lo, s0
	s_waitcnt lgkmcnt(0)
	s_waitcnt_vscnt null, 0x0
	s_barrier
	buffer_gl0_inv
	s_clause 0x4
	scratch_load_b128 v[90:93], off, off offset:104
	scratch_load_b128 v[94:97], off, off offset:120
	;; [unrolled: 1-line block ×5, first 2 shown]
	v_mov_b32_e32 v1, 0
	scratch_load_b128 v[114:117], off, off offset:184
	s_mov_b32 s0, exec_lo
	ds_load_b128 v[110:113], v1 offset:464
	s_waitcnt vmcnt(5) lgkmcnt(0)
	v_fma_f64 v[92:93], v[92:93], v[110:111], 0
	s_waitcnt vmcnt(4)
	s_delay_alu instid0(VALU_DEP_1)
	v_fma_f64 v[110:111], v[94:95], v[112:113], v[92:93]
	ds_load_b128 v[92:95], v1 offset:480
	s_waitcnt lgkmcnt(0)
	v_fma_f64 v[92:93], v[96:97], v[92:93], v[110:111]
	scratch_load_b128 v[110:113], off, off offset:200
	s_waitcnt vmcnt(4)
	v_fma_f64 v[96:97], v[98:99], v[94:95], v[92:93]
	ds_load_b128 v[92:95], v1 offset:496
	s_waitcnt lgkmcnt(0)
	v_fma_f64 v[92:93], v[100:101], v[92:93], v[96:97]
	scratch_load_b128 v[96:99], off, off offset:216
	s_waitcnt vmcnt(4)
	;; [unrolled: 6-line block ×9, first 2 shown]
	v_fma_f64 v[112:113], v[114:115], v[94:95], v[92:93]
	ds_load_b128 v[92:95], v1 offset:624
	s_waitcnt lgkmcnt(0)
	v_fma_f64 v[92:93], v[116:117], v[92:93], v[112:113]
	s_waitcnt vmcnt(3)
	s_delay_alu instid0(VALU_DEP_1) | instskip(SKIP_4) | instid1(VALU_DEP_1)
	v_fma_f64 v[108:109], v[108:109], v[94:95], v[92:93]
	ds_load_b128 v[92:95], v1 offset:640
	s_waitcnt lgkmcnt(0)
	v_fma_f64 v[92:93], v[110:111], v[92:93], v[108:109]
	s_waitcnt vmcnt(2)
	v_fma_f64 v[96:97], v[96:97], v[94:95], v[92:93]
	ds_load_b128 v[92:95], v1 offset:656
	s_waitcnt lgkmcnt(0)
	v_fma_f64 v[92:93], v[98:99], v[92:93], v[96:97]
	s_waitcnt vmcnt(1)
	s_delay_alu instid0(VALU_DEP_1) | instskip(SKIP_4) | instid1(VALU_DEP_1)
	v_fma_f64 v[96:97], v[100:101], v[94:95], v[92:93]
	ds_load_b128 v[92:95], v1 offset:672
	s_waitcnt lgkmcnt(0)
	v_fma_f64 v[92:93], v[102:103], v[92:93], v[96:97]
	s_waitcnt vmcnt(0)
	v_fma_f64 v[92:93], v[104:105], v[94:95], v[92:93]
	ds_load_b64 v[94:95], v1 offset:688
	s_waitcnt lgkmcnt(0)
	v_fma_f64 v[92:93], v[106:107], v[94:95], v[92:93]
	s_delay_alu instid0(VALU_DEP_1)
	v_add_f64 v[90:91], v[90:91], -v[92:93]
	scratch_store_b64 off, v[90:91], off offset:104
	v_cmpx_lt_u32_e32 12, v0
	s_cbranch_execz .LBB42_243
; %bb.242:
	scratch_load_b64 v[90:91], off, off offset:96
	v_mov_b32_e32 v2, v1
	scratch_store_b64 off, v[1:2], off offset:96
	s_waitcnt vmcnt(0)
	ds_store_b64 v3, v[90:91]
.LBB42_243:
	s_or_b32 exec_lo, exec_lo, s0
	s_waitcnt lgkmcnt(0)
	s_waitcnt_vscnt null, 0x0
	s_barrier
	buffer_gl0_inv
	s_clause 0x4
	scratch_load_b128 v[90:93], off, off offset:96
	scratch_load_b128 v[94:97], off, off offset:112
	;; [unrolled: 1-line block ×5, first 2 shown]
	ds_load_2addr_b64 v[110:113], v1 offset0:57 offset1:58
	scratch_load_b128 v[114:117], off, off offset:176
	s_mov_b32 s0, exec_lo
	s_waitcnt vmcnt(5) lgkmcnt(0)
	v_fma_f64 v[92:93], v[92:93], v[110:111], 0
	s_waitcnt vmcnt(4)
	s_delay_alu instid0(VALU_DEP_1)
	v_fma_f64 v[110:111], v[94:95], v[112:113], v[92:93]
	ds_load_2addr_b64 v[92:95], v1 offset0:59 offset1:60
	s_waitcnt lgkmcnt(0)
	v_fma_f64 v[92:93], v[96:97], v[92:93], v[110:111]
	scratch_load_b128 v[110:113], off, off offset:192
	s_waitcnt vmcnt(4)
	v_fma_f64 v[96:97], v[98:99], v[94:95], v[92:93]
	ds_load_2addr_b64 v[92:95], v1 offset0:61 offset1:62
	s_waitcnt lgkmcnt(0)
	v_fma_f64 v[92:93], v[100:101], v[92:93], v[96:97]
	scratch_load_b128 v[96:99], off, off offset:208
	s_waitcnt vmcnt(4)
	;; [unrolled: 6-line block ×9, first 2 shown]
	v_fma_f64 v[112:113], v[114:115], v[94:95], v[92:93]
	ds_load_2addr_b64 v[92:95], v1 offset0:77 offset1:78
	s_waitcnt lgkmcnt(0)
	v_fma_f64 v[92:93], v[116:117], v[92:93], v[112:113]
	scratch_load_b64 v[112:113], off, off offset:336
	s_waitcnt vmcnt(4)
	v_fma_f64 v[108:109], v[108:109], v[94:95], v[92:93]
	ds_load_2addr_b64 v[92:95], v1 offset0:79 offset1:80
	s_waitcnt lgkmcnt(0)
	v_fma_f64 v[92:93], v[110:111], v[92:93], v[108:109]
	s_waitcnt vmcnt(3)
	s_delay_alu instid0(VALU_DEP_1) | instskip(SKIP_4) | instid1(VALU_DEP_1)
	v_fma_f64 v[96:97], v[96:97], v[94:95], v[92:93]
	ds_load_2addr_b64 v[92:95], v1 offset0:81 offset1:82
	s_waitcnt lgkmcnt(0)
	v_fma_f64 v[92:93], v[98:99], v[92:93], v[96:97]
	s_waitcnt vmcnt(2)
	v_fma_f64 v[96:97], v[100:101], v[94:95], v[92:93]
	ds_load_2addr_b64 v[92:95], v1 offset0:83 offset1:84
	s_waitcnt lgkmcnt(0)
	v_fma_f64 v[92:93], v[102:103], v[92:93], v[96:97]
	s_waitcnt vmcnt(1)
	s_delay_alu instid0(VALU_DEP_1) | instskip(SKIP_4) | instid1(VALU_DEP_1)
	v_fma_f64 v[96:97], v[104:105], v[94:95], v[92:93]
	ds_load_2addr_b64 v[92:95], v1 offset0:85 offset1:86
	s_waitcnt lgkmcnt(0)
	v_fma_f64 v[1:2], v[106:107], v[92:93], v[96:97]
	s_waitcnt vmcnt(0)
	v_fma_f64 v[1:2], v[112:113], v[94:95], v[1:2]
	s_delay_alu instid0(VALU_DEP_1)
	v_add_f64 v[1:2], v[90:91], -v[1:2]
	scratch_store_b64 off, v[1:2], off offset:96
	v_cmpx_lt_u32_e32 11, v0
	s_cbranch_execz .LBB42_245
; %bb.244:
	scratch_load_b64 v[1:2], off, off offset:88
	v_mov_b32_e32 v90, 0
	s_delay_alu instid0(VALU_DEP_1)
	v_mov_b32_e32 v91, v90
	scratch_store_b64 off, v[90:91], off offset:88
	s_waitcnt vmcnt(0)
	ds_store_b64 v3, v[1:2]
.LBB42_245:
	s_or_b32 exec_lo, exec_lo, s0
	s_waitcnt lgkmcnt(0)
	s_waitcnt_vscnt null, 0x0
	s_barrier
	buffer_gl0_inv
	s_clause 0x4
	scratch_load_b128 v[90:93], off, off offset:88
	scratch_load_b128 v[94:97], off, off offset:104
	;; [unrolled: 1-line block ×5, first 2 shown]
	v_mov_b32_e32 v1, 0
	scratch_load_b128 v[114:117], off, off offset:168
	s_mov_b32 s0, exec_lo
	ds_load_b128 v[110:113], v1 offset:448
	s_waitcnt vmcnt(5) lgkmcnt(0)
	v_fma_f64 v[92:93], v[92:93], v[110:111], 0
	s_waitcnt vmcnt(4)
	s_delay_alu instid0(VALU_DEP_1)
	v_fma_f64 v[110:111], v[94:95], v[112:113], v[92:93]
	ds_load_b128 v[92:95], v1 offset:464
	s_waitcnt lgkmcnt(0)
	v_fma_f64 v[92:93], v[96:97], v[92:93], v[110:111]
	scratch_load_b128 v[110:113], off, off offset:184
	s_waitcnt vmcnt(4)
	v_fma_f64 v[96:97], v[98:99], v[94:95], v[92:93]
	ds_load_b128 v[92:95], v1 offset:480
	s_waitcnt lgkmcnt(0)
	v_fma_f64 v[92:93], v[100:101], v[92:93], v[96:97]
	scratch_load_b128 v[96:99], off, off offset:200
	s_waitcnt vmcnt(4)
	;; [unrolled: 6-line block ×10, first 2 shown]
	v_fma_f64 v[108:109], v[108:109], v[94:95], v[92:93]
	ds_load_b128 v[92:95], v1 offset:624
	s_waitcnt lgkmcnt(0)
	v_fma_f64 v[92:93], v[110:111], v[92:93], v[108:109]
	s_waitcnt vmcnt(3)
	s_delay_alu instid0(VALU_DEP_1) | instskip(SKIP_4) | instid1(VALU_DEP_1)
	v_fma_f64 v[96:97], v[96:97], v[94:95], v[92:93]
	ds_load_b128 v[92:95], v1 offset:640
	s_waitcnt lgkmcnt(0)
	v_fma_f64 v[92:93], v[98:99], v[92:93], v[96:97]
	s_waitcnt vmcnt(2)
	v_fma_f64 v[96:97], v[100:101], v[94:95], v[92:93]
	ds_load_b128 v[92:95], v1 offset:656
	s_waitcnt lgkmcnt(0)
	v_fma_f64 v[92:93], v[102:103], v[92:93], v[96:97]
	s_waitcnt vmcnt(1)
	s_delay_alu instid0(VALU_DEP_1) | instskip(SKIP_4) | instid1(VALU_DEP_1)
	v_fma_f64 v[96:97], v[104:105], v[94:95], v[92:93]
	ds_load_b128 v[92:95], v1 offset:672
	s_waitcnt lgkmcnt(0)
	v_fma_f64 v[92:93], v[106:107], v[92:93], v[96:97]
	s_waitcnt vmcnt(0)
	v_fma_f64 v[92:93], v[112:113], v[94:95], v[92:93]
	ds_load_b64 v[94:95], v1 offset:688
	s_waitcnt lgkmcnt(0)
	v_fma_f64 v[92:93], v[114:115], v[94:95], v[92:93]
	s_delay_alu instid0(VALU_DEP_1)
	v_add_f64 v[90:91], v[90:91], -v[92:93]
	scratch_store_b64 off, v[90:91], off offset:88
	v_cmpx_lt_u32_e32 10, v0
	s_cbranch_execz .LBB42_247
; %bb.246:
	scratch_load_b64 v[90:91], off, off offset:80
	v_mov_b32_e32 v2, v1
	scratch_store_b64 off, v[1:2], off offset:80
	s_waitcnt vmcnt(0)
	ds_store_b64 v3, v[90:91]
.LBB42_247:
	s_or_b32 exec_lo, exec_lo, s0
	s_waitcnt lgkmcnt(0)
	s_waitcnt_vscnt null, 0x0
	s_barrier
	buffer_gl0_inv
	s_clause 0x4
	scratch_load_b128 v[90:93], off, off offset:80
	scratch_load_b128 v[94:97], off, off offset:96
	;; [unrolled: 1-line block ×5, first 2 shown]
	ds_load_2addr_b64 v[110:113], v1 offset0:55 offset1:56
	scratch_load_b128 v[114:117], off, off offset:160
	s_mov_b32 s0, exec_lo
	s_waitcnt vmcnt(5) lgkmcnt(0)
	v_fma_f64 v[92:93], v[92:93], v[110:111], 0
	s_waitcnt vmcnt(4)
	s_delay_alu instid0(VALU_DEP_1)
	v_fma_f64 v[110:111], v[94:95], v[112:113], v[92:93]
	ds_load_2addr_b64 v[92:95], v1 offset0:57 offset1:58
	s_waitcnt lgkmcnt(0)
	v_fma_f64 v[92:93], v[96:97], v[92:93], v[110:111]
	scratch_load_b128 v[110:113], off, off offset:176
	s_waitcnt vmcnt(4)
	v_fma_f64 v[96:97], v[98:99], v[94:95], v[92:93]
	ds_load_2addr_b64 v[92:95], v1 offset0:59 offset1:60
	s_waitcnt lgkmcnt(0)
	v_fma_f64 v[92:93], v[100:101], v[92:93], v[96:97]
	scratch_load_b128 v[96:99], off, off offset:192
	s_waitcnt vmcnt(4)
	;; [unrolled: 6-line block ×10, first 2 shown]
	v_fma_f64 v[108:109], v[108:109], v[94:95], v[92:93]
	ds_load_2addr_b64 v[92:95], v1 offset0:77 offset1:78
	s_waitcnt lgkmcnt(0)
	v_fma_f64 v[92:93], v[110:111], v[92:93], v[108:109]
	scratch_load_b64 v[108:109], off, off offset:336
	s_waitcnt vmcnt(4)
	v_fma_f64 v[96:97], v[96:97], v[94:95], v[92:93]
	ds_load_2addr_b64 v[92:95], v1 offset0:79 offset1:80
	s_waitcnt lgkmcnt(0)
	v_fma_f64 v[92:93], v[98:99], v[92:93], v[96:97]
	s_waitcnt vmcnt(3)
	s_delay_alu instid0(VALU_DEP_1) | instskip(SKIP_4) | instid1(VALU_DEP_1)
	v_fma_f64 v[96:97], v[100:101], v[94:95], v[92:93]
	ds_load_2addr_b64 v[92:95], v1 offset0:81 offset1:82
	s_waitcnt lgkmcnt(0)
	v_fma_f64 v[92:93], v[102:103], v[92:93], v[96:97]
	s_waitcnt vmcnt(2)
	v_fma_f64 v[96:97], v[104:105], v[94:95], v[92:93]
	ds_load_2addr_b64 v[92:95], v1 offset0:83 offset1:84
	s_waitcnt lgkmcnt(0)
	v_fma_f64 v[92:93], v[106:107], v[92:93], v[96:97]
	s_waitcnt vmcnt(1)
	s_delay_alu instid0(VALU_DEP_1) | instskip(SKIP_4) | instid1(VALU_DEP_1)
	v_fma_f64 v[96:97], v[112:113], v[94:95], v[92:93]
	ds_load_2addr_b64 v[92:95], v1 offset0:85 offset1:86
	s_waitcnt lgkmcnt(0)
	v_fma_f64 v[1:2], v[114:115], v[92:93], v[96:97]
	s_waitcnt vmcnt(0)
	v_fma_f64 v[1:2], v[108:109], v[94:95], v[1:2]
	s_delay_alu instid0(VALU_DEP_1)
	v_add_f64 v[1:2], v[90:91], -v[1:2]
	scratch_store_b64 off, v[1:2], off offset:80
	v_cmpx_lt_u32_e32 9, v0
	s_cbranch_execz .LBB42_249
; %bb.248:
	scratch_load_b64 v[1:2], off, off offset:72
	v_mov_b32_e32 v90, 0
	s_delay_alu instid0(VALU_DEP_1)
	v_mov_b32_e32 v91, v90
	scratch_store_b64 off, v[90:91], off offset:72
	s_waitcnt vmcnt(0)
	ds_store_b64 v3, v[1:2]
.LBB42_249:
	s_or_b32 exec_lo, exec_lo, s0
	s_waitcnt lgkmcnt(0)
	s_waitcnt_vscnt null, 0x0
	s_barrier
	buffer_gl0_inv
	s_clause 0x4
	scratch_load_b128 v[90:93], off, off offset:72
	scratch_load_b128 v[94:97], off, off offset:88
	;; [unrolled: 1-line block ×5, first 2 shown]
	v_mov_b32_e32 v1, 0
	scratch_load_b128 v[114:117], off, off offset:152
	s_mov_b32 s0, exec_lo
	ds_load_b128 v[110:113], v1 offset:432
	s_waitcnt vmcnt(5) lgkmcnt(0)
	v_fma_f64 v[92:93], v[92:93], v[110:111], 0
	s_waitcnt vmcnt(4)
	s_delay_alu instid0(VALU_DEP_1)
	v_fma_f64 v[110:111], v[94:95], v[112:113], v[92:93]
	ds_load_b128 v[92:95], v1 offset:448
	s_waitcnt lgkmcnt(0)
	v_fma_f64 v[92:93], v[96:97], v[92:93], v[110:111]
	scratch_load_b128 v[110:113], off, off offset:168
	s_waitcnt vmcnt(4)
	v_fma_f64 v[96:97], v[98:99], v[94:95], v[92:93]
	ds_load_b128 v[92:95], v1 offset:464
	s_waitcnt lgkmcnt(0)
	v_fma_f64 v[92:93], v[100:101], v[92:93], v[96:97]
	scratch_load_b128 v[96:99], off, off offset:184
	s_waitcnt vmcnt(4)
	;; [unrolled: 6-line block ×11, first 2 shown]
	v_fma_f64 v[96:97], v[96:97], v[94:95], v[92:93]
	ds_load_b128 v[92:95], v1 offset:624
	s_waitcnt lgkmcnt(0)
	v_fma_f64 v[92:93], v[98:99], v[92:93], v[96:97]
	s_waitcnt vmcnt(3)
	s_delay_alu instid0(VALU_DEP_1) | instskip(SKIP_4) | instid1(VALU_DEP_1)
	v_fma_f64 v[96:97], v[100:101], v[94:95], v[92:93]
	ds_load_b128 v[92:95], v1 offset:640
	s_waitcnt lgkmcnt(0)
	v_fma_f64 v[92:93], v[102:103], v[92:93], v[96:97]
	s_waitcnt vmcnt(2)
	v_fma_f64 v[96:97], v[104:105], v[94:95], v[92:93]
	ds_load_b128 v[92:95], v1 offset:656
	s_waitcnt lgkmcnt(0)
	v_fma_f64 v[92:93], v[106:107], v[92:93], v[96:97]
	s_waitcnt vmcnt(1)
	s_delay_alu instid0(VALU_DEP_1) | instskip(SKIP_4) | instid1(VALU_DEP_1)
	v_fma_f64 v[96:97], v[112:113], v[94:95], v[92:93]
	ds_load_b128 v[92:95], v1 offset:672
	s_waitcnt lgkmcnt(0)
	v_fma_f64 v[92:93], v[114:115], v[92:93], v[96:97]
	s_waitcnt vmcnt(0)
	v_fma_f64 v[92:93], v[108:109], v[94:95], v[92:93]
	ds_load_b64 v[94:95], v1 offset:688
	s_waitcnt lgkmcnt(0)
	v_fma_f64 v[92:93], v[110:111], v[94:95], v[92:93]
	s_delay_alu instid0(VALU_DEP_1)
	v_add_f64 v[90:91], v[90:91], -v[92:93]
	scratch_store_b64 off, v[90:91], off offset:72
	v_cmpx_lt_u32_e32 8, v0
	s_cbranch_execz .LBB42_251
; %bb.250:
	scratch_load_b64 v[90:91], off, off offset:64
	v_mov_b32_e32 v2, v1
	scratch_store_b64 off, v[1:2], off offset:64
	s_waitcnt vmcnt(0)
	ds_store_b64 v3, v[90:91]
.LBB42_251:
	s_or_b32 exec_lo, exec_lo, s0
	s_waitcnt lgkmcnt(0)
	s_waitcnt_vscnt null, 0x0
	s_barrier
	buffer_gl0_inv
	s_clause 0x4
	scratch_load_b128 v[90:93], off, off offset:64
	scratch_load_b128 v[94:97], off, off offset:80
	;; [unrolled: 1-line block ×5, first 2 shown]
	ds_load_2addr_b64 v[110:113], v1 offset0:53 offset1:54
	scratch_load_b128 v[114:117], off, off offset:144
	s_mov_b32 s0, exec_lo
	s_waitcnt vmcnt(5) lgkmcnt(0)
	v_fma_f64 v[92:93], v[92:93], v[110:111], 0
	s_waitcnt vmcnt(4)
	s_delay_alu instid0(VALU_DEP_1)
	v_fma_f64 v[110:111], v[94:95], v[112:113], v[92:93]
	ds_load_2addr_b64 v[92:95], v1 offset0:55 offset1:56
	s_waitcnt lgkmcnt(0)
	v_fma_f64 v[92:93], v[96:97], v[92:93], v[110:111]
	scratch_load_b128 v[110:113], off, off offset:160
	s_waitcnt vmcnt(4)
	v_fma_f64 v[96:97], v[98:99], v[94:95], v[92:93]
	ds_load_2addr_b64 v[92:95], v1 offset0:57 offset1:58
	s_waitcnt lgkmcnt(0)
	v_fma_f64 v[92:93], v[100:101], v[92:93], v[96:97]
	scratch_load_b128 v[96:99], off, off offset:176
	s_waitcnt vmcnt(4)
	;; [unrolled: 6-line block ×11, first 2 shown]
	v_fma_f64 v[96:97], v[96:97], v[94:95], v[92:93]
	ds_load_2addr_b64 v[92:95], v1 offset0:77 offset1:78
	s_waitcnt lgkmcnt(0)
	v_fma_f64 v[92:93], v[98:99], v[92:93], v[96:97]
	scratch_load_b64 v[96:97], off, off offset:336
	s_waitcnt vmcnt(4)
	v_fma_f64 v[98:99], v[100:101], v[94:95], v[92:93]
	ds_load_2addr_b64 v[92:95], v1 offset0:79 offset1:80
	s_waitcnt lgkmcnt(0)
	v_fma_f64 v[92:93], v[102:103], v[92:93], v[98:99]
	s_waitcnt vmcnt(3)
	s_delay_alu instid0(VALU_DEP_1) | instskip(SKIP_4) | instid1(VALU_DEP_1)
	v_fma_f64 v[98:99], v[104:105], v[94:95], v[92:93]
	ds_load_2addr_b64 v[92:95], v1 offset0:81 offset1:82
	s_waitcnt lgkmcnt(0)
	v_fma_f64 v[92:93], v[106:107], v[92:93], v[98:99]
	s_waitcnt vmcnt(2)
	v_fma_f64 v[98:99], v[112:113], v[94:95], v[92:93]
	ds_load_2addr_b64 v[92:95], v1 offset0:83 offset1:84
	s_waitcnt lgkmcnt(0)
	v_fma_f64 v[92:93], v[114:115], v[92:93], v[98:99]
	s_waitcnt vmcnt(1)
	s_delay_alu instid0(VALU_DEP_1) | instskip(SKIP_4) | instid1(VALU_DEP_1)
	v_fma_f64 v[98:99], v[108:109], v[94:95], v[92:93]
	ds_load_2addr_b64 v[92:95], v1 offset0:85 offset1:86
	s_waitcnt lgkmcnt(0)
	v_fma_f64 v[1:2], v[110:111], v[92:93], v[98:99]
	s_waitcnt vmcnt(0)
	v_fma_f64 v[1:2], v[96:97], v[94:95], v[1:2]
	s_delay_alu instid0(VALU_DEP_1)
	v_add_f64 v[1:2], v[90:91], -v[1:2]
	scratch_store_b64 off, v[1:2], off offset:64
	v_cmpx_lt_u32_e32 7, v0
	s_cbranch_execz .LBB42_253
; %bb.252:
	scratch_load_b64 v[1:2], off, off offset:56
	v_mov_b32_e32 v90, 0
	s_delay_alu instid0(VALU_DEP_1)
	v_mov_b32_e32 v91, v90
	scratch_store_b64 off, v[90:91], off offset:56
	s_waitcnt vmcnt(0)
	ds_store_b64 v3, v[1:2]
.LBB42_253:
	s_or_b32 exec_lo, exec_lo, s0
	s_waitcnt lgkmcnt(0)
	s_waitcnt_vscnt null, 0x0
	s_barrier
	buffer_gl0_inv
	s_clause 0x4
	scratch_load_b128 v[90:93], off, off offset:56
	scratch_load_b128 v[94:97], off, off offset:72
	;; [unrolled: 1-line block ×5, first 2 shown]
	v_mov_b32_e32 v1, 0
	scratch_load_b128 v[114:117], off, off offset:136
	s_mov_b32 s0, exec_lo
	ds_load_b128 v[110:113], v1 offset:416
	s_waitcnt vmcnt(5) lgkmcnt(0)
	v_fma_f64 v[92:93], v[92:93], v[110:111], 0
	s_waitcnt vmcnt(4)
	s_delay_alu instid0(VALU_DEP_1)
	v_fma_f64 v[110:111], v[94:95], v[112:113], v[92:93]
	ds_load_b128 v[92:95], v1 offset:432
	s_waitcnt lgkmcnt(0)
	v_fma_f64 v[92:93], v[96:97], v[92:93], v[110:111]
	scratch_load_b128 v[110:113], off, off offset:152
	s_waitcnt vmcnt(4)
	v_fma_f64 v[96:97], v[98:99], v[94:95], v[92:93]
	ds_load_b128 v[92:95], v1 offset:448
	s_waitcnt lgkmcnt(0)
	v_fma_f64 v[92:93], v[100:101], v[92:93], v[96:97]
	scratch_load_b128 v[96:99], off, off offset:168
	s_waitcnt vmcnt(4)
	;; [unrolled: 6-line block ×12, first 2 shown]
	v_fma_f64 v[100:101], v[100:101], v[94:95], v[92:93]
	ds_load_b128 v[92:95], v1 offset:624
	s_waitcnt lgkmcnt(0)
	v_fma_f64 v[92:93], v[102:103], v[92:93], v[100:101]
	s_waitcnt vmcnt(3)
	s_delay_alu instid0(VALU_DEP_1) | instskip(SKIP_4) | instid1(VALU_DEP_1)
	v_fma_f64 v[100:101], v[104:105], v[94:95], v[92:93]
	ds_load_b128 v[92:95], v1 offset:640
	s_waitcnt lgkmcnt(0)
	v_fma_f64 v[92:93], v[106:107], v[92:93], v[100:101]
	s_waitcnt vmcnt(2)
	v_fma_f64 v[100:101], v[112:113], v[94:95], v[92:93]
	ds_load_b128 v[92:95], v1 offset:656
	s_waitcnt lgkmcnt(0)
	v_fma_f64 v[92:93], v[114:115], v[92:93], v[100:101]
	s_waitcnt vmcnt(1)
	s_delay_alu instid0(VALU_DEP_1) | instskip(SKIP_4) | instid1(VALU_DEP_1)
	v_fma_f64 v[100:101], v[108:109], v[94:95], v[92:93]
	ds_load_b128 v[92:95], v1 offset:672
	s_waitcnt lgkmcnt(0)
	v_fma_f64 v[92:93], v[110:111], v[92:93], v[100:101]
	s_waitcnt vmcnt(0)
	v_fma_f64 v[92:93], v[96:97], v[94:95], v[92:93]
	ds_load_b64 v[94:95], v1 offset:688
	s_waitcnt lgkmcnt(0)
	v_fma_f64 v[92:93], v[98:99], v[94:95], v[92:93]
	s_delay_alu instid0(VALU_DEP_1)
	v_add_f64 v[90:91], v[90:91], -v[92:93]
	scratch_store_b64 off, v[90:91], off offset:56
	v_cmpx_lt_u32_e32 6, v0
	s_cbranch_execz .LBB42_255
; %bb.254:
	scratch_load_b64 v[90:91], off, off offset:48
	v_mov_b32_e32 v2, v1
	scratch_store_b64 off, v[1:2], off offset:48
	s_waitcnt vmcnt(0)
	ds_store_b64 v3, v[90:91]
.LBB42_255:
	s_or_b32 exec_lo, exec_lo, s0
	s_waitcnt lgkmcnt(0)
	s_waitcnt_vscnt null, 0x0
	s_barrier
	buffer_gl0_inv
	s_clause 0x4
	scratch_load_b128 v[90:93], off, off offset:48
	scratch_load_b128 v[94:97], off, off offset:64
	;; [unrolled: 1-line block ×5, first 2 shown]
	ds_load_2addr_b64 v[110:113], v1 offset0:51 offset1:52
	scratch_load_b128 v[114:117], off, off offset:128
	s_mov_b32 s0, exec_lo
	s_waitcnt vmcnt(5) lgkmcnt(0)
	v_fma_f64 v[92:93], v[92:93], v[110:111], 0
	s_waitcnt vmcnt(4)
	s_delay_alu instid0(VALU_DEP_1)
	v_fma_f64 v[110:111], v[94:95], v[112:113], v[92:93]
	ds_load_2addr_b64 v[92:95], v1 offset0:53 offset1:54
	s_waitcnt lgkmcnt(0)
	v_fma_f64 v[92:93], v[96:97], v[92:93], v[110:111]
	scratch_load_b128 v[110:113], off, off offset:144
	s_waitcnt vmcnt(4)
	v_fma_f64 v[96:97], v[98:99], v[94:95], v[92:93]
	ds_load_2addr_b64 v[92:95], v1 offset0:55 offset1:56
	s_waitcnt lgkmcnt(0)
	v_fma_f64 v[92:93], v[100:101], v[92:93], v[96:97]
	scratch_load_b128 v[96:99], off, off offset:160
	s_waitcnt vmcnt(4)
	;; [unrolled: 6-line block ×12, first 2 shown]
	v_fma_f64 v[100:101], v[100:101], v[94:95], v[92:93]
	ds_load_2addr_b64 v[92:95], v1 offset0:77 offset1:78
	s_waitcnt lgkmcnt(0)
	v_fma_f64 v[92:93], v[102:103], v[92:93], v[100:101]
	scratch_load_b64 v[100:101], off, off offset:336
	s_waitcnt vmcnt(4)
	v_fma_f64 v[102:103], v[104:105], v[94:95], v[92:93]
	ds_load_2addr_b64 v[92:95], v1 offset0:79 offset1:80
	s_waitcnt lgkmcnt(0)
	v_fma_f64 v[92:93], v[106:107], v[92:93], v[102:103]
	s_waitcnt vmcnt(3)
	s_delay_alu instid0(VALU_DEP_1) | instskip(SKIP_4) | instid1(VALU_DEP_1)
	v_fma_f64 v[102:103], v[112:113], v[94:95], v[92:93]
	ds_load_2addr_b64 v[92:95], v1 offset0:81 offset1:82
	s_waitcnt lgkmcnt(0)
	v_fma_f64 v[92:93], v[114:115], v[92:93], v[102:103]
	s_waitcnt vmcnt(2)
	v_fma_f64 v[102:103], v[108:109], v[94:95], v[92:93]
	ds_load_2addr_b64 v[92:95], v1 offset0:83 offset1:84
	s_waitcnt lgkmcnt(0)
	v_fma_f64 v[92:93], v[110:111], v[92:93], v[102:103]
	s_waitcnt vmcnt(1)
	s_delay_alu instid0(VALU_DEP_1) | instskip(SKIP_4) | instid1(VALU_DEP_1)
	v_fma_f64 v[96:97], v[96:97], v[94:95], v[92:93]
	ds_load_2addr_b64 v[92:95], v1 offset0:85 offset1:86
	s_waitcnt lgkmcnt(0)
	v_fma_f64 v[1:2], v[98:99], v[92:93], v[96:97]
	s_waitcnt vmcnt(0)
	v_fma_f64 v[1:2], v[100:101], v[94:95], v[1:2]
	s_delay_alu instid0(VALU_DEP_1)
	v_add_f64 v[1:2], v[90:91], -v[1:2]
	scratch_store_b64 off, v[1:2], off offset:48
	v_cmpx_lt_u32_e32 5, v0
	s_cbranch_execz .LBB42_257
; %bb.256:
	scratch_load_b64 v[1:2], off, off offset:40
	v_mov_b32_e32 v90, 0
	s_delay_alu instid0(VALU_DEP_1)
	v_mov_b32_e32 v91, v90
	scratch_store_b64 off, v[90:91], off offset:40
	s_waitcnt vmcnt(0)
	ds_store_b64 v3, v[1:2]
.LBB42_257:
	s_or_b32 exec_lo, exec_lo, s0
	s_waitcnt lgkmcnt(0)
	s_waitcnt_vscnt null, 0x0
	s_barrier
	buffer_gl0_inv
	s_clause 0x4
	scratch_load_b128 v[90:93], off, off offset:40
	scratch_load_b128 v[94:97], off, off offset:56
	;; [unrolled: 1-line block ×5, first 2 shown]
	v_mov_b32_e32 v1, 0
	scratch_load_b128 v[114:117], off, off offset:120
	s_mov_b32 s0, exec_lo
	ds_load_b128 v[110:113], v1 offset:400
	s_waitcnt vmcnt(5) lgkmcnt(0)
	v_fma_f64 v[92:93], v[92:93], v[110:111], 0
	s_waitcnt vmcnt(4)
	s_delay_alu instid0(VALU_DEP_1)
	v_fma_f64 v[110:111], v[94:95], v[112:113], v[92:93]
	ds_load_b128 v[92:95], v1 offset:416
	s_waitcnt lgkmcnt(0)
	v_fma_f64 v[92:93], v[96:97], v[92:93], v[110:111]
	scratch_load_b128 v[110:113], off, off offset:136
	s_waitcnt vmcnt(4)
	v_fma_f64 v[96:97], v[98:99], v[94:95], v[92:93]
	ds_load_b128 v[92:95], v1 offset:432
	s_waitcnt lgkmcnt(0)
	v_fma_f64 v[92:93], v[100:101], v[92:93], v[96:97]
	scratch_load_b128 v[96:99], off, off offset:152
	s_waitcnt vmcnt(4)
	;; [unrolled: 6-line block ×13, first 2 shown]
	v_fma_f64 v[104:105], v[104:105], v[94:95], v[92:93]
	ds_load_b128 v[92:95], v1 offset:624
	s_waitcnt lgkmcnt(0)
	v_fma_f64 v[92:93], v[106:107], v[92:93], v[104:105]
	s_waitcnt vmcnt(3)
	s_delay_alu instid0(VALU_DEP_1) | instskip(SKIP_4) | instid1(VALU_DEP_1)
	v_fma_f64 v[104:105], v[112:113], v[94:95], v[92:93]
	ds_load_b128 v[92:95], v1 offset:640
	s_waitcnt lgkmcnt(0)
	v_fma_f64 v[92:93], v[114:115], v[92:93], v[104:105]
	s_waitcnt vmcnt(2)
	v_fma_f64 v[104:105], v[108:109], v[94:95], v[92:93]
	ds_load_b128 v[92:95], v1 offset:656
	s_waitcnt lgkmcnt(0)
	v_fma_f64 v[92:93], v[110:111], v[92:93], v[104:105]
	s_waitcnt vmcnt(1)
	s_delay_alu instid0(VALU_DEP_1) | instskip(SKIP_4) | instid1(VALU_DEP_1)
	v_fma_f64 v[96:97], v[96:97], v[94:95], v[92:93]
	ds_load_b128 v[92:95], v1 offset:672
	s_waitcnt lgkmcnt(0)
	v_fma_f64 v[92:93], v[98:99], v[92:93], v[96:97]
	s_waitcnt vmcnt(0)
	v_fma_f64 v[92:93], v[100:101], v[94:95], v[92:93]
	ds_load_b64 v[94:95], v1 offset:688
	s_waitcnt lgkmcnt(0)
	v_fma_f64 v[92:93], v[102:103], v[94:95], v[92:93]
	s_delay_alu instid0(VALU_DEP_1)
	v_add_f64 v[90:91], v[90:91], -v[92:93]
	scratch_store_b64 off, v[90:91], off offset:40
	v_cmpx_lt_u32_e32 4, v0
	s_cbranch_execz .LBB42_259
; %bb.258:
	scratch_load_b64 v[90:91], off, off offset:32
	v_mov_b32_e32 v2, v1
	scratch_store_b64 off, v[1:2], off offset:32
	s_waitcnt vmcnt(0)
	ds_store_b64 v3, v[90:91]
.LBB42_259:
	s_or_b32 exec_lo, exec_lo, s0
	s_waitcnt lgkmcnt(0)
	s_waitcnt_vscnt null, 0x0
	s_barrier
	buffer_gl0_inv
	s_clause 0x4
	scratch_load_b128 v[90:93], off, off offset:32
	scratch_load_b128 v[94:97], off, off offset:48
	;; [unrolled: 1-line block ×5, first 2 shown]
	ds_load_2addr_b64 v[110:113], v1 offset0:49 offset1:50
	scratch_load_b128 v[114:117], off, off offset:112
	s_mov_b32 s0, exec_lo
	s_waitcnt vmcnt(5) lgkmcnt(0)
	v_fma_f64 v[92:93], v[92:93], v[110:111], 0
	s_waitcnt vmcnt(4)
	s_delay_alu instid0(VALU_DEP_1)
	v_fma_f64 v[110:111], v[94:95], v[112:113], v[92:93]
	ds_load_2addr_b64 v[92:95], v1 offset0:51 offset1:52
	s_waitcnt lgkmcnt(0)
	v_fma_f64 v[92:93], v[96:97], v[92:93], v[110:111]
	scratch_load_b128 v[110:113], off, off offset:128
	s_waitcnt vmcnt(4)
	v_fma_f64 v[96:97], v[98:99], v[94:95], v[92:93]
	ds_load_2addr_b64 v[92:95], v1 offset0:53 offset1:54
	s_waitcnt lgkmcnt(0)
	v_fma_f64 v[92:93], v[100:101], v[92:93], v[96:97]
	scratch_load_b128 v[96:99], off, off offset:144
	s_waitcnt vmcnt(4)
	;; [unrolled: 6-line block ×13, first 2 shown]
	v_fma_f64 v[104:105], v[104:105], v[94:95], v[92:93]
	ds_load_2addr_b64 v[92:95], v1 offset0:77 offset1:78
	s_waitcnt lgkmcnt(0)
	v_fma_f64 v[92:93], v[106:107], v[92:93], v[104:105]
	scratch_load_b64 v[104:105], off, off offset:336
	s_waitcnt vmcnt(4)
	v_fma_f64 v[106:107], v[112:113], v[94:95], v[92:93]
	ds_load_2addr_b64 v[92:95], v1 offset0:79 offset1:80
	s_waitcnt lgkmcnt(0)
	v_fma_f64 v[92:93], v[114:115], v[92:93], v[106:107]
	s_waitcnt vmcnt(3)
	s_delay_alu instid0(VALU_DEP_1) | instskip(SKIP_4) | instid1(VALU_DEP_1)
	v_fma_f64 v[106:107], v[108:109], v[94:95], v[92:93]
	ds_load_2addr_b64 v[92:95], v1 offset0:81 offset1:82
	s_waitcnt lgkmcnt(0)
	v_fma_f64 v[92:93], v[110:111], v[92:93], v[106:107]
	s_waitcnt vmcnt(2)
	v_fma_f64 v[96:97], v[96:97], v[94:95], v[92:93]
	ds_load_2addr_b64 v[92:95], v1 offset0:83 offset1:84
	s_waitcnt lgkmcnt(0)
	v_fma_f64 v[92:93], v[98:99], v[92:93], v[96:97]
	s_waitcnt vmcnt(1)
	s_delay_alu instid0(VALU_DEP_1) | instskip(SKIP_4) | instid1(VALU_DEP_1)
	v_fma_f64 v[96:97], v[100:101], v[94:95], v[92:93]
	ds_load_2addr_b64 v[92:95], v1 offset0:85 offset1:86
	s_waitcnt lgkmcnt(0)
	v_fma_f64 v[1:2], v[102:103], v[92:93], v[96:97]
	s_waitcnt vmcnt(0)
	v_fma_f64 v[1:2], v[104:105], v[94:95], v[1:2]
	s_delay_alu instid0(VALU_DEP_1)
	v_add_f64 v[1:2], v[90:91], -v[1:2]
	scratch_store_b64 off, v[1:2], off offset:32
	v_cmpx_lt_u32_e32 3, v0
	s_cbranch_execz .LBB42_261
; %bb.260:
	scratch_load_b64 v[1:2], off, off offset:24
	v_mov_b32_e32 v90, 0
	s_delay_alu instid0(VALU_DEP_1)
	v_mov_b32_e32 v91, v90
	scratch_store_b64 off, v[90:91], off offset:24
	s_waitcnt vmcnt(0)
	ds_store_b64 v3, v[1:2]
.LBB42_261:
	s_or_b32 exec_lo, exec_lo, s0
	s_waitcnt lgkmcnt(0)
	s_waitcnt_vscnt null, 0x0
	s_barrier
	buffer_gl0_inv
	s_clause 0x4
	scratch_load_b128 v[90:93], off, off offset:24
	scratch_load_b128 v[94:97], off, off offset:40
	;; [unrolled: 1-line block ×5, first 2 shown]
	v_mov_b32_e32 v1, 0
	scratch_load_b128 v[114:117], off, off offset:104
	s_mov_b32 s0, exec_lo
	ds_load_b128 v[110:113], v1 offset:384
	s_waitcnt vmcnt(5) lgkmcnt(0)
	v_fma_f64 v[92:93], v[92:93], v[110:111], 0
	s_waitcnt vmcnt(4)
	s_delay_alu instid0(VALU_DEP_1)
	v_fma_f64 v[110:111], v[94:95], v[112:113], v[92:93]
	ds_load_b128 v[92:95], v1 offset:400
	s_waitcnt lgkmcnt(0)
	v_fma_f64 v[92:93], v[96:97], v[92:93], v[110:111]
	scratch_load_b128 v[110:113], off, off offset:120
	s_waitcnt vmcnt(4)
	v_fma_f64 v[96:97], v[98:99], v[94:95], v[92:93]
	ds_load_b128 v[92:95], v1 offset:416
	s_waitcnt lgkmcnt(0)
	v_fma_f64 v[92:93], v[100:101], v[92:93], v[96:97]
	scratch_load_b128 v[96:99], off, off offset:136
	s_waitcnt vmcnt(4)
	;; [unrolled: 6-line block ×14, first 2 shown]
	v_fma_f64 v[112:113], v[112:113], v[94:95], v[92:93]
	ds_load_b128 v[92:95], v1 offset:624
	s_waitcnt lgkmcnt(0)
	v_fma_f64 v[92:93], v[114:115], v[92:93], v[112:113]
	s_waitcnt vmcnt(3)
	s_delay_alu instid0(VALU_DEP_1) | instskip(SKIP_4) | instid1(VALU_DEP_1)
	v_fma_f64 v[108:109], v[108:109], v[94:95], v[92:93]
	ds_load_b128 v[92:95], v1 offset:640
	s_waitcnt lgkmcnt(0)
	v_fma_f64 v[92:93], v[110:111], v[92:93], v[108:109]
	s_waitcnt vmcnt(2)
	v_fma_f64 v[96:97], v[96:97], v[94:95], v[92:93]
	ds_load_b128 v[92:95], v1 offset:656
	s_waitcnt lgkmcnt(0)
	v_fma_f64 v[92:93], v[98:99], v[92:93], v[96:97]
	s_waitcnt vmcnt(1)
	s_delay_alu instid0(VALU_DEP_1) | instskip(SKIP_4) | instid1(VALU_DEP_1)
	v_fma_f64 v[96:97], v[100:101], v[94:95], v[92:93]
	ds_load_b128 v[92:95], v1 offset:672
	s_waitcnt lgkmcnt(0)
	v_fma_f64 v[92:93], v[102:103], v[92:93], v[96:97]
	s_waitcnt vmcnt(0)
	v_fma_f64 v[92:93], v[104:105], v[94:95], v[92:93]
	ds_load_b64 v[94:95], v1 offset:688
	s_waitcnt lgkmcnt(0)
	v_fma_f64 v[92:93], v[106:107], v[94:95], v[92:93]
	s_delay_alu instid0(VALU_DEP_1)
	v_add_f64 v[90:91], v[90:91], -v[92:93]
	scratch_store_b64 off, v[90:91], off offset:24
	v_cmpx_lt_u32_e32 2, v0
	s_cbranch_execz .LBB42_263
; %bb.262:
	scratch_load_b64 v[90:91], off, off offset:16
	v_mov_b32_e32 v2, v1
	scratch_store_b64 off, v[1:2], off offset:16
	s_waitcnt vmcnt(0)
	ds_store_b64 v3, v[90:91]
.LBB42_263:
	s_or_b32 exec_lo, exec_lo, s0
	s_waitcnt lgkmcnt(0)
	s_waitcnt_vscnt null, 0x0
	s_barrier
	buffer_gl0_inv
	s_clause 0x4
	scratch_load_b128 v[90:93], off, off offset:16
	scratch_load_b128 v[94:97], off, off offset:32
	;; [unrolled: 1-line block ×5, first 2 shown]
	ds_load_2addr_b64 v[110:113], v1 offset0:47 offset1:48
	scratch_load_b128 v[114:117], off, off offset:96
	s_mov_b32 s0, exec_lo
	s_waitcnt vmcnt(5) lgkmcnt(0)
	v_fma_f64 v[92:93], v[92:93], v[110:111], 0
	s_waitcnt vmcnt(4)
	s_delay_alu instid0(VALU_DEP_1)
	v_fma_f64 v[110:111], v[94:95], v[112:113], v[92:93]
	ds_load_2addr_b64 v[92:95], v1 offset0:49 offset1:50
	s_waitcnt lgkmcnt(0)
	v_fma_f64 v[92:93], v[96:97], v[92:93], v[110:111]
	scratch_load_b128 v[110:113], off, off offset:112
	s_waitcnt vmcnt(4)
	v_fma_f64 v[96:97], v[98:99], v[94:95], v[92:93]
	ds_load_2addr_b64 v[92:95], v1 offset0:51 offset1:52
	s_waitcnt lgkmcnt(0)
	v_fma_f64 v[92:93], v[100:101], v[92:93], v[96:97]
	scratch_load_b128 v[96:99], off, off offset:128
	s_waitcnt vmcnt(4)
	;; [unrolled: 6-line block ×14, first 2 shown]
	v_fma_f64 v[112:113], v[112:113], v[94:95], v[92:93]
	ds_load_2addr_b64 v[92:95], v1 offset0:77 offset1:78
	s_waitcnt lgkmcnt(0)
	v_fma_f64 v[92:93], v[114:115], v[92:93], v[112:113]
	scratch_load_b64 v[112:113], off, off offset:336
	s_waitcnt vmcnt(4)
	v_fma_f64 v[108:109], v[108:109], v[94:95], v[92:93]
	ds_load_2addr_b64 v[92:95], v1 offset0:79 offset1:80
	s_waitcnt lgkmcnt(0)
	v_fma_f64 v[92:93], v[110:111], v[92:93], v[108:109]
	s_waitcnt vmcnt(3)
	s_delay_alu instid0(VALU_DEP_1) | instskip(SKIP_4) | instid1(VALU_DEP_1)
	v_fma_f64 v[96:97], v[96:97], v[94:95], v[92:93]
	ds_load_2addr_b64 v[92:95], v1 offset0:81 offset1:82
	s_waitcnt lgkmcnt(0)
	v_fma_f64 v[92:93], v[98:99], v[92:93], v[96:97]
	s_waitcnt vmcnt(2)
	v_fma_f64 v[96:97], v[100:101], v[94:95], v[92:93]
	ds_load_2addr_b64 v[92:95], v1 offset0:83 offset1:84
	s_waitcnt lgkmcnt(0)
	v_fma_f64 v[92:93], v[102:103], v[92:93], v[96:97]
	s_waitcnt vmcnt(1)
	s_delay_alu instid0(VALU_DEP_1) | instskip(SKIP_4) | instid1(VALU_DEP_1)
	v_fma_f64 v[96:97], v[104:105], v[94:95], v[92:93]
	ds_load_2addr_b64 v[92:95], v1 offset0:85 offset1:86
	s_waitcnt lgkmcnt(0)
	v_fma_f64 v[1:2], v[106:107], v[92:93], v[96:97]
	s_waitcnt vmcnt(0)
	v_fma_f64 v[1:2], v[112:113], v[94:95], v[1:2]
	s_delay_alu instid0(VALU_DEP_1)
	v_add_f64 v[1:2], v[90:91], -v[1:2]
	scratch_store_b64 off, v[1:2], off offset:16
	v_cmpx_lt_u32_e32 1, v0
	s_cbranch_execz .LBB42_265
; %bb.264:
	scratch_load_b64 v[1:2], off, off offset:8
	v_mov_b32_e32 v90, 0
	s_delay_alu instid0(VALU_DEP_1)
	v_mov_b32_e32 v91, v90
	scratch_store_b64 off, v[90:91], off offset:8
	s_waitcnt vmcnt(0)
	ds_store_b64 v3, v[1:2]
.LBB42_265:
	s_or_b32 exec_lo, exec_lo, s0
	s_waitcnt lgkmcnt(0)
	s_waitcnt_vscnt null, 0x0
	s_barrier
	buffer_gl0_inv
	s_clause 0x4
	scratch_load_b128 v[91:94], off, off offset:8
	scratch_load_b128 v[95:98], off, off offset:24
	;; [unrolled: 1-line block ×5, first 2 shown]
	v_mov_b32_e32 v90, 0
	scratch_load_b128 v[115:118], off, off offset:88
	s_mov_b32 s0, exec_lo
	ds_load_b128 v[111:114], v90 offset:368
	s_waitcnt vmcnt(5) lgkmcnt(0)
	v_fma_f64 v[1:2], v[93:94], v[111:112], 0
	s_waitcnt vmcnt(4)
	s_delay_alu instid0(VALU_DEP_1)
	v_fma_f64 v[1:2], v[95:96], v[113:114], v[1:2]
	scratch_load_b128 v[111:114], off, off offset:104
	ds_load_b128 v[93:96], v90 offset:384
	s_waitcnt lgkmcnt(0)
	v_fma_f64 v[1:2], v[97:98], v[93:94], v[1:2]
	s_waitcnt vmcnt(4)
	s_delay_alu instid0(VALU_DEP_1)
	v_fma_f64 v[1:2], v[99:100], v[95:96], v[1:2]
	ds_load_b128 v[93:96], v90 offset:400
	scratch_load_b128 v[97:100], off, off offset:120
	s_waitcnt lgkmcnt(0)
	v_fma_f64 v[1:2], v[101:102], v[93:94], v[1:2]
	s_waitcnt vmcnt(4)
	s_delay_alu instid0(VALU_DEP_1)
	v_fma_f64 v[1:2], v[103:104], v[95:96], v[1:2]
	scratch_load_b128 v[101:104], off, off offset:136
	ds_load_b128 v[93:96], v90 offset:416
	s_waitcnt lgkmcnt(0)
	v_fma_f64 v[1:2], v[105:106], v[93:94], v[1:2]
	s_waitcnt vmcnt(4)
	s_delay_alu instid0(VALU_DEP_1)
	v_fma_f64 v[1:2], v[107:108], v[95:96], v[1:2]
	ds_load_b128 v[93:96], v90 offset:432
	scratch_load_b128 v[105:108], off, off offset:152
	s_waitcnt lgkmcnt(0)
	v_fma_f64 v[1:2], v[109:110], v[93:94], v[1:2]
	s_waitcnt vmcnt(4)
	s_delay_alu instid0(VALU_DEP_1)
	v_fma_f64 v[1:2], v[115:116], v[95:96], v[1:2]
	ds_load_b128 v[93:96], v90 offset:448
	s_waitcnt lgkmcnt(0)
	v_fma_f64 v[1:2], v[117:118], v[93:94], v[1:2]
	scratch_load_b128 v[115:118], off, off offset:168
	s_waitcnt vmcnt(4)
	v_fma_f64 v[1:2], v[111:112], v[95:96], v[1:2]
	ds_load_b128 v[93:96], v90 offset:464
	scratch_load_b128 v[109:112], off, off offset:184
	s_waitcnt lgkmcnt(0)
	v_fma_f64 v[1:2], v[113:114], v[93:94], v[1:2]
	s_waitcnt vmcnt(4)
	s_delay_alu instid0(VALU_DEP_1)
	v_fma_f64 v[1:2], v[97:98], v[95:96], v[1:2]
	ds_load_b128 v[93:96], v90 offset:480
	s_waitcnt lgkmcnt(0)
	v_fma_f64 v[1:2], v[99:100], v[93:94], v[1:2]
	scratch_load_b128 v[97:100], off, off offset:200
	s_waitcnt vmcnt(4)
	v_fma_f64 v[1:2], v[101:102], v[95:96], v[1:2]
	ds_load_b128 v[93:96], v90 offset:496
	s_waitcnt lgkmcnt(0)
	v_fma_f64 v[1:2], v[103:104], v[93:94], v[1:2]
	scratch_load_b128 v[101:104], off, off offset:216
	s_waitcnt vmcnt(4)
	;; [unrolled: 6-line block ×3, first 2 shown]
	v_fma_f64 v[1:2], v[115:116], v[95:96], v[1:2]
	ds_load_b128 v[93:96], v90 offset:528
	scratch_load_b128 v[113:116], off, off offset:248
	s_waitcnt lgkmcnt(0)
	v_fma_f64 v[1:2], v[117:118], v[93:94], v[1:2]
	s_waitcnt vmcnt(4)
	s_delay_alu instid0(VALU_DEP_1)
	v_fma_f64 v[1:2], v[109:110], v[95:96], v[1:2]
	ds_load_b128 v[93:96], v90 offset:544
	s_waitcnt lgkmcnt(0)
	v_fma_f64 v[1:2], v[111:112], v[93:94], v[1:2]
	scratch_load_b128 v[109:112], off, off offset:264
	s_waitcnt vmcnt(4)
	v_fma_f64 v[1:2], v[97:98], v[95:96], v[1:2]
	ds_load_b128 v[93:96], v90 offset:560
	s_waitcnt lgkmcnt(0)
	v_fma_f64 v[1:2], v[99:100], v[93:94], v[1:2]
	scratch_load_b128 v[97:100], off, off offset:280
	s_waitcnt vmcnt(4)
	;; [unrolled: 6-line block ×5, first 2 shown]
	v_fma_f64 v[1:2], v[109:110], v[95:96], v[1:2]
	ds_load_b128 v[93:96], v90 offset:624
	s_waitcnt lgkmcnt(0)
	v_fma_f64 v[1:2], v[111:112], v[93:94], v[1:2]
	s_waitcnt vmcnt(3)
	s_delay_alu instid0(VALU_DEP_1) | instskip(SKIP_4) | instid1(VALU_DEP_1)
	v_fma_f64 v[1:2], v[97:98], v[95:96], v[1:2]
	ds_load_b128 v[93:96], v90 offset:640
	s_waitcnt lgkmcnt(0)
	v_fma_f64 v[1:2], v[99:100], v[93:94], v[1:2]
	s_waitcnt vmcnt(2)
	v_fma_f64 v[1:2], v[101:102], v[95:96], v[1:2]
	ds_load_b128 v[93:96], v90 offset:656
	s_waitcnt lgkmcnt(0)
	v_fma_f64 v[1:2], v[103:104], v[93:94], v[1:2]
	s_waitcnt vmcnt(1)
	s_delay_alu instid0(VALU_DEP_1)
	v_fma_f64 v[1:2], v[105:106], v[95:96], v[1:2]
	ds_load_b128 v[93:96], v90 offset:672
	s_waitcnt lgkmcnt(0)
	v_fma_f64 v[1:2], v[107:108], v[93:94], v[1:2]
	ds_load_b64 v[93:94], v90 offset:688
	s_waitcnt vmcnt(0)
	v_fma_f64 v[1:2], v[113:114], v[95:96], v[1:2]
	s_waitcnt lgkmcnt(0)
	s_delay_alu instid0(VALU_DEP_1) | instskip(NEXT) | instid1(VALU_DEP_1)
	v_fma_f64 v[1:2], v[115:116], v[93:94], v[1:2]
	v_add_f64 v[1:2], v[91:92], -v[1:2]
	scratch_store_b64 off, v[1:2], off offset:8
	v_cmpx_ne_u32_e32 0, v0
	s_cbranch_execz .LBB42_267
; %bb.266:
	scratch_load_b64 v[0:1], off, off
	v_mov_b32_e32 v91, v90
	scratch_store_b64 off, v[90:91], off
	s_waitcnt vmcnt(0)
	ds_store_b64 v3, v[0:1]
.LBB42_267:
	s_or_b32 exec_lo, exec_lo, s0
	s_waitcnt lgkmcnt(0)
	s_waitcnt_vscnt null, 0x0
	s_barrier
	buffer_gl0_inv
	s_clause 0x4
	scratch_load_b128 v[91:94], off, off
	scratch_load_b128 v[0:3], off, off offset:16
	scratch_load_b128 v[95:98], off, off offset:32
	;; [unrolled: 1-line block ×4, first 2 shown]
	ds_load_2addr_b64 v[107:110], v90 offset0:45 offset1:46
	ds_load_2addr_b64 v[111:114], v90 offset0:47 offset1:48
	scratch_load_b128 v[115:118], off, off offset:80
	s_and_b32 vcc_lo, exec_lo, s16
	s_waitcnt vmcnt(5) lgkmcnt(1)
	v_fma_f64 v[93:94], v[93:94], v[107:108], 0
	s_waitcnt vmcnt(4)
	s_delay_alu instid0(VALU_DEP_1) | instskip(SKIP_1) | instid1(VALU_DEP_1)
	v_fma_f64 v[0:1], v[0:1], v[109:110], v[93:94]
	s_waitcnt lgkmcnt(0)
	v_fma_f64 v[93:94], v[2:3], v[111:112], v[0:1]
	scratch_load_b128 v[0:3], off, off offset:96
	s_waitcnt vmcnt(4)
	v_fma_f64 v[111:112], v[95:96], v[113:114], v[93:94]
	ds_load_2addr_b64 v[93:96], v90 offset0:49 offset1:50
	ds_load_2addr_b64 v[107:110], v90 offset0:51 offset1:52
	s_waitcnt lgkmcnt(1)
	v_fma_f64 v[93:94], v[97:98], v[93:94], v[111:112]
	scratch_load_b128 v[111:114], off, off offset:112
	s_waitcnt vmcnt(4)
	v_fma_f64 v[93:94], v[99:100], v[95:96], v[93:94]
	s_waitcnt lgkmcnt(0)
	s_delay_alu instid0(VALU_DEP_1)
	v_fma_f64 v[97:98], v[101:102], v[107:108], v[93:94]
	scratch_load_b128 v[93:96], off, off offset:128
	s_waitcnt vmcnt(4)
	v_fma_f64 v[107:108], v[103:104], v[109:110], v[97:98]
	ds_load_2addr_b64 v[97:100], v90 offset0:53 offset1:54
	ds_load_2addr_b64 v[101:104], v90 offset0:55 offset1:56
	s_waitcnt lgkmcnt(1)
	v_fma_f64 v[97:98], v[105:106], v[97:98], v[107:108]
	scratch_load_b128 v[105:108], off, off offset:144
	s_waitcnt vmcnt(4)
	v_fma_f64 v[97:98], v[115:116], v[99:100], v[97:98]
	s_waitcnt lgkmcnt(0)
	s_delay_alu instid0(VALU_DEP_1)
	;; [unrolled: 13-line block ×4, first 2 shown]
	v_fma_f64 v[109:110], v[107:108], v[113:114], v[105:106]
	scratch_load_b128 v[105:108], off, off offset:224
	s_waitcnt vmcnt(4)
	v_fma_f64 v[97:98], v[97:98], v[115:116], v[109:110]
	ds_load_2addr_b64 v[109:112], v90 offset0:65 offset1:66
	ds_load_2addr_b64 v[113:116], v90 offset0:67 offset1:68
	s_waitcnt lgkmcnt(1)
	v_fma_f64 v[109:110], v[99:100], v[109:110], v[97:98]
	scratch_load_b128 v[97:100], off, off offset:240
	s_waitcnt vmcnt(4)
	v_fma_f64 v[0:1], v[0:1], v[111:112], v[109:110]
	scratch_load_b128 v[109:112], off, off offset:256
	s_waitcnt lgkmcnt(0)
	v_fma_f64 v[0:1], v[2:3], v[113:114], v[0:1]
	s_waitcnt vmcnt(4)
	s_delay_alu instid0(VALU_DEP_1)
	v_fma_f64 v[101:102], v[101:102], v[115:116], v[0:1]
	ds_load_2addr_b64 v[0:3], v90 offset0:69 offset1:70
	ds_load_2addr_b64 v[113:116], v90 offset0:71 offset1:72
	s_waitcnt lgkmcnt(1)
	v_fma_f64 v[0:1], v[103:104], v[0:1], v[101:102]
	scratch_load_b128 v[101:104], off, off offset:272
	s_waitcnt vmcnt(4)
	v_fma_f64 v[0:1], v[93:94], v[2:3], v[0:1]
	s_waitcnt lgkmcnt(0)
	s_delay_alu instid0(VALU_DEP_1)
	v_fma_f64 v[0:1], v[95:96], v[113:114], v[0:1]
	scratch_load_b128 v[93:96], off, off offset:288
	s_waitcnt vmcnt(4)
	v_fma_f64 v[105:106], v[105:106], v[115:116], v[0:1]
	ds_load_2addr_b64 v[0:3], v90 offset0:73 offset1:74
	ds_load_2addr_b64 v[113:116], v90 offset0:75 offset1:76
	s_waitcnt lgkmcnt(1)
	v_fma_f64 v[0:1], v[107:108], v[0:1], v[105:106]
	scratch_load_b128 v[105:108], off, off offset:304
	s_waitcnt vmcnt(4)
	v_fma_f64 v[0:1], v[97:98], v[2:3], v[0:1]
	s_waitcnt lgkmcnt(0)
	s_delay_alu instid0(VALU_DEP_1)
	v_fma_f64 v[97:98], v[99:100], v[113:114], v[0:1]
	scratch_load_b128 v[0:3], off, off offset:320
	s_waitcnt vmcnt(4)
	v_fma_f64 v[109:110], v[109:110], v[115:116], v[97:98]
	ds_load_2addr_b64 v[97:100], v90 offset0:77 offset1:78
	ds_load_2addr_b64 v[113:116], v90 offset0:79 offset1:80
	s_waitcnt lgkmcnt(1)
	v_fma_f64 v[97:98], v[111:112], v[97:98], v[109:110]
	scratch_load_b64 v[109:110], off, off offset:336
	s_waitcnt vmcnt(4)
	v_fma_f64 v[97:98], v[101:102], v[99:100], v[97:98]
	s_waitcnt lgkmcnt(0)
	s_delay_alu instid0(VALU_DEP_1) | instskip(SKIP_1) | instid1(VALU_DEP_1)
	v_fma_f64 v[97:98], v[103:104], v[113:114], v[97:98]
	s_waitcnt vmcnt(3)
	v_fma_f64 v[93:94], v[93:94], v[115:116], v[97:98]
	ds_load_2addr_b64 v[97:100], v90 offset0:81 offset1:82
	ds_load_2addr_b64 v[101:104], v90 offset0:83 offset1:84
	s_waitcnt lgkmcnt(1)
	v_fma_f64 v[93:94], v[95:96], v[97:98], v[93:94]
	s_waitcnt vmcnt(2)
	s_delay_alu instid0(VALU_DEP_1) | instskip(SKIP_1) | instid1(VALU_DEP_1)
	v_fma_f64 v[93:94], v[105:106], v[99:100], v[93:94]
	s_waitcnt lgkmcnt(0)
	v_fma_f64 v[93:94], v[107:108], v[101:102], v[93:94]
	s_waitcnt vmcnt(1)
	s_delay_alu instid0(VALU_DEP_1) | instskip(SKIP_4) | instid1(VALU_DEP_1)
	v_fma_f64 v[0:1], v[0:1], v[103:104], v[93:94]
	ds_load_2addr_b64 v[93:96], v90 offset0:85 offset1:86
	s_waitcnt lgkmcnt(0)
	v_fma_f64 v[0:1], v[2:3], v[93:94], v[0:1]
	s_waitcnt vmcnt(0)
	v_fma_f64 v[0:1], v[109:110], v[95:96], v[0:1]
	s_delay_alu instid0(VALU_DEP_1)
	v_add_f64 v[0:1], v[91:92], -v[0:1]
	scratch_store_b64 off, v[0:1], off
	s_cbranch_vccz .LBB42_353
; %bb.268:
	v_dual_mov_b32 v0, s12 :: v_dual_mov_b32 v1, s13
	s_mov_b32 s0, exec_lo
	flat_load_b32 v0, v[0:1] offset:164
	s_waitcnt vmcnt(0) lgkmcnt(0)
	v_cmpx_ne_u32_e32 42, v0
	s_cbranch_execz .LBB42_270
; %bb.269:
	v_lshl_add_u32 v90, v0, 3, 0
	scratch_load_b64 v[0:1], v90, off offset:-8
	s_waitcnt vmcnt(0)
	scratch_store_b64 off, v[0:1], off offset:328
	scratch_store_b64 v90, v[2:3], off offset:-8
.LBB42_270:
	s_or_b32 exec_lo, exec_lo, s0
	v_dual_mov_b32 v0, s12 :: v_dual_mov_b32 v1, s13
	s_mov_b32 s0, exec_lo
	flat_load_b32 v0, v[0:1] offset:160
	s_waitcnt vmcnt(0) lgkmcnt(0)
	v_cmpx_ne_u32_e32 41, v0
	s_cbranch_execz .LBB42_272
; %bb.271:
	v_lshl_add_u32 v90, v0, 3, 0
	scratch_load_b64 v[0:1], v90, off offset:-8
	scratch_load_b64 v[2:3], off, off offset:320
	s_waitcnt vmcnt(1)
	scratch_store_b64 off, v[0:1], off offset:320
	s_waitcnt vmcnt(0)
	scratch_store_b64 v90, v[2:3], off offset:-8
.LBB42_272:
	s_or_b32 exec_lo, exec_lo, s0
	v_dual_mov_b32 v0, s12 :: v_dual_mov_b32 v1, s13
	s_mov_b32 s0, exec_lo
	flat_load_b32 v0, v[0:1] offset:156
	s_waitcnt vmcnt(0) lgkmcnt(0)
	v_cmpx_ne_u32_e32 40, v0
	s_cbranch_execz .LBB42_274
; %bb.273:
	v_lshl_add_u32 v90, v0, 3, 0
	scratch_load_b64 v[0:1], v90, off offset:-8
	scratch_load_b64 v[2:3], off, off offset:312
	s_waitcnt vmcnt(1)
	scratch_store_b64 off, v[0:1], off offset:312
	s_waitcnt vmcnt(0)
	scratch_store_b64 v90, v[2:3], off offset:-8
.LBB42_274:
	s_or_b32 exec_lo, exec_lo, s0
	v_dual_mov_b32 v0, s12 :: v_dual_mov_b32 v1, s13
	s_mov_b32 s0, exec_lo
	flat_load_b32 v0, v[0:1] offset:152
	s_waitcnt vmcnt(0) lgkmcnt(0)
	v_cmpx_ne_u32_e32 39, v0
	s_cbranch_execz .LBB42_276
; %bb.275:
	v_lshl_add_u32 v90, v0, 3, 0
	scratch_load_b64 v[0:1], v90, off offset:-8
	scratch_load_b64 v[2:3], off, off offset:304
	s_waitcnt vmcnt(1)
	scratch_store_b64 off, v[0:1], off offset:304
	s_waitcnt vmcnt(0)
	scratch_store_b64 v90, v[2:3], off offset:-8
.LBB42_276:
	s_or_b32 exec_lo, exec_lo, s0
	v_dual_mov_b32 v0, s12 :: v_dual_mov_b32 v1, s13
	s_mov_b32 s0, exec_lo
	flat_load_b32 v0, v[0:1] offset:148
	s_waitcnt vmcnt(0) lgkmcnt(0)
	v_cmpx_ne_u32_e32 38, v0
	s_cbranch_execz .LBB42_278
; %bb.277:
	v_lshl_add_u32 v90, v0, 3, 0
	scratch_load_b64 v[0:1], v90, off offset:-8
	scratch_load_b64 v[2:3], off, off offset:296
	s_waitcnt vmcnt(1)
	scratch_store_b64 off, v[0:1], off offset:296
	s_waitcnt vmcnt(0)
	scratch_store_b64 v90, v[2:3], off offset:-8
.LBB42_278:
	s_or_b32 exec_lo, exec_lo, s0
	v_dual_mov_b32 v0, s12 :: v_dual_mov_b32 v1, s13
	s_mov_b32 s0, exec_lo
	flat_load_b32 v0, v[0:1] offset:144
	s_waitcnt vmcnt(0) lgkmcnt(0)
	v_cmpx_ne_u32_e32 37, v0
	s_cbranch_execz .LBB42_280
; %bb.279:
	v_lshl_add_u32 v90, v0, 3, 0
	scratch_load_b64 v[0:1], v90, off offset:-8
	scratch_load_b64 v[2:3], off, off offset:288
	s_waitcnt vmcnt(1)
	scratch_store_b64 off, v[0:1], off offset:288
	s_waitcnt vmcnt(0)
	scratch_store_b64 v90, v[2:3], off offset:-8
.LBB42_280:
	s_or_b32 exec_lo, exec_lo, s0
	v_dual_mov_b32 v0, s12 :: v_dual_mov_b32 v1, s13
	s_mov_b32 s0, exec_lo
	flat_load_b32 v0, v[0:1] offset:140
	s_waitcnt vmcnt(0) lgkmcnt(0)
	v_cmpx_ne_u32_e32 36, v0
	s_cbranch_execz .LBB42_282
; %bb.281:
	v_lshl_add_u32 v90, v0, 3, 0
	scratch_load_b64 v[0:1], v90, off offset:-8
	scratch_load_b64 v[2:3], off, off offset:280
	s_waitcnt vmcnt(1)
	scratch_store_b64 off, v[0:1], off offset:280
	s_waitcnt vmcnt(0)
	scratch_store_b64 v90, v[2:3], off offset:-8
.LBB42_282:
	s_or_b32 exec_lo, exec_lo, s0
	v_dual_mov_b32 v0, s12 :: v_dual_mov_b32 v1, s13
	s_mov_b32 s0, exec_lo
	flat_load_b32 v0, v[0:1] offset:136
	s_waitcnt vmcnt(0) lgkmcnt(0)
	v_cmpx_ne_u32_e32 35, v0
	s_cbranch_execz .LBB42_284
; %bb.283:
	v_lshl_add_u32 v90, v0, 3, 0
	scratch_load_b64 v[0:1], v90, off offset:-8
	scratch_load_b64 v[2:3], off, off offset:272
	s_waitcnt vmcnt(1)
	scratch_store_b64 off, v[0:1], off offset:272
	s_waitcnt vmcnt(0)
	scratch_store_b64 v90, v[2:3], off offset:-8
.LBB42_284:
	s_or_b32 exec_lo, exec_lo, s0
	v_dual_mov_b32 v0, s12 :: v_dual_mov_b32 v1, s13
	s_mov_b32 s0, exec_lo
	flat_load_b32 v0, v[0:1] offset:132
	s_waitcnt vmcnt(0) lgkmcnt(0)
	v_cmpx_ne_u32_e32 34, v0
	s_cbranch_execz .LBB42_286
; %bb.285:
	v_lshl_add_u32 v90, v0, 3, 0
	scratch_load_b64 v[0:1], v90, off offset:-8
	scratch_load_b64 v[2:3], off, off offset:264
	s_waitcnt vmcnt(1)
	scratch_store_b64 off, v[0:1], off offset:264
	s_waitcnt vmcnt(0)
	scratch_store_b64 v90, v[2:3], off offset:-8
.LBB42_286:
	s_or_b32 exec_lo, exec_lo, s0
	v_dual_mov_b32 v0, s12 :: v_dual_mov_b32 v1, s13
	s_mov_b32 s0, exec_lo
	flat_load_b32 v0, v[0:1] offset:128
	s_waitcnt vmcnt(0) lgkmcnt(0)
	v_cmpx_ne_u32_e32 33, v0
	s_cbranch_execz .LBB42_288
; %bb.287:
	v_lshl_add_u32 v90, v0, 3, 0
	scratch_load_b64 v[0:1], v90, off offset:-8
	scratch_load_b64 v[2:3], off, off offset:256
	s_waitcnt vmcnt(1)
	scratch_store_b64 off, v[0:1], off offset:256
	s_waitcnt vmcnt(0)
	scratch_store_b64 v90, v[2:3], off offset:-8
.LBB42_288:
	s_or_b32 exec_lo, exec_lo, s0
	v_dual_mov_b32 v0, s12 :: v_dual_mov_b32 v1, s13
	s_mov_b32 s0, exec_lo
	flat_load_b32 v0, v[0:1] offset:124
	s_waitcnt vmcnt(0) lgkmcnt(0)
	v_cmpx_ne_u32_e32 32, v0
	s_cbranch_execz .LBB42_290
; %bb.289:
	v_lshl_add_u32 v90, v0, 3, 0
	scratch_load_b64 v[0:1], v90, off offset:-8
	scratch_load_b64 v[2:3], off, off offset:248
	s_waitcnt vmcnt(1)
	scratch_store_b64 off, v[0:1], off offset:248
	s_waitcnt vmcnt(0)
	scratch_store_b64 v90, v[2:3], off offset:-8
.LBB42_290:
	s_or_b32 exec_lo, exec_lo, s0
	v_dual_mov_b32 v0, s12 :: v_dual_mov_b32 v1, s13
	s_mov_b32 s0, exec_lo
	flat_load_b32 v0, v[0:1] offset:120
	s_waitcnt vmcnt(0) lgkmcnt(0)
	v_cmpx_ne_u32_e32 31, v0
	s_cbranch_execz .LBB42_292
; %bb.291:
	v_lshl_add_u32 v90, v0, 3, 0
	scratch_load_b64 v[0:1], v90, off offset:-8
	scratch_load_b64 v[2:3], off, off offset:240
	s_waitcnt vmcnt(1)
	scratch_store_b64 off, v[0:1], off offset:240
	s_waitcnt vmcnt(0)
	scratch_store_b64 v90, v[2:3], off offset:-8
.LBB42_292:
	s_or_b32 exec_lo, exec_lo, s0
	v_dual_mov_b32 v0, s12 :: v_dual_mov_b32 v1, s13
	s_mov_b32 s0, exec_lo
	flat_load_b32 v0, v[0:1] offset:116
	s_waitcnt vmcnt(0) lgkmcnt(0)
	v_cmpx_ne_u32_e32 30, v0
	s_cbranch_execz .LBB42_294
; %bb.293:
	v_lshl_add_u32 v90, v0, 3, 0
	scratch_load_b64 v[0:1], v90, off offset:-8
	scratch_load_b64 v[2:3], off, off offset:232
	s_waitcnt vmcnt(1)
	scratch_store_b64 off, v[0:1], off offset:232
	s_waitcnt vmcnt(0)
	scratch_store_b64 v90, v[2:3], off offset:-8
.LBB42_294:
	s_or_b32 exec_lo, exec_lo, s0
	v_dual_mov_b32 v0, s12 :: v_dual_mov_b32 v1, s13
	s_mov_b32 s0, exec_lo
	flat_load_b32 v0, v[0:1] offset:112
	s_waitcnt vmcnt(0) lgkmcnt(0)
	v_cmpx_ne_u32_e32 29, v0
	s_cbranch_execz .LBB42_296
; %bb.295:
	v_lshl_add_u32 v90, v0, 3, 0
	scratch_load_b64 v[0:1], v90, off offset:-8
	scratch_load_b64 v[2:3], off, off offset:224
	s_waitcnt vmcnt(1)
	scratch_store_b64 off, v[0:1], off offset:224
	s_waitcnt vmcnt(0)
	scratch_store_b64 v90, v[2:3], off offset:-8
.LBB42_296:
	s_or_b32 exec_lo, exec_lo, s0
	v_dual_mov_b32 v0, s12 :: v_dual_mov_b32 v1, s13
	s_mov_b32 s0, exec_lo
	flat_load_b32 v0, v[0:1] offset:108
	s_waitcnt vmcnt(0) lgkmcnt(0)
	v_cmpx_ne_u32_e32 28, v0
	s_cbranch_execz .LBB42_298
; %bb.297:
	v_lshl_add_u32 v90, v0, 3, 0
	scratch_load_b64 v[0:1], v90, off offset:-8
	scratch_load_b64 v[2:3], off, off offset:216
	s_waitcnt vmcnt(1)
	scratch_store_b64 off, v[0:1], off offset:216
	s_waitcnt vmcnt(0)
	scratch_store_b64 v90, v[2:3], off offset:-8
.LBB42_298:
	s_or_b32 exec_lo, exec_lo, s0
	v_dual_mov_b32 v0, s12 :: v_dual_mov_b32 v1, s13
	s_mov_b32 s0, exec_lo
	flat_load_b32 v0, v[0:1] offset:104
	s_waitcnt vmcnt(0) lgkmcnt(0)
	v_cmpx_ne_u32_e32 27, v0
	s_cbranch_execz .LBB42_300
; %bb.299:
	v_lshl_add_u32 v90, v0, 3, 0
	scratch_load_b64 v[0:1], v90, off offset:-8
	scratch_load_b64 v[2:3], off, off offset:208
	s_waitcnt vmcnt(1)
	scratch_store_b64 off, v[0:1], off offset:208
	s_waitcnt vmcnt(0)
	scratch_store_b64 v90, v[2:3], off offset:-8
.LBB42_300:
	s_or_b32 exec_lo, exec_lo, s0
	v_dual_mov_b32 v0, s12 :: v_dual_mov_b32 v1, s13
	s_mov_b32 s0, exec_lo
	flat_load_b32 v0, v[0:1] offset:100
	s_waitcnt vmcnt(0) lgkmcnt(0)
	v_cmpx_ne_u32_e32 26, v0
	s_cbranch_execz .LBB42_302
; %bb.301:
	v_lshl_add_u32 v90, v0, 3, 0
	scratch_load_b64 v[0:1], v90, off offset:-8
	scratch_load_b64 v[2:3], off, off offset:200
	s_waitcnt vmcnt(1)
	scratch_store_b64 off, v[0:1], off offset:200
	s_waitcnt vmcnt(0)
	scratch_store_b64 v90, v[2:3], off offset:-8
.LBB42_302:
	s_or_b32 exec_lo, exec_lo, s0
	v_dual_mov_b32 v0, s12 :: v_dual_mov_b32 v1, s13
	s_mov_b32 s0, exec_lo
	flat_load_b32 v0, v[0:1] offset:96
	s_waitcnt vmcnt(0) lgkmcnt(0)
	v_cmpx_ne_u32_e32 25, v0
	s_cbranch_execz .LBB42_304
; %bb.303:
	v_lshl_add_u32 v90, v0, 3, 0
	scratch_load_b64 v[0:1], v90, off offset:-8
	scratch_load_b64 v[2:3], off, off offset:192
	s_waitcnt vmcnt(1)
	scratch_store_b64 off, v[0:1], off offset:192
	s_waitcnt vmcnt(0)
	scratch_store_b64 v90, v[2:3], off offset:-8
.LBB42_304:
	s_or_b32 exec_lo, exec_lo, s0
	v_dual_mov_b32 v0, s12 :: v_dual_mov_b32 v1, s13
	s_mov_b32 s0, exec_lo
	flat_load_b32 v0, v[0:1] offset:92
	s_waitcnt vmcnt(0) lgkmcnt(0)
	v_cmpx_ne_u32_e32 24, v0
	s_cbranch_execz .LBB42_306
; %bb.305:
	v_lshl_add_u32 v90, v0, 3, 0
	scratch_load_b64 v[0:1], v90, off offset:-8
	scratch_load_b64 v[2:3], off, off offset:184
	s_waitcnt vmcnt(1)
	scratch_store_b64 off, v[0:1], off offset:184
	s_waitcnt vmcnt(0)
	scratch_store_b64 v90, v[2:3], off offset:-8
.LBB42_306:
	s_or_b32 exec_lo, exec_lo, s0
	v_dual_mov_b32 v0, s12 :: v_dual_mov_b32 v1, s13
	s_mov_b32 s0, exec_lo
	flat_load_b32 v0, v[0:1] offset:88
	s_waitcnt vmcnt(0) lgkmcnt(0)
	v_cmpx_ne_u32_e32 23, v0
	s_cbranch_execz .LBB42_308
; %bb.307:
	v_lshl_add_u32 v90, v0, 3, 0
	scratch_load_b64 v[0:1], v90, off offset:-8
	scratch_load_b64 v[2:3], off, off offset:176
	s_waitcnt vmcnt(1)
	scratch_store_b64 off, v[0:1], off offset:176
	s_waitcnt vmcnt(0)
	scratch_store_b64 v90, v[2:3], off offset:-8
.LBB42_308:
	s_or_b32 exec_lo, exec_lo, s0
	v_dual_mov_b32 v0, s12 :: v_dual_mov_b32 v1, s13
	s_mov_b32 s0, exec_lo
	flat_load_b32 v0, v[0:1] offset:84
	s_waitcnt vmcnt(0) lgkmcnt(0)
	v_cmpx_ne_u32_e32 22, v0
	s_cbranch_execz .LBB42_310
; %bb.309:
	v_lshl_add_u32 v90, v0, 3, 0
	scratch_load_b64 v[0:1], v90, off offset:-8
	scratch_load_b64 v[2:3], off, off offset:168
	s_waitcnt vmcnt(1)
	scratch_store_b64 off, v[0:1], off offset:168
	s_waitcnt vmcnt(0)
	scratch_store_b64 v90, v[2:3], off offset:-8
.LBB42_310:
	s_or_b32 exec_lo, exec_lo, s0
	v_dual_mov_b32 v0, s12 :: v_dual_mov_b32 v1, s13
	s_mov_b32 s0, exec_lo
	flat_load_b32 v0, v[0:1] offset:80
	s_waitcnt vmcnt(0) lgkmcnt(0)
	v_cmpx_ne_u32_e32 21, v0
	s_cbranch_execz .LBB42_312
; %bb.311:
	v_lshl_add_u32 v90, v0, 3, 0
	scratch_load_b64 v[0:1], v90, off offset:-8
	scratch_load_b64 v[2:3], off, off offset:160
	s_waitcnt vmcnt(1)
	scratch_store_b64 off, v[0:1], off offset:160
	s_waitcnt vmcnt(0)
	scratch_store_b64 v90, v[2:3], off offset:-8
.LBB42_312:
	s_or_b32 exec_lo, exec_lo, s0
	v_dual_mov_b32 v0, s12 :: v_dual_mov_b32 v1, s13
	s_mov_b32 s0, exec_lo
	flat_load_b32 v0, v[0:1] offset:76
	s_waitcnt vmcnt(0) lgkmcnt(0)
	v_cmpx_ne_u32_e32 20, v0
	s_cbranch_execz .LBB42_314
; %bb.313:
	v_lshl_add_u32 v90, v0, 3, 0
	scratch_load_b64 v[0:1], v90, off offset:-8
	scratch_load_b64 v[2:3], off, off offset:152
	s_waitcnt vmcnt(1)
	scratch_store_b64 off, v[0:1], off offset:152
	s_waitcnt vmcnt(0)
	scratch_store_b64 v90, v[2:3], off offset:-8
.LBB42_314:
	s_or_b32 exec_lo, exec_lo, s0
	v_dual_mov_b32 v0, s12 :: v_dual_mov_b32 v1, s13
	s_mov_b32 s0, exec_lo
	flat_load_b32 v0, v[0:1] offset:72
	s_waitcnt vmcnt(0) lgkmcnt(0)
	v_cmpx_ne_u32_e32 19, v0
	s_cbranch_execz .LBB42_316
; %bb.315:
	v_lshl_add_u32 v90, v0, 3, 0
	scratch_load_b64 v[0:1], v90, off offset:-8
	scratch_load_b64 v[2:3], off, off offset:144
	s_waitcnt vmcnt(1)
	scratch_store_b64 off, v[0:1], off offset:144
	s_waitcnt vmcnt(0)
	scratch_store_b64 v90, v[2:3], off offset:-8
.LBB42_316:
	s_or_b32 exec_lo, exec_lo, s0
	v_dual_mov_b32 v0, s12 :: v_dual_mov_b32 v1, s13
	s_mov_b32 s0, exec_lo
	flat_load_b32 v0, v[0:1] offset:68
	s_waitcnt vmcnt(0) lgkmcnt(0)
	v_cmpx_ne_u32_e32 18, v0
	s_cbranch_execz .LBB42_318
; %bb.317:
	v_lshl_add_u32 v90, v0, 3, 0
	scratch_load_b64 v[0:1], v90, off offset:-8
	scratch_load_b64 v[2:3], off, off offset:136
	s_waitcnt vmcnt(1)
	scratch_store_b64 off, v[0:1], off offset:136
	s_waitcnt vmcnt(0)
	scratch_store_b64 v90, v[2:3], off offset:-8
.LBB42_318:
	s_or_b32 exec_lo, exec_lo, s0
	v_dual_mov_b32 v0, s12 :: v_dual_mov_b32 v1, s13
	s_mov_b32 s0, exec_lo
	flat_load_b32 v0, v[0:1] offset:64
	s_waitcnt vmcnt(0) lgkmcnt(0)
	v_cmpx_ne_u32_e32 17, v0
	s_cbranch_execz .LBB42_320
; %bb.319:
	v_lshl_add_u32 v90, v0, 3, 0
	scratch_load_b64 v[0:1], v90, off offset:-8
	scratch_load_b64 v[2:3], off, off offset:128
	s_waitcnt vmcnt(1)
	scratch_store_b64 off, v[0:1], off offset:128
	s_waitcnt vmcnt(0)
	scratch_store_b64 v90, v[2:3], off offset:-8
.LBB42_320:
	s_or_b32 exec_lo, exec_lo, s0
	v_dual_mov_b32 v0, s12 :: v_dual_mov_b32 v1, s13
	s_mov_b32 s0, exec_lo
	flat_load_b32 v0, v[0:1] offset:60
	s_waitcnt vmcnt(0) lgkmcnt(0)
	v_cmpx_ne_u32_e32 16, v0
	s_cbranch_execz .LBB42_322
; %bb.321:
	v_lshl_add_u32 v90, v0, 3, 0
	scratch_load_b64 v[0:1], v90, off offset:-8
	scratch_load_b64 v[2:3], off, off offset:120
	s_waitcnt vmcnt(1)
	scratch_store_b64 off, v[0:1], off offset:120
	s_waitcnt vmcnt(0)
	scratch_store_b64 v90, v[2:3], off offset:-8
.LBB42_322:
	s_or_b32 exec_lo, exec_lo, s0
	v_dual_mov_b32 v0, s12 :: v_dual_mov_b32 v1, s13
	s_mov_b32 s0, exec_lo
	flat_load_b32 v0, v[0:1] offset:56
	s_waitcnt vmcnt(0) lgkmcnt(0)
	v_cmpx_ne_u32_e32 15, v0
	s_cbranch_execz .LBB42_324
; %bb.323:
	v_lshl_add_u32 v90, v0, 3, 0
	scratch_load_b64 v[0:1], v90, off offset:-8
	scratch_load_b64 v[2:3], off, off offset:112
	s_waitcnt vmcnt(1)
	scratch_store_b64 off, v[0:1], off offset:112
	s_waitcnt vmcnt(0)
	scratch_store_b64 v90, v[2:3], off offset:-8
.LBB42_324:
	s_or_b32 exec_lo, exec_lo, s0
	v_dual_mov_b32 v0, s12 :: v_dual_mov_b32 v1, s13
	s_mov_b32 s0, exec_lo
	flat_load_b32 v0, v[0:1] offset:52
	s_waitcnt vmcnt(0) lgkmcnt(0)
	v_cmpx_ne_u32_e32 14, v0
	s_cbranch_execz .LBB42_326
; %bb.325:
	v_lshl_add_u32 v90, v0, 3, 0
	scratch_load_b64 v[0:1], v90, off offset:-8
	scratch_load_b64 v[2:3], off, off offset:104
	s_waitcnt vmcnt(1)
	scratch_store_b64 off, v[0:1], off offset:104
	s_waitcnt vmcnt(0)
	scratch_store_b64 v90, v[2:3], off offset:-8
.LBB42_326:
	s_or_b32 exec_lo, exec_lo, s0
	v_dual_mov_b32 v0, s12 :: v_dual_mov_b32 v1, s13
	s_mov_b32 s0, exec_lo
	flat_load_b32 v0, v[0:1] offset:48
	s_waitcnt vmcnt(0) lgkmcnt(0)
	v_cmpx_ne_u32_e32 13, v0
	s_cbranch_execz .LBB42_328
; %bb.327:
	v_lshl_add_u32 v90, v0, 3, 0
	scratch_load_b64 v[0:1], v90, off offset:-8
	scratch_load_b64 v[2:3], off, off offset:96
	s_waitcnt vmcnt(1)
	scratch_store_b64 off, v[0:1], off offset:96
	s_waitcnt vmcnt(0)
	scratch_store_b64 v90, v[2:3], off offset:-8
.LBB42_328:
	s_or_b32 exec_lo, exec_lo, s0
	v_dual_mov_b32 v0, s12 :: v_dual_mov_b32 v1, s13
	s_mov_b32 s0, exec_lo
	flat_load_b32 v0, v[0:1] offset:44
	s_waitcnt vmcnt(0) lgkmcnt(0)
	v_cmpx_ne_u32_e32 12, v0
	s_cbranch_execz .LBB42_330
; %bb.329:
	v_lshl_add_u32 v90, v0, 3, 0
	scratch_load_b64 v[0:1], v90, off offset:-8
	scratch_load_b64 v[2:3], off, off offset:88
	s_waitcnt vmcnt(1)
	scratch_store_b64 off, v[0:1], off offset:88
	s_waitcnt vmcnt(0)
	scratch_store_b64 v90, v[2:3], off offset:-8
.LBB42_330:
	s_or_b32 exec_lo, exec_lo, s0
	v_dual_mov_b32 v0, s12 :: v_dual_mov_b32 v1, s13
	s_mov_b32 s0, exec_lo
	flat_load_b32 v0, v[0:1] offset:40
	s_waitcnt vmcnt(0) lgkmcnt(0)
	v_cmpx_ne_u32_e32 11, v0
	s_cbranch_execz .LBB42_332
; %bb.331:
	v_lshl_add_u32 v90, v0, 3, 0
	scratch_load_b64 v[0:1], v90, off offset:-8
	scratch_load_b64 v[2:3], off, off offset:80
	s_waitcnt vmcnt(1)
	scratch_store_b64 off, v[0:1], off offset:80
	s_waitcnt vmcnt(0)
	scratch_store_b64 v90, v[2:3], off offset:-8
.LBB42_332:
	s_or_b32 exec_lo, exec_lo, s0
	v_dual_mov_b32 v0, s12 :: v_dual_mov_b32 v1, s13
	s_mov_b32 s0, exec_lo
	flat_load_b32 v0, v[0:1] offset:36
	s_waitcnt vmcnt(0) lgkmcnt(0)
	v_cmpx_ne_u32_e32 10, v0
	s_cbranch_execz .LBB42_334
; %bb.333:
	v_lshl_add_u32 v90, v0, 3, 0
	scratch_load_b64 v[0:1], v90, off offset:-8
	scratch_load_b64 v[2:3], off, off offset:72
	s_waitcnt vmcnt(1)
	scratch_store_b64 off, v[0:1], off offset:72
	s_waitcnt vmcnt(0)
	scratch_store_b64 v90, v[2:3], off offset:-8
.LBB42_334:
	s_or_b32 exec_lo, exec_lo, s0
	v_dual_mov_b32 v0, s12 :: v_dual_mov_b32 v1, s13
	s_mov_b32 s0, exec_lo
	flat_load_b32 v0, v[0:1] offset:32
	s_waitcnt vmcnt(0) lgkmcnt(0)
	v_cmpx_ne_u32_e32 9, v0
	s_cbranch_execz .LBB42_336
; %bb.335:
	v_lshl_add_u32 v90, v0, 3, 0
	scratch_load_b64 v[0:1], v90, off offset:-8
	scratch_load_b64 v[2:3], off, off offset:64
	s_waitcnt vmcnt(1)
	scratch_store_b64 off, v[0:1], off offset:64
	s_waitcnt vmcnt(0)
	scratch_store_b64 v90, v[2:3], off offset:-8
.LBB42_336:
	s_or_b32 exec_lo, exec_lo, s0
	v_dual_mov_b32 v0, s12 :: v_dual_mov_b32 v1, s13
	s_mov_b32 s0, exec_lo
	flat_load_b32 v0, v[0:1] offset:28
	s_waitcnt vmcnt(0) lgkmcnt(0)
	v_cmpx_ne_u32_e32 8, v0
	s_cbranch_execz .LBB42_338
; %bb.337:
	v_lshl_add_u32 v90, v0, 3, 0
	scratch_load_b64 v[0:1], v90, off offset:-8
	scratch_load_b64 v[2:3], off, off offset:56
	s_waitcnt vmcnt(1)
	scratch_store_b64 off, v[0:1], off offset:56
	s_waitcnt vmcnt(0)
	scratch_store_b64 v90, v[2:3], off offset:-8
.LBB42_338:
	s_or_b32 exec_lo, exec_lo, s0
	v_dual_mov_b32 v0, s12 :: v_dual_mov_b32 v1, s13
	s_mov_b32 s0, exec_lo
	flat_load_b32 v0, v[0:1] offset:24
	s_waitcnt vmcnt(0) lgkmcnt(0)
	v_cmpx_ne_u32_e32 7, v0
	s_cbranch_execz .LBB42_340
; %bb.339:
	v_lshl_add_u32 v90, v0, 3, 0
	scratch_load_b64 v[0:1], v90, off offset:-8
	scratch_load_b64 v[2:3], off, off offset:48
	s_waitcnt vmcnt(1)
	scratch_store_b64 off, v[0:1], off offset:48
	s_waitcnt vmcnt(0)
	scratch_store_b64 v90, v[2:3], off offset:-8
.LBB42_340:
	s_or_b32 exec_lo, exec_lo, s0
	v_dual_mov_b32 v0, s12 :: v_dual_mov_b32 v1, s13
	s_mov_b32 s0, exec_lo
	flat_load_b32 v0, v[0:1] offset:20
	s_waitcnt vmcnt(0) lgkmcnt(0)
	v_cmpx_ne_u32_e32 6, v0
	s_cbranch_execz .LBB42_342
; %bb.341:
	v_lshl_add_u32 v90, v0, 3, 0
	scratch_load_b64 v[0:1], v90, off offset:-8
	scratch_load_b64 v[2:3], off, off offset:40
	s_waitcnt vmcnt(1)
	scratch_store_b64 off, v[0:1], off offset:40
	s_waitcnt vmcnt(0)
	scratch_store_b64 v90, v[2:3], off offset:-8
.LBB42_342:
	s_or_b32 exec_lo, exec_lo, s0
	v_dual_mov_b32 v0, s12 :: v_dual_mov_b32 v1, s13
	s_mov_b32 s0, exec_lo
	flat_load_b32 v0, v[0:1] offset:16
	s_waitcnt vmcnt(0) lgkmcnt(0)
	v_cmpx_ne_u32_e32 5, v0
	s_cbranch_execz .LBB42_344
; %bb.343:
	v_lshl_add_u32 v90, v0, 3, 0
	scratch_load_b64 v[0:1], v90, off offset:-8
	scratch_load_b64 v[2:3], off, off offset:32
	s_waitcnt vmcnt(1)
	scratch_store_b64 off, v[0:1], off offset:32
	s_waitcnt vmcnt(0)
	scratch_store_b64 v90, v[2:3], off offset:-8
.LBB42_344:
	s_or_b32 exec_lo, exec_lo, s0
	v_dual_mov_b32 v0, s12 :: v_dual_mov_b32 v1, s13
	s_mov_b32 s0, exec_lo
	flat_load_b32 v0, v[0:1] offset:12
	s_waitcnt vmcnt(0) lgkmcnt(0)
	v_cmpx_ne_u32_e32 4, v0
	s_cbranch_execz .LBB42_346
; %bb.345:
	v_lshl_add_u32 v90, v0, 3, 0
	scratch_load_b64 v[0:1], v90, off offset:-8
	scratch_load_b64 v[2:3], off, off offset:24
	s_waitcnt vmcnt(1)
	scratch_store_b64 off, v[0:1], off offset:24
	s_waitcnt vmcnt(0)
	scratch_store_b64 v90, v[2:3], off offset:-8
.LBB42_346:
	s_or_b32 exec_lo, exec_lo, s0
	v_dual_mov_b32 v0, s12 :: v_dual_mov_b32 v1, s13
	s_mov_b32 s0, exec_lo
	flat_load_b32 v0, v[0:1] offset:8
	s_waitcnt vmcnt(0) lgkmcnt(0)
	v_cmpx_ne_u32_e32 3, v0
	s_cbranch_execz .LBB42_348
; %bb.347:
	v_lshl_add_u32 v90, v0, 3, 0
	scratch_load_b64 v[0:1], v90, off offset:-8
	scratch_load_b64 v[2:3], off, off offset:16
	s_waitcnt vmcnt(1)
	scratch_store_b64 off, v[0:1], off offset:16
	s_waitcnt vmcnt(0)
	scratch_store_b64 v90, v[2:3], off offset:-8
.LBB42_348:
	s_or_b32 exec_lo, exec_lo, s0
	v_dual_mov_b32 v0, s12 :: v_dual_mov_b32 v1, s13
	s_mov_b32 s0, exec_lo
	flat_load_b32 v0, v[0:1] offset:4
	s_waitcnt vmcnt(0) lgkmcnt(0)
	v_cmpx_ne_u32_e32 2, v0
	s_cbranch_execz .LBB42_350
; %bb.349:
	v_lshl_add_u32 v90, v0, 3, 0
	scratch_load_b64 v[0:1], v90, off offset:-8
	scratch_load_b64 v[2:3], off, off offset:8
	s_waitcnt vmcnt(1)
	scratch_store_b64 off, v[0:1], off offset:8
	s_waitcnt vmcnt(0)
	scratch_store_b64 v90, v[2:3], off offset:-8
.LBB42_350:
	s_or_b32 exec_lo, exec_lo, s0
	v_dual_mov_b32 v0, s12 :: v_dual_mov_b32 v1, s13
	s_mov_b32 s0, exec_lo
	flat_load_b32 v2, v[0:1]
	scratch_load_b64 v[0:1], off, off
	s_waitcnt vmcnt(1) lgkmcnt(0)
	v_cmpx_ne_u32_e32 1, v2
	s_cbranch_execz .LBB42_352
; %bb.351:
	v_lshl_add_u32 v90, v2, 3, 0
	scratch_load_b64 v[2:3], v90, off offset:-8
	s_waitcnt vmcnt(0)
	scratch_store_b64 off, v[2:3], off
	scratch_store_b64 v90, v[0:1], off offset:-8
	scratch_load_b64 v[0:1], off, off
.LBB42_352:
	s_or_b32 exec_lo, exec_lo, s0
.LBB42_353:
	s_clause 0x6
	scratch_load_b128 v[90:93], off, off offset:8
	scratch_load_b128 v[94:97], off, off offset:24
	;; [unrolled: 1-line block ×7, first 2 shown]
	s_waitcnt vmcnt(7)
	global_store_b64 v[4:5], v[0:1], off
	scratch_load_b128 v[0:3], off, off offset:120
	s_waitcnt vmcnt(7)
	s_clause 0x1
	global_store_b64 v[6:7], v[90:91], off
	global_store_b64 v[18:19], v[92:93], off
	s_clause 0x1
	scratch_load_b128 v[4:7], off, off offset:136
	scratch_load_b128 v[90:93], off, off offset:152
	s_waitcnt vmcnt(8)
	s_clause 0x1
	global_store_b64 v[12:13], v[94:95], off
	global_store_b64 v[14:15], v[96:97], off
	s_clause 0x1
	scratch_load_b128 v[12:15], off, off offset:168
	;; [unrolled: 7-line block ×6, first 2 shown]
	scratch_load_b128 v[28:31], off, off offset:312
	s_waitcnt vmcnt(13)
	s_clause 0x1
	global_store_b64 v[32:33], v[114:115], off
	global_store_b64 v[34:35], v[116:117], off
	scratch_load_b128 v[32:35], off, off offset:328
	s_waitcnt vmcnt(13)
	s_clause 0x1
	global_store_b64 v[36:37], v[0:1], off
	global_store_b64 v[38:39], v[2:3], off
	s_waitcnt vmcnt(12)
	s_clause 0x1
	global_store_b64 v[40:41], v[4:5], off
	global_store_b64 v[42:43], v[6:7], off
	;; [unrolled: 4-line block ×14, first 2 shown]
	s_endpgm
	.section	.rodata,"a",@progbits
	.p2align	6, 0x0
	.amdhsa_kernel _ZN9rocsolver6v33100L18getri_kernel_smallILi43EdPdEEvT1_iilPiilS4_bb
		.amdhsa_group_segment_fixed_size 696
		.amdhsa_private_segment_fixed_size 352
		.amdhsa_kernarg_size 60
		.amdhsa_user_sgpr_count 15
		.amdhsa_user_sgpr_dispatch_ptr 0
		.amdhsa_user_sgpr_queue_ptr 0
		.amdhsa_user_sgpr_kernarg_segment_ptr 1
		.amdhsa_user_sgpr_dispatch_id 0
		.amdhsa_user_sgpr_private_segment_size 0
		.amdhsa_wavefront_size32 1
		.amdhsa_uses_dynamic_stack 0
		.amdhsa_enable_private_segment 1
		.amdhsa_system_sgpr_workgroup_id_x 1
		.amdhsa_system_sgpr_workgroup_id_y 0
		.amdhsa_system_sgpr_workgroup_id_z 0
		.amdhsa_system_sgpr_workgroup_info 0
		.amdhsa_system_vgpr_workitem_id 0
		.amdhsa_next_free_vgpr 122
		.amdhsa_next_free_sgpr 18
		.amdhsa_reserve_vcc 1
		.amdhsa_float_round_mode_32 0
		.amdhsa_float_round_mode_16_64 0
		.amdhsa_float_denorm_mode_32 3
		.amdhsa_float_denorm_mode_16_64 3
		.amdhsa_dx10_clamp 1
		.amdhsa_ieee_mode 1
		.amdhsa_fp16_overflow 0
		.amdhsa_workgroup_processor_mode 1
		.amdhsa_memory_ordered 1
		.amdhsa_forward_progress 0
		.amdhsa_shared_vgpr_count 0
		.amdhsa_exception_fp_ieee_invalid_op 0
		.amdhsa_exception_fp_denorm_src 0
		.amdhsa_exception_fp_ieee_div_zero 0
		.amdhsa_exception_fp_ieee_overflow 0
		.amdhsa_exception_fp_ieee_underflow 0
		.amdhsa_exception_fp_ieee_inexact 0
		.amdhsa_exception_int_div_zero 0
	.end_amdhsa_kernel
	.section	.text._ZN9rocsolver6v33100L18getri_kernel_smallILi43EdPdEEvT1_iilPiilS4_bb,"axG",@progbits,_ZN9rocsolver6v33100L18getri_kernel_smallILi43EdPdEEvT1_iilPiilS4_bb,comdat
.Lfunc_end42:
	.size	_ZN9rocsolver6v33100L18getri_kernel_smallILi43EdPdEEvT1_iilPiilS4_bb, .Lfunc_end42-_ZN9rocsolver6v33100L18getri_kernel_smallILi43EdPdEEvT1_iilPiilS4_bb
                                        ; -- End function
	.section	.AMDGPU.csdata,"",@progbits
; Kernel info:
; codeLenInByte = 37892
; NumSgprs: 20
; NumVgprs: 122
; ScratchSize: 352
; MemoryBound: 0
; FloatMode: 240
; IeeeMode: 1
; LDSByteSize: 696 bytes/workgroup (compile time only)
; SGPRBlocks: 2
; VGPRBlocks: 15
; NumSGPRsForWavesPerEU: 20
; NumVGPRsForWavesPerEU: 122
; Occupancy: 10
; WaveLimiterHint : 1
; COMPUTE_PGM_RSRC2:SCRATCH_EN: 1
; COMPUTE_PGM_RSRC2:USER_SGPR: 15
; COMPUTE_PGM_RSRC2:TRAP_HANDLER: 0
; COMPUTE_PGM_RSRC2:TGID_X_EN: 1
; COMPUTE_PGM_RSRC2:TGID_Y_EN: 0
; COMPUTE_PGM_RSRC2:TGID_Z_EN: 0
; COMPUTE_PGM_RSRC2:TIDIG_COMP_CNT: 0
	.section	.text._ZN9rocsolver6v33100L18getri_kernel_smallILi44EdPdEEvT1_iilPiilS4_bb,"axG",@progbits,_ZN9rocsolver6v33100L18getri_kernel_smallILi44EdPdEEvT1_iilPiilS4_bb,comdat
	.globl	_ZN9rocsolver6v33100L18getri_kernel_smallILi44EdPdEEvT1_iilPiilS4_bb ; -- Begin function _ZN9rocsolver6v33100L18getri_kernel_smallILi44EdPdEEvT1_iilPiilS4_bb
	.p2align	8
	.type	_ZN9rocsolver6v33100L18getri_kernel_smallILi44EdPdEEvT1_iilPiilS4_bb,@function
_ZN9rocsolver6v33100L18getri_kernel_smallILi44EdPdEEvT1_iilPiilS4_bb: ; @_ZN9rocsolver6v33100L18getri_kernel_smallILi44EdPdEEvT1_iilPiilS4_bb
; %bb.0:
	s_mov_b32 s2, exec_lo
	v_cmpx_gt_u32_e32 44, v0
	s_cbranch_execz .LBB43_186
; %bb.1:
	s_clause 0x2
	s_load_b32 s17, s[0:1], 0x38
	s_load_b128 s[8:11], s[0:1], 0x10
	s_load_b128 s[4:7], s[0:1], 0x28
	s_mov_b32 s14, s15
                                        ; implicit-def: $sgpr12_sgpr13
	s_waitcnt lgkmcnt(0)
	s_bitcmp1_b32 s17, 8
	s_cselect_b32 s16, -1, 0
	s_bfe_u32 s2, s17, 0x10008
	s_ashr_i32 s15, s15, 31
	s_cmp_eq_u32 s2, 0
	s_cbranch_scc1 .LBB43_3
; %bb.2:
	s_load_b32 s2, s[0:1], 0x20
	s_mul_i32 s3, s14, s5
	s_mul_hi_u32 s5, s14, s4
	s_mul_i32 s12, s15, s4
	s_add_i32 s3, s5, s3
	s_mul_i32 s4, s14, s4
	s_add_i32 s5, s3, s12
	s_delay_alu instid0(SALU_CYCLE_1)
	s_lshl_b64 s[4:5], s[4:5], 2
	s_waitcnt lgkmcnt(0)
	s_ashr_i32 s3, s2, 31
	s_add_u32 s4, s10, s4
	s_addc_u32 s5, s11, s5
	s_lshl_b64 s[2:3], s[2:3], 2
	s_delay_alu instid0(SALU_CYCLE_1)
	s_add_u32 s12, s4, s2
	s_addc_u32 s13, s5, s3
.LBB43_3:
	s_load_b128 s[0:3], s[0:1], 0x0
	s_mul_i32 s4, s14, s9
	s_mul_hi_u32 s5, s14, s8
	s_mul_i32 s9, s15, s8
	s_add_i32 s5, s5, s4
	s_mul_i32 s4, s14, s8
	s_add_i32 s5, s5, s9
	v_lshlrev_b32_e32 v3, 3, v0
	s_lshl_b64 s[4:5], s[4:5], 3
	s_waitcnt lgkmcnt(0)
	s_ashr_i32 s9, s2, 31
	s_mov_b32 s8, s2
	s_add_u32 s2, s0, s4
	s_addc_u32 s5, s1, s5
	s_lshl_b64 s[0:1], s[8:9], 3
	s_mov_b32 s4, s3
	s_add_u32 s0, s2, s0
	s_addc_u32 s1, s5, s1
	v_add_co_u32 v6, s2, s0, v3
	s_ashr_i32 s5, s3, 31
	v_add_co_ci_u32_e64 v7, null, s1, 0, s2
	s_lshl_b64 s[4:5], s[4:5], 3
	v_add3_u32 v1, s3, s3, v0
	v_add_co_u32 v10, vcc_lo, v6, s4
	s_delay_alu instid0(VALU_DEP_3)
	v_add_co_ci_u32_e32 v11, vcc_lo, s5, v7, vcc_lo
	s_clause 0x1
	global_load_b64 v[28:29], v3, s[0:1]
	global_load_b64 v[30:31], v[10:11], off
	v_add_nc_u32_e32 v4, s3, v1
	v_ashrrev_i32_e32 v2, 31, v1
	s_bitcmp0_b32 s17, 0
	s_delay_alu instid0(VALU_DEP_2) | instskip(SKIP_1) | instid1(VALU_DEP_3)
	v_add_nc_u32_e32 v8, s3, v4
	v_ashrrev_i32_e32 v5, 31, v4
	v_lshlrev_b64 v[1:2], 3, v[1:2]
	s_delay_alu instid0(VALU_DEP_3) | instskip(NEXT) | instid1(VALU_DEP_3)
	v_add_nc_u32_e32 v12, s3, v8
	v_lshlrev_b64 v[4:5], 3, v[4:5]
	v_ashrrev_i32_e32 v9, 31, v8
	s_delay_alu instid0(VALU_DEP_4) | instskip(NEXT) | instid1(VALU_DEP_4)
	v_add_co_u32 v34, vcc_lo, s0, v1
	v_add_nc_u32_e32 v14, s3, v12
	v_add_co_ci_u32_e32 v35, vcc_lo, s1, v2, vcc_lo
	v_add_co_u32 v32, vcc_lo, s0, v4
	s_delay_alu instid0(VALU_DEP_3)
	v_add_nc_u32_e32 v16, s3, v14
	v_lshlrev_b64 v[1:2], 3, v[8:9]
	v_ashrrev_i32_e32 v13, 31, v12
	v_ashrrev_i32_e32 v15, 31, v14
	v_add_co_ci_u32_e32 v33, vcc_lo, s1, v5, vcc_lo
	v_add_nc_u32_e32 v20, s3, v16
	s_delay_alu instid0(VALU_DEP_4) | instskip(SKIP_2) | instid1(VALU_DEP_4)
	v_lshlrev_b64 v[8:9], 3, v[12:13]
	v_add_co_u32 v26, vcc_lo, s0, v1
	v_add_co_ci_u32_e32 v27, vcc_lo, s1, v2, vcc_lo
	v_add_nc_u32_e32 v22, s3, v20
	v_lshlrev_b64 v[1:2], 3, v[14:15]
	v_add_co_u32 v24, vcc_lo, s0, v8
	v_add_co_ci_u32_e32 v25, vcc_lo, s1, v9, vcc_lo
	s_delay_alu instid0(VALU_DEP_4) | instskip(NEXT) | instid1(VALU_DEP_4)
	v_add_nc_u32_e32 v40, s3, v22
	v_add_co_u32 v18, vcc_lo, s0, v1
	v_ashrrev_i32_e32 v17, 31, v16
	v_ashrrev_i32_e32 v21, 31, v20
	s_delay_alu instid0(VALU_DEP_4)
	v_add_nc_u32_e32 v42, s3, v40
	s_clause 0x1
	global_load_b64 v[36:37], v[34:35], off
	global_load_b64 v[38:39], v[32:33], off
	v_add_co_ci_u32_e32 v19, vcc_lo, s1, v2, vcc_lo
	v_lshlrev_b64 v[8:9], 3, v[16:17]
	v_add_nc_u32_e32 v60, s3, v42
	v_ashrrev_i32_e32 v23, 31, v22
	v_ashrrev_i32_e32 v41, 31, v40
	v_ashrrev_i32_e32 v43, 31, v42
	s_delay_alu instid0(VALU_DEP_4) | instskip(SKIP_2) | instid1(VALU_DEP_3)
	v_add_nc_u32_e32 v62, s3, v60
	v_add_co_u32 v14, vcc_lo, s0, v8
	v_add_co_ci_u32_e32 v15, vcc_lo, s1, v9, vcc_lo
	v_add_nc_u32_e32 v64, s3, v62
	v_lshlrev_b64 v[8:9], 3, v[20:21]
	v_lshlrev_b64 v[16:17], 3, v[22:23]
	s_clause 0x3
	global_load_b64 v[44:45], v[26:27], off
	global_load_b64 v[46:47], v[24:25], off
	;; [unrolled: 1-line block ×4, first 2 shown]
	v_lshlrev_b64 v[20:21], 3, v[40:41]
	v_add_nc_u32_e32 v66, s3, v64
	v_lshlrev_b64 v[22:23], 3, v[42:43]
	v_add_co_u32 v12, vcc_lo, s0, v8
	v_add_co_ci_u32_e32 v13, vcc_lo, s1, v9, vcc_lo
	s_delay_alu instid0(VALU_DEP_4) | instskip(SKIP_2) | instid1(VALU_DEP_3)
	v_add_nc_u32_e32 v68, s3, v66
	v_add_co_u32 v16, vcc_lo, s0, v16
	v_add_co_ci_u32_e32 v17, vcc_lo, s1, v17, vcc_lo
	v_add_nc_u32_e32 v70, s3, v68
	v_add_co_u32 v20, vcc_lo, s0, v20
	v_add_co_ci_u32_e32 v21, vcc_lo, s1, v21, vcc_lo
	s_delay_alu instid0(VALU_DEP_3)
	v_add_nc_u32_e32 v72, s3, v70
	s_clause 0x1
	global_load_b64 v[52:53], v[12:13], off
	global_load_b64 v[54:55], v[16:17], off
	v_ashrrev_i32_e32 v61, 31, v60
	v_ashrrev_i32_e32 v63, 31, v62
	v_add_nc_u32_e32 v74, s3, v72
	v_ashrrev_i32_e32 v65, 31, v64
	v_ashrrev_i32_e32 v67, 31, v66
	;; [unrolled: 1-line block ×4, first 2 shown]
	v_add_nc_u32_e32 v76, s3, v74
	v_lshlrev_b64 v[40:41], 3, v[64:65]
	v_ashrrev_i32_e32 v73, 31, v72
	v_ashrrev_i32_e32 v75, 31, v74
	v_lshlrev_b64 v[42:43], 3, v[70:71]
	v_add_nc_u32_e32 v78, s3, v76
	v_ashrrev_i32_e32 v77, 31, v76
	s_delay_alu instid0(VALU_DEP_2) | instskip(SKIP_1) | instid1(VALU_DEP_2)
	v_add_nc_u32_e32 v80, s3, v78
	v_ashrrev_i32_e32 v79, 31, v78
	v_add_nc_u32_e32 v82, s3, v80
	v_ashrrev_i32_e32 v81, 31, v80
	s_delay_alu instid0(VALU_DEP_2) | instskip(SKIP_1) | instid1(VALU_DEP_2)
	v_add_nc_u32_e32 v84, s3, v82
	v_ashrrev_i32_e32 v83, 31, v82
	;; [unrolled: 5-line block ×7, first 2 shown]
	v_add_nc_u32_e32 v110, s3, v4
	v_ashrrev_i32_e32 v5, 31, v4
	s_delay_alu instid0(VALU_DEP_2) | instskip(NEXT) | instid1(VALU_DEP_2)
	v_add_nc_u32_e32 v112, s3, v110
	v_lshlrev_b64 v[4:5], 3, v[4:5]
	v_ashrrev_i32_e32 v111, 31, v110
	s_delay_alu instid0(VALU_DEP_3) | instskip(SKIP_1) | instid1(VALU_DEP_2)
	v_add_nc_u32_e32 v114, s3, v112
	v_ashrrev_i32_e32 v113, 31, v112
	v_add_nc_u32_e32 v1, s3, v114
	v_ashrrev_i32_e32 v115, 31, v114
	s_delay_alu instid0(VALU_DEP_2) | instskip(SKIP_1) | instid1(VALU_DEP_2)
	v_add_nc_u32_e32 v116, s3, v1
	v_ashrrev_i32_e32 v2, 31, v1
	v_add_nc_u32_e32 v118, s3, v116
	s_delay_alu instid0(VALU_DEP_2) | instskip(SKIP_1) | instid1(VALU_DEP_3)
	v_lshlrev_b64 v[1:2], 3, v[1:2]
	v_ashrrev_i32_e32 v117, 31, v116
	v_add_nc_u32_e32 v120, s3, v118
	v_ashrrev_i32_e32 v119, 31, v118
	s_delay_alu instid0(VALU_DEP_2) | instskip(SKIP_1) | instid1(VALU_DEP_2)
	v_add_nc_u32_e32 v122, s3, v120
	v_ashrrev_i32_e32 v121, 31, v120
	v_add_nc_u32_e32 v8, s3, v122
	v_ashrrev_i32_e32 v123, 31, v122
	s_delay_alu instid0(VALU_DEP_2) | instskip(NEXT) | instid1(VALU_DEP_1)
	v_ashrrev_i32_e32 v9, 31, v8
	v_lshlrev_b64 v[8:9], 3, v[8:9]
	s_delay_alu instid0(VALU_DEP_1) | instskip(NEXT) | instid1(VALU_DEP_2)
	v_add_co_u32 v8, vcc_lo, s0, v8
	v_add_co_ci_u32_e32 v9, vcc_lo, s1, v9, vcc_lo
	v_add_co_u32 v22, vcc_lo, s0, v22
	v_add_co_ci_u32_e32 v23, vcc_lo, s1, v23, vcc_lo
	global_load_b64 v[96:97], v[8:9], off
	s_waitcnt vmcnt(9)
	scratch_store_b128 off, v[28:31], off
	s_clause 0x1
	global_load_b64 v[56:57], v[20:21], off
	global_load_b64 v[58:59], v[22:23], off
	v_lshlrev_b64 v[28:29], 3, v[60:61]
	v_lshlrev_b64 v[30:31], 3, v[62:63]
	s_delay_alu instid0(VALU_DEP_2) | instskip(NEXT) | instid1(VALU_DEP_3)
	v_add_co_u32 v28, vcc_lo, s0, v28
	v_add_co_ci_u32_e32 v29, vcc_lo, s1, v29, vcc_lo
	s_delay_alu instid0(VALU_DEP_3) | instskip(NEXT) | instid1(VALU_DEP_4)
	v_add_co_u32 v30, vcc_lo, s0, v30
	v_add_co_ci_u32_e32 v31, vcc_lo, s1, v31, vcc_lo
	s_clause 0x1
	global_load_b64 v[60:61], v[28:29], off
	global_load_b64 v[62:63], v[30:31], off
	s_waitcnt vmcnt(11)
	scratch_store_b128 off, v[36:39], off offset:16
	v_lshlrev_b64 v[38:39], 3, v[66:67]
	v_add_co_u32 v36, vcc_lo, s0, v40
	v_add_co_ci_u32_e32 v37, vcc_lo, s1, v41, vcc_lo
	v_lshlrev_b64 v[40:41], 3, v[68:69]
	s_delay_alu instid0(VALU_DEP_4)
	v_add_co_u32 v38, vcc_lo, s0, v38
	v_add_co_ci_u32_e32 v39, vcc_lo, s1, v39, vcc_lo
	s_waitcnt vmcnt(9)
	scratch_store_b128 off, v[44:47], off offset:32
	s_waitcnt vmcnt(7)
	scratch_store_b128 off, v[48:51], off offset:48
	v_add_co_u32 v40, vcc_lo, s0, v40
	v_add_co_ci_u32_e32 v41, vcc_lo, s1, v41, vcc_lo
	v_add_co_u32 v42, vcc_lo, s0, v42
	v_add_co_ci_u32_e32 v43, vcc_lo, s1, v43, vcc_lo
	v_lshlrev_b64 v[44:45], 3, v[72:73]
	s_clause 0x3
	global_load_b64 v[64:65], v[36:37], off
	global_load_b64 v[66:67], v[38:39], off
	global_load_b64 v[68:69], v[40:41], off
	global_load_b64 v[70:71], v[42:43], off
	v_lshlrev_b64 v[46:47], 3, v[74:75]
	v_lshlrev_b64 v[48:49], 3, v[76:77]
	;; [unrolled: 1-line block ×3, first 2 shown]
	v_add_co_u32 v44, vcc_lo, s0, v44
	v_add_co_ci_u32_e32 v45, vcc_lo, s1, v45, vcc_lo
	v_add_co_u32 v46, vcc_lo, s0, v46
	v_add_co_ci_u32_e32 v47, vcc_lo, s1, v47, vcc_lo
	;; [unrolled: 2-line block ×4, first 2 shown]
	s_waitcnt vmcnt(9)
	scratch_store_b128 off, v[52:55], off offset:64
	s_clause 0x1
	global_load_b64 v[72:73], v[44:45], off
	global_load_b64 v[74:75], v[46:47], off
	v_lshlrev_b64 v[52:53], 3, v[80:81]
	v_lshlrev_b64 v[54:55], 3, v[82:83]
	s_delay_alu instid0(VALU_DEP_2) | instskip(NEXT) | instid1(VALU_DEP_3)
	v_add_co_u32 v52, vcc_lo, s0, v52
	v_add_co_ci_u32_e32 v53, vcc_lo, s1, v53, vcc_lo
	s_delay_alu instid0(VALU_DEP_3) | instskip(NEXT) | instid1(VALU_DEP_4)
	v_add_co_u32 v54, vcc_lo, s0, v54
	v_add_co_ci_u32_e32 v55, vcc_lo, s1, v55, vcc_lo
	s_waitcnt vmcnt(8)
	scratch_store_b128 off, v[56:59], off offset:80
	s_clause 0x1
	global_load_b64 v[76:77], v[48:49], off
	global_load_b64 v[78:79], v[50:51], off
	v_lshlrev_b64 v[56:57], 3, v[84:85]
	v_lshlrev_b64 v[58:59], 3, v[86:87]
	s_delay_alu instid0(VALU_DEP_2) | instskip(NEXT) | instid1(VALU_DEP_3)
	v_add_co_u32 v56, vcc_lo, s0, v56
	v_add_co_ci_u32_e32 v57, vcc_lo, s1, v57, vcc_lo
	s_delay_alu instid0(VALU_DEP_3) | instskip(NEXT) | instid1(VALU_DEP_4)
	v_add_co_u32 v58, vcc_lo, s0, v58
	v_add_co_ci_u32_e32 v59, vcc_lo, s1, v59, vcc_lo
	s_waitcnt vmcnt(8)
	scratch_store_b128 off, v[60:63], off offset:96
	v_lshlrev_b64 v[60:61], 3, v[88:89]
	v_lshlrev_b64 v[62:63], 3, v[90:91]
	s_clause 0x2
	global_load_b64 v[80:81], v[52:53], off
	global_load_b64 v[82:83], v[54:55], off
	;; [unrolled: 1-line block ×3, first 2 shown]
	v_add_co_u32 v60, vcc_lo, s0, v60
	v_add_co_ci_u32_e32 v61, vcc_lo, s1, v61, vcc_lo
	v_add_co_u32 v62, vcc_lo, s0, v62
	v_add_co_ci_u32_e32 v63, vcc_lo, s1, v63, vcc_lo
	s_waitcnt vmcnt(9)
	scratch_store_b128 off, v[64:67], off offset:112
	v_lshlrev_b64 v[64:65], 3, v[92:93]
	s_waitcnt vmcnt(7)
	scratch_store_b128 off, v[68:71], off offset:128
	s_clause 0x2
	global_load_b64 v[86:87], v[58:59], off
	global_load_b64 v[88:89], v[60:61], off
	;; [unrolled: 1-line block ×3, first 2 shown]
	v_lshlrev_b64 v[66:67], 3, v[94:95]
	v_lshlrev_b64 v[68:69], 3, v[98:99]
	;; [unrolled: 1-line block ×3, first 2 shown]
	v_add_co_u32 v64, vcc_lo, s0, v64
	v_add_co_ci_u32_e32 v65, vcc_lo, s1, v65, vcc_lo
	v_add_co_u32 v66, vcc_lo, s0, v66
	v_add_co_ci_u32_e32 v67, vcc_lo, s1, v67, vcc_lo
	;; [unrolled: 2-line block ×4, first 2 shown]
	s_clause 0x1
	global_load_b64 v[98:99], v[64:65], off
	global_load_b64 v[100:101], v[66:67], off
	s_waitcnt vmcnt(10)
	scratch_store_b128 off, v[72:75], off offset:144
	v_lshlrev_b64 v[72:73], 3, v[106:107]
	v_lshlrev_b64 v[74:75], 3, v[108:109]
	s_delay_alu instid0(VALU_DEP_2) | instskip(NEXT) | instid1(VALU_DEP_3)
	v_add_co_u32 v72, vcc_lo, s0, v72
	v_add_co_ci_u32_e32 v73, vcc_lo, s1, v73, vcc_lo
	s_delay_alu instid0(VALU_DEP_3) | instskip(NEXT) | instid1(VALU_DEP_4)
	v_add_co_u32 v74, vcc_lo, s0, v74
	v_add_co_ci_u32_e32 v75, vcc_lo, s1, v75, vcc_lo
	s_waitcnt vmcnt(8)
	scratch_store_b128 off, v[76:79], off offset:160
	s_clause 0x1
	global_load_b64 v[102:103], v[68:69], off
	global_load_b64 v[104:105], v[70:71], off
	v_lshlrev_b64 v[78:79], 3, v[110:111]
	v_add_co_u32 v76, vcc_lo, s0, v4
	v_add_co_ci_u32_e32 v77, vcc_lo, s1, v5, vcc_lo
	v_lshlrev_b64 v[4:5], 3, v[112:113]
	s_delay_alu instid0(VALU_DEP_4)
	v_add_co_u32 v78, vcc_lo, s0, v78
	v_add_co_ci_u32_e32 v79, vcc_lo, s1, v79, vcc_lo
	global_load_b64 v[106:107], v[72:73], off
	s_waitcnt vmcnt(9)
	scratch_store_b128 off, v[80:83], off offset:176
	v_lshlrev_b64 v[82:83], 3, v[114:115]
	v_add_co_u32 v80, vcc_lo, s0, v4
	v_add_co_ci_u32_e32 v81, vcc_lo, s1, v5, vcc_lo
	v_lshlrev_b64 v[4:5], 3, v[116:117]
	s_delay_alu instid0(VALU_DEP_4)
	v_add_co_u32 v82, vcc_lo, s0, v82
	v_add_co_ci_u32_e32 v83, vcc_lo, s1, v83, vcc_lo
	s_waitcnt vmcnt(7)
	scratch_store_b128 off, v[84:87], off offset:192
	s_waitcnt vmcnt(5)
	scratch_store_b128 off, v[88:91], off offset:208
	v_add_co_u32 v84, vcc_lo, s0, v1
	v_add_co_ci_u32_e32 v85, vcc_lo, s1, v2, vcc_lo
	v_lshlrev_b64 v[1:2], 3, v[118:119]
	v_add_co_u32 v86, vcc_lo, s0, v4
	v_add_co_ci_u32_e32 v87, vcc_lo, s1, v5, vcc_lo
	v_lshlrev_b64 v[4:5], 3, v[120:121]
	s_delay_alu instid0(VALU_DEP_4) | instskip(SKIP_2) | instid1(VALU_DEP_4)
	v_add_co_u32 v88, vcc_lo, s0, v1
	v_add_co_ci_u32_e32 v89, vcc_lo, s1, v2, vcc_lo
	v_lshlrev_b64 v[1:2], 3, v[122:123]
	v_add_co_u32 v90, vcc_lo, s0, v4
	v_add_co_ci_u32_e32 v91, vcc_lo, s1, v5, vcc_lo
	s_clause 0x3
	global_load_b64 v[108:109], v[74:75], off
	global_load_b64 v[110:111], v[76:77], off
	;; [unrolled: 1-line block ×4, first 2 shown]
	v_add_co_u32 v92, vcc_lo, s0, v1
	v_add_co_ci_u32_e32 v93, vcc_lo, s1, v2, vcc_lo
	s_waitcnt vmcnt(7)
	scratch_store_b128 off, v[98:101], off offset:224
	s_clause 0x2
	global_load_b64 v[116:117], v[82:83], off
	global_load_b64 v[98:99], v[84:85], off
	;; [unrolled: 1-line block ×3, first 2 shown]
	s_mov_b32 s1, -1
	s_waitcnt vmcnt(8)
	scratch_store_b128 off, v[102:105], off offset:240
	s_clause 0x2
	global_load_b64 v[102:103], v[88:89], off
	global_load_b64 v[104:105], v[90:91], off
	;; [unrolled: 1-line block ×3, first 2 shown]
	s_waitcnt vmcnt(9)
	scratch_store_b128 off, v[106:109], off offset:256
	s_waitcnt vmcnt(7)
	scratch_store_b128 off, v[110:113], off offset:272
	s_waitcnt vmcnt(5)
	scratch_store_b128 off, v[114:117], off offset:288
	s_waitcnt vmcnt(3)
	scratch_store_b128 off, v[98:101], off offset:304
	s_waitcnt vmcnt(1)
	scratch_store_b128 off, v[102:105], off offset:320
	s_waitcnt vmcnt(0)
	scratch_store_b128 off, v[94:97], off offset:336
	s_cbranch_scc1 .LBB43_184
; %bb.4:
	v_cmp_eq_u32_e64 s0, 0, v0
	s_delay_alu instid0(VALU_DEP_1)
	s_and_saveexec_b32 s1, s0
	s_cbranch_execz .LBB43_6
; %bb.5:
	v_mov_b32_e32 v1, 0
	ds_store_b32 v1, v1 offset:704
.LBB43_6:
	s_or_b32 exec_lo, exec_lo, s1
	s_waitcnt lgkmcnt(0)
	s_waitcnt_vscnt null, 0x0
	s_barrier
	buffer_gl0_inv
	scratch_load_b64 v[1:2], v3, off
	s_mov_b32 s2, exec_lo
	s_waitcnt vmcnt(0)
	v_cmpx_eq_f64_e32 0, v[1:2]
	s_cbranch_execz .LBB43_10
; %bb.7:
	v_mov_b32_e32 v1, 0
	s_mov_b32 s3, 0
	ds_load_b32 v2, v1 offset:704
	s_waitcnt lgkmcnt(0)
	v_readfirstlane_b32 s1, v2
	v_add_nc_u32_e32 v2, 1, v0
	s_delay_alu instid0(VALU_DEP_2) | instskip(NEXT) | instid1(VALU_DEP_1)
	s_cmp_eq_u32 s1, 0
	v_cmp_gt_i32_e32 vcc_lo, s1, v2
	s_cselect_b32 s4, -1, 0
	s_delay_alu instid0(SALU_CYCLE_1) | instskip(NEXT) | instid1(SALU_CYCLE_1)
	s_or_b32 s4, s4, vcc_lo
	s_and_b32 exec_lo, exec_lo, s4
	s_cbranch_execz .LBB43_10
; %bb.8:
	v_mov_b32_e32 v4, s1
.LBB43_9:                               ; =>This Inner Loop Header: Depth=1
	ds_cmpstore_rtn_b32 v4, v1, v2, v4 offset:704
	s_waitcnt lgkmcnt(0)
	v_cmp_ne_u32_e32 vcc_lo, 0, v4
	v_cmp_le_i32_e64 s1, v4, v2
	s_delay_alu instid0(VALU_DEP_1) | instskip(NEXT) | instid1(SALU_CYCLE_1)
	s_and_b32 s1, vcc_lo, s1
	s_and_b32 s1, exec_lo, s1
	s_delay_alu instid0(SALU_CYCLE_1) | instskip(NEXT) | instid1(SALU_CYCLE_1)
	s_or_b32 s3, s1, s3
	s_and_not1_b32 exec_lo, exec_lo, s3
	s_cbranch_execnz .LBB43_9
.LBB43_10:
	s_or_b32 exec_lo, exec_lo, s2
	v_mov_b32_e32 v1, 0
	s_barrier
	buffer_gl0_inv
	ds_load_b32 v2, v1 offset:704
	s_and_saveexec_b32 s1, s0
	s_cbranch_execz .LBB43_12
; %bb.11:
	s_lshl_b64 s[2:3], s[14:15], 2
	s_delay_alu instid0(SALU_CYCLE_1)
	s_add_u32 s2, s6, s2
	s_addc_u32 s3, s7, s3
	s_waitcnt lgkmcnt(0)
	global_store_b32 v1, v2, s[2:3]
.LBB43_12:
	s_or_b32 exec_lo, exec_lo, s1
	s_waitcnt lgkmcnt(0)
	v_cmp_ne_u32_e32 vcc_lo, 0, v2
	s_mov_b32 s1, 0
	s_cbranch_vccnz .LBB43_184
; %bb.13:
	v_add_nc_u32_e32 v4, 0, v3
	v_add_nc_u32_e32 v5, 0x160, v3
	scratch_load_b64 v[1:2], v4, off
	s_waitcnt vmcnt(0)
	v_div_scale_f64 v[94:95], null, v[1:2], v[1:2], 1.0
	v_div_scale_f64 v[100:101], vcc_lo, 1.0, v[1:2], 1.0
	s_delay_alu instid0(VALU_DEP_2) | instskip(SKIP_2) | instid1(VALU_DEP_1)
	v_rcp_f64_e32 v[96:97], v[94:95]
	s_waitcnt_depctr 0xfff
	v_fma_f64 v[98:99], -v[94:95], v[96:97], 1.0
	v_fma_f64 v[96:97], v[96:97], v[98:99], v[96:97]
	s_delay_alu instid0(VALU_DEP_1) | instskip(NEXT) | instid1(VALU_DEP_1)
	v_fma_f64 v[98:99], -v[94:95], v[96:97], 1.0
	v_fma_f64 v[96:97], v[96:97], v[98:99], v[96:97]
	s_delay_alu instid0(VALU_DEP_1) | instskip(NEXT) | instid1(VALU_DEP_1)
	v_mul_f64 v[98:99], v[100:101], v[96:97]
	v_fma_f64 v[94:95], -v[94:95], v[98:99], v[100:101]
	s_delay_alu instid0(VALU_DEP_1) | instskip(NEXT) | instid1(VALU_DEP_1)
	v_div_fmas_f64 v[94:95], v[94:95], v[96:97], v[98:99]
	v_div_fixup_f64 v[1:2], v[94:95], v[1:2], 1.0
	scratch_store_b64 v4, v[1:2], off
	scratch_load_b64 v[94:95], off, off offset:8
	v_xor_b32_e32 v2, 0x80000000, v2
	s_waitcnt vmcnt(0)
	ds_store_2addr_b64 v3, v[1:2], v[94:95] offset1:44
	s_waitcnt lgkmcnt(0)
	s_waitcnt_vscnt null, 0x0
	s_barrier
	buffer_gl0_inv
	s_and_saveexec_b32 s1, s0
	s_cbranch_execz .LBB43_15
; %bb.14:
	scratch_load_b64 v[1:2], v4, off
	ds_load_b64 v[94:95], v5
	s_waitcnt vmcnt(0) lgkmcnt(0)
	v_fma_f64 v[1:2], v[1:2], v[94:95], 0
	v_mov_b32_e32 v94, 0
	ds_load_b64 v[94:95], v94 offset:8
	s_waitcnt lgkmcnt(0)
	v_mul_f64 v[1:2], v[1:2], v[94:95]
	scratch_store_b64 off, v[1:2], off offset:8
.LBB43_15:
	s_or_b32 exec_lo, exec_lo, s1
	s_waitcnt_vscnt null, 0x0
	s_barrier
	buffer_gl0_inv
	scratch_load_b64 v[1:2], off, off offset:16
	s_mov_b32 s1, exec_lo
	s_waitcnt vmcnt(0)
	ds_store_b64 v5, v[1:2]
	s_waitcnt lgkmcnt(0)
	s_barrier
	buffer_gl0_inv
	v_cmpx_gt_u32_e32 2, v0
	s_cbranch_execz .LBB43_19
; %bb.16:
	scratch_load_b64 v[1:2], v4, off
	ds_load_b64 v[94:95], v5
	s_waitcnt vmcnt(0) lgkmcnt(0)
	v_fma_f64 v[1:2], v[1:2], v[94:95], 0
	s_and_saveexec_b32 s2, s0
	s_cbranch_execz .LBB43_18
; %bb.17:
	scratch_load_b64 v[94:95], off, off offset:8
	v_mov_b32_e32 v96, 0
	ds_load_b64 v[96:97], v96 offset:360
	s_waitcnt vmcnt(0) lgkmcnt(0)
	v_fma_f64 v[1:2], v[94:95], v[96:97], v[1:2]
.LBB43_18:
	s_or_b32 exec_lo, exec_lo, s2
	v_mov_b32_e32 v94, 0
	ds_load_b64 v[94:95], v94 offset:16
	s_waitcnt lgkmcnt(0)
	v_mul_f64 v[1:2], v[1:2], v[94:95]
	scratch_store_b64 off, v[1:2], off offset:16
.LBB43_19:
	s_or_b32 exec_lo, exec_lo, s1
	s_waitcnt_vscnt null, 0x0
	s_barrier
	buffer_gl0_inv
	scratch_load_b64 v[1:2], off, off offset:24
	v_add_nc_u32_e32 v94, -1, v0
	s_mov_b32 s0, exec_lo
	s_waitcnt vmcnt(0)
	ds_store_b64 v5, v[1:2]
	s_waitcnt lgkmcnt(0)
	s_barrier
	buffer_gl0_inv
	v_cmpx_gt_u32_e32 3, v0
	s_cbranch_execz .LBB43_23
; %bb.20:
	v_dual_mov_b32 v1, 0 :: v_dual_add_nc_u32 v96, 0x160, v3
	v_dual_mov_b32 v2, 0 :: v_dual_add_nc_u32 v95, -1, v0
	v_add_nc_u32_e32 v97, 0, v3
	s_mov_b32 s1, 0
.LBB43_21:                              ; =>This Inner Loop Header: Depth=1
	scratch_load_b64 v[98:99], v97, off
	ds_load_b64 v[100:101], v96
	v_add_nc_u32_e32 v95, 1, v95
	v_add_nc_u32_e32 v96, 8, v96
	v_add_nc_u32_e32 v97, 8, v97
	s_delay_alu instid0(VALU_DEP_3)
	v_cmp_lt_u32_e32 vcc_lo, 1, v95
	s_or_b32 s1, vcc_lo, s1
	s_waitcnt vmcnt(0) lgkmcnt(0)
	v_fma_f64 v[1:2], v[98:99], v[100:101], v[1:2]
	s_and_not1_b32 exec_lo, exec_lo, s1
	s_cbranch_execnz .LBB43_21
; %bb.22:
	s_or_b32 exec_lo, exec_lo, s1
	v_mov_b32_e32 v95, 0
	ds_load_b64 v[95:96], v95 offset:24
	s_waitcnt lgkmcnt(0)
	v_mul_f64 v[1:2], v[1:2], v[95:96]
	scratch_store_b64 off, v[1:2], off offset:24
.LBB43_23:
	s_or_b32 exec_lo, exec_lo, s0
	s_waitcnt_vscnt null, 0x0
	s_barrier
	buffer_gl0_inv
	scratch_load_b64 v[1:2], off, off offset:32
	s_mov_b32 s0, exec_lo
	s_waitcnt vmcnt(0)
	ds_store_b64 v5, v[1:2]
	s_waitcnt lgkmcnt(0)
	s_barrier
	buffer_gl0_inv
	v_cmpx_gt_u32_e32 4, v0
	s_cbranch_execz .LBB43_27
; %bb.24:
	v_dual_mov_b32 v1, 0 :: v_dual_add_nc_u32 v96, 0x160, v3
	v_dual_mov_b32 v2, 0 :: v_dual_add_nc_u32 v95, -1, v0
	v_add_nc_u32_e32 v97, 0, v3
	s_mov_b32 s1, 0
.LBB43_25:                              ; =>This Inner Loop Header: Depth=1
	scratch_load_b64 v[98:99], v97, off
	ds_load_b64 v[100:101], v96
	v_add_nc_u32_e32 v95, 1, v95
	v_add_nc_u32_e32 v96, 8, v96
	v_add_nc_u32_e32 v97, 8, v97
	s_delay_alu instid0(VALU_DEP_3)
	v_cmp_lt_u32_e32 vcc_lo, 2, v95
	s_or_b32 s1, vcc_lo, s1
	s_waitcnt vmcnt(0) lgkmcnt(0)
	v_fma_f64 v[1:2], v[98:99], v[100:101], v[1:2]
	s_and_not1_b32 exec_lo, exec_lo, s1
	s_cbranch_execnz .LBB43_25
; %bb.26:
	s_or_b32 exec_lo, exec_lo, s1
	v_mov_b32_e32 v95, 0
	ds_load_b64 v[95:96], v95 offset:32
	s_waitcnt lgkmcnt(0)
	v_mul_f64 v[1:2], v[1:2], v[95:96]
	scratch_store_b64 off, v[1:2], off offset:32
.LBB43_27:
	s_or_b32 exec_lo, exec_lo, s0
	s_waitcnt_vscnt null, 0x0
	s_barrier
	buffer_gl0_inv
	scratch_load_b64 v[1:2], off, off offset:40
	;; [unrolled: 39-line block ×20, first 2 shown]
	s_mov_b32 s0, exec_lo
	s_waitcnt vmcnt(0)
	ds_store_b64 v5, v[1:2]
	s_waitcnt lgkmcnt(0)
	s_barrier
	buffer_gl0_inv
	v_cmpx_gt_u32_e32 23, v0
	s_cbranch_execz .LBB43_103
; %bb.100:
	v_dual_mov_b32 v1, 0 :: v_dual_add_nc_u32 v96, 0x160, v3
	v_dual_mov_b32 v2, 0 :: v_dual_add_nc_u32 v95, -1, v0
	v_add_nc_u32_e32 v97, 0, v3
	s_mov_b32 s1, 0
.LBB43_101:                             ; =>This Inner Loop Header: Depth=1
	scratch_load_b64 v[98:99], v97, off
	ds_load_b64 v[100:101], v96
	v_add_nc_u32_e32 v95, 1, v95
	v_add_nc_u32_e32 v96, 8, v96
	v_add_nc_u32_e32 v97, 8, v97
	s_delay_alu instid0(VALU_DEP_3)
	v_cmp_lt_u32_e32 vcc_lo, 21, v95
	s_or_b32 s1, vcc_lo, s1
	s_waitcnt vmcnt(0) lgkmcnt(0)
	v_fma_f64 v[1:2], v[98:99], v[100:101], v[1:2]
	s_and_not1_b32 exec_lo, exec_lo, s1
	s_cbranch_execnz .LBB43_101
; %bb.102:
	s_or_b32 exec_lo, exec_lo, s1
	v_mov_b32_e32 v95, 0
	ds_load_b64 v[95:96], v95 offset:184
	s_waitcnt lgkmcnt(0)
	v_mul_f64 v[1:2], v[1:2], v[95:96]
	scratch_store_b64 off, v[1:2], off offset:184
.LBB43_103:
	s_or_b32 exec_lo, exec_lo, s0
	s_waitcnt_vscnt null, 0x0
	s_barrier
	buffer_gl0_inv
	scratch_load_b64 v[1:2], off, off offset:192
	s_mov_b32 s0, exec_lo
	s_waitcnt vmcnt(0)
	ds_store_b64 v5, v[1:2]
	s_waitcnt lgkmcnt(0)
	s_barrier
	buffer_gl0_inv
	v_cmpx_gt_u32_e32 24, v0
	s_cbranch_execz .LBB43_107
; %bb.104:
	v_dual_mov_b32 v1, 0 :: v_dual_add_nc_u32 v96, 0x160, v3
	v_dual_mov_b32 v2, 0 :: v_dual_add_nc_u32 v95, -1, v0
	v_add_nc_u32_e32 v97, 0, v3
	s_mov_b32 s1, 0
.LBB43_105:                             ; =>This Inner Loop Header: Depth=1
	scratch_load_b64 v[98:99], v97, off
	ds_load_b64 v[100:101], v96
	v_add_nc_u32_e32 v95, 1, v95
	v_add_nc_u32_e32 v96, 8, v96
	v_add_nc_u32_e32 v97, 8, v97
	s_delay_alu instid0(VALU_DEP_3)
	v_cmp_lt_u32_e32 vcc_lo, 22, v95
	s_or_b32 s1, vcc_lo, s1
	s_waitcnt vmcnt(0) lgkmcnt(0)
	v_fma_f64 v[1:2], v[98:99], v[100:101], v[1:2]
	s_and_not1_b32 exec_lo, exec_lo, s1
	s_cbranch_execnz .LBB43_105
; %bb.106:
	s_or_b32 exec_lo, exec_lo, s1
	v_mov_b32_e32 v95, 0
	ds_load_b64 v[95:96], v95 offset:192
	s_waitcnt lgkmcnt(0)
	v_mul_f64 v[1:2], v[1:2], v[95:96]
	scratch_store_b64 off, v[1:2], off offset:192
.LBB43_107:
	s_or_b32 exec_lo, exec_lo, s0
	s_waitcnt_vscnt null, 0x0
	s_barrier
	buffer_gl0_inv
	scratch_load_b64 v[1:2], off, off offset:200
	;; [unrolled: 39-line block ×20, first 2 shown]
	s_mov_b32 s0, exec_lo
	s_waitcnt vmcnt(0)
	ds_store_b64 v5, v[1:2]
	s_waitcnt lgkmcnt(0)
	s_barrier
	buffer_gl0_inv
	v_cmpx_ne_u32_e32 43, v0
	s_cbranch_execz .LBB43_183
; %bb.180:
	v_mov_b32_e32 v1, 0
	v_mov_b32_e32 v2, 0
	s_mov_b32 s1, 0
.LBB43_181:                             ; =>This Inner Loop Header: Depth=1
	scratch_load_b64 v[95:96], v4, off
	ds_load_b64 v[97:98], v5
	v_add_nc_u32_e32 v94, 1, v94
	v_add_nc_u32_e32 v5, 8, v5
	;; [unrolled: 1-line block ×3, first 2 shown]
	s_delay_alu instid0(VALU_DEP_3)
	v_cmp_lt_u32_e32 vcc_lo, 41, v94
	s_or_b32 s1, vcc_lo, s1
	s_waitcnt vmcnt(0) lgkmcnt(0)
	v_fma_f64 v[1:2], v[95:96], v[97:98], v[1:2]
	s_and_not1_b32 exec_lo, exec_lo, s1
	s_cbranch_execnz .LBB43_181
; %bb.182:
	s_or_b32 exec_lo, exec_lo, s1
	v_mov_b32_e32 v3, 0
	ds_load_b64 v[3:4], v3 offset:344
	s_waitcnt lgkmcnt(0)
	v_mul_f64 v[1:2], v[1:2], v[3:4]
	scratch_store_b64 off, v[1:2], off offset:344
.LBB43_183:
	s_or_b32 exec_lo, exec_lo, s0
	s_mov_b32 s1, -1
	s_waitcnt_vscnt null, 0x0
	s_barrier
	buffer_gl0_inv
.LBB43_184:
	s_and_b32 vcc_lo, exec_lo, s1
	s_cbranch_vccz .LBB43_186
; %bb.185:
	s_lshl_b64 s[0:1], s[14:15], 2
	v_mov_b32_e32 v1, 0
	s_add_u32 s0, s6, s0
	s_addc_u32 s1, s7, s1
	global_load_b32 v1, v1, s[0:1]
	s_waitcnt vmcnt(0)
	v_cmp_ne_u32_e32 vcc_lo, 0, v1
	s_cbranch_vccz .LBB43_187
.LBB43_186:
	s_endpgm
.LBB43_187:
	v_lshl_add_u32 v3, v0, 3, 0x160
	s_mov_b32 s0, exec_lo
	v_cmpx_eq_u32_e32 43, v0
	s_cbranch_execz .LBB43_189
; %bb.188:
	scratch_load_b64 v[1:2], off, off offset:336
	v_mov_b32_e32 v4, 0
	s_delay_alu instid0(VALU_DEP_1)
	v_mov_b32_e32 v5, v4
	scratch_store_b64 off, v[4:5], off offset:336
	s_waitcnt vmcnt(0)
	ds_store_b64 v3, v[1:2]
.LBB43_189:
	s_or_b32 exec_lo, exec_lo, s0
	s_waitcnt lgkmcnt(0)
	s_waitcnt_vscnt null, 0x0
	s_barrier
	buffer_gl0_inv
	scratch_load_b128 v[94:97], off, off offset:336
	v_mov_b32_e32 v1, 0
	s_mov_b32 s0, exec_lo
	ds_load_b64 v[4:5], v1 offset:696
	s_waitcnt vmcnt(0) lgkmcnt(0)
	v_fma_f64 v[4:5], v[96:97], v[4:5], 0
	s_delay_alu instid0(VALU_DEP_1)
	v_add_f64 v[4:5], v[94:95], -v[4:5]
	scratch_store_b64 off, v[4:5], off offset:336
	v_cmpx_lt_u32_e32 41, v0
	s_cbranch_execz .LBB43_191
; %bb.190:
	scratch_load_b64 v[4:5], off, off offset:328
	v_mov_b32_e32 v2, v1
	scratch_store_b64 off, v[1:2], off offset:328
	s_waitcnt vmcnt(0)
	ds_store_b64 v3, v[4:5]
.LBB43_191:
	s_or_b32 exec_lo, exec_lo, s0
	s_waitcnt lgkmcnt(0)
	s_waitcnt_vscnt null, 0x0
	s_barrier
	buffer_gl0_inv
	s_clause 0x1
	scratch_load_b128 v[94:97], off, off offset:328
	scratch_load_b64 v[4:5], off, off offset:344
	ds_load_b128 v[98:101], v1 offset:688
	s_mov_b32 s0, exec_lo
	s_waitcnt vmcnt(1) lgkmcnt(0)
	v_fma_f64 v[1:2], v[96:97], v[98:99], 0
	s_waitcnt vmcnt(0)
	s_delay_alu instid0(VALU_DEP_1) | instskip(NEXT) | instid1(VALU_DEP_1)
	v_fma_f64 v[1:2], v[4:5], v[100:101], v[1:2]
	v_add_f64 v[1:2], v[94:95], -v[1:2]
	scratch_store_b64 off, v[1:2], off offset:328
	v_cmpx_lt_u32_e32 40, v0
	s_cbranch_execz .LBB43_193
; %bb.192:
	scratch_load_b64 v[1:2], off, off offset:320
	v_mov_b32_e32 v4, 0
	s_delay_alu instid0(VALU_DEP_1)
	v_mov_b32_e32 v5, v4
	scratch_store_b64 off, v[4:5], off offset:320
	s_waitcnt vmcnt(0)
	ds_store_b64 v3, v[1:2]
.LBB43_193:
	s_or_b32 exec_lo, exec_lo, s0
	s_waitcnt lgkmcnt(0)
	s_waitcnt_vscnt null, 0x0
	s_barrier
	buffer_gl0_inv
	s_clause 0x1
	scratch_load_b128 v[94:97], off, off offset:320
	scratch_load_b128 v[98:101], off, off offset:336
	v_mov_b32_e32 v1, 0
	ds_load_2addr_b64 v[102:105], v1 offset0:85 offset1:86
	ds_load_b64 v[4:5], v1 offset:696
	s_mov_b32 s0, exec_lo
	s_waitcnt vmcnt(1) lgkmcnt(1)
	v_fma_f64 v[96:97], v[96:97], v[102:103], 0
	s_waitcnt vmcnt(0)
	s_delay_alu instid0(VALU_DEP_1) | instskip(SKIP_1) | instid1(VALU_DEP_1)
	v_fma_f64 v[96:97], v[98:99], v[104:105], v[96:97]
	s_waitcnt lgkmcnt(0)
	v_fma_f64 v[4:5], v[100:101], v[4:5], v[96:97]
	s_delay_alu instid0(VALU_DEP_1)
	v_add_f64 v[4:5], v[94:95], -v[4:5]
	scratch_store_b64 off, v[4:5], off offset:320
	v_cmpx_lt_u32_e32 39, v0
	s_cbranch_execz .LBB43_195
; %bb.194:
	scratch_load_b64 v[4:5], off, off offset:312
	v_mov_b32_e32 v2, v1
	scratch_store_b64 off, v[1:2], off offset:312
	s_waitcnt vmcnt(0)
	ds_store_b64 v3, v[4:5]
.LBB43_195:
	s_or_b32 exec_lo, exec_lo, s0
	s_waitcnt lgkmcnt(0)
	s_waitcnt_vscnt null, 0x0
	s_barrier
	buffer_gl0_inv
	s_clause 0x2
	scratch_load_b128 v[94:97], off, off offset:312
	scratch_load_b128 v[98:101], off, off offset:328
	scratch_load_b64 v[4:5], off, off offset:344
	ds_load_b128 v[102:105], v1 offset:672
	ds_load_b128 v[106:109], v1 offset:688
	s_mov_b32 s0, exec_lo
	s_waitcnt vmcnt(2) lgkmcnt(1)
	v_fma_f64 v[1:2], v[96:97], v[102:103], 0
	s_waitcnt vmcnt(1)
	s_delay_alu instid0(VALU_DEP_1) | instskip(SKIP_1) | instid1(VALU_DEP_1)
	v_fma_f64 v[1:2], v[98:99], v[104:105], v[1:2]
	s_waitcnt lgkmcnt(0)
	v_fma_f64 v[1:2], v[100:101], v[106:107], v[1:2]
	s_waitcnt vmcnt(0)
	s_delay_alu instid0(VALU_DEP_1) | instskip(NEXT) | instid1(VALU_DEP_1)
	v_fma_f64 v[1:2], v[4:5], v[108:109], v[1:2]
	v_add_f64 v[1:2], v[94:95], -v[1:2]
	scratch_store_b64 off, v[1:2], off offset:312
	v_cmpx_lt_u32_e32 38, v0
	s_cbranch_execz .LBB43_197
; %bb.196:
	scratch_load_b64 v[1:2], off, off offset:304
	v_mov_b32_e32 v4, 0
	s_delay_alu instid0(VALU_DEP_1)
	v_mov_b32_e32 v5, v4
	scratch_store_b64 off, v[4:5], off offset:304
	s_waitcnt vmcnt(0)
	ds_store_b64 v3, v[1:2]
.LBB43_197:
	s_or_b32 exec_lo, exec_lo, s0
	s_waitcnt lgkmcnt(0)
	s_waitcnt_vscnt null, 0x0
	s_barrier
	buffer_gl0_inv
	s_clause 0x2
	scratch_load_b128 v[94:97], off, off offset:304
	scratch_load_b128 v[98:101], off, off offset:320
	;; [unrolled: 1-line block ×3, first 2 shown]
	v_mov_b32_e32 v1, 0
	ds_load_2addr_b64 v[106:109], v1 offset0:83 offset1:84
	ds_load_2addr_b64 v[110:113], v1 offset0:85 offset1:86
	s_mov_b32 s0, exec_lo
	s_waitcnt vmcnt(2) lgkmcnt(1)
	v_fma_f64 v[4:5], v[96:97], v[106:107], 0
	ds_load_b64 v[96:97], v1 offset:696
	s_waitcnt vmcnt(1)
	v_fma_f64 v[4:5], v[98:99], v[108:109], v[4:5]
	s_waitcnt lgkmcnt(1)
	s_delay_alu instid0(VALU_DEP_1) | instskip(SKIP_1) | instid1(VALU_DEP_1)
	v_fma_f64 v[4:5], v[100:101], v[110:111], v[4:5]
	s_waitcnt vmcnt(0)
	v_fma_f64 v[4:5], v[102:103], v[112:113], v[4:5]
	s_waitcnt lgkmcnt(0)
	s_delay_alu instid0(VALU_DEP_1) | instskip(NEXT) | instid1(VALU_DEP_1)
	v_fma_f64 v[4:5], v[104:105], v[96:97], v[4:5]
	v_add_f64 v[4:5], v[94:95], -v[4:5]
	scratch_store_b64 off, v[4:5], off offset:304
	v_cmpx_lt_u32_e32 37, v0
	s_cbranch_execz .LBB43_199
; %bb.198:
	scratch_load_b64 v[4:5], off, off offset:296
	v_mov_b32_e32 v2, v1
	scratch_store_b64 off, v[1:2], off offset:296
	s_waitcnt vmcnt(0)
	ds_store_b64 v3, v[4:5]
.LBB43_199:
	s_or_b32 exec_lo, exec_lo, s0
	s_waitcnt lgkmcnt(0)
	s_waitcnt_vscnt null, 0x0
	s_barrier
	buffer_gl0_inv
	s_clause 0x3
	scratch_load_b128 v[94:97], off, off offset:296
	scratch_load_b128 v[98:101], off, off offset:312
	;; [unrolled: 1-line block ×3, first 2 shown]
	scratch_load_b64 v[4:5], off, off offset:344
	ds_load_b128 v[106:109], v1 offset:656
	ds_load_b128 v[110:113], v1 offset:672
	s_mov_b32 s0, exec_lo
	s_waitcnt vmcnt(3) lgkmcnt(1)
	v_fma_f64 v[96:97], v[96:97], v[106:107], 0
	s_waitcnt vmcnt(2)
	s_delay_alu instid0(VALU_DEP_1) | instskip(SKIP_1) | instid1(VALU_DEP_1)
	v_fma_f64 v[96:97], v[98:99], v[108:109], v[96:97]
	s_waitcnt lgkmcnt(0)
	v_fma_f64 v[96:97], v[100:101], v[110:111], v[96:97]
	s_waitcnt vmcnt(1)
	s_delay_alu instid0(VALU_DEP_1) | instskip(SKIP_4) | instid1(VALU_DEP_1)
	v_fma_f64 v[100:101], v[102:103], v[112:113], v[96:97]
	ds_load_b128 v[96:99], v1 offset:688
	s_waitcnt lgkmcnt(0)
	v_fma_f64 v[1:2], v[104:105], v[96:97], v[100:101]
	s_waitcnt vmcnt(0)
	v_fma_f64 v[1:2], v[4:5], v[98:99], v[1:2]
	s_delay_alu instid0(VALU_DEP_1)
	v_add_f64 v[1:2], v[94:95], -v[1:2]
	scratch_store_b64 off, v[1:2], off offset:296
	v_cmpx_lt_u32_e32 36, v0
	s_cbranch_execz .LBB43_201
; %bb.200:
	scratch_load_b64 v[1:2], off, off offset:288
	v_mov_b32_e32 v4, 0
	s_delay_alu instid0(VALU_DEP_1)
	v_mov_b32_e32 v5, v4
	scratch_store_b64 off, v[4:5], off offset:288
	s_waitcnt vmcnt(0)
	ds_store_b64 v3, v[1:2]
.LBB43_201:
	s_or_b32 exec_lo, exec_lo, s0
	s_waitcnt lgkmcnt(0)
	s_waitcnt_vscnt null, 0x0
	s_barrier
	buffer_gl0_inv
	s_clause 0x3
	scratch_load_b128 v[94:97], off, off offset:288
	scratch_load_b128 v[98:101], off, off offset:304
	;; [unrolled: 1-line block ×4, first 2 shown]
	v_mov_b32_e32 v1, 0
	ds_load_2addr_b64 v[110:113], v1 offset0:81 offset1:82
	ds_load_2addr_b64 v[114:117], v1 offset0:83 offset1:84
	s_mov_b32 s0, exec_lo
	s_waitcnt vmcnt(3) lgkmcnt(1)
	v_fma_f64 v[4:5], v[96:97], v[110:111], 0
	s_waitcnt vmcnt(2)
	s_delay_alu instid0(VALU_DEP_1) | instskip(SKIP_1) | instid1(VALU_DEP_1)
	v_fma_f64 v[4:5], v[98:99], v[112:113], v[4:5]
	s_waitcnt lgkmcnt(0)
	v_fma_f64 v[4:5], v[100:101], v[114:115], v[4:5]
	ds_load_2addr_b64 v[96:99], v1 offset0:85 offset1:86
	ds_load_b64 v[100:101], v1 offset:696
	s_waitcnt vmcnt(1)
	v_fma_f64 v[4:5], v[102:103], v[116:117], v[4:5]
	s_waitcnt lgkmcnt(1)
	s_delay_alu instid0(VALU_DEP_1) | instskip(SKIP_1) | instid1(VALU_DEP_1)
	v_fma_f64 v[4:5], v[104:105], v[96:97], v[4:5]
	s_waitcnt vmcnt(0)
	v_fma_f64 v[4:5], v[106:107], v[98:99], v[4:5]
	s_waitcnt lgkmcnt(0)
	s_delay_alu instid0(VALU_DEP_1) | instskip(NEXT) | instid1(VALU_DEP_1)
	v_fma_f64 v[4:5], v[108:109], v[100:101], v[4:5]
	v_add_f64 v[4:5], v[94:95], -v[4:5]
	scratch_store_b64 off, v[4:5], off offset:288
	v_cmpx_lt_u32_e32 35, v0
	s_cbranch_execz .LBB43_203
; %bb.202:
	scratch_load_b64 v[4:5], off, off offset:280
	v_mov_b32_e32 v2, v1
	scratch_store_b64 off, v[1:2], off offset:280
	s_waitcnt vmcnt(0)
	ds_store_b64 v3, v[4:5]
.LBB43_203:
	s_or_b32 exec_lo, exec_lo, s0
	s_waitcnt lgkmcnt(0)
	s_waitcnt_vscnt null, 0x0
	s_barrier
	buffer_gl0_inv
	s_clause 0x4
	scratch_load_b128 v[94:97], off, off offset:280
	scratch_load_b128 v[98:101], off, off offset:296
	;; [unrolled: 1-line block ×4, first 2 shown]
	scratch_load_b64 v[4:5], off, off offset:344
	ds_load_b128 v[110:113], v1 offset:640
	ds_load_b128 v[114:117], v1 offset:656
	s_mov_b32 s0, exec_lo
	s_waitcnt vmcnt(4) lgkmcnt(1)
	v_fma_f64 v[96:97], v[96:97], v[110:111], 0
	s_waitcnt vmcnt(3)
	s_delay_alu instid0(VALU_DEP_1) | instskip(SKIP_1) | instid1(VALU_DEP_1)
	v_fma_f64 v[96:97], v[98:99], v[112:113], v[96:97]
	s_waitcnt lgkmcnt(0)
	v_fma_f64 v[96:97], v[100:101], v[114:115], v[96:97]
	s_waitcnt vmcnt(2)
	s_delay_alu instid0(VALU_DEP_1)
	v_fma_f64 v[110:111], v[102:103], v[116:117], v[96:97]
	ds_load_b128 v[96:99], v1 offset:672
	ds_load_b128 v[100:103], v1 offset:688
	s_waitcnt lgkmcnt(1)
	v_fma_f64 v[1:2], v[104:105], v[96:97], v[110:111]
	s_waitcnt vmcnt(1)
	s_delay_alu instid0(VALU_DEP_1) | instskip(SKIP_1) | instid1(VALU_DEP_1)
	v_fma_f64 v[1:2], v[106:107], v[98:99], v[1:2]
	s_waitcnt lgkmcnt(0)
	v_fma_f64 v[1:2], v[108:109], v[100:101], v[1:2]
	s_waitcnt vmcnt(0)
	s_delay_alu instid0(VALU_DEP_1) | instskip(NEXT) | instid1(VALU_DEP_1)
	v_fma_f64 v[1:2], v[4:5], v[102:103], v[1:2]
	v_add_f64 v[1:2], v[94:95], -v[1:2]
	scratch_store_b64 off, v[1:2], off offset:280
	v_cmpx_lt_u32_e32 34, v0
	s_cbranch_execz .LBB43_205
; %bb.204:
	scratch_load_b64 v[1:2], off, off offset:272
	v_mov_b32_e32 v4, 0
	s_delay_alu instid0(VALU_DEP_1)
	v_mov_b32_e32 v5, v4
	scratch_store_b64 off, v[4:5], off offset:272
	s_waitcnt vmcnt(0)
	ds_store_b64 v3, v[1:2]
.LBB43_205:
	s_or_b32 exec_lo, exec_lo, s0
	s_waitcnt lgkmcnt(0)
	s_waitcnt_vscnt null, 0x0
	s_barrier
	buffer_gl0_inv
	s_clause 0x4
	scratch_load_b128 v[94:97], off, off offset:272
	scratch_load_b128 v[98:101], off, off offset:288
	;; [unrolled: 1-line block ×5, first 2 shown]
	v_mov_b32_e32 v1, 0
	s_mov_b32 s0, exec_lo
	ds_load_2addr_b64 v[114:117], v1 offset0:79 offset1:80
	s_waitcnt vmcnt(4) lgkmcnt(0)
	v_fma_f64 v[4:5], v[96:97], v[114:115], 0
	s_waitcnt vmcnt(3)
	s_delay_alu instid0(VALU_DEP_1) | instskip(SKIP_4) | instid1(VALU_DEP_1)
	v_fma_f64 v[4:5], v[98:99], v[116:117], v[4:5]
	ds_load_2addr_b64 v[96:99], v1 offset0:81 offset1:82
	s_waitcnt lgkmcnt(0)
	v_fma_f64 v[4:5], v[100:101], v[96:97], v[4:5]
	s_waitcnt vmcnt(2)
	v_fma_f64 v[4:5], v[102:103], v[98:99], v[4:5]
	ds_load_2addr_b64 v[96:99], v1 offset0:83 offset1:84
	s_waitcnt lgkmcnt(0)
	v_fma_f64 v[4:5], v[104:105], v[96:97], v[4:5]
	s_waitcnt vmcnt(1)
	s_delay_alu instid0(VALU_DEP_1)
	v_fma_f64 v[4:5], v[106:107], v[98:99], v[4:5]
	ds_load_2addr_b64 v[96:99], v1 offset0:85 offset1:86
	s_waitcnt lgkmcnt(0)
	v_fma_f64 v[4:5], v[108:109], v[96:97], v[4:5]
	ds_load_b64 v[96:97], v1 offset:696
	s_waitcnt vmcnt(0)
	v_fma_f64 v[4:5], v[110:111], v[98:99], v[4:5]
	s_waitcnt lgkmcnt(0)
	s_delay_alu instid0(VALU_DEP_1) | instskip(NEXT) | instid1(VALU_DEP_1)
	v_fma_f64 v[4:5], v[112:113], v[96:97], v[4:5]
	v_add_f64 v[4:5], v[94:95], -v[4:5]
	scratch_store_b64 off, v[4:5], off offset:272
	v_cmpx_lt_u32_e32 33, v0
	s_cbranch_execz .LBB43_207
; %bb.206:
	scratch_load_b64 v[4:5], off, off offset:264
	v_mov_b32_e32 v2, v1
	scratch_store_b64 off, v[1:2], off offset:264
	s_waitcnt vmcnt(0)
	ds_store_b64 v3, v[4:5]
.LBB43_207:
	s_or_b32 exec_lo, exec_lo, s0
	s_waitcnt lgkmcnt(0)
	s_waitcnt_vscnt null, 0x0
	s_barrier
	buffer_gl0_inv
	s_clause 0x4
	scratch_load_b128 v[94:97], off, off offset:264
	scratch_load_b128 v[98:101], off, off offset:280
	;; [unrolled: 1-line block ×5, first 2 shown]
	ds_load_b128 v[114:117], v1 offset:624
	s_mov_b32 s0, exec_lo
	s_waitcnt vmcnt(4) lgkmcnt(0)
	v_fma_f64 v[4:5], v[96:97], v[114:115], 0
	scratch_load_b64 v[114:115], off, off offset:344
	s_waitcnt vmcnt(4)
	v_fma_f64 v[4:5], v[98:99], v[116:117], v[4:5]
	ds_load_b128 v[96:99], v1 offset:640
	s_waitcnt lgkmcnt(0)
	v_fma_f64 v[4:5], v[100:101], v[96:97], v[4:5]
	s_waitcnt vmcnt(3)
	s_delay_alu instid0(VALU_DEP_1) | instskip(SKIP_4) | instid1(VALU_DEP_1)
	v_fma_f64 v[4:5], v[102:103], v[98:99], v[4:5]
	ds_load_b128 v[96:99], v1 offset:656
	s_waitcnt lgkmcnt(0)
	v_fma_f64 v[4:5], v[104:105], v[96:97], v[4:5]
	s_waitcnt vmcnt(2)
	v_fma_f64 v[4:5], v[106:107], v[98:99], v[4:5]
	ds_load_b128 v[96:99], v1 offset:672
	s_waitcnt lgkmcnt(0)
	v_fma_f64 v[4:5], v[108:109], v[96:97], v[4:5]
	s_waitcnt vmcnt(1)
	s_delay_alu instid0(VALU_DEP_1) | instskip(SKIP_4) | instid1(VALU_DEP_1)
	v_fma_f64 v[4:5], v[110:111], v[98:99], v[4:5]
	ds_load_b128 v[96:99], v1 offset:688
	s_waitcnt lgkmcnt(0)
	v_fma_f64 v[1:2], v[112:113], v[96:97], v[4:5]
	s_waitcnt vmcnt(0)
	v_fma_f64 v[1:2], v[114:115], v[98:99], v[1:2]
	s_delay_alu instid0(VALU_DEP_1)
	v_add_f64 v[1:2], v[94:95], -v[1:2]
	scratch_store_b64 off, v[1:2], off offset:264
	v_cmpx_lt_u32_e32 32, v0
	s_cbranch_execz .LBB43_209
; %bb.208:
	scratch_load_b64 v[1:2], off, off offset:256
	v_mov_b32_e32 v4, 0
	s_delay_alu instid0(VALU_DEP_1)
	v_mov_b32_e32 v5, v4
	scratch_store_b64 off, v[4:5], off offset:256
	s_waitcnt vmcnt(0)
	ds_store_b64 v3, v[1:2]
.LBB43_209:
	s_or_b32 exec_lo, exec_lo, s0
	s_waitcnt lgkmcnt(0)
	s_waitcnt_vscnt null, 0x0
	s_barrier
	buffer_gl0_inv
	s_clause 0x4
	scratch_load_b128 v[94:97], off, off offset:256
	scratch_load_b128 v[98:101], off, off offset:272
	;; [unrolled: 1-line block ×5, first 2 shown]
	v_mov_b32_e32 v1, 0
	scratch_load_b128 v[118:121], off, off offset:336
	s_mov_b32 s0, exec_lo
	ds_load_2addr_b64 v[114:117], v1 offset0:77 offset1:78
	s_waitcnt vmcnt(5) lgkmcnt(0)
	v_fma_f64 v[4:5], v[96:97], v[114:115], 0
	s_waitcnt vmcnt(4)
	s_delay_alu instid0(VALU_DEP_1) | instskip(SKIP_4) | instid1(VALU_DEP_1)
	v_fma_f64 v[4:5], v[98:99], v[116:117], v[4:5]
	ds_load_2addr_b64 v[96:99], v1 offset0:79 offset1:80
	s_waitcnt lgkmcnt(0)
	v_fma_f64 v[4:5], v[100:101], v[96:97], v[4:5]
	s_waitcnt vmcnt(3)
	v_fma_f64 v[4:5], v[102:103], v[98:99], v[4:5]
	ds_load_2addr_b64 v[96:99], v1 offset0:81 offset1:82
	s_waitcnt lgkmcnt(0)
	v_fma_f64 v[4:5], v[104:105], v[96:97], v[4:5]
	s_waitcnt vmcnt(2)
	s_delay_alu instid0(VALU_DEP_1) | instskip(SKIP_4) | instid1(VALU_DEP_1)
	v_fma_f64 v[4:5], v[106:107], v[98:99], v[4:5]
	ds_load_2addr_b64 v[96:99], v1 offset0:83 offset1:84
	s_waitcnt lgkmcnt(0)
	v_fma_f64 v[4:5], v[108:109], v[96:97], v[4:5]
	s_waitcnt vmcnt(1)
	v_fma_f64 v[4:5], v[110:111], v[98:99], v[4:5]
	ds_load_2addr_b64 v[96:99], v1 offset0:85 offset1:86
	s_waitcnt lgkmcnt(0)
	v_fma_f64 v[4:5], v[112:113], v[96:97], v[4:5]
	ds_load_b64 v[96:97], v1 offset:696
	s_waitcnt vmcnt(0)
	v_fma_f64 v[4:5], v[118:119], v[98:99], v[4:5]
	s_waitcnt lgkmcnt(0)
	s_delay_alu instid0(VALU_DEP_1) | instskip(NEXT) | instid1(VALU_DEP_1)
	v_fma_f64 v[4:5], v[120:121], v[96:97], v[4:5]
	v_add_f64 v[4:5], v[94:95], -v[4:5]
	scratch_store_b64 off, v[4:5], off offset:256
	v_cmpx_lt_u32_e32 31, v0
	s_cbranch_execz .LBB43_211
; %bb.210:
	scratch_load_b64 v[4:5], off, off offset:248
	v_mov_b32_e32 v2, v1
	scratch_store_b64 off, v[1:2], off offset:248
	s_waitcnt vmcnt(0)
	ds_store_b64 v3, v[4:5]
.LBB43_211:
	s_or_b32 exec_lo, exec_lo, s0
	s_waitcnt lgkmcnt(0)
	s_waitcnt_vscnt null, 0x0
	s_barrier
	buffer_gl0_inv
	s_clause 0x4
	scratch_load_b128 v[94:97], off, off offset:248
	scratch_load_b128 v[98:101], off, off offset:264
	;; [unrolled: 1-line block ×5, first 2 shown]
	ds_load_b128 v[114:117], v1 offset:608
	scratch_load_b128 v[118:121], off, off offset:328
	s_mov_b32 s0, exec_lo
	s_waitcnt vmcnt(5) lgkmcnt(0)
	v_fma_f64 v[4:5], v[96:97], v[114:115], 0
	s_waitcnt vmcnt(4)
	s_delay_alu instid0(VALU_DEP_1)
	v_fma_f64 v[4:5], v[98:99], v[116:117], v[4:5]
	ds_load_b128 v[96:99], v1 offset:624
	s_waitcnt lgkmcnt(0)
	v_fma_f64 v[4:5], v[100:101], v[96:97], v[4:5]
	scratch_load_b64 v[100:101], off, off offset:344
	s_waitcnt vmcnt(4)
	v_fma_f64 v[4:5], v[102:103], v[98:99], v[4:5]
	ds_load_b128 v[96:99], v1 offset:640
	s_waitcnt lgkmcnt(0)
	v_fma_f64 v[4:5], v[104:105], v[96:97], v[4:5]
	s_waitcnt vmcnt(3)
	s_delay_alu instid0(VALU_DEP_1) | instskip(SKIP_4) | instid1(VALU_DEP_1)
	v_fma_f64 v[4:5], v[106:107], v[98:99], v[4:5]
	ds_load_b128 v[96:99], v1 offset:656
	s_waitcnt lgkmcnt(0)
	v_fma_f64 v[4:5], v[108:109], v[96:97], v[4:5]
	s_waitcnt vmcnt(2)
	v_fma_f64 v[4:5], v[110:111], v[98:99], v[4:5]
	ds_load_b128 v[96:99], v1 offset:672
	s_waitcnt lgkmcnt(0)
	v_fma_f64 v[4:5], v[112:113], v[96:97], v[4:5]
	s_waitcnt vmcnt(1)
	s_delay_alu instid0(VALU_DEP_1) | instskip(SKIP_4) | instid1(VALU_DEP_1)
	v_fma_f64 v[4:5], v[118:119], v[98:99], v[4:5]
	ds_load_b128 v[96:99], v1 offset:688
	s_waitcnt lgkmcnt(0)
	v_fma_f64 v[1:2], v[120:121], v[96:97], v[4:5]
	s_waitcnt vmcnt(0)
	v_fma_f64 v[1:2], v[100:101], v[98:99], v[1:2]
	s_delay_alu instid0(VALU_DEP_1)
	v_add_f64 v[1:2], v[94:95], -v[1:2]
	scratch_store_b64 off, v[1:2], off offset:248
	v_cmpx_lt_u32_e32 30, v0
	s_cbranch_execz .LBB43_213
; %bb.212:
	scratch_load_b64 v[1:2], off, off offset:240
	v_mov_b32_e32 v4, 0
	s_delay_alu instid0(VALU_DEP_1)
	v_mov_b32_e32 v5, v4
	scratch_store_b64 off, v[4:5], off offset:240
	s_waitcnt vmcnt(0)
	ds_store_b64 v3, v[1:2]
.LBB43_213:
	s_or_b32 exec_lo, exec_lo, s0
	s_waitcnt lgkmcnt(0)
	s_waitcnt_vscnt null, 0x0
	s_barrier
	buffer_gl0_inv
	s_clause 0x4
	scratch_load_b128 v[94:97], off, off offset:240
	scratch_load_b128 v[98:101], off, off offset:256
	;; [unrolled: 1-line block ×5, first 2 shown]
	v_mov_b32_e32 v1, 0
	scratch_load_b128 v[118:121], off, off offset:320
	s_mov_b32 s0, exec_lo
	ds_load_2addr_b64 v[114:117], v1 offset0:75 offset1:76
	s_waitcnt vmcnt(5) lgkmcnt(0)
	v_fma_f64 v[4:5], v[96:97], v[114:115], 0
	s_waitcnt vmcnt(4)
	s_delay_alu instid0(VALU_DEP_1)
	v_fma_f64 v[4:5], v[98:99], v[116:117], v[4:5]
	scratch_load_b128 v[114:117], off, off offset:336
	ds_load_2addr_b64 v[96:99], v1 offset0:77 offset1:78
	s_waitcnt lgkmcnt(0)
	v_fma_f64 v[4:5], v[100:101], v[96:97], v[4:5]
	s_waitcnt vmcnt(4)
	s_delay_alu instid0(VALU_DEP_1) | instskip(SKIP_4) | instid1(VALU_DEP_1)
	v_fma_f64 v[4:5], v[102:103], v[98:99], v[4:5]
	ds_load_2addr_b64 v[96:99], v1 offset0:79 offset1:80
	s_waitcnt lgkmcnt(0)
	v_fma_f64 v[4:5], v[104:105], v[96:97], v[4:5]
	s_waitcnt vmcnt(3)
	v_fma_f64 v[4:5], v[106:107], v[98:99], v[4:5]
	ds_load_2addr_b64 v[96:99], v1 offset0:81 offset1:82
	s_waitcnt lgkmcnt(0)
	v_fma_f64 v[4:5], v[108:109], v[96:97], v[4:5]
	s_waitcnt vmcnt(2)
	s_delay_alu instid0(VALU_DEP_1) | instskip(SKIP_4) | instid1(VALU_DEP_1)
	v_fma_f64 v[4:5], v[110:111], v[98:99], v[4:5]
	ds_load_2addr_b64 v[96:99], v1 offset0:83 offset1:84
	s_waitcnt lgkmcnt(0)
	v_fma_f64 v[4:5], v[112:113], v[96:97], v[4:5]
	s_waitcnt vmcnt(1)
	v_fma_f64 v[4:5], v[118:119], v[98:99], v[4:5]
	ds_load_2addr_b64 v[96:99], v1 offset0:85 offset1:86
	s_waitcnt lgkmcnt(0)
	v_fma_f64 v[4:5], v[120:121], v[96:97], v[4:5]
	ds_load_b64 v[96:97], v1 offset:696
	s_waitcnt vmcnt(0)
	v_fma_f64 v[4:5], v[114:115], v[98:99], v[4:5]
	s_waitcnt lgkmcnt(0)
	s_delay_alu instid0(VALU_DEP_1) | instskip(NEXT) | instid1(VALU_DEP_1)
	v_fma_f64 v[4:5], v[116:117], v[96:97], v[4:5]
	v_add_f64 v[4:5], v[94:95], -v[4:5]
	scratch_store_b64 off, v[4:5], off offset:240
	v_cmpx_lt_u32_e32 29, v0
	s_cbranch_execz .LBB43_215
; %bb.214:
	scratch_load_b64 v[4:5], off, off offset:232
	v_mov_b32_e32 v2, v1
	scratch_store_b64 off, v[1:2], off offset:232
	s_waitcnt vmcnt(0)
	ds_store_b64 v3, v[4:5]
.LBB43_215:
	s_or_b32 exec_lo, exec_lo, s0
	s_waitcnt lgkmcnt(0)
	s_waitcnt_vscnt null, 0x0
	s_barrier
	buffer_gl0_inv
	s_clause 0x4
	scratch_load_b128 v[94:97], off, off offset:232
	scratch_load_b128 v[98:101], off, off offset:248
	;; [unrolled: 1-line block ×5, first 2 shown]
	ds_load_b128 v[114:117], v1 offset:592
	scratch_load_b128 v[118:121], off, off offset:312
	s_mov_b32 s0, exec_lo
	s_waitcnt vmcnt(5) lgkmcnt(0)
	v_fma_f64 v[4:5], v[96:97], v[114:115], 0
	s_waitcnt vmcnt(4)
	s_delay_alu instid0(VALU_DEP_1)
	v_fma_f64 v[4:5], v[98:99], v[116:117], v[4:5]
	scratch_load_b128 v[114:117], off, off offset:328
	ds_load_b128 v[96:99], v1 offset:608
	s_waitcnt lgkmcnt(0)
	v_fma_f64 v[4:5], v[100:101], v[96:97], v[4:5]
	scratch_load_b64 v[100:101], off, off offset:344
	s_waitcnt vmcnt(5)
	v_fma_f64 v[4:5], v[102:103], v[98:99], v[4:5]
	ds_load_b128 v[96:99], v1 offset:624
	s_waitcnt lgkmcnt(0)
	v_fma_f64 v[4:5], v[104:105], v[96:97], v[4:5]
	s_waitcnt vmcnt(4)
	s_delay_alu instid0(VALU_DEP_1) | instskip(SKIP_4) | instid1(VALU_DEP_1)
	v_fma_f64 v[4:5], v[106:107], v[98:99], v[4:5]
	ds_load_b128 v[96:99], v1 offset:640
	s_waitcnt lgkmcnt(0)
	v_fma_f64 v[4:5], v[108:109], v[96:97], v[4:5]
	s_waitcnt vmcnt(3)
	v_fma_f64 v[4:5], v[110:111], v[98:99], v[4:5]
	ds_load_b128 v[96:99], v1 offset:656
	s_waitcnt lgkmcnt(0)
	v_fma_f64 v[4:5], v[112:113], v[96:97], v[4:5]
	s_waitcnt vmcnt(2)
	s_delay_alu instid0(VALU_DEP_1) | instskip(SKIP_4) | instid1(VALU_DEP_1)
	v_fma_f64 v[4:5], v[118:119], v[98:99], v[4:5]
	ds_load_b128 v[96:99], v1 offset:672
	s_waitcnt lgkmcnt(0)
	v_fma_f64 v[4:5], v[120:121], v[96:97], v[4:5]
	s_waitcnt vmcnt(1)
	v_fma_f64 v[4:5], v[114:115], v[98:99], v[4:5]
	ds_load_b128 v[96:99], v1 offset:688
	s_waitcnt lgkmcnt(0)
	v_fma_f64 v[1:2], v[116:117], v[96:97], v[4:5]
	s_waitcnt vmcnt(0)
	s_delay_alu instid0(VALU_DEP_1) | instskip(NEXT) | instid1(VALU_DEP_1)
	v_fma_f64 v[1:2], v[100:101], v[98:99], v[1:2]
	v_add_f64 v[1:2], v[94:95], -v[1:2]
	scratch_store_b64 off, v[1:2], off offset:232
	v_cmpx_lt_u32_e32 28, v0
	s_cbranch_execz .LBB43_217
; %bb.216:
	scratch_load_b64 v[1:2], off, off offset:224
	v_mov_b32_e32 v4, 0
	s_delay_alu instid0(VALU_DEP_1)
	v_mov_b32_e32 v5, v4
	scratch_store_b64 off, v[4:5], off offset:224
	s_waitcnt vmcnt(0)
	ds_store_b64 v3, v[1:2]
.LBB43_217:
	s_or_b32 exec_lo, exec_lo, s0
	s_waitcnt lgkmcnt(0)
	s_waitcnt_vscnt null, 0x0
	s_barrier
	buffer_gl0_inv
	s_clause 0x4
	scratch_load_b128 v[94:97], off, off offset:224
	scratch_load_b128 v[98:101], off, off offset:240
	;; [unrolled: 1-line block ×5, first 2 shown]
	v_mov_b32_e32 v1, 0
	scratch_load_b128 v[118:121], off, off offset:304
	s_mov_b32 s0, exec_lo
	ds_load_2addr_b64 v[114:117], v1 offset0:73 offset1:74
	s_waitcnt vmcnt(5) lgkmcnt(0)
	v_fma_f64 v[4:5], v[96:97], v[114:115], 0
	s_waitcnt vmcnt(4)
	s_delay_alu instid0(VALU_DEP_1)
	v_fma_f64 v[4:5], v[98:99], v[116:117], v[4:5]
	scratch_load_b128 v[114:117], off, off offset:320
	ds_load_2addr_b64 v[96:99], v1 offset0:75 offset1:76
	s_waitcnt lgkmcnt(0)
	v_fma_f64 v[4:5], v[100:101], v[96:97], v[4:5]
	s_waitcnt vmcnt(4)
	s_delay_alu instid0(VALU_DEP_1)
	v_fma_f64 v[4:5], v[102:103], v[98:99], v[4:5]
	ds_load_2addr_b64 v[96:99], v1 offset0:77 offset1:78
	scratch_load_b128 v[100:103], off, off offset:336
	s_waitcnt lgkmcnt(0)
	v_fma_f64 v[4:5], v[104:105], v[96:97], v[4:5]
	s_waitcnt vmcnt(4)
	s_delay_alu instid0(VALU_DEP_1) | instskip(SKIP_4) | instid1(VALU_DEP_1)
	v_fma_f64 v[4:5], v[106:107], v[98:99], v[4:5]
	ds_load_2addr_b64 v[96:99], v1 offset0:79 offset1:80
	s_waitcnt lgkmcnt(0)
	v_fma_f64 v[4:5], v[108:109], v[96:97], v[4:5]
	s_waitcnt vmcnt(3)
	v_fma_f64 v[4:5], v[110:111], v[98:99], v[4:5]
	ds_load_2addr_b64 v[96:99], v1 offset0:81 offset1:82
	s_waitcnt lgkmcnt(0)
	v_fma_f64 v[4:5], v[112:113], v[96:97], v[4:5]
	s_waitcnt vmcnt(2)
	s_delay_alu instid0(VALU_DEP_1) | instskip(SKIP_4) | instid1(VALU_DEP_1)
	v_fma_f64 v[4:5], v[118:119], v[98:99], v[4:5]
	ds_load_2addr_b64 v[96:99], v1 offset0:83 offset1:84
	s_waitcnt lgkmcnt(0)
	v_fma_f64 v[4:5], v[120:121], v[96:97], v[4:5]
	s_waitcnt vmcnt(1)
	v_fma_f64 v[4:5], v[114:115], v[98:99], v[4:5]
	ds_load_2addr_b64 v[96:99], v1 offset0:85 offset1:86
	s_waitcnt lgkmcnt(0)
	v_fma_f64 v[4:5], v[116:117], v[96:97], v[4:5]
	ds_load_b64 v[96:97], v1 offset:696
	s_waitcnt vmcnt(0)
	v_fma_f64 v[4:5], v[100:101], v[98:99], v[4:5]
	s_waitcnt lgkmcnt(0)
	s_delay_alu instid0(VALU_DEP_1) | instskip(NEXT) | instid1(VALU_DEP_1)
	v_fma_f64 v[4:5], v[102:103], v[96:97], v[4:5]
	v_add_f64 v[4:5], v[94:95], -v[4:5]
	scratch_store_b64 off, v[4:5], off offset:224
	v_cmpx_lt_u32_e32 27, v0
	s_cbranch_execz .LBB43_219
; %bb.218:
	scratch_load_b64 v[4:5], off, off offset:216
	v_mov_b32_e32 v2, v1
	scratch_store_b64 off, v[1:2], off offset:216
	s_waitcnt vmcnt(0)
	ds_store_b64 v3, v[4:5]
.LBB43_219:
	s_or_b32 exec_lo, exec_lo, s0
	s_waitcnt lgkmcnt(0)
	s_waitcnt_vscnt null, 0x0
	s_barrier
	buffer_gl0_inv
	s_clause 0x4
	scratch_load_b128 v[94:97], off, off offset:216
	scratch_load_b128 v[98:101], off, off offset:232
	;; [unrolled: 1-line block ×5, first 2 shown]
	ds_load_b128 v[114:117], v1 offset:576
	scratch_load_b128 v[118:121], off, off offset:296
	s_mov_b32 s0, exec_lo
	s_waitcnt vmcnt(5) lgkmcnt(0)
	v_fma_f64 v[4:5], v[96:97], v[114:115], 0
	s_waitcnt vmcnt(4)
	s_delay_alu instid0(VALU_DEP_1)
	v_fma_f64 v[4:5], v[98:99], v[116:117], v[4:5]
	scratch_load_b128 v[114:117], off, off offset:312
	ds_load_b128 v[96:99], v1 offset:592
	s_waitcnt lgkmcnt(0)
	v_fma_f64 v[4:5], v[100:101], v[96:97], v[4:5]
	s_waitcnt vmcnt(4)
	s_delay_alu instid0(VALU_DEP_1)
	v_fma_f64 v[4:5], v[102:103], v[98:99], v[4:5]
	ds_load_b128 v[96:99], v1 offset:608
	scratch_load_b128 v[100:103], off, off offset:328
	s_waitcnt lgkmcnt(0)
	v_fma_f64 v[4:5], v[104:105], v[96:97], v[4:5]
	scratch_load_b64 v[104:105], off, off offset:344
	s_waitcnt vmcnt(5)
	v_fma_f64 v[4:5], v[106:107], v[98:99], v[4:5]
	ds_load_b128 v[96:99], v1 offset:624
	s_waitcnt lgkmcnt(0)
	v_fma_f64 v[4:5], v[108:109], v[96:97], v[4:5]
	s_waitcnt vmcnt(4)
	s_delay_alu instid0(VALU_DEP_1) | instskip(SKIP_4) | instid1(VALU_DEP_1)
	v_fma_f64 v[4:5], v[110:111], v[98:99], v[4:5]
	ds_load_b128 v[96:99], v1 offset:640
	s_waitcnt lgkmcnt(0)
	v_fma_f64 v[4:5], v[112:113], v[96:97], v[4:5]
	s_waitcnt vmcnt(3)
	v_fma_f64 v[4:5], v[118:119], v[98:99], v[4:5]
	ds_load_b128 v[96:99], v1 offset:656
	s_waitcnt lgkmcnt(0)
	v_fma_f64 v[4:5], v[120:121], v[96:97], v[4:5]
	s_waitcnt vmcnt(2)
	s_delay_alu instid0(VALU_DEP_1) | instskip(SKIP_4) | instid1(VALU_DEP_1)
	v_fma_f64 v[4:5], v[114:115], v[98:99], v[4:5]
	ds_load_b128 v[96:99], v1 offset:672
	s_waitcnt lgkmcnt(0)
	v_fma_f64 v[4:5], v[116:117], v[96:97], v[4:5]
	s_waitcnt vmcnt(1)
	v_fma_f64 v[4:5], v[100:101], v[98:99], v[4:5]
	ds_load_b128 v[96:99], v1 offset:688
	s_waitcnt lgkmcnt(0)
	v_fma_f64 v[1:2], v[102:103], v[96:97], v[4:5]
	s_waitcnt vmcnt(0)
	s_delay_alu instid0(VALU_DEP_1) | instskip(NEXT) | instid1(VALU_DEP_1)
	v_fma_f64 v[1:2], v[104:105], v[98:99], v[1:2]
	v_add_f64 v[1:2], v[94:95], -v[1:2]
	scratch_store_b64 off, v[1:2], off offset:216
	v_cmpx_lt_u32_e32 26, v0
	s_cbranch_execz .LBB43_221
; %bb.220:
	scratch_load_b64 v[1:2], off, off offset:208
	v_mov_b32_e32 v4, 0
	s_delay_alu instid0(VALU_DEP_1)
	v_mov_b32_e32 v5, v4
	scratch_store_b64 off, v[4:5], off offset:208
	s_waitcnt vmcnt(0)
	ds_store_b64 v3, v[1:2]
.LBB43_221:
	s_or_b32 exec_lo, exec_lo, s0
	s_waitcnt lgkmcnt(0)
	s_waitcnt_vscnt null, 0x0
	s_barrier
	buffer_gl0_inv
	s_clause 0x4
	scratch_load_b128 v[94:97], off, off offset:208
	scratch_load_b128 v[98:101], off, off offset:224
	;; [unrolled: 1-line block ×5, first 2 shown]
	v_mov_b32_e32 v1, 0
	scratch_load_b128 v[118:121], off, off offset:288
	s_mov_b32 s0, exec_lo
	ds_load_2addr_b64 v[114:117], v1 offset0:71 offset1:72
	s_waitcnt vmcnt(5) lgkmcnt(0)
	v_fma_f64 v[4:5], v[96:97], v[114:115], 0
	s_waitcnt vmcnt(4)
	s_delay_alu instid0(VALU_DEP_1)
	v_fma_f64 v[4:5], v[98:99], v[116:117], v[4:5]
	scratch_load_b128 v[114:117], off, off offset:304
	ds_load_2addr_b64 v[96:99], v1 offset0:73 offset1:74
	s_waitcnt lgkmcnt(0)
	v_fma_f64 v[4:5], v[100:101], v[96:97], v[4:5]
	s_waitcnt vmcnt(4)
	s_delay_alu instid0(VALU_DEP_1)
	v_fma_f64 v[4:5], v[102:103], v[98:99], v[4:5]
	ds_load_2addr_b64 v[96:99], v1 offset0:75 offset1:76
	scratch_load_b128 v[100:103], off, off offset:320
	s_waitcnt lgkmcnt(0)
	v_fma_f64 v[4:5], v[104:105], v[96:97], v[4:5]
	s_waitcnt vmcnt(4)
	s_delay_alu instid0(VALU_DEP_1)
	v_fma_f64 v[4:5], v[106:107], v[98:99], v[4:5]
	scratch_load_b128 v[104:107], off, off offset:336
	ds_load_2addr_b64 v[96:99], v1 offset0:77 offset1:78
	s_waitcnt lgkmcnt(0)
	v_fma_f64 v[4:5], v[108:109], v[96:97], v[4:5]
	s_waitcnt vmcnt(4)
	s_delay_alu instid0(VALU_DEP_1) | instskip(SKIP_4) | instid1(VALU_DEP_1)
	v_fma_f64 v[4:5], v[110:111], v[98:99], v[4:5]
	ds_load_2addr_b64 v[96:99], v1 offset0:79 offset1:80
	s_waitcnt lgkmcnt(0)
	v_fma_f64 v[4:5], v[112:113], v[96:97], v[4:5]
	s_waitcnt vmcnt(3)
	v_fma_f64 v[4:5], v[118:119], v[98:99], v[4:5]
	ds_load_2addr_b64 v[96:99], v1 offset0:81 offset1:82
	s_waitcnt lgkmcnt(0)
	v_fma_f64 v[4:5], v[120:121], v[96:97], v[4:5]
	s_waitcnt vmcnt(2)
	s_delay_alu instid0(VALU_DEP_1) | instskip(SKIP_4) | instid1(VALU_DEP_1)
	v_fma_f64 v[4:5], v[114:115], v[98:99], v[4:5]
	ds_load_2addr_b64 v[96:99], v1 offset0:83 offset1:84
	s_waitcnt lgkmcnt(0)
	v_fma_f64 v[4:5], v[116:117], v[96:97], v[4:5]
	s_waitcnt vmcnt(1)
	v_fma_f64 v[4:5], v[100:101], v[98:99], v[4:5]
	ds_load_2addr_b64 v[96:99], v1 offset0:85 offset1:86
	s_waitcnt lgkmcnt(0)
	v_fma_f64 v[4:5], v[102:103], v[96:97], v[4:5]
	ds_load_b64 v[96:97], v1 offset:696
	s_waitcnt vmcnt(0)
	v_fma_f64 v[4:5], v[104:105], v[98:99], v[4:5]
	s_waitcnt lgkmcnt(0)
	s_delay_alu instid0(VALU_DEP_1) | instskip(NEXT) | instid1(VALU_DEP_1)
	v_fma_f64 v[4:5], v[106:107], v[96:97], v[4:5]
	v_add_f64 v[4:5], v[94:95], -v[4:5]
	scratch_store_b64 off, v[4:5], off offset:208
	v_cmpx_lt_u32_e32 25, v0
	s_cbranch_execz .LBB43_223
; %bb.222:
	scratch_load_b64 v[4:5], off, off offset:200
	v_mov_b32_e32 v2, v1
	scratch_store_b64 off, v[1:2], off offset:200
	s_waitcnt vmcnt(0)
	ds_store_b64 v3, v[4:5]
.LBB43_223:
	s_or_b32 exec_lo, exec_lo, s0
	s_waitcnt lgkmcnt(0)
	s_waitcnt_vscnt null, 0x0
	s_barrier
	buffer_gl0_inv
	s_clause 0x4
	scratch_load_b128 v[94:97], off, off offset:200
	scratch_load_b128 v[98:101], off, off offset:216
	;; [unrolled: 1-line block ×5, first 2 shown]
	ds_load_b128 v[114:117], v1 offset:560
	scratch_load_b128 v[118:121], off, off offset:280
	s_mov_b32 s0, exec_lo
	s_waitcnt vmcnt(5) lgkmcnt(0)
	v_fma_f64 v[4:5], v[96:97], v[114:115], 0
	s_waitcnt vmcnt(4)
	s_delay_alu instid0(VALU_DEP_1)
	v_fma_f64 v[4:5], v[98:99], v[116:117], v[4:5]
	scratch_load_b128 v[114:117], off, off offset:296
	ds_load_b128 v[96:99], v1 offset:576
	s_waitcnt lgkmcnt(0)
	v_fma_f64 v[4:5], v[100:101], v[96:97], v[4:5]
	s_waitcnt vmcnt(4)
	s_delay_alu instid0(VALU_DEP_1)
	v_fma_f64 v[4:5], v[102:103], v[98:99], v[4:5]
	ds_load_b128 v[96:99], v1 offset:592
	scratch_load_b128 v[100:103], off, off offset:312
	s_waitcnt lgkmcnt(0)
	v_fma_f64 v[4:5], v[104:105], v[96:97], v[4:5]
	s_waitcnt vmcnt(4)
	s_delay_alu instid0(VALU_DEP_1)
	v_fma_f64 v[4:5], v[106:107], v[98:99], v[4:5]
	scratch_load_b128 v[104:107], off, off offset:328
	ds_load_b128 v[96:99], v1 offset:608
	s_waitcnt lgkmcnt(0)
	v_fma_f64 v[4:5], v[108:109], v[96:97], v[4:5]
	scratch_load_b64 v[108:109], off, off offset:344
	s_waitcnt vmcnt(5)
	v_fma_f64 v[4:5], v[110:111], v[98:99], v[4:5]
	ds_load_b128 v[96:99], v1 offset:624
	s_waitcnt lgkmcnt(0)
	v_fma_f64 v[4:5], v[112:113], v[96:97], v[4:5]
	s_waitcnt vmcnt(4)
	s_delay_alu instid0(VALU_DEP_1) | instskip(SKIP_4) | instid1(VALU_DEP_1)
	v_fma_f64 v[4:5], v[118:119], v[98:99], v[4:5]
	ds_load_b128 v[96:99], v1 offset:640
	s_waitcnt lgkmcnt(0)
	v_fma_f64 v[4:5], v[120:121], v[96:97], v[4:5]
	s_waitcnt vmcnt(3)
	v_fma_f64 v[4:5], v[114:115], v[98:99], v[4:5]
	ds_load_b128 v[96:99], v1 offset:656
	s_waitcnt lgkmcnt(0)
	v_fma_f64 v[4:5], v[116:117], v[96:97], v[4:5]
	s_waitcnt vmcnt(2)
	s_delay_alu instid0(VALU_DEP_1) | instskip(SKIP_4) | instid1(VALU_DEP_1)
	v_fma_f64 v[4:5], v[100:101], v[98:99], v[4:5]
	ds_load_b128 v[96:99], v1 offset:672
	s_waitcnt lgkmcnt(0)
	v_fma_f64 v[4:5], v[102:103], v[96:97], v[4:5]
	s_waitcnt vmcnt(1)
	v_fma_f64 v[4:5], v[104:105], v[98:99], v[4:5]
	ds_load_b128 v[96:99], v1 offset:688
	s_waitcnt lgkmcnt(0)
	v_fma_f64 v[1:2], v[106:107], v[96:97], v[4:5]
	s_waitcnt vmcnt(0)
	s_delay_alu instid0(VALU_DEP_1) | instskip(NEXT) | instid1(VALU_DEP_1)
	v_fma_f64 v[1:2], v[108:109], v[98:99], v[1:2]
	v_add_f64 v[1:2], v[94:95], -v[1:2]
	scratch_store_b64 off, v[1:2], off offset:200
	v_cmpx_lt_u32_e32 24, v0
	s_cbranch_execz .LBB43_225
; %bb.224:
	scratch_load_b64 v[1:2], off, off offset:192
	v_mov_b32_e32 v4, 0
	s_delay_alu instid0(VALU_DEP_1)
	v_mov_b32_e32 v5, v4
	scratch_store_b64 off, v[4:5], off offset:192
	s_waitcnt vmcnt(0)
	ds_store_b64 v3, v[1:2]
.LBB43_225:
	s_or_b32 exec_lo, exec_lo, s0
	s_waitcnt lgkmcnt(0)
	s_waitcnt_vscnt null, 0x0
	s_barrier
	buffer_gl0_inv
	s_clause 0x4
	scratch_load_b128 v[94:97], off, off offset:192
	scratch_load_b128 v[98:101], off, off offset:208
	;; [unrolled: 1-line block ×5, first 2 shown]
	v_mov_b32_e32 v1, 0
	scratch_load_b128 v[118:121], off, off offset:272
	s_mov_b32 s0, exec_lo
	ds_load_2addr_b64 v[114:117], v1 offset0:69 offset1:70
	s_waitcnt vmcnt(5) lgkmcnt(0)
	v_fma_f64 v[4:5], v[96:97], v[114:115], 0
	s_waitcnt vmcnt(4)
	s_delay_alu instid0(VALU_DEP_1)
	v_fma_f64 v[4:5], v[98:99], v[116:117], v[4:5]
	scratch_load_b128 v[114:117], off, off offset:288
	ds_load_2addr_b64 v[96:99], v1 offset0:71 offset1:72
	s_waitcnt lgkmcnt(0)
	v_fma_f64 v[4:5], v[100:101], v[96:97], v[4:5]
	s_waitcnt vmcnt(4)
	s_delay_alu instid0(VALU_DEP_1)
	v_fma_f64 v[4:5], v[102:103], v[98:99], v[4:5]
	ds_load_2addr_b64 v[96:99], v1 offset0:73 offset1:74
	scratch_load_b128 v[100:103], off, off offset:304
	s_waitcnt lgkmcnt(0)
	v_fma_f64 v[4:5], v[104:105], v[96:97], v[4:5]
	s_waitcnt vmcnt(4)
	s_delay_alu instid0(VALU_DEP_1)
	v_fma_f64 v[4:5], v[106:107], v[98:99], v[4:5]
	scratch_load_b128 v[104:107], off, off offset:320
	ds_load_2addr_b64 v[96:99], v1 offset0:75 offset1:76
	s_waitcnt lgkmcnt(0)
	v_fma_f64 v[4:5], v[108:109], v[96:97], v[4:5]
	s_waitcnt vmcnt(4)
	s_delay_alu instid0(VALU_DEP_1)
	v_fma_f64 v[4:5], v[110:111], v[98:99], v[4:5]
	ds_load_2addr_b64 v[96:99], v1 offset0:77 offset1:78
	scratch_load_b128 v[108:111], off, off offset:336
	s_waitcnt lgkmcnt(0)
	v_fma_f64 v[4:5], v[112:113], v[96:97], v[4:5]
	s_waitcnt vmcnt(4)
	s_delay_alu instid0(VALU_DEP_1) | instskip(SKIP_4) | instid1(VALU_DEP_1)
	v_fma_f64 v[4:5], v[118:119], v[98:99], v[4:5]
	ds_load_2addr_b64 v[96:99], v1 offset0:79 offset1:80
	s_waitcnt lgkmcnt(0)
	v_fma_f64 v[4:5], v[120:121], v[96:97], v[4:5]
	s_waitcnt vmcnt(3)
	v_fma_f64 v[4:5], v[114:115], v[98:99], v[4:5]
	ds_load_2addr_b64 v[96:99], v1 offset0:81 offset1:82
	s_waitcnt lgkmcnt(0)
	v_fma_f64 v[4:5], v[116:117], v[96:97], v[4:5]
	s_waitcnt vmcnt(2)
	s_delay_alu instid0(VALU_DEP_1) | instskip(SKIP_4) | instid1(VALU_DEP_1)
	v_fma_f64 v[4:5], v[100:101], v[98:99], v[4:5]
	ds_load_2addr_b64 v[96:99], v1 offset0:83 offset1:84
	s_waitcnt lgkmcnt(0)
	v_fma_f64 v[4:5], v[102:103], v[96:97], v[4:5]
	s_waitcnt vmcnt(1)
	v_fma_f64 v[4:5], v[104:105], v[98:99], v[4:5]
	ds_load_2addr_b64 v[96:99], v1 offset0:85 offset1:86
	s_waitcnt lgkmcnt(0)
	v_fma_f64 v[4:5], v[106:107], v[96:97], v[4:5]
	ds_load_b64 v[96:97], v1 offset:696
	s_waitcnt vmcnt(0)
	v_fma_f64 v[4:5], v[108:109], v[98:99], v[4:5]
	s_waitcnt lgkmcnt(0)
	s_delay_alu instid0(VALU_DEP_1) | instskip(NEXT) | instid1(VALU_DEP_1)
	v_fma_f64 v[4:5], v[110:111], v[96:97], v[4:5]
	v_add_f64 v[4:5], v[94:95], -v[4:5]
	scratch_store_b64 off, v[4:5], off offset:192
	v_cmpx_lt_u32_e32 23, v0
	s_cbranch_execz .LBB43_227
; %bb.226:
	scratch_load_b64 v[4:5], off, off offset:184
	v_mov_b32_e32 v2, v1
	scratch_store_b64 off, v[1:2], off offset:184
	s_waitcnt vmcnt(0)
	ds_store_b64 v3, v[4:5]
.LBB43_227:
	s_or_b32 exec_lo, exec_lo, s0
	s_waitcnt lgkmcnt(0)
	s_waitcnt_vscnt null, 0x0
	s_barrier
	buffer_gl0_inv
	s_clause 0x4
	scratch_load_b128 v[94:97], off, off offset:184
	scratch_load_b128 v[98:101], off, off offset:200
	;; [unrolled: 1-line block ×5, first 2 shown]
	ds_load_b128 v[114:117], v1 offset:544
	scratch_load_b128 v[118:121], off, off offset:264
	s_mov_b32 s0, exec_lo
	s_waitcnt vmcnt(5) lgkmcnt(0)
	v_fma_f64 v[4:5], v[96:97], v[114:115], 0
	s_waitcnt vmcnt(4)
	s_delay_alu instid0(VALU_DEP_1)
	v_fma_f64 v[4:5], v[98:99], v[116:117], v[4:5]
	scratch_load_b128 v[114:117], off, off offset:280
	ds_load_b128 v[96:99], v1 offset:560
	s_waitcnt lgkmcnt(0)
	v_fma_f64 v[4:5], v[100:101], v[96:97], v[4:5]
	s_waitcnt vmcnt(4)
	s_delay_alu instid0(VALU_DEP_1)
	v_fma_f64 v[4:5], v[102:103], v[98:99], v[4:5]
	ds_load_b128 v[96:99], v1 offset:576
	scratch_load_b128 v[100:103], off, off offset:296
	s_waitcnt lgkmcnt(0)
	v_fma_f64 v[4:5], v[104:105], v[96:97], v[4:5]
	s_waitcnt vmcnt(4)
	s_delay_alu instid0(VALU_DEP_1)
	v_fma_f64 v[4:5], v[106:107], v[98:99], v[4:5]
	scratch_load_b128 v[104:107], off, off offset:312
	ds_load_b128 v[96:99], v1 offset:592
	s_waitcnt lgkmcnt(0)
	v_fma_f64 v[4:5], v[108:109], v[96:97], v[4:5]
	s_waitcnt vmcnt(4)
	s_delay_alu instid0(VALU_DEP_1)
	v_fma_f64 v[4:5], v[110:111], v[98:99], v[4:5]
	ds_load_b128 v[96:99], v1 offset:608
	scratch_load_b128 v[108:111], off, off offset:328
	s_waitcnt lgkmcnt(0)
	v_fma_f64 v[4:5], v[112:113], v[96:97], v[4:5]
	scratch_load_b64 v[112:113], off, off offset:344
	s_waitcnt vmcnt(5)
	v_fma_f64 v[4:5], v[118:119], v[98:99], v[4:5]
	ds_load_b128 v[96:99], v1 offset:624
	s_waitcnt lgkmcnt(0)
	v_fma_f64 v[4:5], v[120:121], v[96:97], v[4:5]
	s_waitcnt vmcnt(4)
	s_delay_alu instid0(VALU_DEP_1) | instskip(SKIP_4) | instid1(VALU_DEP_1)
	v_fma_f64 v[4:5], v[114:115], v[98:99], v[4:5]
	ds_load_b128 v[96:99], v1 offset:640
	s_waitcnt lgkmcnt(0)
	v_fma_f64 v[4:5], v[116:117], v[96:97], v[4:5]
	s_waitcnt vmcnt(3)
	v_fma_f64 v[4:5], v[100:101], v[98:99], v[4:5]
	ds_load_b128 v[96:99], v1 offset:656
	s_waitcnt lgkmcnt(0)
	v_fma_f64 v[4:5], v[102:103], v[96:97], v[4:5]
	s_waitcnt vmcnt(2)
	s_delay_alu instid0(VALU_DEP_1) | instskip(SKIP_4) | instid1(VALU_DEP_1)
	v_fma_f64 v[4:5], v[104:105], v[98:99], v[4:5]
	ds_load_b128 v[96:99], v1 offset:672
	s_waitcnt lgkmcnt(0)
	v_fma_f64 v[4:5], v[106:107], v[96:97], v[4:5]
	s_waitcnt vmcnt(1)
	v_fma_f64 v[4:5], v[108:109], v[98:99], v[4:5]
	ds_load_b128 v[96:99], v1 offset:688
	s_waitcnt lgkmcnt(0)
	v_fma_f64 v[1:2], v[110:111], v[96:97], v[4:5]
	s_waitcnt vmcnt(0)
	s_delay_alu instid0(VALU_DEP_1) | instskip(NEXT) | instid1(VALU_DEP_1)
	v_fma_f64 v[1:2], v[112:113], v[98:99], v[1:2]
	v_add_f64 v[1:2], v[94:95], -v[1:2]
	scratch_store_b64 off, v[1:2], off offset:184
	v_cmpx_lt_u32_e32 22, v0
	s_cbranch_execz .LBB43_229
; %bb.228:
	scratch_load_b64 v[1:2], off, off offset:176
	v_mov_b32_e32 v4, 0
	s_delay_alu instid0(VALU_DEP_1)
	v_mov_b32_e32 v5, v4
	scratch_store_b64 off, v[4:5], off offset:176
	s_waitcnt vmcnt(0)
	ds_store_b64 v3, v[1:2]
.LBB43_229:
	s_or_b32 exec_lo, exec_lo, s0
	s_waitcnt lgkmcnt(0)
	s_waitcnt_vscnt null, 0x0
	s_barrier
	buffer_gl0_inv
	s_clause 0x4
	scratch_load_b128 v[94:97], off, off offset:176
	scratch_load_b128 v[98:101], off, off offset:192
	;; [unrolled: 1-line block ×5, first 2 shown]
	v_mov_b32_e32 v1, 0
	scratch_load_b128 v[118:121], off, off offset:256
	s_mov_b32 s0, exec_lo
	ds_load_2addr_b64 v[114:117], v1 offset0:67 offset1:68
	s_waitcnt vmcnt(5) lgkmcnt(0)
	v_fma_f64 v[4:5], v[96:97], v[114:115], 0
	s_waitcnt vmcnt(4)
	s_delay_alu instid0(VALU_DEP_1)
	v_fma_f64 v[4:5], v[98:99], v[116:117], v[4:5]
	scratch_load_b128 v[114:117], off, off offset:272
	ds_load_2addr_b64 v[96:99], v1 offset0:69 offset1:70
	s_waitcnt lgkmcnt(0)
	v_fma_f64 v[4:5], v[100:101], v[96:97], v[4:5]
	s_waitcnt vmcnt(4)
	s_delay_alu instid0(VALU_DEP_1)
	v_fma_f64 v[4:5], v[102:103], v[98:99], v[4:5]
	ds_load_2addr_b64 v[96:99], v1 offset0:71 offset1:72
	scratch_load_b128 v[100:103], off, off offset:288
	s_waitcnt lgkmcnt(0)
	v_fma_f64 v[4:5], v[104:105], v[96:97], v[4:5]
	s_waitcnt vmcnt(4)
	s_delay_alu instid0(VALU_DEP_1)
	v_fma_f64 v[4:5], v[106:107], v[98:99], v[4:5]
	scratch_load_b128 v[104:107], off, off offset:304
	ds_load_2addr_b64 v[96:99], v1 offset0:73 offset1:74
	s_waitcnt lgkmcnt(0)
	v_fma_f64 v[4:5], v[108:109], v[96:97], v[4:5]
	s_waitcnt vmcnt(4)
	s_delay_alu instid0(VALU_DEP_1)
	v_fma_f64 v[4:5], v[110:111], v[98:99], v[4:5]
	ds_load_2addr_b64 v[96:99], v1 offset0:75 offset1:76
	scratch_load_b128 v[108:111], off, off offset:320
	s_waitcnt lgkmcnt(0)
	v_fma_f64 v[4:5], v[112:113], v[96:97], v[4:5]
	s_waitcnt vmcnt(4)
	s_delay_alu instid0(VALU_DEP_1)
	v_fma_f64 v[4:5], v[118:119], v[98:99], v[4:5]
	ds_load_2addr_b64 v[96:99], v1 offset0:77 offset1:78
	s_waitcnt lgkmcnt(0)
	v_fma_f64 v[4:5], v[120:121], v[96:97], v[4:5]
	scratch_load_b128 v[118:121], off, off offset:336
	s_waitcnt vmcnt(4)
	v_fma_f64 v[4:5], v[114:115], v[98:99], v[4:5]
	ds_load_2addr_b64 v[96:99], v1 offset0:79 offset1:80
	s_waitcnt lgkmcnt(0)
	v_fma_f64 v[4:5], v[116:117], v[96:97], v[4:5]
	s_waitcnt vmcnt(3)
	s_delay_alu instid0(VALU_DEP_1) | instskip(SKIP_4) | instid1(VALU_DEP_1)
	v_fma_f64 v[4:5], v[100:101], v[98:99], v[4:5]
	ds_load_2addr_b64 v[96:99], v1 offset0:81 offset1:82
	s_waitcnt lgkmcnt(0)
	v_fma_f64 v[4:5], v[102:103], v[96:97], v[4:5]
	s_waitcnt vmcnt(2)
	v_fma_f64 v[4:5], v[104:105], v[98:99], v[4:5]
	ds_load_2addr_b64 v[96:99], v1 offset0:83 offset1:84
	s_waitcnt lgkmcnt(0)
	v_fma_f64 v[4:5], v[106:107], v[96:97], v[4:5]
	s_waitcnt vmcnt(1)
	s_delay_alu instid0(VALU_DEP_1)
	v_fma_f64 v[4:5], v[108:109], v[98:99], v[4:5]
	ds_load_2addr_b64 v[96:99], v1 offset0:85 offset1:86
	s_waitcnt lgkmcnt(0)
	v_fma_f64 v[4:5], v[110:111], v[96:97], v[4:5]
	ds_load_b64 v[96:97], v1 offset:696
	s_waitcnt vmcnt(0)
	v_fma_f64 v[4:5], v[118:119], v[98:99], v[4:5]
	s_waitcnt lgkmcnt(0)
	s_delay_alu instid0(VALU_DEP_1) | instskip(NEXT) | instid1(VALU_DEP_1)
	v_fma_f64 v[4:5], v[120:121], v[96:97], v[4:5]
	v_add_f64 v[4:5], v[94:95], -v[4:5]
	scratch_store_b64 off, v[4:5], off offset:176
	v_cmpx_lt_u32_e32 21, v0
	s_cbranch_execz .LBB43_231
; %bb.230:
	scratch_load_b64 v[4:5], off, off offset:168
	v_mov_b32_e32 v2, v1
	scratch_store_b64 off, v[1:2], off offset:168
	s_waitcnt vmcnt(0)
	ds_store_b64 v3, v[4:5]
.LBB43_231:
	s_or_b32 exec_lo, exec_lo, s0
	s_waitcnt lgkmcnt(0)
	s_waitcnt_vscnt null, 0x0
	s_barrier
	buffer_gl0_inv
	s_clause 0x4
	scratch_load_b128 v[94:97], off, off offset:168
	scratch_load_b128 v[98:101], off, off offset:184
	;; [unrolled: 1-line block ×5, first 2 shown]
	ds_load_b128 v[114:117], v1 offset:528
	scratch_load_b128 v[118:121], off, off offset:248
	s_mov_b32 s0, exec_lo
	s_waitcnt vmcnt(5) lgkmcnt(0)
	v_fma_f64 v[4:5], v[96:97], v[114:115], 0
	s_waitcnt vmcnt(4)
	s_delay_alu instid0(VALU_DEP_1)
	v_fma_f64 v[4:5], v[98:99], v[116:117], v[4:5]
	scratch_load_b128 v[114:117], off, off offset:264
	ds_load_b128 v[96:99], v1 offset:544
	s_waitcnt lgkmcnt(0)
	v_fma_f64 v[4:5], v[100:101], v[96:97], v[4:5]
	s_waitcnt vmcnt(4)
	s_delay_alu instid0(VALU_DEP_1)
	v_fma_f64 v[4:5], v[102:103], v[98:99], v[4:5]
	ds_load_b128 v[96:99], v1 offset:560
	scratch_load_b128 v[100:103], off, off offset:280
	s_waitcnt lgkmcnt(0)
	v_fma_f64 v[4:5], v[104:105], v[96:97], v[4:5]
	s_waitcnt vmcnt(4)
	s_delay_alu instid0(VALU_DEP_1)
	v_fma_f64 v[4:5], v[106:107], v[98:99], v[4:5]
	scratch_load_b128 v[104:107], off, off offset:296
	ds_load_b128 v[96:99], v1 offset:576
	s_waitcnt lgkmcnt(0)
	v_fma_f64 v[4:5], v[108:109], v[96:97], v[4:5]
	s_waitcnt vmcnt(4)
	s_delay_alu instid0(VALU_DEP_1)
	v_fma_f64 v[4:5], v[110:111], v[98:99], v[4:5]
	ds_load_b128 v[96:99], v1 offset:592
	scratch_load_b128 v[108:111], off, off offset:312
	s_waitcnt lgkmcnt(0)
	v_fma_f64 v[4:5], v[112:113], v[96:97], v[4:5]
	scratch_load_b64 v[112:113], off, off offset:344
	s_waitcnt vmcnt(5)
	v_fma_f64 v[4:5], v[118:119], v[98:99], v[4:5]
	ds_load_b128 v[96:99], v1 offset:608
	s_waitcnt lgkmcnt(0)
	v_fma_f64 v[4:5], v[120:121], v[96:97], v[4:5]
	scratch_load_b128 v[118:121], off, off offset:328
	s_waitcnt vmcnt(5)
	v_fma_f64 v[4:5], v[114:115], v[98:99], v[4:5]
	ds_load_b128 v[96:99], v1 offset:624
	s_waitcnt lgkmcnt(0)
	v_fma_f64 v[4:5], v[116:117], v[96:97], v[4:5]
	s_waitcnt vmcnt(4)
	s_delay_alu instid0(VALU_DEP_1) | instskip(SKIP_4) | instid1(VALU_DEP_1)
	v_fma_f64 v[4:5], v[100:101], v[98:99], v[4:5]
	ds_load_b128 v[96:99], v1 offset:640
	s_waitcnt lgkmcnt(0)
	v_fma_f64 v[4:5], v[102:103], v[96:97], v[4:5]
	s_waitcnt vmcnt(3)
	v_fma_f64 v[4:5], v[104:105], v[98:99], v[4:5]
	ds_load_b128 v[96:99], v1 offset:656
	s_waitcnt lgkmcnt(0)
	v_fma_f64 v[4:5], v[106:107], v[96:97], v[4:5]
	s_waitcnt vmcnt(2)
	s_delay_alu instid0(VALU_DEP_1) | instskip(SKIP_4) | instid1(VALU_DEP_1)
	v_fma_f64 v[4:5], v[108:109], v[98:99], v[4:5]
	ds_load_b128 v[96:99], v1 offset:672
	s_waitcnt lgkmcnt(0)
	v_fma_f64 v[4:5], v[110:111], v[96:97], v[4:5]
	s_waitcnt vmcnt(0)
	v_fma_f64 v[4:5], v[118:119], v[98:99], v[4:5]
	ds_load_b128 v[96:99], v1 offset:688
	s_waitcnt lgkmcnt(0)
	v_fma_f64 v[1:2], v[120:121], v[96:97], v[4:5]
	s_delay_alu instid0(VALU_DEP_1) | instskip(NEXT) | instid1(VALU_DEP_1)
	v_fma_f64 v[1:2], v[112:113], v[98:99], v[1:2]
	v_add_f64 v[1:2], v[94:95], -v[1:2]
	scratch_store_b64 off, v[1:2], off offset:168
	v_cmpx_lt_u32_e32 20, v0
	s_cbranch_execz .LBB43_233
; %bb.232:
	scratch_load_b64 v[1:2], off, off offset:160
	v_mov_b32_e32 v4, 0
	s_delay_alu instid0(VALU_DEP_1)
	v_mov_b32_e32 v5, v4
	scratch_store_b64 off, v[4:5], off offset:160
	s_waitcnt vmcnt(0)
	ds_store_b64 v3, v[1:2]
.LBB43_233:
	s_or_b32 exec_lo, exec_lo, s0
	s_waitcnt lgkmcnt(0)
	s_waitcnt_vscnt null, 0x0
	s_barrier
	buffer_gl0_inv
	s_clause 0x4
	scratch_load_b128 v[94:97], off, off offset:160
	scratch_load_b128 v[98:101], off, off offset:176
	;; [unrolled: 1-line block ×5, first 2 shown]
	v_mov_b32_e32 v1, 0
	scratch_load_b128 v[118:121], off, off offset:240
	s_mov_b32 s0, exec_lo
	ds_load_2addr_b64 v[114:117], v1 offset0:65 offset1:66
	s_waitcnt vmcnt(5) lgkmcnt(0)
	v_fma_f64 v[4:5], v[96:97], v[114:115], 0
	s_waitcnt vmcnt(4)
	s_delay_alu instid0(VALU_DEP_1)
	v_fma_f64 v[4:5], v[98:99], v[116:117], v[4:5]
	scratch_load_b128 v[114:117], off, off offset:256
	ds_load_2addr_b64 v[96:99], v1 offset0:67 offset1:68
	s_waitcnt lgkmcnt(0)
	v_fma_f64 v[4:5], v[100:101], v[96:97], v[4:5]
	s_waitcnt vmcnt(4)
	s_delay_alu instid0(VALU_DEP_1)
	v_fma_f64 v[4:5], v[102:103], v[98:99], v[4:5]
	ds_load_2addr_b64 v[96:99], v1 offset0:69 offset1:70
	scratch_load_b128 v[100:103], off, off offset:272
	s_waitcnt lgkmcnt(0)
	v_fma_f64 v[4:5], v[104:105], v[96:97], v[4:5]
	s_waitcnt vmcnt(4)
	s_delay_alu instid0(VALU_DEP_1)
	v_fma_f64 v[4:5], v[106:107], v[98:99], v[4:5]
	scratch_load_b128 v[104:107], off, off offset:288
	ds_load_2addr_b64 v[96:99], v1 offset0:71 offset1:72
	s_waitcnt lgkmcnt(0)
	v_fma_f64 v[4:5], v[108:109], v[96:97], v[4:5]
	s_waitcnt vmcnt(4)
	s_delay_alu instid0(VALU_DEP_1)
	v_fma_f64 v[4:5], v[110:111], v[98:99], v[4:5]
	ds_load_2addr_b64 v[96:99], v1 offset0:73 offset1:74
	scratch_load_b128 v[108:111], off, off offset:304
	s_waitcnt lgkmcnt(0)
	v_fma_f64 v[4:5], v[112:113], v[96:97], v[4:5]
	s_waitcnt vmcnt(4)
	s_delay_alu instid0(VALU_DEP_1)
	v_fma_f64 v[4:5], v[118:119], v[98:99], v[4:5]
	ds_load_2addr_b64 v[96:99], v1 offset0:75 offset1:76
	s_waitcnt lgkmcnt(0)
	v_fma_f64 v[4:5], v[120:121], v[96:97], v[4:5]
	scratch_load_b128 v[118:121], off, off offset:320
	s_waitcnt vmcnt(4)
	v_fma_f64 v[4:5], v[114:115], v[98:99], v[4:5]
	ds_load_2addr_b64 v[96:99], v1 offset0:77 offset1:78
	scratch_load_b128 v[112:115], off, off offset:336
	s_waitcnt lgkmcnt(0)
	v_fma_f64 v[4:5], v[116:117], v[96:97], v[4:5]
	s_waitcnt vmcnt(4)
	s_delay_alu instid0(VALU_DEP_1) | instskip(SKIP_4) | instid1(VALU_DEP_1)
	v_fma_f64 v[4:5], v[100:101], v[98:99], v[4:5]
	ds_load_2addr_b64 v[96:99], v1 offset0:79 offset1:80
	s_waitcnt lgkmcnt(0)
	v_fma_f64 v[4:5], v[102:103], v[96:97], v[4:5]
	s_waitcnt vmcnt(3)
	v_fma_f64 v[4:5], v[104:105], v[98:99], v[4:5]
	ds_load_2addr_b64 v[96:99], v1 offset0:81 offset1:82
	s_waitcnt lgkmcnt(0)
	v_fma_f64 v[4:5], v[106:107], v[96:97], v[4:5]
	s_waitcnt vmcnt(2)
	s_delay_alu instid0(VALU_DEP_1) | instskip(SKIP_4) | instid1(VALU_DEP_1)
	v_fma_f64 v[4:5], v[108:109], v[98:99], v[4:5]
	ds_load_2addr_b64 v[96:99], v1 offset0:83 offset1:84
	s_waitcnt lgkmcnt(0)
	v_fma_f64 v[4:5], v[110:111], v[96:97], v[4:5]
	s_waitcnt vmcnt(1)
	v_fma_f64 v[4:5], v[118:119], v[98:99], v[4:5]
	ds_load_2addr_b64 v[96:99], v1 offset0:85 offset1:86
	s_waitcnt lgkmcnt(0)
	v_fma_f64 v[4:5], v[120:121], v[96:97], v[4:5]
	ds_load_b64 v[96:97], v1 offset:696
	s_waitcnt vmcnt(0)
	v_fma_f64 v[4:5], v[112:113], v[98:99], v[4:5]
	s_waitcnt lgkmcnt(0)
	s_delay_alu instid0(VALU_DEP_1) | instskip(NEXT) | instid1(VALU_DEP_1)
	v_fma_f64 v[4:5], v[114:115], v[96:97], v[4:5]
	v_add_f64 v[4:5], v[94:95], -v[4:5]
	scratch_store_b64 off, v[4:5], off offset:160
	v_cmpx_lt_u32_e32 19, v0
	s_cbranch_execz .LBB43_235
; %bb.234:
	scratch_load_b64 v[4:5], off, off offset:152
	v_mov_b32_e32 v2, v1
	scratch_store_b64 off, v[1:2], off offset:152
	s_waitcnt vmcnt(0)
	ds_store_b64 v3, v[4:5]
.LBB43_235:
	s_or_b32 exec_lo, exec_lo, s0
	s_waitcnt lgkmcnt(0)
	s_waitcnt_vscnt null, 0x0
	s_barrier
	buffer_gl0_inv
	s_clause 0x4
	scratch_load_b128 v[94:97], off, off offset:152
	scratch_load_b128 v[98:101], off, off offset:168
	;; [unrolled: 1-line block ×5, first 2 shown]
	ds_load_b128 v[114:117], v1 offset:512
	scratch_load_b128 v[118:121], off, off offset:232
	s_mov_b32 s0, exec_lo
	s_waitcnt vmcnt(5) lgkmcnt(0)
	v_fma_f64 v[4:5], v[96:97], v[114:115], 0
	s_waitcnt vmcnt(4)
	s_delay_alu instid0(VALU_DEP_1)
	v_fma_f64 v[4:5], v[98:99], v[116:117], v[4:5]
	scratch_load_b128 v[114:117], off, off offset:248
	ds_load_b128 v[96:99], v1 offset:528
	s_waitcnt lgkmcnt(0)
	v_fma_f64 v[4:5], v[100:101], v[96:97], v[4:5]
	s_waitcnt vmcnt(4)
	s_delay_alu instid0(VALU_DEP_1)
	v_fma_f64 v[4:5], v[102:103], v[98:99], v[4:5]
	ds_load_b128 v[96:99], v1 offset:544
	scratch_load_b128 v[100:103], off, off offset:264
	s_waitcnt lgkmcnt(0)
	v_fma_f64 v[4:5], v[104:105], v[96:97], v[4:5]
	s_waitcnt vmcnt(4)
	s_delay_alu instid0(VALU_DEP_1)
	v_fma_f64 v[4:5], v[106:107], v[98:99], v[4:5]
	scratch_load_b128 v[104:107], off, off offset:280
	ds_load_b128 v[96:99], v1 offset:560
	s_waitcnt lgkmcnt(0)
	v_fma_f64 v[4:5], v[108:109], v[96:97], v[4:5]
	s_waitcnt vmcnt(4)
	s_delay_alu instid0(VALU_DEP_1)
	v_fma_f64 v[4:5], v[110:111], v[98:99], v[4:5]
	ds_load_b128 v[96:99], v1 offset:576
	scratch_load_b128 v[108:111], off, off offset:296
	s_waitcnt lgkmcnt(0)
	v_fma_f64 v[4:5], v[112:113], v[96:97], v[4:5]
	s_waitcnt vmcnt(4)
	s_delay_alu instid0(VALU_DEP_1)
	v_fma_f64 v[4:5], v[118:119], v[98:99], v[4:5]
	ds_load_b128 v[96:99], v1 offset:592
	s_waitcnt lgkmcnt(0)
	v_fma_f64 v[4:5], v[120:121], v[96:97], v[4:5]
	scratch_load_b128 v[118:121], off, off offset:312
	s_waitcnt vmcnt(4)
	v_fma_f64 v[4:5], v[114:115], v[98:99], v[4:5]
	ds_load_b128 v[96:99], v1 offset:608
	scratch_load_b128 v[112:115], off, off offset:328
	s_waitcnt lgkmcnt(0)
	v_fma_f64 v[4:5], v[116:117], v[96:97], v[4:5]
	s_waitcnt vmcnt(4)
	s_delay_alu instid0(VALU_DEP_1)
	v_fma_f64 v[4:5], v[100:101], v[98:99], v[4:5]
	scratch_load_b64 v[100:101], off, off offset:344
	ds_load_b128 v[96:99], v1 offset:624
	s_waitcnt lgkmcnt(0)
	v_fma_f64 v[4:5], v[102:103], v[96:97], v[4:5]
	s_waitcnt vmcnt(4)
	s_delay_alu instid0(VALU_DEP_1) | instskip(SKIP_4) | instid1(VALU_DEP_1)
	v_fma_f64 v[4:5], v[104:105], v[98:99], v[4:5]
	ds_load_b128 v[96:99], v1 offset:640
	s_waitcnt lgkmcnt(0)
	v_fma_f64 v[4:5], v[106:107], v[96:97], v[4:5]
	s_waitcnt vmcnt(3)
	v_fma_f64 v[4:5], v[108:109], v[98:99], v[4:5]
	ds_load_b128 v[96:99], v1 offset:656
	s_waitcnt lgkmcnt(0)
	v_fma_f64 v[4:5], v[110:111], v[96:97], v[4:5]
	s_waitcnt vmcnt(2)
	s_delay_alu instid0(VALU_DEP_1) | instskip(SKIP_4) | instid1(VALU_DEP_1)
	v_fma_f64 v[4:5], v[118:119], v[98:99], v[4:5]
	ds_load_b128 v[96:99], v1 offset:672
	s_waitcnt lgkmcnt(0)
	v_fma_f64 v[4:5], v[120:121], v[96:97], v[4:5]
	s_waitcnt vmcnt(1)
	v_fma_f64 v[4:5], v[112:113], v[98:99], v[4:5]
	ds_load_b128 v[96:99], v1 offset:688
	s_waitcnt lgkmcnt(0)
	v_fma_f64 v[1:2], v[114:115], v[96:97], v[4:5]
	s_waitcnt vmcnt(0)
	s_delay_alu instid0(VALU_DEP_1) | instskip(NEXT) | instid1(VALU_DEP_1)
	v_fma_f64 v[1:2], v[100:101], v[98:99], v[1:2]
	v_add_f64 v[1:2], v[94:95], -v[1:2]
	scratch_store_b64 off, v[1:2], off offset:152
	v_cmpx_lt_u32_e32 18, v0
	s_cbranch_execz .LBB43_237
; %bb.236:
	scratch_load_b64 v[1:2], off, off offset:144
	v_mov_b32_e32 v4, 0
	s_delay_alu instid0(VALU_DEP_1)
	v_mov_b32_e32 v5, v4
	scratch_store_b64 off, v[4:5], off offset:144
	s_waitcnt vmcnt(0)
	ds_store_b64 v3, v[1:2]
.LBB43_237:
	s_or_b32 exec_lo, exec_lo, s0
	s_waitcnt lgkmcnt(0)
	s_waitcnt_vscnt null, 0x0
	s_barrier
	buffer_gl0_inv
	s_clause 0x4
	scratch_load_b128 v[94:97], off, off offset:144
	scratch_load_b128 v[98:101], off, off offset:160
	;; [unrolled: 1-line block ×5, first 2 shown]
	v_mov_b32_e32 v1, 0
	scratch_load_b128 v[118:121], off, off offset:224
	s_mov_b32 s0, exec_lo
	ds_load_2addr_b64 v[114:117], v1 offset0:63 offset1:64
	s_waitcnt vmcnt(5) lgkmcnt(0)
	v_fma_f64 v[4:5], v[96:97], v[114:115], 0
	s_waitcnt vmcnt(4)
	s_delay_alu instid0(VALU_DEP_1)
	v_fma_f64 v[4:5], v[98:99], v[116:117], v[4:5]
	scratch_load_b128 v[114:117], off, off offset:240
	ds_load_2addr_b64 v[96:99], v1 offset0:65 offset1:66
	s_waitcnt lgkmcnt(0)
	v_fma_f64 v[4:5], v[100:101], v[96:97], v[4:5]
	s_waitcnt vmcnt(4)
	s_delay_alu instid0(VALU_DEP_1)
	v_fma_f64 v[4:5], v[102:103], v[98:99], v[4:5]
	ds_load_2addr_b64 v[96:99], v1 offset0:67 offset1:68
	scratch_load_b128 v[100:103], off, off offset:256
	s_waitcnt lgkmcnt(0)
	v_fma_f64 v[4:5], v[104:105], v[96:97], v[4:5]
	s_waitcnt vmcnt(4)
	s_delay_alu instid0(VALU_DEP_1)
	v_fma_f64 v[4:5], v[106:107], v[98:99], v[4:5]
	scratch_load_b128 v[104:107], off, off offset:272
	ds_load_2addr_b64 v[96:99], v1 offset0:69 offset1:70
	s_waitcnt lgkmcnt(0)
	v_fma_f64 v[4:5], v[108:109], v[96:97], v[4:5]
	s_waitcnt vmcnt(4)
	s_delay_alu instid0(VALU_DEP_1)
	v_fma_f64 v[4:5], v[110:111], v[98:99], v[4:5]
	ds_load_2addr_b64 v[96:99], v1 offset0:71 offset1:72
	scratch_load_b128 v[108:111], off, off offset:288
	s_waitcnt lgkmcnt(0)
	v_fma_f64 v[4:5], v[112:113], v[96:97], v[4:5]
	s_waitcnt vmcnt(4)
	s_delay_alu instid0(VALU_DEP_1)
	v_fma_f64 v[4:5], v[118:119], v[98:99], v[4:5]
	ds_load_2addr_b64 v[96:99], v1 offset0:73 offset1:74
	s_waitcnt lgkmcnt(0)
	v_fma_f64 v[4:5], v[120:121], v[96:97], v[4:5]
	scratch_load_b128 v[118:121], off, off offset:304
	s_waitcnt vmcnt(4)
	v_fma_f64 v[4:5], v[114:115], v[98:99], v[4:5]
	ds_load_2addr_b64 v[96:99], v1 offset0:75 offset1:76
	scratch_load_b128 v[112:115], off, off offset:320
	s_waitcnt lgkmcnt(0)
	v_fma_f64 v[4:5], v[116:117], v[96:97], v[4:5]
	s_waitcnt vmcnt(4)
	s_delay_alu instid0(VALU_DEP_1)
	v_fma_f64 v[4:5], v[100:101], v[98:99], v[4:5]
	ds_load_2addr_b64 v[96:99], v1 offset0:77 offset1:78
	s_waitcnt lgkmcnt(0)
	v_fma_f64 v[4:5], v[102:103], v[96:97], v[4:5]
	scratch_load_b128 v[100:103], off, off offset:336
	s_waitcnt vmcnt(4)
	v_fma_f64 v[4:5], v[104:105], v[98:99], v[4:5]
	ds_load_2addr_b64 v[96:99], v1 offset0:79 offset1:80
	s_waitcnt lgkmcnt(0)
	v_fma_f64 v[4:5], v[106:107], v[96:97], v[4:5]
	s_waitcnt vmcnt(3)
	s_delay_alu instid0(VALU_DEP_1) | instskip(SKIP_4) | instid1(VALU_DEP_1)
	v_fma_f64 v[4:5], v[108:109], v[98:99], v[4:5]
	ds_load_2addr_b64 v[96:99], v1 offset0:81 offset1:82
	s_waitcnt lgkmcnt(0)
	v_fma_f64 v[4:5], v[110:111], v[96:97], v[4:5]
	s_waitcnt vmcnt(2)
	v_fma_f64 v[4:5], v[118:119], v[98:99], v[4:5]
	ds_load_2addr_b64 v[96:99], v1 offset0:83 offset1:84
	s_waitcnt lgkmcnt(0)
	v_fma_f64 v[4:5], v[120:121], v[96:97], v[4:5]
	s_waitcnt vmcnt(1)
	s_delay_alu instid0(VALU_DEP_1)
	v_fma_f64 v[4:5], v[112:113], v[98:99], v[4:5]
	ds_load_2addr_b64 v[96:99], v1 offset0:85 offset1:86
	s_waitcnt lgkmcnt(0)
	v_fma_f64 v[4:5], v[114:115], v[96:97], v[4:5]
	ds_load_b64 v[96:97], v1 offset:696
	s_waitcnt vmcnt(0)
	v_fma_f64 v[4:5], v[100:101], v[98:99], v[4:5]
	s_waitcnt lgkmcnt(0)
	s_delay_alu instid0(VALU_DEP_1) | instskip(NEXT) | instid1(VALU_DEP_1)
	v_fma_f64 v[4:5], v[102:103], v[96:97], v[4:5]
	v_add_f64 v[4:5], v[94:95], -v[4:5]
	scratch_store_b64 off, v[4:5], off offset:144
	v_cmpx_lt_u32_e32 17, v0
	s_cbranch_execz .LBB43_239
; %bb.238:
	scratch_load_b64 v[4:5], off, off offset:136
	v_mov_b32_e32 v2, v1
	scratch_store_b64 off, v[1:2], off offset:136
	s_waitcnt vmcnt(0)
	ds_store_b64 v3, v[4:5]
.LBB43_239:
	s_or_b32 exec_lo, exec_lo, s0
	s_waitcnt lgkmcnt(0)
	s_waitcnt_vscnt null, 0x0
	s_barrier
	buffer_gl0_inv
	s_clause 0x4
	scratch_load_b128 v[94:97], off, off offset:136
	scratch_load_b128 v[98:101], off, off offset:152
	;; [unrolled: 1-line block ×5, first 2 shown]
	ds_load_b128 v[114:117], v1 offset:496
	scratch_load_b128 v[118:121], off, off offset:216
	s_mov_b32 s0, exec_lo
	s_waitcnt vmcnt(5) lgkmcnt(0)
	v_fma_f64 v[4:5], v[96:97], v[114:115], 0
	s_waitcnt vmcnt(4)
	s_delay_alu instid0(VALU_DEP_1)
	v_fma_f64 v[4:5], v[98:99], v[116:117], v[4:5]
	scratch_load_b128 v[114:117], off, off offset:232
	ds_load_b128 v[96:99], v1 offset:512
	s_waitcnt lgkmcnt(0)
	v_fma_f64 v[4:5], v[100:101], v[96:97], v[4:5]
	s_waitcnt vmcnt(4)
	s_delay_alu instid0(VALU_DEP_1)
	v_fma_f64 v[4:5], v[102:103], v[98:99], v[4:5]
	ds_load_b128 v[96:99], v1 offset:528
	scratch_load_b128 v[100:103], off, off offset:248
	s_waitcnt lgkmcnt(0)
	v_fma_f64 v[4:5], v[104:105], v[96:97], v[4:5]
	s_waitcnt vmcnt(4)
	s_delay_alu instid0(VALU_DEP_1)
	v_fma_f64 v[4:5], v[106:107], v[98:99], v[4:5]
	scratch_load_b128 v[104:107], off, off offset:264
	ds_load_b128 v[96:99], v1 offset:544
	s_waitcnt lgkmcnt(0)
	v_fma_f64 v[4:5], v[108:109], v[96:97], v[4:5]
	s_waitcnt vmcnt(4)
	s_delay_alu instid0(VALU_DEP_1)
	v_fma_f64 v[4:5], v[110:111], v[98:99], v[4:5]
	ds_load_b128 v[96:99], v1 offset:560
	scratch_load_b128 v[108:111], off, off offset:280
	s_waitcnt lgkmcnt(0)
	v_fma_f64 v[4:5], v[112:113], v[96:97], v[4:5]
	s_waitcnt vmcnt(4)
	s_delay_alu instid0(VALU_DEP_1)
	v_fma_f64 v[4:5], v[118:119], v[98:99], v[4:5]
	ds_load_b128 v[96:99], v1 offset:576
	s_waitcnt lgkmcnt(0)
	v_fma_f64 v[4:5], v[120:121], v[96:97], v[4:5]
	scratch_load_b128 v[118:121], off, off offset:296
	s_waitcnt vmcnt(4)
	v_fma_f64 v[4:5], v[114:115], v[98:99], v[4:5]
	ds_load_b128 v[96:99], v1 offset:592
	scratch_load_b128 v[112:115], off, off offset:312
	s_waitcnt lgkmcnt(0)
	v_fma_f64 v[4:5], v[116:117], v[96:97], v[4:5]
	s_waitcnt vmcnt(4)
	s_delay_alu instid0(VALU_DEP_1)
	v_fma_f64 v[4:5], v[100:101], v[98:99], v[4:5]
	ds_load_b128 v[96:99], v1 offset:608
	s_waitcnt lgkmcnt(0)
	v_fma_f64 v[4:5], v[102:103], v[96:97], v[4:5]
	scratch_load_b128 v[100:103], off, off offset:328
	s_waitcnt vmcnt(4)
	v_fma_f64 v[4:5], v[104:105], v[98:99], v[4:5]
	ds_load_b128 v[96:99], v1 offset:624
	scratch_load_b64 v[104:105], off, off offset:344
	s_waitcnt lgkmcnt(0)
	v_fma_f64 v[4:5], v[106:107], v[96:97], v[4:5]
	s_waitcnt vmcnt(4)
	s_delay_alu instid0(VALU_DEP_1) | instskip(SKIP_4) | instid1(VALU_DEP_1)
	v_fma_f64 v[4:5], v[108:109], v[98:99], v[4:5]
	ds_load_b128 v[96:99], v1 offset:640
	s_waitcnt lgkmcnt(0)
	v_fma_f64 v[4:5], v[110:111], v[96:97], v[4:5]
	s_waitcnt vmcnt(3)
	v_fma_f64 v[4:5], v[118:119], v[98:99], v[4:5]
	ds_load_b128 v[96:99], v1 offset:656
	s_waitcnt lgkmcnt(0)
	v_fma_f64 v[4:5], v[120:121], v[96:97], v[4:5]
	s_waitcnt vmcnt(2)
	s_delay_alu instid0(VALU_DEP_1) | instskip(SKIP_4) | instid1(VALU_DEP_1)
	v_fma_f64 v[4:5], v[112:113], v[98:99], v[4:5]
	ds_load_b128 v[96:99], v1 offset:672
	s_waitcnt lgkmcnt(0)
	v_fma_f64 v[4:5], v[114:115], v[96:97], v[4:5]
	s_waitcnt vmcnt(1)
	v_fma_f64 v[4:5], v[100:101], v[98:99], v[4:5]
	ds_load_b128 v[96:99], v1 offset:688
	s_waitcnt lgkmcnt(0)
	v_fma_f64 v[1:2], v[102:103], v[96:97], v[4:5]
	s_waitcnt vmcnt(0)
	s_delay_alu instid0(VALU_DEP_1) | instskip(NEXT) | instid1(VALU_DEP_1)
	v_fma_f64 v[1:2], v[104:105], v[98:99], v[1:2]
	v_add_f64 v[1:2], v[94:95], -v[1:2]
	scratch_store_b64 off, v[1:2], off offset:136
	v_cmpx_lt_u32_e32 16, v0
	s_cbranch_execz .LBB43_241
; %bb.240:
	scratch_load_b64 v[1:2], off, off offset:128
	v_mov_b32_e32 v4, 0
	s_delay_alu instid0(VALU_DEP_1)
	v_mov_b32_e32 v5, v4
	scratch_store_b64 off, v[4:5], off offset:128
	s_waitcnt vmcnt(0)
	ds_store_b64 v3, v[1:2]
.LBB43_241:
	s_or_b32 exec_lo, exec_lo, s0
	s_waitcnt lgkmcnt(0)
	s_waitcnt_vscnt null, 0x0
	s_barrier
	buffer_gl0_inv
	s_clause 0x4
	scratch_load_b128 v[94:97], off, off offset:128
	scratch_load_b128 v[98:101], off, off offset:144
	;; [unrolled: 1-line block ×5, first 2 shown]
	v_mov_b32_e32 v1, 0
	scratch_load_b128 v[118:121], off, off offset:208
	s_mov_b32 s0, exec_lo
	ds_load_2addr_b64 v[114:117], v1 offset0:61 offset1:62
	s_waitcnt vmcnt(5) lgkmcnt(0)
	v_fma_f64 v[4:5], v[96:97], v[114:115], 0
	s_waitcnt vmcnt(4)
	s_delay_alu instid0(VALU_DEP_1)
	v_fma_f64 v[4:5], v[98:99], v[116:117], v[4:5]
	scratch_load_b128 v[114:117], off, off offset:224
	ds_load_2addr_b64 v[96:99], v1 offset0:63 offset1:64
	s_waitcnt lgkmcnt(0)
	v_fma_f64 v[4:5], v[100:101], v[96:97], v[4:5]
	s_waitcnt vmcnt(4)
	s_delay_alu instid0(VALU_DEP_1)
	v_fma_f64 v[4:5], v[102:103], v[98:99], v[4:5]
	ds_load_2addr_b64 v[96:99], v1 offset0:65 offset1:66
	scratch_load_b128 v[100:103], off, off offset:240
	s_waitcnt lgkmcnt(0)
	v_fma_f64 v[4:5], v[104:105], v[96:97], v[4:5]
	s_waitcnt vmcnt(4)
	s_delay_alu instid0(VALU_DEP_1)
	v_fma_f64 v[4:5], v[106:107], v[98:99], v[4:5]
	scratch_load_b128 v[104:107], off, off offset:256
	ds_load_2addr_b64 v[96:99], v1 offset0:67 offset1:68
	s_waitcnt lgkmcnt(0)
	v_fma_f64 v[4:5], v[108:109], v[96:97], v[4:5]
	s_waitcnt vmcnt(4)
	s_delay_alu instid0(VALU_DEP_1)
	v_fma_f64 v[4:5], v[110:111], v[98:99], v[4:5]
	ds_load_2addr_b64 v[96:99], v1 offset0:69 offset1:70
	scratch_load_b128 v[108:111], off, off offset:272
	s_waitcnt lgkmcnt(0)
	v_fma_f64 v[4:5], v[112:113], v[96:97], v[4:5]
	s_waitcnt vmcnt(4)
	s_delay_alu instid0(VALU_DEP_1)
	v_fma_f64 v[4:5], v[118:119], v[98:99], v[4:5]
	ds_load_2addr_b64 v[96:99], v1 offset0:71 offset1:72
	s_waitcnt lgkmcnt(0)
	v_fma_f64 v[4:5], v[120:121], v[96:97], v[4:5]
	scratch_load_b128 v[118:121], off, off offset:288
	s_waitcnt vmcnt(4)
	v_fma_f64 v[4:5], v[114:115], v[98:99], v[4:5]
	ds_load_2addr_b64 v[96:99], v1 offset0:73 offset1:74
	scratch_load_b128 v[112:115], off, off offset:304
	s_waitcnt lgkmcnt(0)
	v_fma_f64 v[4:5], v[116:117], v[96:97], v[4:5]
	s_waitcnt vmcnt(4)
	s_delay_alu instid0(VALU_DEP_1)
	v_fma_f64 v[4:5], v[100:101], v[98:99], v[4:5]
	ds_load_2addr_b64 v[96:99], v1 offset0:75 offset1:76
	s_waitcnt lgkmcnt(0)
	v_fma_f64 v[4:5], v[102:103], v[96:97], v[4:5]
	scratch_load_b128 v[100:103], off, off offset:320
	s_waitcnt vmcnt(4)
	v_fma_f64 v[4:5], v[104:105], v[98:99], v[4:5]
	ds_load_2addr_b64 v[96:99], v1 offset0:77 offset1:78
	s_waitcnt lgkmcnt(0)
	v_fma_f64 v[4:5], v[106:107], v[96:97], v[4:5]
	scratch_load_b128 v[104:107], off, off offset:336
	s_waitcnt vmcnt(4)
	v_fma_f64 v[4:5], v[108:109], v[98:99], v[4:5]
	ds_load_2addr_b64 v[96:99], v1 offset0:79 offset1:80
	s_waitcnt lgkmcnt(0)
	v_fma_f64 v[4:5], v[110:111], v[96:97], v[4:5]
	s_waitcnt vmcnt(3)
	s_delay_alu instid0(VALU_DEP_1) | instskip(SKIP_4) | instid1(VALU_DEP_1)
	v_fma_f64 v[4:5], v[118:119], v[98:99], v[4:5]
	ds_load_2addr_b64 v[96:99], v1 offset0:81 offset1:82
	s_waitcnt lgkmcnt(0)
	v_fma_f64 v[4:5], v[120:121], v[96:97], v[4:5]
	s_waitcnt vmcnt(2)
	v_fma_f64 v[4:5], v[112:113], v[98:99], v[4:5]
	ds_load_2addr_b64 v[96:99], v1 offset0:83 offset1:84
	s_waitcnt lgkmcnt(0)
	v_fma_f64 v[4:5], v[114:115], v[96:97], v[4:5]
	s_waitcnt vmcnt(1)
	s_delay_alu instid0(VALU_DEP_1)
	v_fma_f64 v[4:5], v[100:101], v[98:99], v[4:5]
	ds_load_2addr_b64 v[96:99], v1 offset0:85 offset1:86
	s_waitcnt lgkmcnt(0)
	v_fma_f64 v[4:5], v[102:103], v[96:97], v[4:5]
	ds_load_b64 v[96:97], v1 offset:696
	s_waitcnt vmcnt(0)
	v_fma_f64 v[4:5], v[104:105], v[98:99], v[4:5]
	s_waitcnt lgkmcnt(0)
	s_delay_alu instid0(VALU_DEP_1) | instskip(NEXT) | instid1(VALU_DEP_1)
	v_fma_f64 v[4:5], v[106:107], v[96:97], v[4:5]
	v_add_f64 v[4:5], v[94:95], -v[4:5]
	scratch_store_b64 off, v[4:5], off offset:128
	v_cmpx_lt_u32_e32 15, v0
	s_cbranch_execz .LBB43_243
; %bb.242:
	scratch_load_b64 v[4:5], off, off offset:120
	v_mov_b32_e32 v2, v1
	scratch_store_b64 off, v[1:2], off offset:120
	s_waitcnt vmcnt(0)
	ds_store_b64 v3, v[4:5]
.LBB43_243:
	s_or_b32 exec_lo, exec_lo, s0
	s_waitcnt lgkmcnt(0)
	s_waitcnt_vscnt null, 0x0
	s_barrier
	buffer_gl0_inv
	s_clause 0x4
	scratch_load_b128 v[94:97], off, off offset:120
	scratch_load_b128 v[98:101], off, off offset:136
	;; [unrolled: 1-line block ×5, first 2 shown]
	ds_load_b128 v[114:117], v1 offset:480
	scratch_load_b128 v[118:121], off, off offset:200
	s_mov_b32 s0, exec_lo
	s_waitcnt vmcnt(5) lgkmcnt(0)
	v_fma_f64 v[4:5], v[96:97], v[114:115], 0
	s_waitcnt vmcnt(4)
	s_delay_alu instid0(VALU_DEP_1)
	v_fma_f64 v[4:5], v[98:99], v[116:117], v[4:5]
	scratch_load_b128 v[114:117], off, off offset:216
	ds_load_b128 v[96:99], v1 offset:496
	s_waitcnt lgkmcnt(0)
	v_fma_f64 v[4:5], v[100:101], v[96:97], v[4:5]
	s_waitcnt vmcnt(4)
	s_delay_alu instid0(VALU_DEP_1)
	v_fma_f64 v[4:5], v[102:103], v[98:99], v[4:5]
	ds_load_b128 v[96:99], v1 offset:512
	scratch_load_b128 v[100:103], off, off offset:232
	s_waitcnt lgkmcnt(0)
	v_fma_f64 v[4:5], v[104:105], v[96:97], v[4:5]
	s_waitcnt vmcnt(4)
	s_delay_alu instid0(VALU_DEP_1)
	v_fma_f64 v[4:5], v[106:107], v[98:99], v[4:5]
	scratch_load_b128 v[104:107], off, off offset:248
	ds_load_b128 v[96:99], v1 offset:528
	s_waitcnt lgkmcnt(0)
	v_fma_f64 v[4:5], v[108:109], v[96:97], v[4:5]
	s_waitcnt vmcnt(4)
	s_delay_alu instid0(VALU_DEP_1)
	v_fma_f64 v[4:5], v[110:111], v[98:99], v[4:5]
	ds_load_b128 v[96:99], v1 offset:544
	scratch_load_b128 v[108:111], off, off offset:264
	s_waitcnt lgkmcnt(0)
	v_fma_f64 v[4:5], v[112:113], v[96:97], v[4:5]
	s_waitcnt vmcnt(4)
	s_delay_alu instid0(VALU_DEP_1)
	v_fma_f64 v[4:5], v[118:119], v[98:99], v[4:5]
	ds_load_b128 v[96:99], v1 offset:560
	s_waitcnt lgkmcnt(0)
	v_fma_f64 v[4:5], v[120:121], v[96:97], v[4:5]
	scratch_load_b128 v[118:121], off, off offset:280
	s_waitcnt vmcnt(4)
	v_fma_f64 v[4:5], v[114:115], v[98:99], v[4:5]
	ds_load_b128 v[96:99], v1 offset:576
	scratch_load_b128 v[112:115], off, off offset:296
	s_waitcnt lgkmcnt(0)
	v_fma_f64 v[4:5], v[116:117], v[96:97], v[4:5]
	s_waitcnt vmcnt(4)
	s_delay_alu instid0(VALU_DEP_1)
	v_fma_f64 v[4:5], v[100:101], v[98:99], v[4:5]
	ds_load_b128 v[96:99], v1 offset:592
	s_waitcnt lgkmcnt(0)
	v_fma_f64 v[4:5], v[102:103], v[96:97], v[4:5]
	scratch_load_b128 v[100:103], off, off offset:312
	s_waitcnt vmcnt(4)
	v_fma_f64 v[4:5], v[104:105], v[98:99], v[4:5]
	ds_load_b128 v[96:99], v1 offset:608
	s_waitcnt lgkmcnt(0)
	v_fma_f64 v[4:5], v[106:107], v[96:97], v[4:5]
	scratch_load_b128 v[104:107], off, off offset:328
	s_waitcnt vmcnt(4)
	v_fma_f64 v[4:5], v[108:109], v[98:99], v[4:5]
	scratch_load_b64 v[108:109], off, off offset:344
	ds_load_b128 v[96:99], v1 offset:624
	s_waitcnt lgkmcnt(0)
	v_fma_f64 v[4:5], v[110:111], v[96:97], v[4:5]
	s_waitcnt vmcnt(4)
	s_delay_alu instid0(VALU_DEP_1) | instskip(SKIP_4) | instid1(VALU_DEP_1)
	v_fma_f64 v[4:5], v[118:119], v[98:99], v[4:5]
	ds_load_b128 v[96:99], v1 offset:640
	s_waitcnt lgkmcnt(0)
	v_fma_f64 v[4:5], v[120:121], v[96:97], v[4:5]
	s_waitcnt vmcnt(3)
	v_fma_f64 v[4:5], v[112:113], v[98:99], v[4:5]
	ds_load_b128 v[96:99], v1 offset:656
	s_waitcnt lgkmcnt(0)
	v_fma_f64 v[4:5], v[114:115], v[96:97], v[4:5]
	s_waitcnt vmcnt(2)
	s_delay_alu instid0(VALU_DEP_1) | instskip(SKIP_4) | instid1(VALU_DEP_1)
	v_fma_f64 v[4:5], v[100:101], v[98:99], v[4:5]
	ds_load_b128 v[96:99], v1 offset:672
	s_waitcnt lgkmcnt(0)
	v_fma_f64 v[4:5], v[102:103], v[96:97], v[4:5]
	s_waitcnt vmcnt(1)
	v_fma_f64 v[4:5], v[104:105], v[98:99], v[4:5]
	ds_load_b128 v[96:99], v1 offset:688
	s_waitcnt lgkmcnt(0)
	v_fma_f64 v[1:2], v[106:107], v[96:97], v[4:5]
	s_waitcnt vmcnt(0)
	s_delay_alu instid0(VALU_DEP_1) | instskip(NEXT) | instid1(VALU_DEP_1)
	v_fma_f64 v[1:2], v[108:109], v[98:99], v[1:2]
	v_add_f64 v[1:2], v[94:95], -v[1:2]
	scratch_store_b64 off, v[1:2], off offset:120
	v_cmpx_lt_u32_e32 14, v0
	s_cbranch_execz .LBB43_245
; %bb.244:
	scratch_load_b64 v[1:2], off, off offset:112
	v_mov_b32_e32 v4, 0
	s_delay_alu instid0(VALU_DEP_1)
	v_mov_b32_e32 v5, v4
	scratch_store_b64 off, v[4:5], off offset:112
	s_waitcnt vmcnt(0)
	ds_store_b64 v3, v[1:2]
.LBB43_245:
	s_or_b32 exec_lo, exec_lo, s0
	s_waitcnt lgkmcnt(0)
	s_waitcnt_vscnt null, 0x0
	s_barrier
	buffer_gl0_inv
	s_clause 0x4
	scratch_load_b128 v[94:97], off, off offset:112
	scratch_load_b128 v[98:101], off, off offset:128
	;; [unrolled: 1-line block ×5, first 2 shown]
	v_mov_b32_e32 v1, 0
	scratch_load_b128 v[118:121], off, off offset:192
	s_mov_b32 s0, exec_lo
	ds_load_2addr_b64 v[114:117], v1 offset0:59 offset1:60
	s_waitcnt vmcnt(5) lgkmcnt(0)
	v_fma_f64 v[4:5], v[96:97], v[114:115], 0
	s_waitcnt vmcnt(4)
	s_delay_alu instid0(VALU_DEP_1)
	v_fma_f64 v[4:5], v[98:99], v[116:117], v[4:5]
	scratch_load_b128 v[114:117], off, off offset:208
	ds_load_2addr_b64 v[96:99], v1 offset0:61 offset1:62
	s_waitcnt lgkmcnt(0)
	v_fma_f64 v[4:5], v[100:101], v[96:97], v[4:5]
	s_waitcnt vmcnt(4)
	s_delay_alu instid0(VALU_DEP_1)
	v_fma_f64 v[4:5], v[102:103], v[98:99], v[4:5]
	ds_load_2addr_b64 v[96:99], v1 offset0:63 offset1:64
	scratch_load_b128 v[100:103], off, off offset:224
	s_waitcnt lgkmcnt(0)
	v_fma_f64 v[4:5], v[104:105], v[96:97], v[4:5]
	s_waitcnt vmcnt(4)
	s_delay_alu instid0(VALU_DEP_1)
	v_fma_f64 v[4:5], v[106:107], v[98:99], v[4:5]
	scratch_load_b128 v[104:107], off, off offset:240
	ds_load_2addr_b64 v[96:99], v1 offset0:65 offset1:66
	s_waitcnt lgkmcnt(0)
	v_fma_f64 v[4:5], v[108:109], v[96:97], v[4:5]
	s_waitcnt vmcnt(4)
	s_delay_alu instid0(VALU_DEP_1)
	v_fma_f64 v[4:5], v[110:111], v[98:99], v[4:5]
	ds_load_2addr_b64 v[96:99], v1 offset0:67 offset1:68
	scratch_load_b128 v[108:111], off, off offset:256
	s_waitcnt lgkmcnt(0)
	v_fma_f64 v[4:5], v[112:113], v[96:97], v[4:5]
	s_waitcnt vmcnt(4)
	s_delay_alu instid0(VALU_DEP_1)
	v_fma_f64 v[4:5], v[118:119], v[98:99], v[4:5]
	ds_load_2addr_b64 v[96:99], v1 offset0:69 offset1:70
	s_waitcnt lgkmcnt(0)
	v_fma_f64 v[4:5], v[120:121], v[96:97], v[4:5]
	scratch_load_b128 v[118:121], off, off offset:272
	s_waitcnt vmcnt(4)
	v_fma_f64 v[4:5], v[114:115], v[98:99], v[4:5]
	ds_load_2addr_b64 v[96:99], v1 offset0:71 offset1:72
	scratch_load_b128 v[112:115], off, off offset:288
	s_waitcnt lgkmcnt(0)
	v_fma_f64 v[4:5], v[116:117], v[96:97], v[4:5]
	s_waitcnt vmcnt(4)
	s_delay_alu instid0(VALU_DEP_1)
	v_fma_f64 v[4:5], v[100:101], v[98:99], v[4:5]
	ds_load_2addr_b64 v[96:99], v1 offset0:73 offset1:74
	s_waitcnt lgkmcnt(0)
	v_fma_f64 v[4:5], v[102:103], v[96:97], v[4:5]
	scratch_load_b128 v[100:103], off, off offset:304
	s_waitcnt vmcnt(4)
	v_fma_f64 v[4:5], v[104:105], v[98:99], v[4:5]
	ds_load_2addr_b64 v[96:99], v1 offset0:75 offset1:76
	s_waitcnt lgkmcnt(0)
	v_fma_f64 v[4:5], v[106:107], v[96:97], v[4:5]
	scratch_load_b128 v[104:107], off, off offset:320
	s_waitcnt vmcnt(4)
	;; [unrolled: 6-line block ×3, first 2 shown]
	v_fma_f64 v[4:5], v[118:119], v[98:99], v[4:5]
	ds_load_2addr_b64 v[96:99], v1 offset0:79 offset1:80
	s_waitcnt lgkmcnt(0)
	v_fma_f64 v[4:5], v[120:121], v[96:97], v[4:5]
	s_waitcnt vmcnt(3)
	s_delay_alu instid0(VALU_DEP_1) | instskip(SKIP_4) | instid1(VALU_DEP_1)
	v_fma_f64 v[4:5], v[112:113], v[98:99], v[4:5]
	ds_load_2addr_b64 v[96:99], v1 offset0:81 offset1:82
	s_waitcnt lgkmcnt(0)
	v_fma_f64 v[4:5], v[114:115], v[96:97], v[4:5]
	s_waitcnt vmcnt(2)
	v_fma_f64 v[4:5], v[100:101], v[98:99], v[4:5]
	ds_load_2addr_b64 v[96:99], v1 offset0:83 offset1:84
	s_waitcnt lgkmcnt(0)
	v_fma_f64 v[4:5], v[102:103], v[96:97], v[4:5]
	s_waitcnt vmcnt(1)
	s_delay_alu instid0(VALU_DEP_1)
	v_fma_f64 v[4:5], v[104:105], v[98:99], v[4:5]
	ds_load_2addr_b64 v[96:99], v1 offset0:85 offset1:86
	s_waitcnt lgkmcnt(0)
	v_fma_f64 v[4:5], v[106:107], v[96:97], v[4:5]
	ds_load_b64 v[96:97], v1 offset:696
	s_waitcnt vmcnt(0)
	v_fma_f64 v[4:5], v[108:109], v[98:99], v[4:5]
	s_waitcnt lgkmcnt(0)
	s_delay_alu instid0(VALU_DEP_1) | instskip(NEXT) | instid1(VALU_DEP_1)
	v_fma_f64 v[4:5], v[110:111], v[96:97], v[4:5]
	v_add_f64 v[4:5], v[94:95], -v[4:5]
	scratch_store_b64 off, v[4:5], off offset:112
	v_cmpx_lt_u32_e32 13, v0
	s_cbranch_execz .LBB43_247
; %bb.246:
	scratch_load_b64 v[4:5], off, off offset:104
	v_mov_b32_e32 v2, v1
	scratch_store_b64 off, v[1:2], off offset:104
	s_waitcnt vmcnt(0)
	ds_store_b64 v3, v[4:5]
.LBB43_247:
	s_or_b32 exec_lo, exec_lo, s0
	s_waitcnt lgkmcnt(0)
	s_waitcnt_vscnt null, 0x0
	s_barrier
	buffer_gl0_inv
	s_clause 0x4
	scratch_load_b128 v[94:97], off, off offset:104
	scratch_load_b128 v[98:101], off, off offset:120
	;; [unrolled: 1-line block ×5, first 2 shown]
	ds_load_b128 v[114:117], v1 offset:464
	scratch_load_b128 v[118:121], off, off offset:184
	s_mov_b32 s0, exec_lo
	s_waitcnt vmcnt(5) lgkmcnt(0)
	v_fma_f64 v[4:5], v[96:97], v[114:115], 0
	s_waitcnt vmcnt(4)
	s_delay_alu instid0(VALU_DEP_1)
	v_fma_f64 v[4:5], v[98:99], v[116:117], v[4:5]
	scratch_load_b128 v[114:117], off, off offset:200
	ds_load_b128 v[96:99], v1 offset:480
	s_waitcnt lgkmcnt(0)
	v_fma_f64 v[4:5], v[100:101], v[96:97], v[4:5]
	s_waitcnt vmcnt(4)
	s_delay_alu instid0(VALU_DEP_1)
	v_fma_f64 v[4:5], v[102:103], v[98:99], v[4:5]
	ds_load_b128 v[96:99], v1 offset:496
	scratch_load_b128 v[100:103], off, off offset:216
	s_waitcnt lgkmcnt(0)
	v_fma_f64 v[4:5], v[104:105], v[96:97], v[4:5]
	s_waitcnt vmcnt(4)
	s_delay_alu instid0(VALU_DEP_1)
	v_fma_f64 v[4:5], v[106:107], v[98:99], v[4:5]
	scratch_load_b128 v[104:107], off, off offset:232
	ds_load_b128 v[96:99], v1 offset:512
	s_waitcnt lgkmcnt(0)
	v_fma_f64 v[4:5], v[108:109], v[96:97], v[4:5]
	s_waitcnt vmcnt(4)
	s_delay_alu instid0(VALU_DEP_1)
	v_fma_f64 v[4:5], v[110:111], v[98:99], v[4:5]
	ds_load_b128 v[96:99], v1 offset:528
	scratch_load_b128 v[108:111], off, off offset:248
	s_waitcnt lgkmcnt(0)
	v_fma_f64 v[4:5], v[112:113], v[96:97], v[4:5]
	s_waitcnt vmcnt(4)
	s_delay_alu instid0(VALU_DEP_1)
	v_fma_f64 v[4:5], v[118:119], v[98:99], v[4:5]
	ds_load_b128 v[96:99], v1 offset:544
	s_waitcnt lgkmcnt(0)
	v_fma_f64 v[4:5], v[120:121], v[96:97], v[4:5]
	scratch_load_b128 v[118:121], off, off offset:264
	s_waitcnt vmcnt(4)
	v_fma_f64 v[4:5], v[114:115], v[98:99], v[4:5]
	ds_load_b128 v[96:99], v1 offset:560
	scratch_load_b128 v[112:115], off, off offset:280
	s_waitcnt lgkmcnt(0)
	v_fma_f64 v[4:5], v[116:117], v[96:97], v[4:5]
	scratch_load_b64 v[116:117], off, off offset:344
	s_waitcnt vmcnt(5)
	v_fma_f64 v[4:5], v[100:101], v[98:99], v[4:5]
	ds_load_b128 v[96:99], v1 offset:576
	s_waitcnt lgkmcnt(0)
	v_fma_f64 v[4:5], v[102:103], v[96:97], v[4:5]
	scratch_load_b128 v[100:103], off, off offset:296
	s_waitcnt vmcnt(5)
	v_fma_f64 v[4:5], v[104:105], v[98:99], v[4:5]
	ds_load_b128 v[96:99], v1 offset:592
	s_waitcnt lgkmcnt(0)
	v_fma_f64 v[4:5], v[106:107], v[96:97], v[4:5]
	scratch_load_b128 v[104:107], off, off offset:312
	;; [unrolled: 6-line block ×3, first 2 shown]
	s_waitcnt vmcnt(5)
	v_fma_f64 v[4:5], v[118:119], v[98:99], v[4:5]
	ds_load_b128 v[96:99], v1 offset:624
	s_waitcnt lgkmcnt(0)
	v_fma_f64 v[4:5], v[120:121], v[96:97], v[4:5]
	s_waitcnt vmcnt(4)
	s_delay_alu instid0(VALU_DEP_1) | instskip(SKIP_4) | instid1(VALU_DEP_1)
	v_fma_f64 v[4:5], v[112:113], v[98:99], v[4:5]
	ds_load_b128 v[96:99], v1 offset:640
	s_waitcnt lgkmcnt(0)
	v_fma_f64 v[4:5], v[114:115], v[96:97], v[4:5]
	s_waitcnt vmcnt(2)
	v_fma_f64 v[4:5], v[100:101], v[98:99], v[4:5]
	ds_load_b128 v[96:99], v1 offset:656
	s_waitcnt lgkmcnt(0)
	v_fma_f64 v[4:5], v[102:103], v[96:97], v[4:5]
	s_waitcnt vmcnt(1)
	s_delay_alu instid0(VALU_DEP_1) | instskip(SKIP_4) | instid1(VALU_DEP_1)
	v_fma_f64 v[4:5], v[104:105], v[98:99], v[4:5]
	ds_load_b128 v[96:99], v1 offset:672
	s_waitcnt lgkmcnt(0)
	v_fma_f64 v[4:5], v[106:107], v[96:97], v[4:5]
	s_waitcnt vmcnt(0)
	v_fma_f64 v[4:5], v[108:109], v[98:99], v[4:5]
	ds_load_b128 v[96:99], v1 offset:688
	s_waitcnt lgkmcnt(0)
	v_fma_f64 v[1:2], v[110:111], v[96:97], v[4:5]
	s_delay_alu instid0(VALU_DEP_1) | instskip(NEXT) | instid1(VALU_DEP_1)
	v_fma_f64 v[1:2], v[116:117], v[98:99], v[1:2]
	v_add_f64 v[1:2], v[94:95], -v[1:2]
	scratch_store_b64 off, v[1:2], off offset:104
	v_cmpx_lt_u32_e32 12, v0
	s_cbranch_execz .LBB43_249
; %bb.248:
	scratch_load_b64 v[1:2], off, off offset:96
	v_mov_b32_e32 v4, 0
	s_delay_alu instid0(VALU_DEP_1)
	v_mov_b32_e32 v5, v4
	scratch_store_b64 off, v[4:5], off offset:96
	s_waitcnt vmcnt(0)
	ds_store_b64 v3, v[1:2]
.LBB43_249:
	s_or_b32 exec_lo, exec_lo, s0
	s_waitcnt lgkmcnt(0)
	s_waitcnt_vscnt null, 0x0
	s_barrier
	buffer_gl0_inv
	s_clause 0x4
	scratch_load_b128 v[94:97], off, off offset:96
	scratch_load_b128 v[98:101], off, off offset:112
	;; [unrolled: 1-line block ×5, first 2 shown]
	v_mov_b32_e32 v1, 0
	scratch_load_b128 v[118:121], off, off offset:176
	s_mov_b32 s0, exec_lo
	ds_load_2addr_b64 v[114:117], v1 offset0:57 offset1:58
	s_waitcnt vmcnt(5) lgkmcnt(0)
	v_fma_f64 v[4:5], v[96:97], v[114:115], 0
	s_waitcnt vmcnt(4)
	s_delay_alu instid0(VALU_DEP_1)
	v_fma_f64 v[4:5], v[98:99], v[116:117], v[4:5]
	scratch_load_b128 v[114:117], off, off offset:192
	ds_load_2addr_b64 v[96:99], v1 offset0:59 offset1:60
	s_waitcnt lgkmcnt(0)
	v_fma_f64 v[4:5], v[100:101], v[96:97], v[4:5]
	s_waitcnt vmcnt(4)
	s_delay_alu instid0(VALU_DEP_1)
	v_fma_f64 v[4:5], v[102:103], v[98:99], v[4:5]
	ds_load_2addr_b64 v[96:99], v1 offset0:61 offset1:62
	scratch_load_b128 v[100:103], off, off offset:208
	s_waitcnt lgkmcnt(0)
	v_fma_f64 v[4:5], v[104:105], v[96:97], v[4:5]
	s_waitcnt vmcnt(4)
	s_delay_alu instid0(VALU_DEP_1)
	v_fma_f64 v[4:5], v[106:107], v[98:99], v[4:5]
	scratch_load_b128 v[104:107], off, off offset:224
	ds_load_2addr_b64 v[96:99], v1 offset0:63 offset1:64
	s_waitcnt lgkmcnt(0)
	v_fma_f64 v[4:5], v[108:109], v[96:97], v[4:5]
	s_waitcnt vmcnt(4)
	s_delay_alu instid0(VALU_DEP_1)
	v_fma_f64 v[4:5], v[110:111], v[98:99], v[4:5]
	ds_load_2addr_b64 v[96:99], v1 offset0:65 offset1:66
	scratch_load_b128 v[108:111], off, off offset:240
	s_waitcnt lgkmcnt(0)
	v_fma_f64 v[4:5], v[112:113], v[96:97], v[4:5]
	s_waitcnt vmcnt(4)
	s_delay_alu instid0(VALU_DEP_1)
	v_fma_f64 v[4:5], v[118:119], v[98:99], v[4:5]
	ds_load_2addr_b64 v[96:99], v1 offset0:67 offset1:68
	s_waitcnt lgkmcnt(0)
	v_fma_f64 v[4:5], v[120:121], v[96:97], v[4:5]
	scratch_load_b128 v[118:121], off, off offset:256
	s_waitcnt vmcnt(4)
	v_fma_f64 v[4:5], v[114:115], v[98:99], v[4:5]
	ds_load_2addr_b64 v[96:99], v1 offset0:69 offset1:70
	scratch_load_b128 v[112:115], off, off offset:272
	s_waitcnt lgkmcnt(0)
	v_fma_f64 v[4:5], v[116:117], v[96:97], v[4:5]
	s_waitcnt vmcnt(4)
	s_delay_alu instid0(VALU_DEP_1)
	v_fma_f64 v[4:5], v[100:101], v[98:99], v[4:5]
	ds_load_2addr_b64 v[96:99], v1 offset0:71 offset1:72
	s_waitcnt lgkmcnt(0)
	v_fma_f64 v[4:5], v[102:103], v[96:97], v[4:5]
	scratch_load_b128 v[100:103], off, off offset:288
	s_waitcnt vmcnt(4)
	v_fma_f64 v[4:5], v[104:105], v[98:99], v[4:5]
	ds_load_2addr_b64 v[96:99], v1 offset0:73 offset1:74
	s_waitcnt lgkmcnt(0)
	v_fma_f64 v[4:5], v[106:107], v[96:97], v[4:5]
	scratch_load_b128 v[104:107], off, off offset:304
	s_waitcnt vmcnt(4)
	;; [unrolled: 6-line block ×3, first 2 shown]
	v_fma_f64 v[4:5], v[118:119], v[98:99], v[4:5]
	ds_load_2addr_b64 v[96:99], v1 offset0:77 offset1:78
	scratch_load_b128 v[116:119], off, off offset:336
	s_waitcnt lgkmcnt(0)
	v_fma_f64 v[4:5], v[120:121], v[96:97], v[4:5]
	s_waitcnt vmcnt(4)
	s_delay_alu instid0(VALU_DEP_1) | instskip(SKIP_4) | instid1(VALU_DEP_1)
	v_fma_f64 v[4:5], v[112:113], v[98:99], v[4:5]
	ds_load_2addr_b64 v[96:99], v1 offset0:79 offset1:80
	s_waitcnt lgkmcnt(0)
	v_fma_f64 v[4:5], v[114:115], v[96:97], v[4:5]
	s_waitcnt vmcnt(3)
	v_fma_f64 v[4:5], v[100:101], v[98:99], v[4:5]
	ds_load_2addr_b64 v[96:99], v1 offset0:81 offset1:82
	s_waitcnt lgkmcnt(0)
	v_fma_f64 v[4:5], v[102:103], v[96:97], v[4:5]
	s_waitcnt vmcnt(2)
	s_delay_alu instid0(VALU_DEP_1) | instskip(SKIP_4) | instid1(VALU_DEP_1)
	v_fma_f64 v[4:5], v[104:105], v[98:99], v[4:5]
	ds_load_2addr_b64 v[96:99], v1 offset0:83 offset1:84
	s_waitcnt lgkmcnt(0)
	v_fma_f64 v[4:5], v[106:107], v[96:97], v[4:5]
	s_waitcnt vmcnt(1)
	v_fma_f64 v[4:5], v[108:109], v[98:99], v[4:5]
	ds_load_2addr_b64 v[96:99], v1 offset0:85 offset1:86
	s_waitcnt lgkmcnt(0)
	v_fma_f64 v[4:5], v[110:111], v[96:97], v[4:5]
	ds_load_b64 v[96:97], v1 offset:696
	s_waitcnt vmcnt(0)
	v_fma_f64 v[4:5], v[116:117], v[98:99], v[4:5]
	s_waitcnt lgkmcnt(0)
	s_delay_alu instid0(VALU_DEP_1) | instskip(NEXT) | instid1(VALU_DEP_1)
	v_fma_f64 v[4:5], v[118:119], v[96:97], v[4:5]
	v_add_f64 v[4:5], v[94:95], -v[4:5]
	scratch_store_b64 off, v[4:5], off offset:96
	v_cmpx_lt_u32_e32 11, v0
	s_cbranch_execz .LBB43_251
; %bb.250:
	scratch_load_b64 v[4:5], off, off offset:88
	v_mov_b32_e32 v2, v1
	scratch_store_b64 off, v[1:2], off offset:88
	s_waitcnt vmcnt(0)
	ds_store_b64 v3, v[4:5]
.LBB43_251:
	s_or_b32 exec_lo, exec_lo, s0
	s_waitcnt lgkmcnt(0)
	s_waitcnt_vscnt null, 0x0
	s_barrier
	buffer_gl0_inv
	s_clause 0x4
	scratch_load_b128 v[94:97], off, off offset:88
	scratch_load_b128 v[98:101], off, off offset:104
	;; [unrolled: 1-line block ×5, first 2 shown]
	ds_load_b128 v[114:117], v1 offset:448
	scratch_load_b128 v[118:121], off, off offset:168
	s_mov_b32 s0, exec_lo
	s_waitcnt vmcnt(5) lgkmcnt(0)
	v_fma_f64 v[4:5], v[96:97], v[114:115], 0
	s_waitcnt vmcnt(4)
	s_delay_alu instid0(VALU_DEP_1)
	v_fma_f64 v[4:5], v[98:99], v[116:117], v[4:5]
	scratch_load_b128 v[114:117], off, off offset:184
	ds_load_b128 v[96:99], v1 offset:464
	s_waitcnt lgkmcnt(0)
	v_fma_f64 v[4:5], v[100:101], v[96:97], v[4:5]
	s_waitcnt vmcnt(4)
	s_delay_alu instid0(VALU_DEP_1)
	v_fma_f64 v[4:5], v[102:103], v[98:99], v[4:5]
	ds_load_b128 v[96:99], v1 offset:480
	scratch_load_b128 v[100:103], off, off offset:200
	s_waitcnt lgkmcnt(0)
	v_fma_f64 v[4:5], v[104:105], v[96:97], v[4:5]
	s_waitcnt vmcnt(4)
	s_delay_alu instid0(VALU_DEP_1)
	v_fma_f64 v[4:5], v[106:107], v[98:99], v[4:5]
	scratch_load_b128 v[104:107], off, off offset:216
	ds_load_b128 v[96:99], v1 offset:496
	s_waitcnt lgkmcnt(0)
	v_fma_f64 v[4:5], v[108:109], v[96:97], v[4:5]
	s_waitcnt vmcnt(4)
	s_delay_alu instid0(VALU_DEP_1)
	v_fma_f64 v[4:5], v[110:111], v[98:99], v[4:5]
	ds_load_b128 v[96:99], v1 offset:512
	scratch_load_b128 v[108:111], off, off offset:232
	s_waitcnt lgkmcnt(0)
	v_fma_f64 v[4:5], v[112:113], v[96:97], v[4:5]
	s_waitcnt vmcnt(4)
	s_delay_alu instid0(VALU_DEP_1)
	v_fma_f64 v[4:5], v[118:119], v[98:99], v[4:5]
	ds_load_b128 v[96:99], v1 offset:528
	s_waitcnt lgkmcnt(0)
	v_fma_f64 v[4:5], v[120:121], v[96:97], v[4:5]
	scratch_load_b128 v[118:121], off, off offset:248
	s_waitcnt vmcnt(4)
	v_fma_f64 v[4:5], v[114:115], v[98:99], v[4:5]
	ds_load_b128 v[96:99], v1 offset:544
	scratch_load_b128 v[112:115], off, off offset:264
	s_waitcnt lgkmcnt(0)
	v_fma_f64 v[4:5], v[116:117], v[96:97], v[4:5]
	s_waitcnt vmcnt(4)
	s_delay_alu instid0(VALU_DEP_1)
	v_fma_f64 v[4:5], v[100:101], v[98:99], v[4:5]
	ds_load_b128 v[96:99], v1 offset:560
	s_waitcnt lgkmcnt(0)
	v_fma_f64 v[4:5], v[102:103], v[96:97], v[4:5]
	scratch_load_b128 v[100:103], off, off offset:280
	s_waitcnt vmcnt(4)
	v_fma_f64 v[4:5], v[104:105], v[98:99], v[4:5]
	ds_load_b128 v[96:99], v1 offset:576
	s_waitcnt lgkmcnt(0)
	v_fma_f64 v[4:5], v[106:107], v[96:97], v[4:5]
	scratch_load_b128 v[104:107], off, off offset:296
	s_waitcnt vmcnt(4)
	;; [unrolled: 6-line block ×3, first 2 shown]
	v_fma_f64 v[4:5], v[118:119], v[98:99], v[4:5]
	ds_load_b128 v[96:99], v1 offset:608
	scratch_load_b128 v[116:119], off, off offset:328
	s_waitcnt lgkmcnt(0)
	v_fma_f64 v[4:5], v[120:121], v[96:97], v[4:5]
	s_waitcnt vmcnt(4)
	s_delay_alu instid0(VALU_DEP_1)
	v_fma_f64 v[4:5], v[112:113], v[98:99], v[4:5]
	scratch_load_b64 v[112:113], off, off offset:344
	ds_load_b128 v[96:99], v1 offset:624
	s_waitcnt lgkmcnt(0)
	v_fma_f64 v[4:5], v[114:115], v[96:97], v[4:5]
	s_waitcnt vmcnt(4)
	s_delay_alu instid0(VALU_DEP_1) | instskip(SKIP_4) | instid1(VALU_DEP_1)
	v_fma_f64 v[4:5], v[100:101], v[98:99], v[4:5]
	ds_load_b128 v[96:99], v1 offset:640
	s_waitcnt lgkmcnt(0)
	v_fma_f64 v[4:5], v[102:103], v[96:97], v[4:5]
	s_waitcnt vmcnt(3)
	v_fma_f64 v[4:5], v[104:105], v[98:99], v[4:5]
	ds_load_b128 v[96:99], v1 offset:656
	s_waitcnt lgkmcnt(0)
	v_fma_f64 v[4:5], v[106:107], v[96:97], v[4:5]
	s_waitcnt vmcnt(2)
	s_delay_alu instid0(VALU_DEP_1) | instskip(SKIP_4) | instid1(VALU_DEP_1)
	v_fma_f64 v[4:5], v[108:109], v[98:99], v[4:5]
	ds_load_b128 v[96:99], v1 offset:672
	s_waitcnt lgkmcnt(0)
	v_fma_f64 v[4:5], v[110:111], v[96:97], v[4:5]
	s_waitcnt vmcnt(1)
	v_fma_f64 v[4:5], v[116:117], v[98:99], v[4:5]
	ds_load_b128 v[96:99], v1 offset:688
	s_waitcnt lgkmcnt(0)
	v_fma_f64 v[1:2], v[118:119], v[96:97], v[4:5]
	s_waitcnt vmcnt(0)
	s_delay_alu instid0(VALU_DEP_1) | instskip(NEXT) | instid1(VALU_DEP_1)
	v_fma_f64 v[1:2], v[112:113], v[98:99], v[1:2]
	v_add_f64 v[1:2], v[94:95], -v[1:2]
	scratch_store_b64 off, v[1:2], off offset:88
	v_cmpx_lt_u32_e32 10, v0
	s_cbranch_execz .LBB43_253
; %bb.252:
	scratch_load_b64 v[1:2], off, off offset:80
	v_mov_b32_e32 v4, 0
	s_delay_alu instid0(VALU_DEP_1)
	v_mov_b32_e32 v5, v4
	scratch_store_b64 off, v[4:5], off offset:80
	s_waitcnt vmcnt(0)
	ds_store_b64 v3, v[1:2]
.LBB43_253:
	s_or_b32 exec_lo, exec_lo, s0
	s_waitcnt lgkmcnt(0)
	s_waitcnt_vscnt null, 0x0
	s_barrier
	buffer_gl0_inv
	s_clause 0x4
	scratch_load_b128 v[94:97], off, off offset:80
	scratch_load_b128 v[98:101], off, off offset:96
	;; [unrolled: 1-line block ×5, first 2 shown]
	v_mov_b32_e32 v1, 0
	scratch_load_b128 v[118:121], off, off offset:160
	s_mov_b32 s0, exec_lo
	ds_load_2addr_b64 v[114:117], v1 offset0:55 offset1:56
	s_waitcnt vmcnt(5) lgkmcnt(0)
	v_fma_f64 v[4:5], v[96:97], v[114:115], 0
	s_waitcnt vmcnt(4)
	s_delay_alu instid0(VALU_DEP_1)
	v_fma_f64 v[4:5], v[98:99], v[116:117], v[4:5]
	scratch_load_b128 v[114:117], off, off offset:176
	ds_load_2addr_b64 v[96:99], v1 offset0:57 offset1:58
	s_waitcnt lgkmcnt(0)
	v_fma_f64 v[4:5], v[100:101], v[96:97], v[4:5]
	s_waitcnt vmcnt(4)
	s_delay_alu instid0(VALU_DEP_1)
	v_fma_f64 v[4:5], v[102:103], v[98:99], v[4:5]
	ds_load_2addr_b64 v[96:99], v1 offset0:59 offset1:60
	scratch_load_b128 v[100:103], off, off offset:192
	s_waitcnt lgkmcnt(0)
	v_fma_f64 v[4:5], v[104:105], v[96:97], v[4:5]
	s_waitcnt vmcnt(4)
	s_delay_alu instid0(VALU_DEP_1)
	v_fma_f64 v[4:5], v[106:107], v[98:99], v[4:5]
	scratch_load_b128 v[104:107], off, off offset:208
	ds_load_2addr_b64 v[96:99], v1 offset0:61 offset1:62
	s_waitcnt lgkmcnt(0)
	v_fma_f64 v[4:5], v[108:109], v[96:97], v[4:5]
	s_waitcnt vmcnt(4)
	s_delay_alu instid0(VALU_DEP_1)
	v_fma_f64 v[4:5], v[110:111], v[98:99], v[4:5]
	ds_load_2addr_b64 v[96:99], v1 offset0:63 offset1:64
	scratch_load_b128 v[108:111], off, off offset:224
	s_waitcnt lgkmcnt(0)
	v_fma_f64 v[4:5], v[112:113], v[96:97], v[4:5]
	s_waitcnt vmcnt(4)
	s_delay_alu instid0(VALU_DEP_1)
	v_fma_f64 v[4:5], v[118:119], v[98:99], v[4:5]
	ds_load_2addr_b64 v[96:99], v1 offset0:65 offset1:66
	s_waitcnt lgkmcnt(0)
	v_fma_f64 v[4:5], v[120:121], v[96:97], v[4:5]
	scratch_load_b128 v[118:121], off, off offset:240
	s_waitcnt vmcnt(4)
	v_fma_f64 v[4:5], v[114:115], v[98:99], v[4:5]
	ds_load_2addr_b64 v[96:99], v1 offset0:67 offset1:68
	scratch_load_b128 v[112:115], off, off offset:256
	s_waitcnt lgkmcnt(0)
	v_fma_f64 v[4:5], v[116:117], v[96:97], v[4:5]
	s_waitcnt vmcnt(4)
	s_delay_alu instid0(VALU_DEP_1)
	v_fma_f64 v[4:5], v[100:101], v[98:99], v[4:5]
	ds_load_2addr_b64 v[96:99], v1 offset0:69 offset1:70
	s_waitcnt lgkmcnt(0)
	v_fma_f64 v[4:5], v[102:103], v[96:97], v[4:5]
	scratch_load_b128 v[100:103], off, off offset:272
	s_waitcnt vmcnt(4)
	v_fma_f64 v[4:5], v[104:105], v[98:99], v[4:5]
	ds_load_2addr_b64 v[96:99], v1 offset0:71 offset1:72
	s_waitcnt lgkmcnt(0)
	v_fma_f64 v[4:5], v[106:107], v[96:97], v[4:5]
	scratch_load_b128 v[104:107], off, off offset:288
	s_waitcnt vmcnt(4)
	;; [unrolled: 6-line block ×3, first 2 shown]
	v_fma_f64 v[4:5], v[118:119], v[98:99], v[4:5]
	ds_load_2addr_b64 v[96:99], v1 offset0:75 offset1:76
	scratch_load_b128 v[116:119], off, off offset:320
	s_waitcnt lgkmcnt(0)
	v_fma_f64 v[4:5], v[120:121], v[96:97], v[4:5]
	s_waitcnt vmcnt(4)
	s_delay_alu instid0(VALU_DEP_1)
	v_fma_f64 v[4:5], v[112:113], v[98:99], v[4:5]
	ds_load_2addr_b64 v[96:99], v1 offset0:77 offset1:78
	s_waitcnt lgkmcnt(0)
	v_fma_f64 v[4:5], v[114:115], v[96:97], v[4:5]
	scratch_load_b128 v[112:115], off, off offset:336
	s_waitcnt vmcnt(4)
	v_fma_f64 v[4:5], v[100:101], v[98:99], v[4:5]
	ds_load_2addr_b64 v[96:99], v1 offset0:79 offset1:80
	s_waitcnt lgkmcnt(0)
	v_fma_f64 v[4:5], v[102:103], v[96:97], v[4:5]
	s_waitcnt vmcnt(3)
	s_delay_alu instid0(VALU_DEP_1) | instskip(SKIP_4) | instid1(VALU_DEP_1)
	v_fma_f64 v[4:5], v[104:105], v[98:99], v[4:5]
	ds_load_2addr_b64 v[96:99], v1 offset0:81 offset1:82
	s_waitcnt lgkmcnt(0)
	v_fma_f64 v[4:5], v[106:107], v[96:97], v[4:5]
	s_waitcnt vmcnt(2)
	v_fma_f64 v[4:5], v[108:109], v[98:99], v[4:5]
	ds_load_2addr_b64 v[96:99], v1 offset0:83 offset1:84
	s_waitcnt lgkmcnt(0)
	v_fma_f64 v[4:5], v[110:111], v[96:97], v[4:5]
	s_waitcnt vmcnt(1)
	s_delay_alu instid0(VALU_DEP_1)
	v_fma_f64 v[4:5], v[116:117], v[98:99], v[4:5]
	ds_load_2addr_b64 v[96:99], v1 offset0:85 offset1:86
	s_waitcnt lgkmcnt(0)
	v_fma_f64 v[4:5], v[118:119], v[96:97], v[4:5]
	ds_load_b64 v[96:97], v1 offset:696
	s_waitcnt vmcnt(0)
	v_fma_f64 v[4:5], v[112:113], v[98:99], v[4:5]
	s_waitcnt lgkmcnt(0)
	s_delay_alu instid0(VALU_DEP_1) | instskip(NEXT) | instid1(VALU_DEP_1)
	v_fma_f64 v[4:5], v[114:115], v[96:97], v[4:5]
	v_add_f64 v[4:5], v[94:95], -v[4:5]
	scratch_store_b64 off, v[4:5], off offset:80
	v_cmpx_lt_u32_e32 9, v0
	s_cbranch_execz .LBB43_255
; %bb.254:
	scratch_load_b64 v[4:5], off, off offset:72
	v_mov_b32_e32 v2, v1
	scratch_store_b64 off, v[1:2], off offset:72
	s_waitcnt vmcnt(0)
	ds_store_b64 v3, v[4:5]
.LBB43_255:
	s_or_b32 exec_lo, exec_lo, s0
	s_waitcnt lgkmcnt(0)
	s_waitcnt_vscnt null, 0x0
	s_barrier
	buffer_gl0_inv
	s_clause 0x4
	scratch_load_b128 v[94:97], off, off offset:72
	scratch_load_b128 v[98:101], off, off offset:88
	;; [unrolled: 1-line block ×5, first 2 shown]
	ds_load_b128 v[114:117], v1 offset:432
	scratch_load_b128 v[118:121], off, off offset:152
	s_mov_b32 s0, exec_lo
	s_waitcnt vmcnt(5) lgkmcnt(0)
	v_fma_f64 v[4:5], v[96:97], v[114:115], 0
	s_waitcnt vmcnt(4)
	s_delay_alu instid0(VALU_DEP_1)
	v_fma_f64 v[4:5], v[98:99], v[116:117], v[4:5]
	scratch_load_b128 v[114:117], off, off offset:168
	ds_load_b128 v[96:99], v1 offset:448
	s_waitcnt lgkmcnt(0)
	v_fma_f64 v[4:5], v[100:101], v[96:97], v[4:5]
	s_waitcnt vmcnt(4)
	s_delay_alu instid0(VALU_DEP_1)
	v_fma_f64 v[4:5], v[102:103], v[98:99], v[4:5]
	ds_load_b128 v[96:99], v1 offset:464
	scratch_load_b128 v[100:103], off, off offset:184
	s_waitcnt lgkmcnt(0)
	v_fma_f64 v[4:5], v[104:105], v[96:97], v[4:5]
	s_waitcnt vmcnt(4)
	s_delay_alu instid0(VALU_DEP_1)
	v_fma_f64 v[4:5], v[106:107], v[98:99], v[4:5]
	scratch_load_b128 v[104:107], off, off offset:200
	ds_load_b128 v[96:99], v1 offset:480
	s_waitcnt lgkmcnt(0)
	v_fma_f64 v[4:5], v[108:109], v[96:97], v[4:5]
	s_waitcnt vmcnt(4)
	s_delay_alu instid0(VALU_DEP_1)
	v_fma_f64 v[4:5], v[110:111], v[98:99], v[4:5]
	ds_load_b128 v[96:99], v1 offset:496
	scratch_load_b128 v[108:111], off, off offset:216
	s_waitcnt lgkmcnt(0)
	v_fma_f64 v[4:5], v[112:113], v[96:97], v[4:5]
	s_waitcnt vmcnt(4)
	s_delay_alu instid0(VALU_DEP_1)
	v_fma_f64 v[4:5], v[118:119], v[98:99], v[4:5]
	ds_load_b128 v[96:99], v1 offset:512
	s_waitcnt lgkmcnt(0)
	v_fma_f64 v[4:5], v[120:121], v[96:97], v[4:5]
	scratch_load_b128 v[118:121], off, off offset:232
	s_waitcnt vmcnt(4)
	v_fma_f64 v[4:5], v[114:115], v[98:99], v[4:5]
	ds_load_b128 v[96:99], v1 offset:528
	scratch_load_b128 v[112:115], off, off offset:248
	s_waitcnt lgkmcnt(0)
	v_fma_f64 v[4:5], v[116:117], v[96:97], v[4:5]
	s_waitcnt vmcnt(4)
	s_delay_alu instid0(VALU_DEP_1)
	v_fma_f64 v[4:5], v[100:101], v[98:99], v[4:5]
	ds_load_b128 v[96:99], v1 offset:544
	s_waitcnt lgkmcnt(0)
	v_fma_f64 v[4:5], v[102:103], v[96:97], v[4:5]
	scratch_load_b128 v[100:103], off, off offset:264
	s_waitcnt vmcnt(4)
	v_fma_f64 v[4:5], v[104:105], v[98:99], v[4:5]
	ds_load_b128 v[96:99], v1 offset:560
	s_waitcnt lgkmcnt(0)
	v_fma_f64 v[4:5], v[106:107], v[96:97], v[4:5]
	scratch_load_b128 v[104:107], off, off offset:280
	s_waitcnt vmcnt(4)
	;; [unrolled: 6-line block ×3, first 2 shown]
	v_fma_f64 v[4:5], v[118:119], v[98:99], v[4:5]
	ds_load_b128 v[96:99], v1 offset:592
	scratch_load_b128 v[116:119], off, off offset:312
	s_waitcnt lgkmcnt(0)
	v_fma_f64 v[4:5], v[120:121], v[96:97], v[4:5]
	s_waitcnt vmcnt(4)
	s_delay_alu instid0(VALU_DEP_1)
	v_fma_f64 v[4:5], v[112:113], v[98:99], v[4:5]
	ds_load_b128 v[96:99], v1 offset:608
	s_waitcnt lgkmcnt(0)
	v_fma_f64 v[4:5], v[114:115], v[96:97], v[4:5]
	scratch_load_b128 v[112:115], off, off offset:328
	s_waitcnt vmcnt(4)
	v_fma_f64 v[4:5], v[100:101], v[98:99], v[4:5]
	ds_load_b128 v[96:99], v1 offset:624
	scratch_load_b64 v[100:101], off, off offset:344
	s_waitcnt lgkmcnt(0)
	v_fma_f64 v[4:5], v[102:103], v[96:97], v[4:5]
	s_waitcnt vmcnt(4)
	s_delay_alu instid0(VALU_DEP_1) | instskip(SKIP_4) | instid1(VALU_DEP_1)
	v_fma_f64 v[4:5], v[104:105], v[98:99], v[4:5]
	ds_load_b128 v[96:99], v1 offset:640
	s_waitcnt lgkmcnt(0)
	v_fma_f64 v[4:5], v[106:107], v[96:97], v[4:5]
	s_waitcnt vmcnt(3)
	v_fma_f64 v[4:5], v[108:109], v[98:99], v[4:5]
	ds_load_b128 v[96:99], v1 offset:656
	s_waitcnt lgkmcnt(0)
	v_fma_f64 v[4:5], v[110:111], v[96:97], v[4:5]
	s_waitcnt vmcnt(2)
	s_delay_alu instid0(VALU_DEP_1) | instskip(SKIP_4) | instid1(VALU_DEP_1)
	v_fma_f64 v[4:5], v[116:117], v[98:99], v[4:5]
	ds_load_b128 v[96:99], v1 offset:672
	s_waitcnt lgkmcnt(0)
	v_fma_f64 v[4:5], v[118:119], v[96:97], v[4:5]
	s_waitcnt vmcnt(1)
	v_fma_f64 v[4:5], v[112:113], v[98:99], v[4:5]
	ds_load_b128 v[96:99], v1 offset:688
	s_waitcnt lgkmcnt(0)
	v_fma_f64 v[1:2], v[114:115], v[96:97], v[4:5]
	s_waitcnt vmcnt(0)
	s_delay_alu instid0(VALU_DEP_1) | instskip(NEXT) | instid1(VALU_DEP_1)
	v_fma_f64 v[1:2], v[100:101], v[98:99], v[1:2]
	v_add_f64 v[1:2], v[94:95], -v[1:2]
	scratch_store_b64 off, v[1:2], off offset:72
	v_cmpx_lt_u32_e32 8, v0
	s_cbranch_execz .LBB43_257
; %bb.256:
	scratch_load_b64 v[1:2], off, off offset:64
	v_mov_b32_e32 v4, 0
	s_delay_alu instid0(VALU_DEP_1)
	v_mov_b32_e32 v5, v4
	scratch_store_b64 off, v[4:5], off offset:64
	s_waitcnt vmcnt(0)
	ds_store_b64 v3, v[1:2]
.LBB43_257:
	s_or_b32 exec_lo, exec_lo, s0
	s_waitcnt lgkmcnt(0)
	s_waitcnt_vscnt null, 0x0
	s_barrier
	buffer_gl0_inv
	s_clause 0x4
	scratch_load_b128 v[94:97], off, off offset:64
	scratch_load_b128 v[98:101], off, off offset:80
	;; [unrolled: 1-line block ×5, first 2 shown]
	v_mov_b32_e32 v1, 0
	scratch_load_b128 v[118:121], off, off offset:144
	s_mov_b32 s0, exec_lo
	ds_load_2addr_b64 v[114:117], v1 offset0:53 offset1:54
	s_waitcnt vmcnt(5) lgkmcnt(0)
	v_fma_f64 v[4:5], v[96:97], v[114:115], 0
	s_waitcnt vmcnt(4)
	s_delay_alu instid0(VALU_DEP_1)
	v_fma_f64 v[4:5], v[98:99], v[116:117], v[4:5]
	scratch_load_b128 v[114:117], off, off offset:160
	ds_load_2addr_b64 v[96:99], v1 offset0:55 offset1:56
	s_waitcnt lgkmcnt(0)
	v_fma_f64 v[4:5], v[100:101], v[96:97], v[4:5]
	s_waitcnt vmcnt(4)
	s_delay_alu instid0(VALU_DEP_1)
	v_fma_f64 v[4:5], v[102:103], v[98:99], v[4:5]
	ds_load_2addr_b64 v[96:99], v1 offset0:57 offset1:58
	scratch_load_b128 v[100:103], off, off offset:176
	s_waitcnt lgkmcnt(0)
	v_fma_f64 v[4:5], v[104:105], v[96:97], v[4:5]
	s_waitcnt vmcnt(4)
	s_delay_alu instid0(VALU_DEP_1)
	v_fma_f64 v[4:5], v[106:107], v[98:99], v[4:5]
	scratch_load_b128 v[104:107], off, off offset:192
	ds_load_2addr_b64 v[96:99], v1 offset0:59 offset1:60
	s_waitcnt lgkmcnt(0)
	v_fma_f64 v[4:5], v[108:109], v[96:97], v[4:5]
	s_waitcnt vmcnt(4)
	s_delay_alu instid0(VALU_DEP_1)
	v_fma_f64 v[4:5], v[110:111], v[98:99], v[4:5]
	ds_load_2addr_b64 v[96:99], v1 offset0:61 offset1:62
	scratch_load_b128 v[108:111], off, off offset:208
	s_waitcnt lgkmcnt(0)
	v_fma_f64 v[4:5], v[112:113], v[96:97], v[4:5]
	s_waitcnt vmcnt(4)
	s_delay_alu instid0(VALU_DEP_1)
	v_fma_f64 v[4:5], v[118:119], v[98:99], v[4:5]
	ds_load_2addr_b64 v[96:99], v1 offset0:63 offset1:64
	s_waitcnt lgkmcnt(0)
	v_fma_f64 v[4:5], v[120:121], v[96:97], v[4:5]
	scratch_load_b128 v[118:121], off, off offset:224
	s_waitcnt vmcnt(4)
	v_fma_f64 v[4:5], v[114:115], v[98:99], v[4:5]
	ds_load_2addr_b64 v[96:99], v1 offset0:65 offset1:66
	scratch_load_b128 v[112:115], off, off offset:240
	s_waitcnt lgkmcnt(0)
	v_fma_f64 v[4:5], v[116:117], v[96:97], v[4:5]
	s_waitcnt vmcnt(4)
	s_delay_alu instid0(VALU_DEP_1)
	v_fma_f64 v[4:5], v[100:101], v[98:99], v[4:5]
	ds_load_2addr_b64 v[96:99], v1 offset0:67 offset1:68
	s_waitcnt lgkmcnt(0)
	v_fma_f64 v[4:5], v[102:103], v[96:97], v[4:5]
	scratch_load_b128 v[100:103], off, off offset:256
	s_waitcnt vmcnt(4)
	v_fma_f64 v[4:5], v[104:105], v[98:99], v[4:5]
	ds_load_2addr_b64 v[96:99], v1 offset0:69 offset1:70
	s_waitcnt lgkmcnt(0)
	v_fma_f64 v[4:5], v[106:107], v[96:97], v[4:5]
	scratch_load_b128 v[104:107], off, off offset:272
	s_waitcnt vmcnt(4)
	;; [unrolled: 6-line block ×3, first 2 shown]
	v_fma_f64 v[4:5], v[118:119], v[98:99], v[4:5]
	ds_load_2addr_b64 v[96:99], v1 offset0:73 offset1:74
	scratch_load_b128 v[116:119], off, off offset:304
	s_waitcnt lgkmcnt(0)
	v_fma_f64 v[4:5], v[120:121], v[96:97], v[4:5]
	s_waitcnt vmcnt(4)
	s_delay_alu instid0(VALU_DEP_1)
	v_fma_f64 v[4:5], v[112:113], v[98:99], v[4:5]
	ds_load_2addr_b64 v[96:99], v1 offset0:75 offset1:76
	s_waitcnt lgkmcnt(0)
	v_fma_f64 v[4:5], v[114:115], v[96:97], v[4:5]
	scratch_load_b128 v[112:115], off, off offset:320
	s_waitcnt vmcnt(4)
	v_fma_f64 v[4:5], v[100:101], v[98:99], v[4:5]
	ds_load_2addr_b64 v[96:99], v1 offset0:77 offset1:78
	s_waitcnt lgkmcnt(0)
	v_fma_f64 v[4:5], v[102:103], v[96:97], v[4:5]
	scratch_load_b128 v[100:103], off, off offset:336
	s_waitcnt vmcnt(4)
	v_fma_f64 v[4:5], v[104:105], v[98:99], v[4:5]
	ds_load_2addr_b64 v[96:99], v1 offset0:79 offset1:80
	s_waitcnt lgkmcnt(0)
	v_fma_f64 v[4:5], v[106:107], v[96:97], v[4:5]
	s_waitcnt vmcnt(3)
	s_delay_alu instid0(VALU_DEP_1) | instskip(SKIP_4) | instid1(VALU_DEP_1)
	v_fma_f64 v[4:5], v[108:109], v[98:99], v[4:5]
	ds_load_2addr_b64 v[96:99], v1 offset0:81 offset1:82
	s_waitcnt lgkmcnt(0)
	v_fma_f64 v[4:5], v[110:111], v[96:97], v[4:5]
	s_waitcnt vmcnt(2)
	v_fma_f64 v[4:5], v[116:117], v[98:99], v[4:5]
	ds_load_2addr_b64 v[96:99], v1 offset0:83 offset1:84
	s_waitcnt lgkmcnt(0)
	v_fma_f64 v[4:5], v[118:119], v[96:97], v[4:5]
	s_waitcnt vmcnt(1)
	s_delay_alu instid0(VALU_DEP_1)
	v_fma_f64 v[4:5], v[112:113], v[98:99], v[4:5]
	ds_load_2addr_b64 v[96:99], v1 offset0:85 offset1:86
	s_waitcnt lgkmcnt(0)
	v_fma_f64 v[4:5], v[114:115], v[96:97], v[4:5]
	ds_load_b64 v[96:97], v1 offset:696
	s_waitcnt vmcnt(0)
	v_fma_f64 v[4:5], v[100:101], v[98:99], v[4:5]
	s_waitcnt lgkmcnt(0)
	s_delay_alu instid0(VALU_DEP_1) | instskip(NEXT) | instid1(VALU_DEP_1)
	v_fma_f64 v[4:5], v[102:103], v[96:97], v[4:5]
	v_add_f64 v[4:5], v[94:95], -v[4:5]
	scratch_store_b64 off, v[4:5], off offset:64
	v_cmpx_lt_u32_e32 7, v0
	s_cbranch_execz .LBB43_259
; %bb.258:
	scratch_load_b64 v[4:5], off, off offset:56
	v_mov_b32_e32 v2, v1
	scratch_store_b64 off, v[1:2], off offset:56
	s_waitcnt vmcnt(0)
	ds_store_b64 v3, v[4:5]
.LBB43_259:
	s_or_b32 exec_lo, exec_lo, s0
	s_waitcnt lgkmcnt(0)
	s_waitcnt_vscnt null, 0x0
	s_barrier
	buffer_gl0_inv
	s_clause 0x4
	scratch_load_b128 v[94:97], off, off offset:56
	scratch_load_b128 v[98:101], off, off offset:72
	;; [unrolled: 1-line block ×5, first 2 shown]
	ds_load_b128 v[114:117], v1 offset:416
	scratch_load_b128 v[118:121], off, off offset:136
	s_mov_b32 s0, exec_lo
	s_waitcnt vmcnt(5) lgkmcnt(0)
	v_fma_f64 v[4:5], v[96:97], v[114:115], 0
	s_waitcnt vmcnt(4)
	s_delay_alu instid0(VALU_DEP_1)
	v_fma_f64 v[4:5], v[98:99], v[116:117], v[4:5]
	scratch_load_b128 v[114:117], off, off offset:152
	ds_load_b128 v[96:99], v1 offset:432
	s_waitcnt lgkmcnt(0)
	v_fma_f64 v[4:5], v[100:101], v[96:97], v[4:5]
	s_waitcnt vmcnt(4)
	s_delay_alu instid0(VALU_DEP_1)
	v_fma_f64 v[4:5], v[102:103], v[98:99], v[4:5]
	ds_load_b128 v[96:99], v1 offset:448
	scratch_load_b128 v[100:103], off, off offset:168
	s_waitcnt lgkmcnt(0)
	v_fma_f64 v[4:5], v[104:105], v[96:97], v[4:5]
	s_waitcnt vmcnt(4)
	s_delay_alu instid0(VALU_DEP_1)
	v_fma_f64 v[4:5], v[106:107], v[98:99], v[4:5]
	scratch_load_b128 v[104:107], off, off offset:184
	ds_load_b128 v[96:99], v1 offset:464
	s_waitcnt lgkmcnt(0)
	v_fma_f64 v[4:5], v[108:109], v[96:97], v[4:5]
	s_waitcnt vmcnt(4)
	s_delay_alu instid0(VALU_DEP_1)
	v_fma_f64 v[4:5], v[110:111], v[98:99], v[4:5]
	ds_load_b128 v[96:99], v1 offset:480
	scratch_load_b128 v[108:111], off, off offset:200
	s_waitcnt lgkmcnt(0)
	v_fma_f64 v[4:5], v[112:113], v[96:97], v[4:5]
	s_waitcnt vmcnt(4)
	s_delay_alu instid0(VALU_DEP_1)
	v_fma_f64 v[4:5], v[118:119], v[98:99], v[4:5]
	ds_load_b128 v[96:99], v1 offset:496
	s_waitcnt lgkmcnt(0)
	v_fma_f64 v[4:5], v[120:121], v[96:97], v[4:5]
	scratch_load_b128 v[118:121], off, off offset:216
	s_waitcnt vmcnt(4)
	v_fma_f64 v[4:5], v[114:115], v[98:99], v[4:5]
	ds_load_b128 v[96:99], v1 offset:512
	scratch_load_b128 v[112:115], off, off offset:232
	s_waitcnt lgkmcnt(0)
	v_fma_f64 v[4:5], v[116:117], v[96:97], v[4:5]
	s_waitcnt vmcnt(4)
	s_delay_alu instid0(VALU_DEP_1)
	v_fma_f64 v[4:5], v[100:101], v[98:99], v[4:5]
	ds_load_b128 v[96:99], v1 offset:528
	s_waitcnt lgkmcnt(0)
	v_fma_f64 v[4:5], v[102:103], v[96:97], v[4:5]
	scratch_load_b128 v[100:103], off, off offset:248
	s_waitcnt vmcnt(4)
	v_fma_f64 v[4:5], v[104:105], v[98:99], v[4:5]
	ds_load_b128 v[96:99], v1 offset:544
	s_waitcnt lgkmcnt(0)
	v_fma_f64 v[4:5], v[106:107], v[96:97], v[4:5]
	scratch_load_b128 v[104:107], off, off offset:264
	s_waitcnt vmcnt(4)
	;; [unrolled: 6-line block ×3, first 2 shown]
	v_fma_f64 v[4:5], v[118:119], v[98:99], v[4:5]
	ds_load_b128 v[96:99], v1 offset:576
	scratch_load_b128 v[116:119], off, off offset:296
	s_waitcnt lgkmcnt(0)
	v_fma_f64 v[4:5], v[120:121], v[96:97], v[4:5]
	s_waitcnt vmcnt(4)
	s_delay_alu instid0(VALU_DEP_1)
	v_fma_f64 v[4:5], v[112:113], v[98:99], v[4:5]
	ds_load_b128 v[96:99], v1 offset:592
	s_waitcnt lgkmcnt(0)
	v_fma_f64 v[4:5], v[114:115], v[96:97], v[4:5]
	scratch_load_b128 v[112:115], off, off offset:312
	s_waitcnt vmcnt(4)
	v_fma_f64 v[4:5], v[100:101], v[98:99], v[4:5]
	ds_load_b128 v[96:99], v1 offset:608
	s_waitcnt lgkmcnt(0)
	v_fma_f64 v[4:5], v[102:103], v[96:97], v[4:5]
	scratch_load_b128 v[100:103], off, off offset:328
	s_waitcnt vmcnt(4)
	v_fma_f64 v[4:5], v[104:105], v[98:99], v[4:5]
	scratch_load_b64 v[104:105], off, off offset:344
	ds_load_b128 v[96:99], v1 offset:624
	s_waitcnt lgkmcnt(0)
	v_fma_f64 v[4:5], v[106:107], v[96:97], v[4:5]
	s_waitcnt vmcnt(4)
	s_delay_alu instid0(VALU_DEP_1) | instskip(SKIP_4) | instid1(VALU_DEP_1)
	v_fma_f64 v[4:5], v[108:109], v[98:99], v[4:5]
	ds_load_b128 v[96:99], v1 offset:640
	s_waitcnt lgkmcnt(0)
	v_fma_f64 v[4:5], v[110:111], v[96:97], v[4:5]
	s_waitcnt vmcnt(3)
	v_fma_f64 v[4:5], v[116:117], v[98:99], v[4:5]
	ds_load_b128 v[96:99], v1 offset:656
	s_waitcnt lgkmcnt(0)
	v_fma_f64 v[4:5], v[118:119], v[96:97], v[4:5]
	s_waitcnt vmcnt(2)
	s_delay_alu instid0(VALU_DEP_1) | instskip(SKIP_4) | instid1(VALU_DEP_1)
	v_fma_f64 v[4:5], v[112:113], v[98:99], v[4:5]
	ds_load_b128 v[96:99], v1 offset:672
	s_waitcnt lgkmcnt(0)
	v_fma_f64 v[4:5], v[114:115], v[96:97], v[4:5]
	s_waitcnt vmcnt(1)
	v_fma_f64 v[4:5], v[100:101], v[98:99], v[4:5]
	ds_load_b128 v[96:99], v1 offset:688
	s_waitcnt lgkmcnt(0)
	v_fma_f64 v[1:2], v[102:103], v[96:97], v[4:5]
	s_waitcnt vmcnt(0)
	s_delay_alu instid0(VALU_DEP_1) | instskip(NEXT) | instid1(VALU_DEP_1)
	v_fma_f64 v[1:2], v[104:105], v[98:99], v[1:2]
	v_add_f64 v[1:2], v[94:95], -v[1:2]
	scratch_store_b64 off, v[1:2], off offset:56
	v_cmpx_lt_u32_e32 6, v0
	s_cbranch_execz .LBB43_261
; %bb.260:
	scratch_load_b64 v[1:2], off, off offset:48
	v_mov_b32_e32 v4, 0
	s_delay_alu instid0(VALU_DEP_1)
	v_mov_b32_e32 v5, v4
	scratch_store_b64 off, v[4:5], off offset:48
	s_waitcnt vmcnt(0)
	ds_store_b64 v3, v[1:2]
.LBB43_261:
	s_or_b32 exec_lo, exec_lo, s0
	s_waitcnt lgkmcnt(0)
	s_waitcnt_vscnt null, 0x0
	s_barrier
	buffer_gl0_inv
	s_clause 0x4
	scratch_load_b128 v[94:97], off, off offset:48
	scratch_load_b128 v[98:101], off, off offset:64
	;; [unrolled: 1-line block ×5, first 2 shown]
	v_mov_b32_e32 v1, 0
	scratch_load_b128 v[118:121], off, off offset:128
	s_mov_b32 s0, exec_lo
	ds_load_2addr_b64 v[114:117], v1 offset0:51 offset1:52
	s_waitcnt vmcnt(5) lgkmcnt(0)
	v_fma_f64 v[4:5], v[96:97], v[114:115], 0
	s_waitcnt vmcnt(4)
	s_delay_alu instid0(VALU_DEP_1)
	v_fma_f64 v[4:5], v[98:99], v[116:117], v[4:5]
	scratch_load_b128 v[114:117], off, off offset:144
	ds_load_2addr_b64 v[96:99], v1 offset0:53 offset1:54
	s_waitcnt lgkmcnt(0)
	v_fma_f64 v[4:5], v[100:101], v[96:97], v[4:5]
	s_waitcnt vmcnt(4)
	s_delay_alu instid0(VALU_DEP_1)
	v_fma_f64 v[4:5], v[102:103], v[98:99], v[4:5]
	ds_load_2addr_b64 v[96:99], v1 offset0:55 offset1:56
	scratch_load_b128 v[100:103], off, off offset:160
	s_waitcnt lgkmcnt(0)
	v_fma_f64 v[4:5], v[104:105], v[96:97], v[4:5]
	s_waitcnt vmcnt(4)
	s_delay_alu instid0(VALU_DEP_1)
	v_fma_f64 v[4:5], v[106:107], v[98:99], v[4:5]
	scratch_load_b128 v[104:107], off, off offset:176
	ds_load_2addr_b64 v[96:99], v1 offset0:57 offset1:58
	s_waitcnt lgkmcnt(0)
	v_fma_f64 v[4:5], v[108:109], v[96:97], v[4:5]
	s_waitcnt vmcnt(4)
	s_delay_alu instid0(VALU_DEP_1)
	v_fma_f64 v[4:5], v[110:111], v[98:99], v[4:5]
	ds_load_2addr_b64 v[96:99], v1 offset0:59 offset1:60
	scratch_load_b128 v[108:111], off, off offset:192
	s_waitcnt lgkmcnt(0)
	v_fma_f64 v[4:5], v[112:113], v[96:97], v[4:5]
	s_waitcnt vmcnt(4)
	s_delay_alu instid0(VALU_DEP_1)
	v_fma_f64 v[4:5], v[118:119], v[98:99], v[4:5]
	ds_load_2addr_b64 v[96:99], v1 offset0:61 offset1:62
	s_waitcnt lgkmcnt(0)
	v_fma_f64 v[4:5], v[120:121], v[96:97], v[4:5]
	scratch_load_b128 v[118:121], off, off offset:208
	s_waitcnt vmcnt(4)
	v_fma_f64 v[4:5], v[114:115], v[98:99], v[4:5]
	ds_load_2addr_b64 v[96:99], v1 offset0:63 offset1:64
	scratch_load_b128 v[112:115], off, off offset:224
	s_waitcnt lgkmcnt(0)
	v_fma_f64 v[4:5], v[116:117], v[96:97], v[4:5]
	s_waitcnt vmcnt(4)
	s_delay_alu instid0(VALU_DEP_1)
	v_fma_f64 v[4:5], v[100:101], v[98:99], v[4:5]
	ds_load_2addr_b64 v[96:99], v1 offset0:65 offset1:66
	s_waitcnt lgkmcnt(0)
	v_fma_f64 v[4:5], v[102:103], v[96:97], v[4:5]
	scratch_load_b128 v[100:103], off, off offset:240
	s_waitcnt vmcnt(4)
	v_fma_f64 v[4:5], v[104:105], v[98:99], v[4:5]
	ds_load_2addr_b64 v[96:99], v1 offset0:67 offset1:68
	s_waitcnt lgkmcnt(0)
	v_fma_f64 v[4:5], v[106:107], v[96:97], v[4:5]
	scratch_load_b128 v[104:107], off, off offset:256
	s_waitcnt vmcnt(4)
	;; [unrolled: 6-line block ×3, first 2 shown]
	v_fma_f64 v[4:5], v[118:119], v[98:99], v[4:5]
	ds_load_2addr_b64 v[96:99], v1 offset0:71 offset1:72
	scratch_load_b128 v[116:119], off, off offset:288
	s_waitcnt lgkmcnt(0)
	v_fma_f64 v[4:5], v[120:121], v[96:97], v[4:5]
	s_waitcnt vmcnt(4)
	s_delay_alu instid0(VALU_DEP_1)
	v_fma_f64 v[4:5], v[112:113], v[98:99], v[4:5]
	ds_load_2addr_b64 v[96:99], v1 offset0:73 offset1:74
	s_waitcnt lgkmcnt(0)
	v_fma_f64 v[4:5], v[114:115], v[96:97], v[4:5]
	scratch_load_b128 v[112:115], off, off offset:304
	s_waitcnt vmcnt(4)
	v_fma_f64 v[4:5], v[100:101], v[98:99], v[4:5]
	ds_load_2addr_b64 v[96:99], v1 offset0:75 offset1:76
	s_waitcnt lgkmcnt(0)
	v_fma_f64 v[4:5], v[102:103], v[96:97], v[4:5]
	scratch_load_b128 v[100:103], off, off offset:320
	s_waitcnt vmcnt(4)
	;; [unrolled: 6-line block ×3, first 2 shown]
	v_fma_f64 v[4:5], v[108:109], v[98:99], v[4:5]
	ds_load_2addr_b64 v[96:99], v1 offset0:79 offset1:80
	s_waitcnt lgkmcnt(0)
	v_fma_f64 v[4:5], v[110:111], v[96:97], v[4:5]
	s_waitcnt vmcnt(3)
	s_delay_alu instid0(VALU_DEP_1) | instskip(SKIP_4) | instid1(VALU_DEP_1)
	v_fma_f64 v[4:5], v[116:117], v[98:99], v[4:5]
	ds_load_2addr_b64 v[96:99], v1 offset0:81 offset1:82
	s_waitcnt lgkmcnt(0)
	v_fma_f64 v[4:5], v[118:119], v[96:97], v[4:5]
	s_waitcnt vmcnt(2)
	v_fma_f64 v[4:5], v[112:113], v[98:99], v[4:5]
	ds_load_2addr_b64 v[96:99], v1 offset0:83 offset1:84
	s_waitcnt lgkmcnt(0)
	v_fma_f64 v[4:5], v[114:115], v[96:97], v[4:5]
	s_waitcnt vmcnt(1)
	s_delay_alu instid0(VALU_DEP_1)
	v_fma_f64 v[4:5], v[100:101], v[98:99], v[4:5]
	ds_load_2addr_b64 v[96:99], v1 offset0:85 offset1:86
	s_waitcnt lgkmcnt(0)
	v_fma_f64 v[4:5], v[102:103], v[96:97], v[4:5]
	ds_load_b64 v[96:97], v1 offset:696
	s_waitcnt vmcnt(0)
	v_fma_f64 v[4:5], v[104:105], v[98:99], v[4:5]
	s_waitcnt lgkmcnt(0)
	s_delay_alu instid0(VALU_DEP_1) | instskip(NEXT) | instid1(VALU_DEP_1)
	v_fma_f64 v[4:5], v[106:107], v[96:97], v[4:5]
	v_add_f64 v[4:5], v[94:95], -v[4:5]
	scratch_store_b64 off, v[4:5], off offset:48
	v_cmpx_lt_u32_e32 5, v0
	s_cbranch_execz .LBB43_263
; %bb.262:
	scratch_load_b64 v[4:5], off, off offset:40
	v_mov_b32_e32 v2, v1
	scratch_store_b64 off, v[1:2], off offset:40
	s_waitcnt vmcnt(0)
	ds_store_b64 v3, v[4:5]
.LBB43_263:
	s_or_b32 exec_lo, exec_lo, s0
	s_waitcnt lgkmcnt(0)
	s_waitcnt_vscnt null, 0x0
	s_barrier
	buffer_gl0_inv
	s_clause 0x4
	scratch_load_b128 v[94:97], off, off offset:40
	scratch_load_b128 v[98:101], off, off offset:56
	scratch_load_b128 v[102:105], off, off offset:72
	scratch_load_b128 v[106:109], off, off offset:88
	scratch_load_b128 v[110:113], off, off offset:104
	ds_load_b128 v[114:117], v1 offset:400
	scratch_load_b128 v[118:121], off, off offset:120
	s_mov_b32 s0, exec_lo
	s_waitcnt vmcnt(5) lgkmcnt(0)
	v_fma_f64 v[4:5], v[96:97], v[114:115], 0
	s_waitcnt vmcnt(4)
	s_delay_alu instid0(VALU_DEP_1)
	v_fma_f64 v[4:5], v[98:99], v[116:117], v[4:5]
	scratch_load_b128 v[114:117], off, off offset:136
	ds_load_b128 v[96:99], v1 offset:416
	s_waitcnt lgkmcnt(0)
	v_fma_f64 v[4:5], v[100:101], v[96:97], v[4:5]
	s_waitcnt vmcnt(4)
	s_delay_alu instid0(VALU_DEP_1)
	v_fma_f64 v[4:5], v[102:103], v[98:99], v[4:5]
	ds_load_b128 v[96:99], v1 offset:432
	scratch_load_b128 v[100:103], off, off offset:152
	s_waitcnt lgkmcnt(0)
	v_fma_f64 v[4:5], v[104:105], v[96:97], v[4:5]
	s_waitcnt vmcnt(4)
	s_delay_alu instid0(VALU_DEP_1)
	v_fma_f64 v[4:5], v[106:107], v[98:99], v[4:5]
	scratch_load_b128 v[104:107], off, off offset:168
	ds_load_b128 v[96:99], v1 offset:448
	s_waitcnt lgkmcnt(0)
	v_fma_f64 v[4:5], v[108:109], v[96:97], v[4:5]
	s_waitcnt vmcnt(4)
	s_delay_alu instid0(VALU_DEP_1)
	v_fma_f64 v[4:5], v[110:111], v[98:99], v[4:5]
	ds_load_b128 v[96:99], v1 offset:464
	scratch_load_b128 v[108:111], off, off offset:184
	s_waitcnt lgkmcnt(0)
	v_fma_f64 v[4:5], v[112:113], v[96:97], v[4:5]
	s_waitcnt vmcnt(4)
	s_delay_alu instid0(VALU_DEP_1)
	v_fma_f64 v[4:5], v[118:119], v[98:99], v[4:5]
	ds_load_b128 v[96:99], v1 offset:480
	s_waitcnt lgkmcnt(0)
	v_fma_f64 v[4:5], v[120:121], v[96:97], v[4:5]
	scratch_load_b128 v[118:121], off, off offset:200
	s_waitcnt vmcnt(4)
	v_fma_f64 v[4:5], v[114:115], v[98:99], v[4:5]
	ds_load_b128 v[96:99], v1 offset:496
	scratch_load_b128 v[112:115], off, off offset:216
	s_waitcnt lgkmcnt(0)
	v_fma_f64 v[4:5], v[116:117], v[96:97], v[4:5]
	s_waitcnt vmcnt(4)
	s_delay_alu instid0(VALU_DEP_1)
	v_fma_f64 v[4:5], v[100:101], v[98:99], v[4:5]
	ds_load_b128 v[96:99], v1 offset:512
	s_waitcnt lgkmcnt(0)
	v_fma_f64 v[4:5], v[102:103], v[96:97], v[4:5]
	scratch_load_b128 v[100:103], off, off offset:232
	s_waitcnt vmcnt(4)
	v_fma_f64 v[4:5], v[104:105], v[98:99], v[4:5]
	ds_load_b128 v[96:99], v1 offset:528
	s_waitcnt lgkmcnt(0)
	v_fma_f64 v[4:5], v[106:107], v[96:97], v[4:5]
	scratch_load_b128 v[104:107], off, off offset:248
	s_waitcnt vmcnt(4)
	;; [unrolled: 6-line block ×3, first 2 shown]
	v_fma_f64 v[4:5], v[118:119], v[98:99], v[4:5]
	ds_load_b128 v[96:99], v1 offset:560
	scratch_load_b128 v[116:119], off, off offset:280
	s_waitcnt lgkmcnt(0)
	v_fma_f64 v[4:5], v[120:121], v[96:97], v[4:5]
	s_waitcnt vmcnt(4)
	s_delay_alu instid0(VALU_DEP_1)
	v_fma_f64 v[4:5], v[112:113], v[98:99], v[4:5]
	ds_load_b128 v[96:99], v1 offset:576
	s_waitcnt lgkmcnt(0)
	v_fma_f64 v[4:5], v[114:115], v[96:97], v[4:5]
	scratch_load_b128 v[112:115], off, off offset:296
	s_waitcnt vmcnt(4)
	v_fma_f64 v[4:5], v[100:101], v[98:99], v[4:5]
	ds_load_b128 v[96:99], v1 offset:592
	s_waitcnt lgkmcnt(0)
	v_fma_f64 v[4:5], v[102:103], v[96:97], v[4:5]
	scratch_load_b128 v[100:103], off, off offset:312
	s_waitcnt vmcnt(4)
	;; [unrolled: 6-line block ×3, first 2 shown]
	v_fma_f64 v[4:5], v[108:109], v[98:99], v[4:5]
	ds_load_b128 v[96:99], v1 offset:624
	scratch_load_b64 v[108:109], off, off offset:344
	s_waitcnt lgkmcnt(0)
	v_fma_f64 v[4:5], v[110:111], v[96:97], v[4:5]
	s_waitcnt vmcnt(4)
	s_delay_alu instid0(VALU_DEP_1) | instskip(SKIP_4) | instid1(VALU_DEP_1)
	v_fma_f64 v[4:5], v[116:117], v[98:99], v[4:5]
	ds_load_b128 v[96:99], v1 offset:640
	s_waitcnt lgkmcnt(0)
	v_fma_f64 v[4:5], v[118:119], v[96:97], v[4:5]
	s_waitcnt vmcnt(3)
	v_fma_f64 v[4:5], v[112:113], v[98:99], v[4:5]
	ds_load_b128 v[96:99], v1 offset:656
	s_waitcnt lgkmcnt(0)
	v_fma_f64 v[4:5], v[114:115], v[96:97], v[4:5]
	s_waitcnt vmcnt(2)
	s_delay_alu instid0(VALU_DEP_1) | instskip(SKIP_4) | instid1(VALU_DEP_1)
	v_fma_f64 v[4:5], v[100:101], v[98:99], v[4:5]
	ds_load_b128 v[96:99], v1 offset:672
	s_waitcnt lgkmcnt(0)
	v_fma_f64 v[4:5], v[102:103], v[96:97], v[4:5]
	s_waitcnt vmcnt(1)
	v_fma_f64 v[4:5], v[104:105], v[98:99], v[4:5]
	ds_load_b128 v[96:99], v1 offset:688
	s_waitcnt lgkmcnt(0)
	v_fma_f64 v[1:2], v[106:107], v[96:97], v[4:5]
	s_waitcnt vmcnt(0)
	s_delay_alu instid0(VALU_DEP_1) | instskip(NEXT) | instid1(VALU_DEP_1)
	v_fma_f64 v[1:2], v[108:109], v[98:99], v[1:2]
	v_add_f64 v[1:2], v[94:95], -v[1:2]
	scratch_store_b64 off, v[1:2], off offset:40
	v_cmpx_lt_u32_e32 4, v0
	s_cbranch_execz .LBB43_265
; %bb.264:
	scratch_load_b64 v[1:2], off, off offset:32
	v_mov_b32_e32 v4, 0
	s_delay_alu instid0(VALU_DEP_1)
	v_mov_b32_e32 v5, v4
	scratch_store_b64 off, v[4:5], off offset:32
	s_waitcnt vmcnt(0)
	ds_store_b64 v3, v[1:2]
.LBB43_265:
	s_or_b32 exec_lo, exec_lo, s0
	s_waitcnt lgkmcnt(0)
	s_waitcnt_vscnt null, 0x0
	s_barrier
	buffer_gl0_inv
	s_clause 0x4
	scratch_load_b128 v[94:97], off, off offset:32
	scratch_load_b128 v[98:101], off, off offset:48
	;; [unrolled: 1-line block ×5, first 2 shown]
	v_mov_b32_e32 v1, 0
	scratch_load_b128 v[118:121], off, off offset:112
	s_mov_b32 s0, exec_lo
	ds_load_2addr_b64 v[114:117], v1 offset0:49 offset1:50
	s_waitcnt vmcnt(5) lgkmcnt(0)
	v_fma_f64 v[4:5], v[96:97], v[114:115], 0
	s_waitcnt vmcnt(4)
	s_delay_alu instid0(VALU_DEP_1)
	v_fma_f64 v[4:5], v[98:99], v[116:117], v[4:5]
	scratch_load_b128 v[114:117], off, off offset:128
	ds_load_2addr_b64 v[96:99], v1 offset0:51 offset1:52
	s_waitcnt lgkmcnt(0)
	v_fma_f64 v[4:5], v[100:101], v[96:97], v[4:5]
	s_waitcnt vmcnt(4)
	s_delay_alu instid0(VALU_DEP_1)
	v_fma_f64 v[4:5], v[102:103], v[98:99], v[4:5]
	ds_load_2addr_b64 v[96:99], v1 offset0:53 offset1:54
	scratch_load_b128 v[100:103], off, off offset:144
	s_waitcnt lgkmcnt(0)
	v_fma_f64 v[4:5], v[104:105], v[96:97], v[4:5]
	s_waitcnt vmcnt(4)
	s_delay_alu instid0(VALU_DEP_1)
	v_fma_f64 v[4:5], v[106:107], v[98:99], v[4:5]
	scratch_load_b128 v[104:107], off, off offset:160
	ds_load_2addr_b64 v[96:99], v1 offset0:55 offset1:56
	s_waitcnt lgkmcnt(0)
	v_fma_f64 v[4:5], v[108:109], v[96:97], v[4:5]
	s_waitcnt vmcnt(4)
	s_delay_alu instid0(VALU_DEP_1)
	v_fma_f64 v[4:5], v[110:111], v[98:99], v[4:5]
	ds_load_2addr_b64 v[96:99], v1 offset0:57 offset1:58
	scratch_load_b128 v[108:111], off, off offset:176
	s_waitcnt lgkmcnt(0)
	v_fma_f64 v[4:5], v[112:113], v[96:97], v[4:5]
	s_waitcnt vmcnt(4)
	s_delay_alu instid0(VALU_DEP_1)
	v_fma_f64 v[4:5], v[118:119], v[98:99], v[4:5]
	ds_load_2addr_b64 v[96:99], v1 offset0:59 offset1:60
	s_waitcnt lgkmcnt(0)
	v_fma_f64 v[4:5], v[120:121], v[96:97], v[4:5]
	scratch_load_b128 v[118:121], off, off offset:192
	s_waitcnt vmcnt(4)
	v_fma_f64 v[4:5], v[114:115], v[98:99], v[4:5]
	ds_load_2addr_b64 v[96:99], v1 offset0:61 offset1:62
	scratch_load_b128 v[112:115], off, off offset:208
	s_waitcnt lgkmcnt(0)
	v_fma_f64 v[4:5], v[116:117], v[96:97], v[4:5]
	s_waitcnt vmcnt(4)
	s_delay_alu instid0(VALU_DEP_1)
	v_fma_f64 v[4:5], v[100:101], v[98:99], v[4:5]
	ds_load_2addr_b64 v[96:99], v1 offset0:63 offset1:64
	s_waitcnt lgkmcnt(0)
	v_fma_f64 v[4:5], v[102:103], v[96:97], v[4:5]
	scratch_load_b128 v[100:103], off, off offset:224
	s_waitcnt vmcnt(4)
	v_fma_f64 v[4:5], v[104:105], v[98:99], v[4:5]
	ds_load_2addr_b64 v[96:99], v1 offset0:65 offset1:66
	s_waitcnt lgkmcnt(0)
	v_fma_f64 v[4:5], v[106:107], v[96:97], v[4:5]
	scratch_load_b128 v[104:107], off, off offset:240
	s_waitcnt vmcnt(4)
	;; [unrolled: 6-line block ×3, first 2 shown]
	v_fma_f64 v[4:5], v[118:119], v[98:99], v[4:5]
	ds_load_2addr_b64 v[96:99], v1 offset0:69 offset1:70
	scratch_load_b128 v[116:119], off, off offset:272
	s_waitcnt lgkmcnt(0)
	v_fma_f64 v[4:5], v[120:121], v[96:97], v[4:5]
	s_waitcnt vmcnt(4)
	s_delay_alu instid0(VALU_DEP_1)
	v_fma_f64 v[4:5], v[112:113], v[98:99], v[4:5]
	ds_load_2addr_b64 v[96:99], v1 offset0:71 offset1:72
	s_waitcnt lgkmcnt(0)
	v_fma_f64 v[4:5], v[114:115], v[96:97], v[4:5]
	scratch_load_b128 v[112:115], off, off offset:288
	s_waitcnt vmcnt(4)
	v_fma_f64 v[4:5], v[100:101], v[98:99], v[4:5]
	ds_load_2addr_b64 v[96:99], v1 offset0:73 offset1:74
	s_waitcnt lgkmcnt(0)
	v_fma_f64 v[4:5], v[102:103], v[96:97], v[4:5]
	scratch_load_b128 v[100:103], off, off offset:304
	s_waitcnt vmcnt(4)
	;; [unrolled: 6-line block ×4, first 2 shown]
	v_fma_f64 v[4:5], v[116:117], v[98:99], v[4:5]
	ds_load_2addr_b64 v[96:99], v1 offset0:79 offset1:80
	s_waitcnt lgkmcnt(0)
	v_fma_f64 v[4:5], v[118:119], v[96:97], v[4:5]
	s_waitcnt vmcnt(3)
	s_delay_alu instid0(VALU_DEP_1) | instskip(SKIP_4) | instid1(VALU_DEP_1)
	v_fma_f64 v[4:5], v[112:113], v[98:99], v[4:5]
	ds_load_2addr_b64 v[96:99], v1 offset0:81 offset1:82
	s_waitcnt lgkmcnt(0)
	v_fma_f64 v[4:5], v[114:115], v[96:97], v[4:5]
	s_waitcnt vmcnt(2)
	v_fma_f64 v[4:5], v[100:101], v[98:99], v[4:5]
	ds_load_2addr_b64 v[96:99], v1 offset0:83 offset1:84
	s_waitcnt lgkmcnt(0)
	v_fma_f64 v[4:5], v[102:103], v[96:97], v[4:5]
	s_waitcnt vmcnt(1)
	s_delay_alu instid0(VALU_DEP_1)
	v_fma_f64 v[4:5], v[104:105], v[98:99], v[4:5]
	ds_load_2addr_b64 v[96:99], v1 offset0:85 offset1:86
	s_waitcnt lgkmcnt(0)
	v_fma_f64 v[4:5], v[106:107], v[96:97], v[4:5]
	ds_load_b64 v[96:97], v1 offset:696
	s_waitcnt vmcnt(0)
	v_fma_f64 v[4:5], v[108:109], v[98:99], v[4:5]
	s_waitcnt lgkmcnt(0)
	s_delay_alu instid0(VALU_DEP_1) | instskip(NEXT) | instid1(VALU_DEP_1)
	v_fma_f64 v[4:5], v[110:111], v[96:97], v[4:5]
	v_add_f64 v[4:5], v[94:95], -v[4:5]
	scratch_store_b64 off, v[4:5], off offset:32
	v_cmpx_lt_u32_e32 3, v0
	s_cbranch_execz .LBB43_267
; %bb.266:
	scratch_load_b64 v[4:5], off, off offset:24
	v_mov_b32_e32 v2, v1
	scratch_store_b64 off, v[1:2], off offset:24
	s_waitcnt vmcnt(0)
	ds_store_b64 v3, v[4:5]
.LBB43_267:
	s_or_b32 exec_lo, exec_lo, s0
	s_waitcnt lgkmcnt(0)
	s_waitcnt_vscnt null, 0x0
	s_barrier
	buffer_gl0_inv
	s_clause 0x4
	scratch_load_b128 v[94:97], off, off offset:24
	scratch_load_b128 v[98:101], off, off offset:40
	;; [unrolled: 1-line block ×5, first 2 shown]
	ds_load_b128 v[114:117], v1 offset:384
	scratch_load_b128 v[118:121], off, off offset:104
	s_mov_b32 s0, exec_lo
	s_waitcnt vmcnt(5) lgkmcnt(0)
	v_fma_f64 v[4:5], v[96:97], v[114:115], 0
	s_waitcnt vmcnt(4)
	s_delay_alu instid0(VALU_DEP_1)
	v_fma_f64 v[4:5], v[98:99], v[116:117], v[4:5]
	scratch_load_b128 v[114:117], off, off offset:120
	ds_load_b128 v[96:99], v1 offset:400
	s_waitcnt lgkmcnt(0)
	v_fma_f64 v[4:5], v[100:101], v[96:97], v[4:5]
	s_waitcnt vmcnt(4)
	s_delay_alu instid0(VALU_DEP_1)
	v_fma_f64 v[4:5], v[102:103], v[98:99], v[4:5]
	ds_load_b128 v[96:99], v1 offset:416
	scratch_load_b128 v[100:103], off, off offset:136
	s_waitcnt lgkmcnt(0)
	v_fma_f64 v[4:5], v[104:105], v[96:97], v[4:5]
	s_waitcnt vmcnt(4)
	s_delay_alu instid0(VALU_DEP_1)
	v_fma_f64 v[4:5], v[106:107], v[98:99], v[4:5]
	scratch_load_b128 v[104:107], off, off offset:152
	ds_load_b128 v[96:99], v1 offset:432
	s_waitcnt lgkmcnt(0)
	v_fma_f64 v[4:5], v[108:109], v[96:97], v[4:5]
	s_waitcnt vmcnt(4)
	s_delay_alu instid0(VALU_DEP_1)
	v_fma_f64 v[4:5], v[110:111], v[98:99], v[4:5]
	ds_load_b128 v[96:99], v1 offset:448
	scratch_load_b128 v[108:111], off, off offset:168
	s_waitcnt lgkmcnt(0)
	v_fma_f64 v[4:5], v[112:113], v[96:97], v[4:5]
	s_waitcnt vmcnt(4)
	s_delay_alu instid0(VALU_DEP_1)
	v_fma_f64 v[4:5], v[118:119], v[98:99], v[4:5]
	ds_load_b128 v[96:99], v1 offset:464
	s_waitcnt lgkmcnt(0)
	v_fma_f64 v[4:5], v[120:121], v[96:97], v[4:5]
	scratch_load_b128 v[118:121], off, off offset:184
	s_waitcnt vmcnt(4)
	v_fma_f64 v[4:5], v[114:115], v[98:99], v[4:5]
	ds_load_b128 v[96:99], v1 offset:480
	scratch_load_b128 v[112:115], off, off offset:200
	s_waitcnt lgkmcnt(0)
	v_fma_f64 v[4:5], v[116:117], v[96:97], v[4:5]
	s_waitcnt vmcnt(4)
	s_delay_alu instid0(VALU_DEP_1)
	v_fma_f64 v[4:5], v[100:101], v[98:99], v[4:5]
	ds_load_b128 v[96:99], v1 offset:496
	s_waitcnt lgkmcnt(0)
	v_fma_f64 v[4:5], v[102:103], v[96:97], v[4:5]
	scratch_load_b128 v[100:103], off, off offset:216
	s_waitcnt vmcnt(4)
	v_fma_f64 v[4:5], v[104:105], v[98:99], v[4:5]
	ds_load_b128 v[96:99], v1 offset:512
	s_waitcnt lgkmcnt(0)
	v_fma_f64 v[4:5], v[106:107], v[96:97], v[4:5]
	scratch_load_b128 v[104:107], off, off offset:232
	s_waitcnt vmcnt(4)
	;; [unrolled: 6-line block ×3, first 2 shown]
	v_fma_f64 v[4:5], v[118:119], v[98:99], v[4:5]
	ds_load_b128 v[96:99], v1 offset:544
	scratch_load_b128 v[116:119], off, off offset:264
	s_waitcnt lgkmcnt(0)
	v_fma_f64 v[4:5], v[120:121], v[96:97], v[4:5]
	s_waitcnt vmcnt(4)
	s_delay_alu instid0(VALU_DEP_1)
	v_fma_f64 v[4:5], v[112:113], v[98:99], v[4:5]
	ds_load_b128 v[96:99], v1 offset:560
	s_waitcnt lgkmcnt(0)
	v_fma_f64 v[4:5], v[114:115], v[96:97], v[4:5]
	scratch_load_b128 v[112:115], off, off offset:280
	s_waitcnt vmcnt(4)
	v_fma_f64 v[4:5], v[100:101], v[98:99], v[4:5]
	ds_load_b128 v[96:99], v1 offset:576
	s_waitcnt lgkmcnt(0)
	v_fma_f64 v[4:5], v[102:103], v[96:97], v[4:5]
	scratch_load_b128 v[100:103], off, off offset:296
	s_waitcnt vmcnt(4)
	;; [unrolled: 6-line block ×4, first 2 shown]
	v_fma_f64 v[4:5], v[116:117], v[98:99], v[4:5]
	scratch_load_b64 v[116:117], off, off offset:344
	ds_load_b128 v[96:99], v1 offset:624
	s_waitcnt lgkmcnt(0)
	v_fma_f64 v[4:5], v[118:119], v[96:97], v[4:5]
	s_waitcnt vmcnt(4)
	s_delay_alu instid0(VALU_DEP_1) | instskip(SKIP_4) | instid1(VALU_DEP_1)
	v_fma_f64 v[4:5], v[112:113], v[98:99], v[4:5]
	ds_load_b128 v[96:99], v1 offset:640
	s_waitcnt lgkmcnt(0)
	v_fma_f64 v[4:5], v[114:115], v[96:97], v[4:5]
	s_waitcnt vmcnt(3)
	v_fma_f64 v[4:5], v[100:101], v[98:99], v[4:5]
	ds_load_b128 v[96:99], v1 offset:656
	s_waitcnt lgkmcnt(0)
	v_fma_f64 v[4:5], v[102:103], v[96:97], v[4:5]
	s_waitcnt vmcnt(2)
	s_delay_alu instid0(VALU_DEP_1) | instskip(SKIP_4) | instid1(VALU_DEP_1)
	v_fma_f64 v[4:5], v[104:105], v[98:99], v[4:5]
	ds_load_b128 v[96:99], v1 offset:672
	s_waitcnt lgkmcnt(0)
	v_fma_f64 v[4:5], v[106:107], v[96:97], v[4:5]
	s_waitcnt vmcnt(1)
	v_fma_f64 v[4:5], v[108:109], v[98:99], v[4:5]
	ds_load_b128 v[96:99], v1 offset:688
	s_waitcnt lgkmcnt(0)
	v_fma_f64 v[1:2], v[110:111], v[96:97], v[4:5]
	s_waitcnt vmcnt(0)
	s_delay_alu instid0(VALU_DEP_1) | instskip(NEXT) | instid1(VALU_DEP_1)
	v_fma_f64 v[1:2], v[116:117], v[98:99], v[1:2]
	v_add_f64 v[1:2], v[94:95], -v[1:2]
	scratch_store_b64 off, v[1:2], off offset:24
	v_cmpx_lt_u32_e32 2, v0
	s_cbranch_execz .LBB43_269
; %bb.268:
	scratch_load_b64 v[1:2], off, off offset:16
	v_mov_b32_e32 v4, 0
	s_delay_alu instid0(VALU_DEP_1)
	v_mov_b32_e32 v5, v4
	scratch_store_b64 off, v[4:5], off offset:16
	s_waitcnt vmcnt(0)
	ds_store_b64 v3, v[1:2]
.LBB43_269:
	s_or_b32 exec_lo, exec_lo, s0
	s_waitcnt lgkmcnt(0)
	s_waitcnt_vscnt null, 0x0
	s_barrier
	buffer_gl0_inv
	s_clause 0x4
	scratch_load_b128 v[94:97], off, off offset:16
	scratch_load_b128 v[98:101], off, off offset:32
	;; [unrolled: 1-line block ×5, first 2 shown]
	v_mov_b32_e32 v1, 0
	scratch_load_b128 v[118:121], off, off offset:96
	s_mov_b32 s0, exec_lo
	ds_load_2addr_b64 v[114:117], v1 offset0:47 offset1:48
	s_waitcnt vmcnt(5) lgkmcnt(0)
	v_fma_f64 v[4:5], v[96:97], v[114:115], 0
	s_waitcnt vmcnt(4)
	s_delay_alu instid0(VALU_DEP_1)
	v_fma_f64 v[4:5], v[98:99], v[116:117], v[4:5]
	scratch_load_b128 v[114:117], off, off offset:112
	ds_load_2addr_b64 v[96:99], v1 offset0:49 offset1:50
	s_waitcnt lgkmcnt(0)
	v_fma_f64 v[4:5], v[100:101], v[96:97], v[4:5]
	s_waitcnt vmcnt(4)
	s_delay_alu instid0(VALU_DEP_1)
	v_fma_f64 v[4:5], v[102:103], v[98:99], v[4:5]
	ds_load_2addr_b64 v[96:99], v1 offset0:51 offset1:52
	scratch_load_b128 v[100:103], off, off offset:128
	s_waitcnt lgkmcnt(0)
	v_fma_f64 v[4:5], v[104:105], v[96:97], v[4:5]
	s_waitcnt vmcnt(4)
	s_delay_alu instid0(VALU_DEP_1)
	v_fma_f64 v[4:5], v[106:107], v[98:99], v[4:5]
	scratch_load_b128 v[104:107], off, off offset:144
	ds_load_2addr_b64 v[96:99], v1 offset0:53 offset1:54
	s_waitcnt lgkmcnt(0)
	v_fma_f64 v[4:5], v[108:109], v[96:97], v[4:5]
	s_waitcnt vmcnt(4)
	s_delay_alu instid0(VALU_DEP_1)
	v_fma_f64 v[4:5], v[110:111], v[98:99], v[4:5]
	ds_load_2addr_b64 v[96:99], v1 offset0:55 offset1:56
	scratch_load_b128 v[108:111], off, off offset:160
	s_waitcnt lgkmcnt(0)
	v_fma_f64 v[4:5], v[112:113], v[96:97], v[4:5]
	s_waitcnt vmcnt(4)
	s_delay_alu instid0(VALU_DEP_1)
	v_fma_f64 v[4:5], v[118:119], v[98:99], v[4:5]
	ds_load_2addr_b64 v[96:99], v1 offset0:57 offset1:58
	s_waitcnt lgkmcnt(0)
	v_fma_f64 v[4:5], v[120:121], v[96:97], v[4:5]
	scratch_load_b128 v[118:121], off, off offset:176
	s_waitcnt vmcnt(4)
	v_fma_f64 v[4:5], v[114:115], v[98:99], v[4:5]
	ds_load_2addr_b64 v[96:99], v1 offset0:59 offset1:60
	scratch_load_b128 v[112:115], off, off offset:192
	s_waitcnt lgkmcnt(0)
	v_fma_f64 v[4:5], v[116:117], v[96:97], v[4:5]
	s_waitcnt vmcnt(4)
	s_delay_alu instid0(VALU_DEP_1)
	v_fma_f64 v[4:5], v[100:101], v[98:99], v[4:5]
	ds_load_2addr_b64 v[96:99], v1 offset0:61 offset1:62
	s_waitcnt lgkmcnt(0)
	v_fma_f64 v[4:5], v[102:103], v[96:97], v[4:5]
	scratch_load_b128 v[100:103], off, off offset:208
	s_waitcnt vmcnt(4)
	v_fma_f64 v[4:5], v[104:105], v[98:99], v[4:5]
	ds_load_2addr_b64 v[96:99], v1 offset0:63 offset1:64
	s_waitcnt lgkmcnt(0)
	v_fma_f64 v[4:5], v[106:107], v[96:97], v[4:5]
	scratch_load_b128 v[104:107], off, off offset:224
	s_waitcnt vmcnt(4)
	;; [unrolled: 6-line block ×3, first 2 shown]
	v_fma_f64 v[4:5], v[118:119], v[98:99], v[4:5]
	ds_load_2addr_b64 v[96:99], v1 offset0:67 offset1:68
	scratch_load_b128 v[116:119], off, off offset:256
	s_waitcnt lgkmcnt(0)
	v_fma_f64 v[4:5], v[120:121], v[96:97], v[4:5]
	s_waitcnt vmcnt(4)
	s_delay_alu instid0(VALU_DEP_1)
	v_fma_f64 v[4:5], v[112:113], v[98:99], v[4:5]
	ds_load_2addr_b64 v[96:99], v1 offset0:69 offset1:70
	s_waitcnt lgkmcnt(0)
	v_fma_f64 v[4:5], v[114:115], v[96:97], v[4:5]
	scratch_load_b128 v[112:115], off, off offset:272
	s_waitcnt vmcnt(4)
	v_fma_f64 v[4:5], v[100:101], v[98:99], v[4:5]
	ds_load_2addr_b64 v[96:99], v1 offset0:71 offset1:72
	s_waitcnt lgkmcnt(0)
	v_fma_f64 v[4:5], v[102:103], v[96:97], v[4:5]
	scratch_load_b128 v[100:103], off, off offset:288
	s_waitcnt vmcnt(4)
	v_fma_f64 v[4:5], v[104:105], v[98:99], v[4:5]
	ds_load_2addr_b64 v[96:99], v1 offset0:73 offset1:74
	s_waitcnt lgkmcnt(0)
	v_fma_f64 v[4:5], v[106:107], v[96:97], v[4:5]
	scratch_load_b128 v[104:107], off, off offset:304
	s_waitcnt vmcnt(4)
	v_fma_f64 v[4:5], v[108:109], v[98:99], v[4:5]
	ds_load_2addr_b64 v[96:99], v1 offset0:75 offset1:76
	s_waitcnt lgkmcnt(0)
	v_fma_f64 v[4:5], v[110:111], v[96:97], v[4:5]
	scratch_load_b128 v[108:111], off, off offset:320
	s_waitcnt vmcnt(4)
	v_fma_f64 v[4:5], v[116:117], v[98:99], v[4:5]
	ds_load_2addr_b64 v[96:99], v1 offset0:77 offset1:78
	s_waitcnt lgkmcnt(0)
	v_fma_f64 v[4:5], v[118:119], v[96:97], v[4:5]
	scratch_load_b128 v[116:119], off, off offset:336
	s_waitcnt vmcnt(4)
	v_fma_f64 v[4:5], v[112:113], v[98:99], v[4:5]
	ds_load_2addr_b64 v[96:99], v1 offset0:79 offset1:80
	s_waitcnt lgkmcnt(0)
	v_fma_f64 v[4:5], v[114:115], v[96:97], v[4:5]
	s_waitcnt vmcnt(3)
	s_delay_alu instid0(VALU_DEP_1) | instskip(SKIP_4) | instid1(VALU_DEP_1)
	v_fma_f64 v[4:5], v[100:101], v[98:99], v[4:5]
	ds_load_2addr_b64 v[96:99], v1 offset0:81 offset1:82
	s_waitcnt lgkmcnt(0)
	v_fma_f64 v[4:5], v[102:103], v[96:97], v[4:5]
	s_waitcnt vmcnt(2)
	v_fma_f64 v[4:5], v[104:105], v[98:99], v[4:5]
	ds_load_2addr_b64 v[96:99], v1 offset0:83 offset1:84
	s_waitcnt lgkmcnt(0)
	v_fma_f64 v[4:5], v[106:107], v[96:97], v[4:5]
	s_waitcnt vmcnt(1)
	s_delay_alu instid0(VALU_DEP_1)
	v_fma_f64 v[4:5], v[108:109], v[98:99], v[4:5]
	ds_load_2addr_b64 v[96:99], v1 offset0:85 offset1:86
	s_waitcnt lgkmcnt(0)
	v_fma_f64 v[4:5], v[110:111], v[96:97], v[4:5]
	ds_load_b64 v[96:97], v1 offset:696
	s_waitcnt vmcnt(0)
	v_fma_f64 v[4:5], v[116:117], v[98:99], v[4:5]
	s_waitcnt lgkmcnt(0)
	s_delay_alu instid0(VALU_DEP_1) | instskip(NEXT) | instid1(VALU_DEP_1)
	v_fma_f64 v[4:5], v[118:119], v[96:97], v[4:5]
	v_add_f64 v[4:5], v[94:95], -v[4:5]
	scratch_store_b64 off, v[4:5], off offset:16
	v_cmpx_lt_u32_e32 1, v0
	s_cbranch_execz .LBB43_271
; %bb.270:
	scratch_load_b64 v[4:5], off, off offset:8
	v_mov_b32_e32 v2, v1
	scratch_store_b64 off, v[1:2], off offset:8
	s_waitcnt vmcnt(0)
	ds_store_b64 v3, v[4:5]
.LBB43_271:
	s_or_b32 exec_lo, exec_lo, s0
	s_waitcnt lgkmcnt(0)
	s_waitcnt_vscnt null, 0x0
	s_barrier
	buffer_gl0_inv
	s_clause 0x4
	scratch_load_b128 v[94:97], off, off offset:8
	scratch_load_b128 v[98:101], off, off offset:24
	;; [unrolled: 1-line block ×5, first 2 shown]
	ds_load_b128 v[114:117], v1 offset:368
	scratch_load_b128 v[118:121], off, off offset:88
	s_mov_b32 s0, exec_lo
	s_waitcnt vmcnt(5) lgkmcnt(0)
	v_fma_f64 v[4:5], v[96:97], v[114:115], 0
	s_waitcnt vmcnt(4)
	s_delay_alu instid0(VALU_DEP_1)
	v_fma_f64 v[4:5], v[98:99], v[116:117], v[4:5]
	scratch_load_b128 v[114:117], off, off offset:104
	ds_load_b128 v[96:99], v1 offset:384
	s_waitcnt lgkmcnt(0)
	v_fma_f64 v[4:5], v[100:101], v[96:97], v[4:5]
	s_waitcnt vmcnt(4)
	s_delay_alu instid0(VALU_DEP_1)
	v_fma_f64 v[4:5], v[102:103], v[98:99], v[4:5]
	ds_load_b128 v[96:99], v1 offset:400
	scratch_load_b128 v[100:103], off, off offset:120
	s_waitcnt lgkmcnt(0)
	v_fma_f64 v[4:5], v[104:105], v[96:97], v[4:5]
	s_waitcnt vmcnt(4)
	s_delay_alu instid0(VALU_DEP_1)
	v_fma_f64 v[4:5], v[106:107], v[98:99], v[4:5]
	scratch_load_b128 v[104:107], off, off offset:136
	ds_load_b128 v[96:99], v1 offset:416
	s_waitcnt lgkmcnt(0)
	v_fma_f64 v[4:5], v[108:109], v[96:97], v[4:5]
	s_waitcnt vmcnt(4)
	s_delay_alu instid0(VALU_DEP_1)
	v_fma_f64 v[4:5], v[110:111], v[98:99], v[4:5]
	ds_load_b128 v[96:99], v1 offset:432
	scratch_load_b128 v[108:111], off, off offset:152
	s_waitcnt lgkmcnt(0)
	v_fma_f64 v[4:5], v[112:113], v[96:97], v[4:5]
	s_waitcnt vmcnt(4)
	s_delay_alu instid0(VALU_DEP_1)
	v_fma_f64 v[4:5], v[118:119], v[98:99], v[4:5]
	ds_load_b128 v[96:99], v1 offset:448
	s_waitcnt lgkmcnt(0)
	v_fma_f64 v[4:5], v[120:121], v[96:97], v[4:5]
	scratch_load_b128 v[118:121], off, off offset:168
	s_waitcnt vmcnt(4)
	v_fma_f64 v[4:5], v[114:115], v[98:99], v[4:5]
	ds_load_b128 v[96:99], v1 offset:464
	scratch_load_b128 v[112:115], off, off offset:184
	s_waitcnt lgkmcnt(0)
	v_fma_f64 v[4:5], v[116:117], v[96:97], v[4:5]
	s_waitcnt vmcnt(4)
	s_delay_alu instid0(VALU_DEP_1)
	v_fma_f64 v[4:5], v[100:101], v[98:99], v[4:5]
	ds_load_b128 v[96:99], v1 offset:480
	s_waitcnt lgkmcnt(0)
	v_fma_f64 v[4:5], v[102:103], v[96:97], v[4:5]
	scratch_load_b128 v[100:103], off, off offset:200
	s_waitcnt vmcnt(4)
	v_fma_f64 v[4:5], v[104:105], v[98:99], v[4:5]
	ds_load_b128 v[96:99], v1 offset:496
	s_waitcnt lgkmcnt(0)
	v_fma_f64 v[4:5], v[106:107], v[96:97], v[4:5]
	scratch_load_b128 v[104:107], off, off offset:216
	s_waitcnt vmcnt(4)
	;; [unrolled: 6-line block ×3, first 2 shown]
	v_fma_f64 v[4:5], v[118:119], v[98:99], v[4:5]
	ds_load_b128 v[96:99], v1 offset:528
	scratch_load_b128 v[116:119], off, off offset:248
	s_waitcnt lgkmcnt(0)
	v_fma_f64 v[4:5], v[120:121], v[96:97], v[4:5]
	s_waitcnt vmcnt(4)
	s_delay_alu instid0(VALU_DEP_1)
	v_fma_f64 v[4:5], v[112:113], v[98:99], v[4:5]
	ds_load_b128 v[96:99], v1 offset:544
	s_waitcnt lgkmcnt(0)
	v_fma_f64 v[4:5], v[114:115], v[96:97], v[4:5]
	scratch_load_b128 v[112:115], off, off offset:264
	s_waitcnt vmcnt(4)
	v_fma_f64 v[4:5], v[100:101], v[98:99], v[4:5]
	ds_load_b128 v[96:99], v1 offset:560
	s_waitcnt lgkmcnt(0)
	v_fma_f64 v[4:5], v[102:103], v[96:97], v[4:5]
	scratch_load_b128 v[100:103], off, off offset:280
	s_waitcnt vmcnt(4)
	;; [unrolled: 6-line block ×5, first 2 shown]
	v_fma_f64 v[4:5], v[112:113], v[98:99], v[4:5]
	ds_load_b128 v[96:99], v1 offset:624
	scratch_load_b64 v[112:113], off, off offset:344
	s_waitcnt lgkmcnt(0)
	v_fma_f64 v[4:5], v[114:115], v[96:97], v[4:5]
	s_waitcnt vmcnt(4)
	s_delay_alu instid0(VALU_DEP_1) | instskip(SKIP_4) | instid1(VALU_DEP_1)
	v_fma_f64 v[4:5], v[100:101], v[98:99], v[4:5]
	ds_load_b128 v[96:99], v1 offset:640
	s_waitcnt lgkmcnt(0)
	v_fma_f64 v[4:5], v[102:103], v[96:97], v[4:5]
	s_waitcnt vmcnt(3)
	v_fma_f64 v[4:5], v[104:105], v[98:99], v[4:5]
	ds_load_b128 v[96:99], v1 offset:656
	s_waitcnt lgkmcnt(0)
	v_fma_f64 v[4:5], v[106:107], v[96:97], v[4:5]
	s_waitcnt vmcnt(2)
	s_delay_alu instid0(VALU_DEP_1) | instskip(SKIP_4) | instid1(VALU_DEP_1)
	v_fma_f64 v[4:5], v[108:109], v[98:99], v[4:5]
	ds_load_b128 v[96:99], v1 offset:672
	s_waitcnt lgkmcnt(0)
	v_fma_f64 v[4:5], v[110:111], v[96:97], v[4:5]
	s_waitcnt vmcnt(1)
	v_fma_f64 v[4:5], v[116:117], v[98:99], v[4:5]
	ds_load_b128 v[96:99], v1 offset:688
	s_waitcnt lgkmcnt(0)
	v_fma_f64 v[1:2], v[118:119], v[96:97], v[4:5]
	s_waitcnt vmcnt(0)
	s_delay_alu instid0(VALU_DEP_1) | instskip(NEXT) | instid1(VALU_DEP_1)
	v_fma_f64 v[1:2], v[112:113], v[98:99], v[1:2]
	v_add_f64 v[1:2], v[94:95], -v[1:2]
	scratch_store_b64 off, v[1:2], off offset:8
	v_cmpx_ne_u32_e32 0, v0
	s_cbranch_execz .LBB43_273
; %bb.272:
	scratch_load_b64 v[0:1], off, off
	v_mov_b32_e32 v4, 0
	s_delay_alu instid0(VALU_DEP_1)
	v_mov_b32_e32 v5, v4
	scratch_store_b64 off, v[4:5], off
	s_waitcnt vmcnt(0)
	ds_store_b64 v3, v[0:1]
.LBB43_273:
	s_or_b32 exec_lo, exec_lo, s0
	s_waitcnt lgkmcnt(0)
	s_waitcnt_vscnt null, 0x0
	s_barrier
	buffer_gl0_inv
	s_clause 0x4
	scratch_load_b128 v[0:3], off, off
	scratch_load_b128 v[94:97], off, off offset:16
	scratch_load_b128 v[98:101], off, off offset:32
	scratch_load_b128 v[102:105], off, off offset:48
	scratch_load_b128 v[106:109], off, off offset:64
	v_mov_b32_e32 v118, 0
	s_and_b32 vcc_lo, exec_lo, s16
	scratch_load_b128 v[114:117], off, off offset:320
	ds_load_2addr_b64 v[110:113], v118 offset0:45 offset1:46
	s_waitcnt vmcnt(5) lgkmcnt(0)
	v_fma_f64 v[110:111], v[2:3], v[110:111], 0
	scratch_load_b128 v[2:5], off, off offset:80
	s_waitcnt vmcnt(5)
	v_fma_f64 v[94:95], v[94:95], v[112:113], v[110:111]
	ds_load_2addr_b64 v[110:113], v118 offset0:47 offset1:48
	s_waitcnt lgkmcnt(0)
	v_fma_f64 v[110:111], v[96:97], v[110:111], v[94:95]
	scratch_load_b128 v[94:97], off, off offset:96
	s_waitcnt vmcnt(5)
	v_fma_f64 v[98:99], v[98:99], v[112:113], v[110:111]
	ds_load_2addr_b64 v[110:113], v118 offset0:49 offset1:50
	s_waitcnt lgkmcnt(0)
	;; [unrolled: 6-line block ×15, first 2 shown]
	v_fma_f64 v[2:3], v[4:5], v[110:111], v[2:3]
	s_waitcnt vmcnt(3)
	s_delay_alu instid0(VALU_DEP_1)
	v_fma_f64 v[2:3], v[94:95], v[112:113], v[2:3]
	ds_load_2addr_b64 v[110:113], v118 offset0:77 offset1:78
	s_waitcnt lgkmcnt(0)
	v_fma_f64 v[94:95], v[96:97], v[110:111], v[2:3]
	scratch_load_b128 v[2:5], off, off offset:336
	s_waitcnt vmcnt(3)
	v_fma_f64 v[98:99], v[98:99], v[112:113], v[94:95]
	ds_load_2addr_b64 v[94:97], v118 offset0:79 offset1:80
	s_waitcnt lgkmcnt(0)
	v_fma_f64 v[94:95], v[100:101], v[94:95], v[98:99]
	s_waitcnt vmcnt(2)
	s_delay_alu instid0(VALU_DEP_1) | instskip(SKIP_4) | instid1(VALU_DEP_1)
	v_fma_f64 v[98:99], v[102:103], v[96:97], v[94:95]
	ds_load_2addr_b64 v[94:97], v118 offset0:81 offset1:82
	s_waitcnt lgkmcnt(0)
	v_fma_f64 v[94:95], v[104:105], v[94:95], v[98:99]
	s_waitcnt vmcnt(1)
	v_fma_f64 v[98:99], v[106:107], v[96:97], v[94:95]
	ds_load_2addr_b64 v[94:97], v118 offset0:83 offset1:84
	s_waitcnt lgkmcnt(0)
	v_fma_f64 v[94:95], v[108:109], v[94:95], v[98:99]
	s_delay_alu instid0(VALU_DEP_1) | instskip(SKIP_4) | instid1(VALU_DEP_1)
	v_fma_f64 v[98:99], v[114:115], v[96:97], v[94:95]
	ds_load_2addr_b64 v[94:97], v118 offset0:85 offset1:86
	s_waitcnt lgkmcnt(0)
	v_fma_f64 v[94:95], v[116:117], v[94:95], v[98:99]
	s_waitcnt vmcnt(0)
	v_fma_f64 v[94:95], v[2:3], v[96:97], v[94:95]
	ds_load_b64 v[96:97], v118 offset:696
	s_waitcnt lgkmcnt(0)
	v_fma_f64 v[4:5], v[4:5], v[96:97], v[94:95]
	s_delay_alu instid0(VALU_DEP_1)
	v_add_f64 v[0:1], v[0:1], -v[4:5]
	scratch_store_b64 off, v[0:1], off
	s_cbranch_vccz .LBB43_361
; %bb.274:
	v_dual_mov_b32 v0, s12 :: v_dual_mov_b32 v1, s13
	s_mov_b32 s0, exec_lo
	flat_load_b32 v0, v[0:1] offset:168
	s_waitcnt vmcnt(0) lgkmcnt(0)
	v_cmpx_ne_u32_e32 43, v0
	s_cbranch_execz .LBB43_276
; %bb.275:
	v_lshl_add_u32 v4, v0, 3, 0
	scratch_load_b64 v[0:1], v4, off offset:-8
	s_waitcnt vmcnt(0)
	scratch_store_b64 off, v[0:1], off offset:336
	scratch_store_b64 v4, v[2:3], off offset:-8
.LBB43_276:
	s_or_b32 exec_lo, exec_lo, s0
	v_dual_mov_b32 v0, s12 :: v_dual_mov_b32 v1, s13
	s_mov_b32 s0, exec_lo
	flat_load_b32 v0, v[0:1] offset:164
	s_waitcnt vmcnt(0) lgkmcnt(0)
	v_cmpx_ne_u32_e32 42, v0
	s_cbranch_execz .LBB43_278
; %bb.277:
	v_lshl_add_u32 v4, v0, 3, 0
	scratch_load_b64 v[0:1], v4, off offset:-8
	scratch_load_b64 v[2:3], off, off offset:328
	s_waitcnt vmcnt(1)
	scratch_store_b64 off, v[0:1], off offset:328
	s_waitcnt vmcnt(0)
	scratch_store_b64 v4, v[2:3], off offset:-8
.LBB43_278:
	s_or_b32 exec_lo, exec_lo, s0
	v_dual_mov_b32 v0, s12 :: v_dual_mov_b32 v1, s13
	s_mov_b32 s0, exec_lo
	flat_load_b32 v0, v[0:1] offset:160
	s_waitcnt vmcnt(0) lgkmcnt(0)
	v_cmpx_ne_u32_e32 41, v0
	s_cbranch_execz .LBB43_280
; %bb.279:
	v_lshl_add_u32 v4, v0, 3, 0
	scratch_load_b64 v[0:1], v4, off offset:-8
	scratch_load_b64 v[2:3], off, off offset:320
	s_waitcnt vmcnt(1)
	scratch_store_b64 off, v[0:1], off offset:320
	s_waitcnt vmcnt(0)
	scratch_store_b64 v4, v[2:3], off offset:-8
.LBB43_280:
	;; [unrolled: 16-line block ×41, first 2 shown]
	s_or_b32 exec_lo, exec_lo, s0
	v_dual_mov_b32 v0, s12 :: v_dual_mov_b32 v1, s13
	s_mov_b32 s0, exec_lo
	flat_load_b32 v2, v[0:1]
	scratch_load_b64 v[0:1], off, off
	s_waitcnt vmcnt(1) lgkmcnt(0)
	v_cmpx_ne_u32_e32 1, v2
	s_cbranch_execz .LBB43_360
; %bb.359:
	v_lshl_add_u32 v4, v2, 3, 0
	scratch_load_b64 v[2:3], v4, off offset:-8
	s_waitcnt vmcnt(0)
	scratch_store_b64 off, v[2:3], off
	scratch_store_b64 v4, v[0:1], off offset:-8
	scratch_load_b64 v[0:1], off, off
.LBB43_360:
	s_or_b32 exec_lo, exec_lo, s0
.LBB43_361:
	s_clause 0x6
	scratch_load_b128 v[2:5], off, off offset:8
	scratch_load_b128 v[94:97], off, off offset:24
	;; [unrolled: 1-line block ×7, first 2 shown]
	s_waitcnt vmcnt(7)
	global_store_b64 v[6:7], v[0:1], off
	scratch_load_b128 v[118:121], off, off offset:216
	s_waitcnt vmcnt(7)
	global_store_b64 v[10:11], v[2:3], off
	scratch_load_b128 v[0:3], off, off offset:120
	global_store_b64 v[34:35], v[4:5], off
	s_waitcnt vmcnt(7)
	s_clause 0x1
	global_store_b64 v[32:33], v[94:95], off
	global_store_b64 v[26:27], v[96:97], off
	s_waitcnt vmcnt(6)
	s_clause 0x1
	global_store_b64 v[24:25], v[98:99], off
	;; [unrolled: 4-line block ×6, first 2 shown]
	global_store_b64 v[36:37], v[116:117], off
	s_clause 0xc
	scratch_load_b128 v[4:7], off, off offset:136
	scratch_load_b128 v[32:35], off, off offset:152
	;; [unrolled: 1-line block ×12, first 2 shown]
	scratch_load_b64 v[22:23], off, off offset:344
	s_waitcnt vmcnt(13)
	s_clause 0x1
	global_store_b64 v[38:39], v[0:1], off
	global_store_b64 v[40:41], v[2:3], off
	s_waitcnt vmcnt(12)
	s_clause 0x1
	global_store_b64 v[42:43], v[4:5], off
	global_store_b64 v[44:45], v[6:7], off
	;; [unrolled: 4-line block ×6, first 2 shown]
	global_store_b64 v[62:63], v[118:119], off
	global_store_b64 v[64:65], v[120:121], off
	s_waitcnt vmcnt(7)
	s_clause 0x1
	global_store_b64 v[66:67], v[10:11], off
	global_store_b64 v[68:69], v[12:13], off
	s_waitcnt vmcnt(6)
	s_clause 0x1
	;; [unrolled: 4-line block ×7, first 2 shown]
	global_store_b64 v[90:91], v[110:111], off
	global_store_b64 v[92:93], v[112:113], off
	s_waitcnt vmcnt(0)
	global_store_b64 v[8:9], v[22:23], off
	s_endpgm
	.section	.rodata,"a",@progbits
	.p2align	6, 0x0
	.amdhsa_kernel _ZN9rocsolver6v33100L18getri_kernel_smallILi44EdPdEEvT1_iilPiilS4_bb
		.amdhsa_group_segment_fixed_size 712
		.amdhsa_private_segment_fixed_size 368
		.amdhsa_kernarg_size 60
		.amdhsa_user_sgpr_count 15
		.amdhsa_user_sgpr_dispatch_ptr 0
		.amdhsa_user_sgpr_queue_ptr 0
		.amdhsa_user_sgpr_kernarg_segment_ptr 1
		.amdhsa_user_sgpr_dispatch_id 0
		.amdhsa_user_sgpr_private_segment_size 0
		.amdhsa_wavefront_size32 1
		.amdhsa_uses_dynamic_stack 0
		.amdhsa_enable_private_segment 1
		.amdhsa_system_sgpr_workgroup_id_x 1
		.amdhsa_system_sgpr_workgroup_id_y 0
		.amdhsa_system_sgpr_workgroup_id_z 0
		.amdhsa_system_sgpr_workgroup_info 0
		.amdhsa_system_vgpr_workitem_id 0
		.amdhsa_next_free_vgpr 124
		.amdhsa_next_free_sgpr 18
		.amdhsa_reserve_vcc 1
		.amdhsa_float_round_mode_32 0
		.amdhsa_float_round_mode_16_64 0
		.amdhsa_float_denorm_mode_32 3
		.amdhsa_float_denorm_mode_16_64 3
		.amdhsa_dx10_clamp 1
		.amdhsa_ieee_mode 1
		.amdhsa_fp16_overflow 0
		.amdhsa_workgroup_processor_mode 1
		.amdhsa_memory_ordered 1
		.amdhsa_forward_progress 0
		.amdhsa_shared_vgpr_count 0
		.amdhsa_exception_fp_ieee_invalid_op 0
		.amdhsa_exception_fp_denorm_src 0
		.amdhsa_exception_fp_ieee_div_zero 0
		.amdhsa_exception_fp_ieee_overflow 0
		.amdhsa_exception_fp_ieee_underflow 0
		.amdhsa_exception_fp_ieee_inexact 0
		.amdhsa_exception_int_div_zero 0
	.end_amdhsa_kernel
	.section	.text._ZN9rocsolver6v33100L18getri_kernel_smallILi44EdPdEEvT1_iilPiilS4_bb,"axG",@progbits,_ZN9rocsolver6v33100L18getri_kernel_smallILi44EdPdEEvT1_iilPiilS4_bb,comdat
.Lfunc_end43:
	.size	_ZN9rocsolver6v33100L18getri_kernel_smallILi44EdPdEEvT1_iilPiilS4_bb, .Lfunc_end43-_ZN9rocsolver6v33100L18getri_kernel_smallILi44EdPdEEvT1_iilPiilS4_bb
                                        ; -- End function
	.section	.AMDGPU.csdata,"",@progbits
; Kernel info:
; codeLenInByte = 39672
; NumSgprs: 20
; NumVgprs: 124
; ScratchSize: 368
; MemoryBound: 0
; FloatMode: 240
; IeeeMode: 1
; LDSByteSize: 712 bytes/workgroup (compile time only)
; SGPRBlocks: 2
; VGPRBlocks: 15
; NumSGPRsForWavesPerEU: 20
; NumVGPRsForWavesPerEU: 124
; Occupancy: 10
; WaveLimiterHint : 1
; COMPUTE_PGM_RSRC2:SCRATCH_EN: 1
; COMPUTE_PGM_RSRC2:USER_SGPR: 15
; COMPUTE_PGM_RSRC2:TRAP_HANDLER: 0
; COMPUTE_PGM_RSRC2:TGID_X_EN: 1
; COMPUTE_PGM_RSRC2:TGID_Y_EN: 0
; COMPUTE_PGM_RSRC2:TGID_Z_EN: 0
; COMPUTE_PGM_RSRC2:TIDIG_COMP_CNT: 0
	.section	.text._ZN9rocsolver6v33100L18getri_kernel_smallILi45EdPdEEvT1_iilPiilS4_bb,"axG",@progbits,_ZN9rocsolver6v33100L18getri_kernel_smallILi45EdPdEEvT1_iilPiilS4_bb,comdat
	.globl	_ZN9rocsolver6v33100L18getri_kernel_smallILi45EdPdEEvT1_iilPiilS4_bb ; -- Begin function _ZN9rocsolver6v33100L18getri_kernel_smallILi45EdPdEEvT1_iilPiilS4_bb
	.p2align	8
	.type	_ZN9rocsolver6v33100L18getri_kernel_smallILi45EdPdEEvT1_iilPiilS4_bb,@function
_ZN9rocsolver6v33100L18getri_kernel_smallILi45EdPdEEvT1_iilPiilS4_bb: ; @_ZN9rocsolver6v33100L18getri_kernel_smallILi45EdPdEEvT1_iilPiilS4_bb
; %bb.0:
	s_mov_b32 s2, exec_lo
	v_cmpx_gt_u32_e32 45, v0
	s_cbranch_execz .LBB44_190
; %bb.1:
	s_clause 0x2
	s_load_b32 s17, s[0:1], 0x38
	s_load_b128 s[8:11], s[0:1], 0x10
	s_load_b128 s[4:7], s[0:1], 0x28
	s_mov_b32 s14, s15
                                        ; implicit-def: $sgpr12_sgpr13
	s_waitcnt lgkmcnt(0)
	s_bitcmp1_b32 s17, 8
	s_cselect_b32 s16, -1, 0
	s_bfe_u32 s2, s17, 0x10008
	s_ashr_i32 s15, s15, 31
	s_cmp_eq_u32 s2, 0
	s_cbranch_scc1 .LBB44_3
; %bb.2:
	s_load_b32 s2, s[0:1], 0x20
	s_mul_i32 s3, s14, s5
	s_mul_hi_u32 s5, s14, s4
	s_mul_i32 s12, s15, s4
	s_add_i32 s3, s5, s3
	s_mul_i32 s4, s14, s4
	s_add_i32 s5, s3, s12
	s_delay_alu instid0(SALU_CYCLE_1)
	s_lshl_b64 s[4:5], s[4:5], 2
	s_waitcnt lgkmcnt(0)
	s_ashr_i32 s3, s2, 31
	s_add_u32 s4, s10, s4
	s_addc_u32 s5, s11, s5
	s_lshl_b64 s[2:3], s[2:3], 2
	s_delay_alu instid0(SALU_CYCLE_1)
	s_add_u32 s12, s4, s2
	s_addc_u32 s13, s5, s3
.LBB44_3:
	s_load_b128 s[0:3], s[0:1], 0x0
	s_mul_i32 s4, s14, s9
	s_mul_hi_u32 s5, s14, s8
	s_mul_i32 s9, s15, s8
	s_add_i32 s5, s5, s4
	s_mul_i32 s4, s14, s8
	s_add_i32 s5, s5, s9
	v_lshlrev_b32_e32 v103, 3, v0
	s_lshl_b64 s[4:5], s[4:5], 3
	s_waitcnt lgkmcnt(0)
	v_add3_u32 v3, s3, s3, v0
	s_ashr_i32 s9, s2, 31
	s_mov_b32 s8, s2
	s_add_u32 s2, s0, s4
	s_addc_u32 s5, s1, s5
	v_add_nc_u32_e32 v5, s3, v3
	s_lshl_b64 s[0:1], s[8:9], 3
	v_ashrrev_i32_e32 v4, 31, v3
	s_add_u32 s0, s2, s0
	s_addc_u32 s1, s5, s1
	v_add_nc_u32_e32 v7, s3, v5
	v_add_co_u32 v13, s2, s0, v103
	s_mov_b32 s4, s3
	s_ashr_i32 s5, s3, 31
	v_add_co_ci_u32_e64 v14, null, s1, 0, s2
	v_lshlrev_b64 v[3:4], 3, v[3:4]
	s_lshl_b64 s[4:5], s[4:5], 3
	v_add_nc_u32_e32 v9, s3, v7
	v_add_co_u32 v15, vcc_lo, v13, s4
	v_add_co_ci_u32_e32 v16, vcc_lo, s5, v14, vcc_lo
	s_delay_alu instid0(VALU_DEP_4) | instskip(NEXT) | instid1(VALU_DEP_4)
	v_add_co_u32 v17, vcc_lo, s0, v3
	v_add_nc_u32_e32 v3, s3, v9
	v_ashrrev_i32_e32 v6, 31, v5
	v_ashrrev_i32_e32 v8, 31, v7
	v_ashrrev_i32_e32 v10, 31, v9
	v_add_co_ci_u32_e32 v18, vcc_lo, s1, v4, vcc_lo
	v_add_nc_u32_e32 v11, s3, v3
	v_lshlrev_b64 v[5:6], 3, v[5:6]
	v_lshlrev_b64 v[7:8], 3, v[7:8]
	v_ashrrev_i32_e32 v4, 31, v3
	global_load_b64 v[1:2], v103, s[0:1]
	v_add_nc_u32_e32 v27, s3, v11
	v_ashrrev_i32_e32 v12, 31, v11
	v_add_co_u32 v19, vcc_lo, s0, v5
	v_add_co_ci_u32_e32 v20, vcc_lo, s1, v6, vcc_lo
	s_delay_alu instid0(VALU_DEP_4) | instskip(SKIP_3) | instid1(VALU_DEP_4)
	v_add_nc_u32_e32 v29, s3, v27
	v_lshlrev_b64 v[5:6], 3, v[9:10]
	v_add_co_u32 v21, vcc_lo, s0, v7
	v_lshlrev_b64 v[25:26], 3, v[3:4]
	v_add_nc_u32_e32 v33, s3, v29
	v_add_co_ci_u32_e32 v22, vcc_lo, s1, v8, vcc_lo
	v_add_co_u32 v23, vcc_lo, s0, v5
	s_delay_alu instid0(VALU_DEP_3) | instskip(SKIP_3) | instid1(VALU_DEP_4)
	v_add_nc_u32_e32 v35, s3, v33
	v_lshlrev_b64 v[11:12], 3, v[11:12]
	v_ashrrev_i32_e32 v28, 31, v27
	v_add_co_ci_u32_e32 v24, vcc_lo, s1, v6, vcc_lo
	v_add_nc_u32_e32 v37, s3, v35
	v_add_co_u32 v25, vcc_lo, s0, v25
	v_ashrrev_i32_e32 v30, 31, v29
	v_add_co_ci_u32_e32 v26, vcc_lo, s1, v26, vcc_lo
	s_delay_alu instid0(VALU_DEP_4)
	v_add_nc_u32_e32 v39, s3, v37
	v_lshlrev_b64 v[31:32], 3, v[27:28]
	v_add_co_u32 v27, vcc_lo, s0, v11
	v_add_co_ci_u32_e32 v28, vcc_lo, s1, v12, vcc_lo
	v_lshlrev_b64 v[11:12], 3, v[29:30]
	v_ashrrev_i32_e32 v34, 31, v33
	v_add_nc_u32_e32 v41, s3, v39
	v_add_co_u32 v29, vcc_lo, s0, v31
	v_ashrrev_i32_e32 v36, 31, v35
	v_add_co_ci_u32_e32 v30, vcc_lo, s1, v32, vcc_lo
	v_lshlrev_b64 v[33:34], 3, v[33:34]
	v_add_co_u32 v31, vcc_lo, s0, v11
	v_add_nc_u32_e32 v43, s3, v41
	v_add_co_ci_u32_e32 v32, vcc_lo, s1, v12, vcc_lo
	v_lshlrev_b64 v[11:12], 3, v[35:36]
	v_ashrrev_i32_e32 v38, 31, v37
	v_add_co_u32 v33, vcc_lo, s0, v33
	v_ashrrev_i32_e32 v40, 31, v39
	v_add_nc_u32_e32 v45, s3, v43
	v_add_co_ci_u32_e32 v34, vcc_lo, s1, v34, vcc_lo
	v_lshlrev_b64 v[37:38], 3, v[37:38]
	v_add_co_u32 v35, vcc_lo, s0, v11
	v_add_co_ci_u32_e32 v36, vcc_lo, s1, v12, vcc_lo
	v_lshlrev_b64 v[11:12], 3, v[39:40]
	v_ashrrev_i32_e32 v42, 31, v41
	v_add_nc_u32_e32 v47, s3, v45
	v_add_co_u32 v37, vcc_lo, s0, v37
	v_ashrrev_i32_e32 v44, 31, v43
	v_add_co_ci_u32_e32 v38, vcc_lo, s1, v38, vcc_lo
	v_lshlrev_b64 v[41:42], 3, v[41:42]
	v_add_nc_u32_e32 v49, s3, v47
	v_add_co_u32 v39, vcc_lo, s0, v11
	v_add_co_ci_u32_e32 v40, vcc_lo, s1, v12, vcc_lo
	v_lshlrev_b64 v[11:12], 3, v[43:44]
	v_ashrrev_i32_e32 v46, 31, v45
	v_add_nc_u32_e32 v51, s3, v49
	v_add_co_u32 v41, vcc_lo, s0, v41
	v_ashrrev_i32_e32 v48, 31, v47
	v_add_co_ci_u32_e32 v42, vcc_lo, s1, v42, vcc_lo
	v_lshlrev_b64 v[45:46], 3, v[45:46]
	v_add_co_u32 v43, vcc_lo, s0, v11
	v_add_nc_u32_e32 v53, s3, v51
	v_add_co_ci_u32_e32 v44, vcc_lo, s1, v12, vcc_lo
	v_lshlrev_b64 v[11:12], 3, v[47:48]
	v_ashrrev_i32_e32 v50, 31, v49
	v_add_co_u32 v45, vcc_lo, s0, v45
	v_ashrrev_i32_e32 v52, 31, v51
	v_add_nc_u32_e32 v57, s3, v53
	v_add_co_ci_u32_e32 v46, vcc_lo, s1, v46, vcc_lo
	v_lshlrev_b64 v[49:50], 3, v[49:50]
	v_add_co_u32 v47, vcc_lo, s0, v11
	v_ashrrev_i32_e32 v54, 31, v53
	v_add_co_ci_u32_e32 v48, vcc_lo, s1, v12, vcc_lo
	v_lshlrev_b64 v[11:12], 3, v[51:52]
	v_ashrrev_i32_e32 v58, 31, v57
	v_add_co_u32 v49, vcc_lo, s0, v49
	v_lshlrev_b64 v[53:54], 3, v[53:54]
	v_add_co_ci_u32_e32 v50, vcc_lo, s1, v50, vcc_lo
	v_add_co_u32 v51, vcc_lo, s0, v11
	v_lshlrev_b64 v[55:56], 3, v[57:58]
	v_add_co_ci_u32_e32 v52, vcc_lo, s1, v12, vcc_lo
	v_add_co_u32 v53, vcc_lo, s0, v53
	s_clause 0x3
	global_load_b64 v[3:4], v[15:16], off
	global_load_b64 v[5:6], v[17:18], off
	;; [unrolled: 1-line block ×4, first 2 shown]
	v_add_co_ci_u32_e32 v54, vcc_lo, s1, v54, vcc_lo
	global_load_b64 v[11:12], v[23:24], off
	v_add_co_u32 v55, vcc_lo, s0, v55
	s_clause 0xb
	global_load_b64 v[104:105], v[25:26], off
	global_load_b64 v[106:107], v[27:28], off
	;; [unrolled: 1-line block ×12, first 2 shown]
	v_add_co_ci_u32_e32 v56, vcc_lo, s1, v56, vcc_lo
	s_clause 0x3
	global_load_b64 v[128:129], v[49:50], off
	global_load_b64 v[130:131], v[51:52], off
	;; [unrolled: 1-line block ×4, first 2 shown]
	v_add_nc_u32_e32 v57, s3, v57
	s_bitcmp0_b32 s17, 0
	s_delay_alu instid0(VALU_DEP_1) | instskip(SKIP_1) | instid1(VALU_DEP_2)
	v_add_nc_u32_e32 v59, s3, v57
	v_ashrrev_i32_e32 v58, 31, v57
	v_add_nc_u32_e32 v61, s3, v59
	v_ashrrev_i32_e32 v60, 31, v59
	s_delay_alu instid0(VALU_DEP_3) | instskip(NEXT) | instid1(VALU_DEP_3)
	v_lshlrev_b64 v[57:58], 3, v[57:58]
	v_add_nc_u32_e32 v63, s3, v61
	v_ashrrev_i32_e32 v62, 31, v61
	s_delay_alu instid0(VALU_DEP_4) | instskip(NEXT) | instid1(VALU_DEP_4)
	v_lshlrev_b64 v[59:60], 3, v[59:60]
	v_add_co_u32 v57, vcc_lo, s0, v57
	s_delay_alu instid0(VALU_DEP_4) | instskip(SKIP_3) | instid1(VALU_DEP_4)
	v_add_nc_u32_e32 v65, s3, v63
	v_ashrrev_i32_e32 v64, 31, v63
	v_lshlrev_b64 v[61:62], 3, v[61:62]
	v_add_co_ci_u32_e32 v58, vcc_lo, s1, v58, vcc_lo
	v_add_nc_u32_e32 v67, s3, v65
	v_ashrrev_i32_e32 v66, 31, v65
	v_add_co_u32 v59, vcc_lo, s0, v59
	v_lshlrev_b64 v[63:64], 3, v[63:64]
	s_delay_alu instid0(VALU_DEP_4) | instskip(SKIP_3) | instid1(VALU_DEP_4)
	v_add_nc_u32_e32 v69, s3, v67
	v_ashrrev_i32_e32 v68, 31, v67
	v_add_co_ci_u32_e32 v60, vcc_lo, s1, v60, vcc_lo
	v_add_co_u32 v61, vcc_lo, s0, v61
	v_add_nc_u32_e32 v71, s3, v69
	v_lshlrev_b64 v[65:66], 3, v[65:66]
	v_ashrrev_i32_e32 v70, 31, v69
	v_add_co_ci_u32_e32 v62, vcc_lo, s1, v62, vcc_lo
	s_delay_alu instid0(VALU_DEP_4) | instskip(SKIP_3) | instid1(VALU_DEP_4)
	v_add_nc_u32_e32 v73, s3, v71
	v_add_co_u32 v63, vcc_lo, s0, v63
	v_lshlrev_b64 v[67:68], 3, v[67:68]
	v_ashrrev_i32_e32 v72, 31, v71
	v_add_nc_u32_e32 v75, s3, v73
	v_add_co_ci_u32_e32 v64, vcc_lo, s1, v64, vcc_lo
	v_add_co_u32 v65, vcc_lo, s0, v65
	s_delay_alu instid0(VALU_DEP_3) | instskip(SKIP_3) | instid1(VALU_DEP_4)
	v_add_nc_u32_e32 v77, s3, v75
	v_lshlrev_b64 v[69:70], 3, v[69:70]
	v_ashrrev_i32_e32 v74, 31, v73
	v_add_co_ci_u32_e32 v66, vcc_lo, s1, v66, vcc_lo
	v_add_nc_u32_e32 v79, s3, v77
	v_add_co_u32 v67, vcc_lo, s0, v67
	v_lshlrev_b64 v[71:72], 3, v[71:72]
	v_ashrrev_i32_e32 v76, 31, v75
	s_delay_alu instid0(VALU_DEP_4) | instskip(SKIP_2) | instid1(VALU_DEP_3)
	v_add_nc_u32_e32 v81, s3, v79
	v_add_co_ci_u32_e32 v68, vcc_lo, s1, v68, vcc_lo
	v_add_co_u32 v69, vcc_lo, s0, v69
	v_add_nc_u32_e32 v83, s3, v81
	v_lshlrev_b64 v[73:74], 3, v[73:74]
	v_ashrrev_i32_e32 v78, 31, v77
	v_add_co_ci_u32_e32 v70, vcc_lo, s1, v70, vcc_lo
	s_delay_alu instid0(VALU_DEP_4) | instskip(SKIP_3) | instid1(VALU_DEP_4)
	v_add_nc_u32_e32 v85, s3, v83
	v_add_co_u32 v71, vcc_lo, s0, v71
	v_lshlrev_b64 v[75:76], 3, v[75:76]
	v_ashrrev_i32_e32 v80, 31, v79
	v_add_nc_u32_e32 v87, s3, v85
	v_add_co_ci_u32_e32 v72, vcc_lo, s1, v72, vcc_lo
	v_add_co_u32 v73, vcc_lo, s0, v73
	s_delay_alu instid0(VALU_DEP_3)
	v_add_nc_u32_e32 v89, s3, v87
	v_lshlrev_b64 v[77:78], 3, v[77:78]
	v_ashrrev_i32_e32 v82, 31, v81
	v_add_co_ci_u32_e32 v74, vcc_lo, s1, v74, vcc_lo
	v_add_co_u32 v75, vcc_lo, s0, v75
	v_lshlrev_b64 v[79:80], 3, v[79:80]
	v_add_nc_u32_e32 v91, s3, v89
	v_ashrrev_i32_e32 v84, 31, v83
	v_add_co_ci_u32_e32 v76, vcc_lo, s1, v76, vcc_lo
	v_add_co_u32 v77, vcc_lo, s0, v77
	v_lshlrev_b64 v[81:82], 3, v[81:82]
	v_ashrrev_i32_e32 v86, 31, v85
	v_add_co_ci_u32_e32 v78, vcc_lo, s1, v78, vcc_lo
	v_add_nc_u32_e32 v93, s3, v91
	v_add_co_u32 v79, vcc_lo, s0, v79
	v_lshlrev_b64 v[83:84], 3, v[83:84]
	v_ashrrev_i32_e32 v88, 31, v87
	v_add_co_ci_u32_e32 v80, vcc_lo, s1, v80, vcc_lo
	v_add_co_u32 v81, vcc_lo, s0, v81
	v_lshlrev_b64 v[85:86], 3, v[85:86]
	v_ashrrev_i32_e32 v90, 31, v89
	v_add_nc_u32_e32 v95, s3, v93
	v_add_co_ci_u32_e32 v82, vcc_lo, s1, v82, vcc_lo
	v_add_co_u32 v83, vcc_lo, s0, v83
	v_lshlrev_b64 v[87:88], 3, v[87:88]
	v_ashrrev_i32_e32 v92, 31, v91
	v_add_co_ci_u32_e32 v84, vcc_lo, s1, v84, vcc_lo
	v_add_co_u32 v85, vcc_lo, s0, v85
	v_lshlrev_b64 v[89:90], 3, v[89:90]
	v_add_nc_u32_e32 v97, s3, v95
	v_ashrrev_i32_e32 v94, 31, v93
	v_add_co_ci_u32_e32 v86, vcc_lo, s1, v86, vcc_lo
	v_add_co_u32 v87, vcc_lo, s0, v87
	v_lshlrev_b64 v[91:92], 3, v[91:92]
	v_ashrrev_i32_e32 v96, 31, v95
	v_add_co_ci_u32_e32 v88, vcc_lo, s1, v88, vcc_lo
	v_add_nc_u32_e32 v99, s3, v97
	v_add_co_u32 v89, vcc_lo, s0, v89
	v_lshlrev_b64 v[93:94], 3, v[93:94]
	v_add_co_ci_u32_e32 v90, vcc_lo, s1, v90, vcc_lo
	v_add_co_u32 v91, vcc_lo, s0, v91
	v_lshlrev_b64 v[95:96], 3, v[95:96]
	v_ashrrev_i32_e32 v98, 31, v97
	v_add_nc_u32_e32 v136, s3, v99
	v_add_co_ci_u32_e32 v92, vcc_lo, s1, v92, vcc_lo
	v_add_co_u32 v93, vcc_lo, s0, v93
	v_ashrrev_i32_e32 v100, 31, v99
	v_add_co_ci_u32_e32 v94, vcc_lo, s1, v94, vcc_lo
	v_lshlrev_b64 v[101:102], 3, v[97:98]
	v_add_co_u32 v97, vcc_lo, s0, v95
	v_ashrrev_i32_e32 v137, 31, v136
	v_add_co_ci_u32_e32 v98, vcc_lo, s1, v96, vcc_lo
	v_lshlrev_b64 v[95:96], 3, v[99:100]
	v_add_co_u32 v101, vcc_lo, s0, v101
	s_delay_alu instid0(VALU_DEP_4) | instskip(SKIP_1) | instid1(VALU_DEP_4)
	v_lshlrev_b64 v[99:100], 3, v[136:137]
	v_add_co_ci_u32_e32 v102, vcc_lo, s1, v102, vcc_lo
	v_add_co_u32 v95, vcc_lo, s0, v95
	v_add_co_ci_u32_e32 v96, vcc_lo, s1, v96, vcc_lo
	s_delay_alu instid0(VALU_DEP_4)
	v_add_co_u32 v99, vcc_lo, s0, v99
	v_add_co_ci_u32_e32 v100, vcc_lo, s1, v100, vcc_lo
	s_mov_b32 s1, -1
	s_waitcnt vmcnt(20)
	scratch_store_b128 off, v[1:4], off
	s_clause 0x2
	global_load_b64 v[1:2], v[57:58], off
	global_load_b64 v[3:4], v[59:60], off
	global_load_b64 v[136:137], v[61:62], off
	s_waitcnt vmcnt(21)
	scratch_store_b128 off, v[5:8], off offset:16
	s_waitcnt vmcnt(19)
	scratch_store_b128 off, v[9:12], off offset:32
	s_clause 0x3
	global_load_b64 v[138:139], v[63:64], off
	global_load_b64 v[5:6], v[65:66], off
	global_load_b64 v[7:8], v[67:68], off
	global_load_b64 v[9:10], v[69:70], off
	s_waitcnt vmcnt(21)
	scratch_store_b128 off, v[104:107], off offset:48
	s_waitcnt vmcnt(19)
	scratch_store_b128 off, v[108:111], off offset:64
	s_clause 0x3
	global_load_b64 v[11:12], v[71:72], off
	;; [unrolled: 9-line block ×4, first 2 shown]
	global_load_b64 v[120:121], v[89:90], off
	global_load_b64 v[122:123], v[91:92], off
	global_load_b64 v[124:125], v[93:94], off
	s_waitcnt vmcnt(21)
	scratch_store_b128 off, v[128:131], off offset:144
	s_clause 0x2
	global_load_b64 v[126:127], v[97:98], off
	global_load_b64 v[128:129], v[101:102], off
	;; [unrolled: 1-line block ×3, first 2 shown]
	s_waitcnt vmcnt(22)
	scratch_store_b128 off, v[132:135], off offset:160
	global_load_b64 v[132:133], v[99:100], off
	s_waitcnt vmcnt(21)
	scratch_store_b128 off, v[1:4], off offset:176
	s_waitcnt vmcnt(19)
	scratch_store_b128 off, v[136:139], off offset:192
	;; [unrolled: 2-line block ×11, first 2 shown]
	s_waitcnt vmcnt(0)
	scratch_store_b64 off, v[132:133], off offset:352
	s_cbranch_scc1 .LBB44_188
; %bb.4:
	v_cmp_eq_u32_e64 s0, 0, v0
	s_delay_alu instid0(VALU_DEP_1)
	s_and_saveexec_b32 s1, s0
	s_cbranch_execz .LBB44_6
; %bb.5:
	v_mov_b32_e32 v1, 0
	ds_store_b32 v1, v1 offset:360
.LBB44_6:
	s_or_b32 exec_lo, exec_lo, s1
	s_waitcnt lgkmcnt(0)
	s_waitcnt_vscnt null, 0x0
	s_barrier
	buffer_gl0_inv
	scratch_load_b64 v[1:2], v103, off
	s_mov_b32 s2, exec_lo
	s_waitcnt vmcnt(0)
	v_cmpx_eq_f64_e32 0, v[1:2]
	s_cbranch_execz .LBB44_10
; %bb.7:
	v_mov_b32_e32 v1, 0
	s_mov_b32 s3, 0
	ds_load_b32 v2, v1 offset:360
	s_waitcnt lgkmcnt(0)
	v_readfirstlane_b32 s1, v2
	v_add_nc_u32_e32 v2, 1, v0
	s_delay_alu instid0(VALU_DEP_2) | instskip(NEXT) | instid1(VALU_DEP_1)
	s_cmp_eq_u32 s1, 0
	v_cmp_gt_i32_e32 vcc_lo, s1, v2
	s_cselect_b32 s4, -1, 0
	s_delay_alu instid0(SALU_CYCLE_1) | instskip(NEXT) | instid1(SALU_CYCLE_1)
	s_or_b32 s4, s4, vcc_lo
	s_and_b32 exec_lo, exec_lo, s4
	s_cbranch_execz .LBB44_10
; %bb.8:
	v_mov_b32_e32 v3, s1
.LBB44_9:                               ; =>This Inner Loop Header: Depth=1
	ds_cmpstore_rtn_b32 v3, v1, v2, v3 offset:360
	s_waitcnt lgkmcnt(0)
	v_cmp_ne_u32_e32 vcc_lo, 0, v3
	v_cmp_le_i32_e64 s1, v3, v2
	s_delay_alu instid0(VALU_DEP_1) | instskip(NEXT) | instid1(SALU_CYCLE_1)
	s_and_b32 s1, vcc_lo, s1
	s_and_b32 s1, exec_lo, s1
	s_delay_alu instid0(SALU_CYCLE_1) | instskip(NEXT) | instid1(SALU_CYCLE_1)
	s_or_b32 s3, s1, s3
	s_and_not1_b32 exec_lo, exec_lo, s3
	s_cbranch_execnz .LBB44_9
.LBB44_10:
	s_or_b32 exec_lo, exec_lo, s2
	v_mov_b32_e32 v1, 0
	s_barrier
	buffer_gl0_inv
	ds_load_b32 v2, v1 offset:360
	s_and_saveexec_b32 s1, s0
	s_cbranch_execz .LBB44_12
; %bb.11:
	s_lshl_b64 s[2:3], s[14:15], 2
	s_delay_alu instid0(SALU_CYCLE_1)
	s_add_u32 s2, s6, s2
	s_addc_u32 s3, s7, s3
	s_waitcnt lgkmcnt(0)
	global_store_b32 v1, v2, s[2:3]
.LBB44_12:
	s_or_b32 exec_lo, exec_lo, s1
	s_waitcnt lgkmcnt(0)
	v_cmp_ne_u32_e32 vcc_lo, 0, v2
	s_mov_b32 s1, 0
	s_cbranch_vccnz .LBB44_188
; %bb.13:
	v_add_nc_u32_e32 v3, 0, v103
	scratch_load_b64 v[1:2], v3, off
	s_waitcnt vmcnt(0)
	v_div_scale_f64 v[4:5], null, v[1:2], v[1:2], 1.0
	v_div_scale_f64 v[10:11], vcc_lo, 1.0, v[1:2], 1.0
	s_delay_alu instid0(VALU_DEP_2) | instskip(SKIP_2) | instid1(VALU_DEP_1)
	v_rcp_f64_e32 v[6:7], v[4:5]
	s_waitcnt_depctr 0xfff
	v_fma_f64 v[8:9], -v[4:5], v[6:7], 1.0
	v_fma_f64 v[6:7], v[6:7], v[8:9], v[6:7]
	s_delay_alu instid0(VALU_DEP_1) | instskip(NEXT) | instid1(VALU_DEP_1)
	v_fma_f64 v[8:9], -v[4:5], v[6:7], 1.0
	v_fma_f64 v[6:7], v[6:7], v[8:9], v[6:7]
	s_delay_alu instid0(VALU_DEP_1) | instskip(NEXT) | instid1(VALU_DEP_1)
	v_mul_f64 v[8:9], v[10:11], v[6:7]
	v_fma_f64 v[4:5], -v[4:5], v[8:9], v[10:11]
	s_delay_alu instid0(VALU_DEP_1) | instskip(NEXT) | instid1(VALU_DEP_1)
	v_div_fmas_f64 v[4:5], v[4:5], v[6:7], v[8:9]
	v_div_fixup_f64 v[1:2], v[4:5], v[1:2], 1.0
	v_add_nc_u32_e32 v4, 0x170, v103
	scratch_store_b64 v3, v[1:2], off
	scratch_load_b64 v[5:6], off, off offset:8
	v_xor_b32_e32 v2, 0x80000000, v2
	s_waitcnt vmcnt(0)
	ds_store_2addr_b64 v103, v[1:2], v[5:6] offset1:46
	s_waitcnt lgkmcnt(0)
	s_waitcnt_vscnt null, 0x0
	s_barrier
	buffer_gl0_inv
	s_and_saveexec_b32 s1, s0
	s_cbranch_execz .LBB44_15
; %bb.14:
	scratch_load_b64 v[1:2], v3, off
	ds_load_b64 v[5:6], v4
	s_waitcnt vmcnt(0) lgkmcnt(0)
	v_fma_f64 v[1:2], v[1:2], v[5:6], 0
	v_mov_b32_e32 v5, 0
	ds_load_b64 v[5:6], v5 offset:8
	s_waitcnt lgkmcnt(0)
	v_mul_f64 v[1:2], v[1:2], v[5:6]
	scratch_store_b64 off, v[1:2], off offset:8
.LBB44_15:
	s_or_b32 exec_lo, exec_lo, s1
	s_waitcnt_vscnt null, 0x0
	s_barrier
	buffer_gl0_inv
	scratch_load_b64 v[1:2], off, off offset:16
	s_mov_b32 s1, exec_lo
	s_waitcnt vmcnt(0)
	ds_store_b64 v4, v[1:2]
	s_waitcnt lgkmcnt(0)
	s_barrier
	buffer_gl0_inv
	v_cmpx_gt_u32_e32 2, v0
	s_cbranch_execz .LBB44_19
; %bb.16:
	scratch_load_b64 v[1:2], v3, off
	ds_load_b64 v[5:6], v4
	s_waitcnt vmcnt(0) lgkmcnt(0)
	v_fma_f64 v[1:2], v[1:2], v[5:6], 0
	s_and_saveexec_b32 s2, s0
	s_cbranch_execz .LBB44_18
; %bb.17:
	scratch_load_b64 v[5:6], off, off offset:8
	v_mov_b32_e32 v7, 0
	ds_load_b64 v[7:8], v7 offset:376
	s_waitcnt vmcnt(0) lgkmcnt(0)
	v_fma_f64 v[1:2], v[5:6], v[7:8], v[1:2]
.LBB44_18:
	s_or_b32 exec_lo, exec_lo, s2
	v_mov_b32_e32 v5, 0
	ds_load_b64 v[5:6], v5 offset:16
	s_waitcnt lgkmcnt(0)
	v_mul_f64 v[1:2], v[1:2], v[5:6]
	scratch_store_b64 off, v[1:2], off offset:16
.LBB44_19:
	s_or_b32 exec_lo, exec_lo, s1
	s_waitcnt_vscnt null, 0x0
	s_barrier
	buffer_gl0_inv
	scratch_load_b64 v[1:2], off, off offset:24
	v_add_nc_u32_e32 v5, -1, v0
	s_mov_b32 s0, exec_lo
	s_waitcnt vmcnt(0)
	ds_store_b64 v4, v[1:2]
	s_waitcnt lgkmcnt(0)
	s_barrier
	buffer_gl0_inv
	v_cmpx_gt_u32_e32 3, v0
	s_cbranch_execz .LBB44_23
; %bb.20:
	v_dual_mov_b32 v1, 0 :: v_dual_add_nc_u32 v6, -1, v0
	v_dual_mov_b32 v2, 0 :: v_dual_add_nc_u32 v7, 0x170, v103
	v_add_nc_u32_e32 v8, 0, v103
	s_mov_b32 s1, 0
.LBB44_21:                              ; =>This Inner Loop Header: Depth=1
	scratch_load_b64 v[9:10], v8, off
	ds_load_b64 v[11:12], v7
	v_add_nc_u32_e32 v6, 1, v6
	v_add_nc_u32_e32 v7, 8, v7
	v_add_nc_u32_e32 v8, 8, v8
	s_delay_alu instid0(VALU_DEP_3)
	v_cmp_lt_u32_e32 vcc_lo, 1, v6
	s_or_b32 s1, vcc_lo, s1
	s_waitcnt vmcnt(0) lgkmcnt(0)
	v_fma_f64 v[1:2], v[9:10], v[11:12], v[1:2]
	s_and_not1_b32 exec_lo, exec_lo, s1
	s_cbranch_execnz .LBB44_21
; %bb.22:
	s_or_b32 exec_lo, exec_lo, s1
	v_mov_b32_e32 v6, 0
	ds_load_b64 v[6:7], v6 offset:24
	s_waitcnt lgkmcnt(0)
	v_mul_f64 v[1:2], v[1:2], v[6:7]
	scratch_store_b64 off, v[1:2], off offset:24
.LBB44_23:
	s_or_b32 exec_lo, exec_lo, s0
	s_waitcnt_vscnt null, 0x0
	s_barrier
	buffer_gl0_inv
	scratch_load_b64 v[1:2], off, off offset:32
	s_mov_b32 s0, exec_lo
	s_waitcnt vmcnt(0)
	ds_store_b64 v4, v[1:2]
	s_waitcnt lgkmcnt(0)
	s_barrier
	buffer_gl0_inv
	v_cmpx_gt_u32_e32 4, v0
	s_cbranch_execz .LBB44_27
; %bb.24:
	v_dual_mov_b32 v1, 0 :: v_dual_add_nc_u32 v6, -1, v0
	v_dual_mov_b32 v2, 0 :: v_dual_add_nc_u32 v7, 0x170, v103
	v_add_nc_u32_e32 v8, 0, v103
	s_mov_b32 s1, 0
.LBB44_25:                              ; =>This Inner Loop Header: Depth=1
	scratch_load_b64 v[9:10], v8, off
	ds_load_b64 v[11:12], v7
	v_add_nc_u32_e32 v6, 1, v6
	v_add_nc_u32_e32 v7, 8, v7
	v_add_nc_u32_e32 v8, 8, v8
	s_delay_alu instid0(VALU_DEP_3)
	v_cmp_lt_u32_e32 vcc_lo, 2, v6
	s_or_b32 s1, vcc_lo, s1
	s_waitcnt vmcnt(0) lgkmcnt(0)
	v_fma_f64 v[1:2], v[9:10], v[11:12], v[1:2]
	s_and_not1_b32 exec_lo, exec_lo, s1
	s_cbranch_execnz .LBB44_25
; %bb.26:
	s_or_b32 exec_lo, exec_lo, s1
	v_mov_b32_e32 v6, 0
	ds_load_b64 v[6:7], v6 offset:32
	s_waitcnt lgkmcnt(0)
	v_mul_f64 v[1:2], v[1:2], v[6:7]
	scratch_store_b64 off, v[1:2], off offset:32
.LBB44_27:
	s_or_b32 exec_lo, exec_lo, s0
	s_waitcnt_vscnt null, 0x0
	s_barrier
	buffer_gl0_inv
	scratch_load_b64 v[1:2], off, off offset:40
	;; [unrolled: 39-line block ×20, first 2 shown]
	s_mov_b32 s0, exec_lo
	s_waitcnt vmcnt(0)
	ds_store_b64 v4, v[1:2]
	s_waitcnt lgkmcnt(0)
	s_barrier
	buffer_gl0_inv
	v_cmpx_gt_u32_e32 23, v0
	s_cbranch_execz .LBB44_103
; %bb.100:
	v_dual_mov_b32 v1, 0 :: v_dual_add_nc_u32 v6, -1, v0
	v_dual_mov_b32 v2, 0 :: v_dual_add_nc_u32 v7, 0x170, v103
	v_add_nc_u32_e32 v8, 0, v103
	s_mov_b32 s1, 0
.LBB44_101:                             ; =>This Inner Loop Header: Depth=1
	scratch_load_b64 v[9:10], v8, off
	ds_load_b64 v[11:12], v7
	v_add_nc_u32_e32 v6, 1, v6
	v_add_nc_u32_e32 v7, 8, v7
	v_add_nc_u32_e32 v8, 8, v8
	s_delay_alu instid0(VALU_DEP_3)
	v_cmp_lt_u32_e32 vcc_lo, 21, v6
	s_or_b32 s1, vcc_lo, s1
	s_waitcnt vmcnt(0) lgkmcnt(0)
	v_fma_f64 v[1:2], v[9:10], v[11:12], v[1:2]
	s_and_not1_b32 exec_lo, exec_lo, s1
	s_cbranch_execnz .LBB44_101
; %bb.102:
	s_or_b32 exec_lo, exec_lo, s1
	v_mov_b32_e32 v6, 0
	ds_load_b64 v[6:7], v6 offset:184
	s_waitcnt lgkmcnt(0)
	v_mul_f64 v[1:2], v[1:2], v[6:7]
	scratch_store_b64 off, v[1:2], off offset:184
.LBB44_103:
	s_or_b32 exec_lo, exec_lo, s0
	s_waitcnt_vscnt null, 0x0
	s_barrier
	buffer_gl0_inv
	scratch_load_b64 v[1:2], off, off offset:192
	s_mov_b32 s0, exec_lo
	s_waitcnt vmcnt(0)
	ds_store_b64 v4, v[1:2]
	s_waitcnt lgkmcnt(0)
	s_barrier
	buffer_gl0_inv
	v_cmpx_gt_u32_e32 24, v0
	s_cbranch_execz .LBB44_107
; %bb.104:
	v_dual_mov_b32 v1, 0 :: v_dual_add_nc_u32 v6, -1, v0
	v_dual_mov_b32 v2, 0 :: v_dual_add_nc_u32 v7, 0x170, v103
	v_add_nc_u32_e32 v8, 0, v103
	s_mov_b32 s1, 0
.LBB44_105:                             ; =>This Inner Loop Header: Depth=1
	scratch_load_b64 v[9:10], v8, off
	ds_load_b64 v[11:12], v7
	v_add_nc_u32_e32 v6, 1, v6
	v_add_nc_u32_e32 v7, 8, v7
	v_add_nc_u32_e32 v8, 8, v8
	s_delay_alu instid0(VALU_DEP_3)
	v_cmp_lt_u32_e32 vcc_lo, 22, v6
	s_or_b32 s1, vcc_lo, s1
	s_waitcnt vmcnt(0) lgkmcnt(0)
	v_fma_f64 v[1:2], v[9:10], v[11:12], v[1:2]
	s_and_not1_b32 exec_lo, exec_lo, s1
	s_cbranch_execnz .LBB44_105
; %bb.106:
	s_or_b32 exec_lo, exec_lo, s1
	v_mov_b32_e32 v6, 0
	ds_load_b64 v[6:7], v6 offset:192
	s_waitcnt lgkmcnt(0)
	v_mul_f64 v[1:2], v[1:2], v[6:7]
	scratch_store_b64 off, v[1:2], off offset:192
.LBB44_107:
	s_or_b32 exec_lo, exec_lo, s0
	s_waitcnt_vscnt null, 0x0
	s_barrier
	buffer_gl0_inv
	scratch_load_b64 v[1:2], off, off offset:200
	s_mov_b32 s0, exec_lo
	s_waitcnt vmcnt(0)
	ds_store_b64 v4, v[1:2]
	s_waitcnt lgkmcnt(0)
	s_barrier
	buffer_gl0_inv
	v_cmpx_gt_u32_e32 25, v0
	s_cbranch_execz .LBB44_111
; %bb.108:
	v_dual_mov_b32 v1, 0 :: v_dual_add_nc_u32 v6, -1, v0
	v_dual_mov_b32 v2, 0 :: v_dual_add_nc_u32 v7, 0x170, v103
	v_add_nc_u32_e32 v8, 0, v103
	s_mov_b32 s1, 0
.LBB44_109:                             ; =>This Inner Loop Header: Depth=1
	scratch_load_b64 v[9:10], v8, off
	ds_load_b64 v[11:12], v7
	v_add_nc_u32_e32 v6, 1, v6
	v_add_nc_u32_e32 v7, 8, v7
	v_add_nc_u32_e32 v8, 8, v8
	s_delay_alu instid0(VALU_DEP_3)
	v_cmp_lt_u32_e32 vcc_lo, 23, v6
	s_or_b32 s1, vcc_lo, s1
	s_waitcnt vmcnt(0) lgkmcnt(0)
	v_fma_f64 v[1:2], v[9:10], v[11:12], v[1:2]
	s_and_not1_b32 exec_lo, exec_lo, s1
	s_cbranch_execnz .LBB44_109
; %bb.110:
	s_or_b32 exec_lo, exec_lo, s1
	v_mov_b32_e32 v6, 0
	ds_load_b64 v[6:7], v6 offset:200
	s_waitcnt lgkmcnt(0)
	v_mul_f64 v[1:2], v[1:2], v[6:7]
	scratch_store_b64 off, v[1:2], off offset:200
.LBB44_111:
	s_or_b32 exec_lo, exec_lo, s0
	s_waitcnt_vscnt null, 0x0
	s_barrier
	buffer_gl0_inv
	scratch_load_b64 v[1:2], off, off offset:208
	s_mov_b32 s0, exec_lo
	s_waitcnt vmcnt(0)
	ds_store_b64 v4, v[1:2]
	s_waitcnt lgkmcnt(0)
	s_barrier
	buffer_gl0_inv
	v_cmpx_gt_u32_e32 26, v0
	s_cbranch_execz .LBB44_115
; %bb.112:
	v_dual_mov_b32 v1, 0 :: v_dual_add_nc_u32 v6, -1, v0
	v_dual_mov_b32 v2, 0 :: v_dual_add_nc_u32 v7, 0x170, v103
	v_add_nc_u32_e32 v8, 0, v103
	s_mov_b32 s1, 0
.LBB44_113:                             ; =>This Inner Loop Header: Depth=1
	scratch_load_b64 v[9:10], v8, off
	ds_load_b64 v[11:12], v7
	v_add_nc_u32_e32 v6, 1, v6
	v_add_nc_u32_e32 v7, 8, v7
	v_add_nc_u32_e32 v8, 8, v8
	s_delay_alu instid0(VALU_DEP_3)
	v_cmp_lt_u32_e32 vcc_lo, 24, v6
	s_or_b32 s1, vcc_lo, s1
	s_waitcnt vmcnt(0) lgkmcnt(0)
	v_fma_f64 v[1:2], v[9:10], v[11:12], v[1:2]
	s_and_not1_b32 exec_lo, exec_lo, s1
	s_cbranch_execnz .LBB44_113
; %bb.114:
	s_or_b32 exec_lo, exec_lo, s1
	v_mov_b32_e32 v6, 0
	ds_load_b64 v[6:7], v6 offset:208
	s_waitcnt lgkmcnt(0)
	v_mul_f64 v[1:2], v[1:2], v[6:7]
	scratch_store_b64 off, v[1:2], off offset:208
.LBB44_115:
	s_or_b32 exec_lo, exec_lo, s0
	s_waitcnt_vscnt null, 0x0
	s_barrier
	buffer_gl0_inv
	scratch_load_b64 v[1:2], off, off offset:216
	s_mov_b32 s0, exec_lo
	s_waitcnt vmcnt(0)
	ds_store_b64 v4, v[1:2]
	s_waitcnt lgkmcnt(0)
	s_barrier
	buffer_gl0_inv
	v_cmpx_gt_u32_e32 27, v0
	s_cbranch_execz .LBB44_119
; %bb.116:
	v_dual_mov_b32 v1, 0 :: v_dual_add_nc_u32 v6, -1, v0
	v_dual_mov_b32 v2, 0 :: v_dual_add_nc_u32 v7, 0x170, v103
	v_add_nc_u32_e32 v8, 0, v103
	s_mov_b32 s1, 0
.LBB44_117:                             ; =>This Inner Loop Header: Depth=1
	scratch_load_b64 v[9:10], v8, off
	ds_load_b64 v[11:12], v7
	v_add_nc_u32_e32 v6, 1, v6
	v_add_nc_u32_e32 v7, 8, v7
	v_add_nc_u32_e32 v8, 8, v8
	s_delay_alu instid0(VALU_DEP_3)
	v_cmp_lt_u32_e32 vcc_lo, 25, v6
	s_or_b32 s1, vcc_lo, s1
	s_waitcnt vmcnt(0) lgkmcnt(0)
	v_fma_f64 v[1:2], v[9:10], v[11:12], v[1:2]
	s_and_not1_b32 exec_lo, exec_lo, s1
	s_cbranch_execnz .LBB44_117
; %bb.118:
	s_or_b32 exec_lo, exec_lo, s1
	v_mov_b32_e32 v6, 0
	ds_load_b64 v[6:7], v6 offset:216
	s_waitcnt lgkmcnt(0)
	v_mul_f64 v[1:2], v[1:2], v[6:7]
	scratch_store_b64 off, v[1:2], off offset:216
.LBB44_119:
	s_or_b32 exec_lo, exec_lo, s0
	s_waitcnt_vscnt null, 0x0
	s_barrier
	buffer_gl0_inv
	scratch_load_b64 v[1:2], off, off offset:224
	s_mov_b32 s0, exec_lo
	s_waitcnt vmcnt(0)
	ds_store_b64 v4, v[1:2]
	s_waitcnt lgkmcnt(0)
	s_barrier
	buffer_gl0_inv
	v_cmpx_gt_u32_e32 28, v0
	s_cbranch_execz .LBB44_123
; %bb.120:
	v_dual_mov_b32 v1, 0 :: v_dual_add_nc_u32 v6, -1, v0
	v_dual_mov_b32 v2, 0 :: v_dual_add_nc_u32 v7, 0x170, v103
	v_add_nc_u32_e32 v8, 0, v103
	s_mov_b32 s1, 0
.LBB44_121:                             ; =>This Inner Loop Header: Depth=1
	scratch_load_b64 v[9:10], v8, off
	ds_load_b64 v[11:12], v7
	v_add_nc_u32_e32 v6, 1, v6
	v_add_nc_u32_e32 v7, 8, v7
	v_add_nc_u32_e32 v8, 8, v8
	s_delay_alu instid0(VALU_DEP_3)
	v_cmp_lt_u32_e32 vcc_lo, 26, v6
	s_or_b32 s1, vcc_lo, s1
	s_waitcnt vmcnt(0) lgkmcnt(0)
	v_fma_f64 v[1:2], v[9:10], v[11:12], v[1:2]
	s_and_not1_b32 exec_lo, exec_lo, s1
	s_cbranch_execnz .LBB44_121
; %bb.122:
	s_or_b32 exec_lo, exec_lo, s1
	v_mov_b32_e32 v6, 0
	ds_load_b64 v[6:7], v6 offset:224
	s_waitcnt lgkmcnt(0)
	v_mul_f64 v[1:2], v[1:2], v[6:7]
	scratch_store_b64 off, v[1:2], off offset:224
.LBB44_123:
	s_or_b32 exec_lo, exec_lo, s0
	s_waitcnt_vscnt null, 0x0
	s_barrier
	buffer_gl0_inv
	scratch_load_b64 v[1:2], off, off offset:232
	s_mov_b32 s0, exec_lo
	s_waitcnt vmcnt(0)
	ds_store_b64 v4, v[1:2]
	s_waitcnt lgkmcnt(0)
	s_barrier
	buffer_gl0_inv
	v_cmpx_gt_u32_e32 29, v0
	s_cbranch_execz .LBB44_127
; %bb.124:
	v_dual_mov_b32 v1, 0 :: v_dual_add_nc_u32 v6, -1, v0
	v_dual_mov_b32 v2, 0 :: v_dual_add_nc_u32 v7, 0x170, v103
	v_add_nc_u32_e32 v8, 0, v103
	s_mov_b32 s1, 0
.LBB44_125:                             ; =>This Inner Loop Header: Depth=1
	scratch_load_b64 v[9:10], v8, off
	ds_load_b64 v[11:12], v7
	v_add_nc_u32_e32 v6, 1, v6
	v_add_nc_u32_e32 v7, 8, v7
	v_add_nc_u32_e32 v8, 8, v8
	s_delay_alu instid0(VALU_DEP_3)
	v_cmp_lt_u32_e32 vcc_lo, 27, v6
	s_or_b32 s1, vcc_lo, s1
	s_waitcnt vmcnt(0) lgkmcnt(0)
	v_fma_f64 v[1:2], v[9:10], v[11:12], v[1:2]
	s_and_not1_b32 exec_lo, exec_lo, s1
	s_cbranch_execnz .LBB44_125
; %bb.126:
	s_or_b32 exec_lo, exec_lo, s1
	v_mov_b32_e32 v6, 0
	ds_load_b64 v[6:7], v6 offset:232
	s_waitcnt lgkmcnt(0)
	v_mul_f64 v[1:2], v[1:2], v[6:7]
	scratch_store_b64 off, v[1:2], off offset:232
.LBB44_127:
	s_or_b32 exec_lo, exec_lo, s0
	s_waitcnt_vscnt null, 0x0
	s_barrier
	buffer_gl0_inv
	scratch_load_b64 v[1:2], off, off offset:240
	s_mov_b32 s0, exec_lo
	s_waitcnt vmcnt(0)
	ds_store_b64 v4, v[1:2]
	s_waitcnt lgkmcnt(0)
	s_barrier
	buffer_gl0_inv
	v_cmpx_gt_u32_e32 30, v0
	s_cbranch_execz .LBB44_131
; %bb.128:
	v_dual_mov_b32 v1, 0 :: v_dual_add_nc_u32 v6, -1, v0
	v_dual_mov_b32 v2, 0 :: v_dual_add_nc_u32 v7, 0x170, v103
	v_add_nc_u32_e32 v8, 0, v103
	s_mov_b32 s1, 0
.LBB44_129:                             ; =>This Inner Loop Header: Depth=1
	scratch_load_b64 v[9:10], v8, off
	ds_load_b64 v[11:12], v7
	v_add_nc_u32_e32 v6, 1, v6
	v_add_nc_u32_e32 v7, 8, v7
	v_add_nc_u32_e32 v8, 8, v8
	s_delay_alu instid0(VALU_DEP_3)
	v_cmp_lt_u32_e32 vcc_lo, 28, v6
	s_or_b32 s1, vcc_lo, s1
	s_waitcnt vmcnt(0) lgkmcnt(0)
	v_fma_f64 v[1:2], v[9:10], v[11:12], v[1:2]
	s_and_not1_b32 exec_lo, exec_lo, s1
	s_cbranch_execnz .LBB44_129
; %bb.130:
	s_or_b32 exec_lo, exec_lo, s1
	v_mov_b32_e32 v6, 0
	ds_load_b64 v[6:7], v6 offset:240
	s_waitcnt lgkmcnt(0)
	v_mul_f64 v[1:2], v[1:2], v[6:7]
	scratch_store_b64 off, v[1:2], off offset:240
.LBB44_131:
	s_or_b32 exec_lo, exec_lo, s0
	s_waitcnt_vscnt null, 0x0
	s_barrier
	buffer_gl0_inv
	scratch_load_b64 v[1:2], off, off offset:248
	s_mov_b32 s0, exec_lo
	s_waitcnt vmcnt(0)
	ds_store_b64 v4, v[1:2]
	s_waitcnt lgkmcnt(0)
	s_barrier
	buffer_gl0_inv
	v_cmpx_gt_u32_e32 31, v0
	s_cbranch_execz .LBB44_135
; %bb.132:
	v_dual_mov_b32 v1, 0 :: v_dual_add_nc_u32 v6, -1, v0
	v_dual_mov_b32 v2, 0 :: v_dual_add_nc_u32 v7, 0x170, v103
	v_add_nc_u32_e32 v8, 0, v103
	s_mov_b32 s1, 0
.LBB44_133:                             ; =>This Inner Loop Header: Depth=1
	scratch_load_b64 v[9:10], v8, off
	ds_load_b64 v[11:12], v7
	v_add_nc_u32_e32 v6, 1, v6
	v_add_nc_u32_e32 v7, 8, v7
	v_add_nc_u32_e32 v8, 8, v8
	s_delay_alu instid0(VALU_DEP_3)
	v_cmp_lt_u32_e32 vcc_lo, 29, v6
	s_or_b32 s1, vcc_lo, s1
	s_waitcnt vmcnt(0) lgkmcnt(0)
	v_fma_f64 v[1:2], v[9:10], v[11:12], v[1:2]
	s_and_not1_b32 exec_lo, exec_lo, s1
	s_cbranch_execnz .LBB44_133
; %bb.134:
	s_or_b32 exec_lo, exec_lo, s1
	v_mov_b32_e32 v6, 0
	ds_load_b64 v[6:7], v6 offset:248
	s_waitcnt lgkmcnt(0)
	v_mul_f64 v[1:2], v[1:2], v[6:7]
	scratch_store_b64 off, v[1:2], off offset:248
.LBB44_135:
	s_or_b32 exec_lo, exec_lo, s0
	s_waitcnt_vscnt null, 0x0
	s_barrier
	buffer_gl0_inv
	scratch_load_b64 v[1:2], off, off offset:256
	s_mov_b32 s0, exec_lo
	s_waitcnt vmcnt(0)
	ds_store_b64 v4, v[1:2]
	s_waitcnt lgkmcnt(0)
	s_barrier
	buffer_gl0_inv
	v_cmpx_gt_u32_e32 32, v0
	s_cbranch_execz .LBB44_139
; %bb.136:
	v_dual_mov_b32 v1, 0 :: v_dual_add_nc_u32 v6, -1, v0
	v_dual_mov_b32 v2, 0 :: v_dual_add_nc_u32 v7, 0x170, v103
	v_add_nc_u32_e32 v8, 0, v103
	s_mov_b32 s1, 0
.LBB44_137:                             ; =>This Inner Loop Header: Depth=1
	scratch_load_b64 v[9:10], v8, off
	ds_load_b64 v[11:12], v7
	v_add_nc_u32_e32 v6, 1, v6
	v_add_nc_u32_e32 v7, 8, v7
	v_add_nc_u32_e32 v8, 8, v8
	s_delay_alu instid0(VALU_DEP_3)
	v_cmp_lt_u32_e32 vcc_lo, 30, v6
	s_or_b32 s1, vcc_lo, s1
	s_waitcnt vmcnt(0) lgkmcnt(0)
	v_fma_f64 v[1:2], v[9:10], v[11:12], v[1:2]
	s_and_not1_b32 exec_lo, exec_lo, s1
	s_cbranch_execnz .LBB44_137
; %bb.138:
	s_or_b32 exec_lo, exec_lo, s1
	v_mov_b32_e32 v6, 0
	ds_load_b64 v[6:7], v6 offset:256
	s_waitcnt lgkmcnt(0)
	v_mul_f64 v[1:2], v[1:2], v[6:7]
	scratch_store_b64 off, v[1:2], off offset:256
.LBB44_139:
	s_or_b32 exec_lo, exec_lo, s0
	s_waitcnt_vscnt null, 0x0
	s_barrier
	buffer_gl0_inv
	scratch_load_b64 v[1:2], off, off offset:264
	s_mov_b32 s0, exec_lo
	s_waitcnt vmcnt(0)
	ds_store_b64 v4, v[1:2]
	s_waitcnt lgkmcnt(0)
	s_barrier
	buffer_gl0_inv
	v_cmpx_gt_u32_e32 33, v0
	s_cbranch_execz .LBB44_143
; %bb.140:
	v_dual_mov_b32 v1, 0 :: v_dual_add_nc_u32 v6, -1, v0
	v_dual_mov_b32 v2, 0 :: v_dual_add_nc_u32 v7, 0x170, v103
	v_add_nc_u32_e32 v8, 0, v103
	s_mov_b32 s1, 0
.LBB44_141:                             ; =>This Inner Loop Header: Depth=1
	scratch_load_b64 v[9:10], v8, off
	ds_load_b64 v[11:12], v7
	v_add_nc_u32_e32 v6, 1, v6
	v_add_nc_u32_e32 v7, 8, v7
	v_add_nc_u32_e32 v8, 8, v8
	s_delay_alu instid0(VALU_DEP_3)
	v_cmp_lt_u32_e32 vcc_lo, 31, v6
	s_or_b32 s1, vcc_lo, s1
	s_waitcnt vmcnt(0) lgkmcnt(0)
	v_fma_f64 v[1:2], v[9:10], v[11:12], v[1:2]
	s_and_not1_b32 exec_lo, exec_lo, s1
	s_cbranch_execnz .LBB44_141
; %bb.142:
	s_or_b32 exec_lo, exec_lo, s1
	v_mov_b32_e32 v6, 0
	ds_load_b64 v[6:7], v6 offset:264
	s_waitcnt lgkmcnt(0)
	v_mul_f64 v[1:2], v[1:2], v[6:7]
	scratch_store_b64 off, v[1:2], off offset:264
.LBB44_143:
	s_or_b32 exec_lo, exec_lo, s0
	s_waitcnt_vscnt null, 0x0
	s_barrier
	buffer_gl0_inv
	scratch_load_b64 v[1:2], off, off offset:272
	s_mov_b32 s0, exec_lo
	s_waitcnt vmcnt(0)
	ds_store_b64 v4, v[1:2]
	s_waitcnt lgkmcnt(0)
	s_barrier
	buffer_gl0_inv
	v_cmpx_gt_u32_e32 34, v0
	s_cbranch_execz .LBB44_147
; %bb.144:
	v_dual_mov_b32 v1, 0 :: v_dual_add_nc_u32 v6, -1, v0
	v_dual_mov_b32 v2, 0 :: v_dual_add_nc_u32 v7, 0x170, v103
	v_add_nc_u32_e32 v8, 0, v103
	s_mov_b32 s1, 0
.LBB44_145:                             ; =>This Inner Loop Header: Depth=1
	scratch_load_b64 v[9:10], v8, off
	ds_load_b64 v[11:12], v7
	v_add_nc_u32_e32 v6, 1, v6
	v_add_nc_u32_e32 v7, 8, v7
	v_add_nc_u32_e32 v8, 8, v8
	s_delay_alu instid0(VALU_DEP_3)
	v_cmp_lt_u32_e32 vcc_lo, 32, v6
	s_or_b32 s1, vcc_lo, s1
	s_waitcnt vmcnt(0) lgkmcnt(0)
	v_fma_f64 v[1:2], v[9:10], v[11:12], v[1:2]
	s_and_not1_b32 exec_lo, exec_lo, s1
	s_cbranch_execnz .LBB44_145
; %bb.146:
	s_or_b32 exec_lo, exec_lo, s1
	v_mov_b32_e32 v6, 0
	ds_load_b64 v[6:7], v6 offset:272
	s_waitcnt lgkmcnt(0)
	v_mul_f64 v[1:2], v[1:2], v[6:7]
	scratch_store_b64 off, v[1:2], off offset:272
.LBB44_147:
	s_or_b32 exec_lo, exec_lo, s0
	s_waitcnt_vscnt null, 0x0
	s_barrier
	buffer_gl0_inv
	scratch_load_b64 v[1:2], off, off offset:280
	s_mov_b32 s0, exec_lo
	s_waitcnt vmcnt(0)
	ds_store_b64 v4, v[1:2]
	s_waitcnt lgkmcnt(0)
	s_barrier
	buffer_gl0_inv
	v_cmpx_gt_u32_e32 35, v0
	s_cbranch_execz .LBB44_151
; %bb.148:
	v_dual_mov_b32 v1, 0 :: v_dual_add_nc_u32 v6, -1, v0
	v_dual_mov_b32 v2, 0 :: v_dual_add_nc_u32 v7, 0x170, v103
	v_add_nc_u32_e32 v8, 0, v103
	s_mov_b32 s1, 0
.LBB44_149:                             ; =>This Inner Loop Header: Depth=1
	scratch_load_b64 v[9:10], v8, off
	ds_load_b64 v[11:12], v7
	v_add_nc_u32_e32 v6, 1, v6
	v_add_nc_u32_e32 v7, 8, v7
	v_add_nc_u32_e32 v8, 8, v8
	s_delay_alu instid0(VALU_DEP_3)
	v_cmp_lt_u32_e32 vcc_lo, 33, v6
	s_or_b32 s1, vcc_lo, s1
	s_waitcnt vmcnt(0) lgkmcnt(0)
	v_fma_f64 v[1:2], v[9:10], v[11:12], v[1:2]
	s_and_not1_b32 exec_lo, exec_lo, s1
	s_cbranch_execnz .LBB44_149
; %bb.150:
	s_or_b32 exec_lo, exec_lo, s1
	v_mov_b32_e32 v6, 0
	ds_load_b64 v[6:7], v6 offset:280
	s_waitcnt lgkmcnt(0)
	v_mul_f64 v[1:2], v[1:2], v[6:7]
	scratch_store_b64 off, v[1:2], off offset:280
.LBB44_151:
	s_or_b32 exec_lo, exec_lo, s0
	s_waitcnt_vscnt null, 0x0
	s_barrier
	buffer_gl0_inv
	scratch_load_b64 v[1:2], off, off offset:288
	s_mov_b32 s0, exec_lo
	s_waitcnt vmcnt(0)
	ds_store_b64 v4, v[1:2]
	s_waitcnt lgkmcnt(0)
	s_barrier
	buffer_gl0_inv
	v_cmpx_gt_u32_e32 36, v0
	s_cbranch_execz .LBB44_155
; %bb.152:
	v_dual_mov_b32 v1, 0 :: v_dual_add_nc_u32 v6, -1, v0
	v_dual_mov_b32 v2, 0 :: v_dual_add_nc_u32 v7, 0x170, v103
	v_add_nc_u32_e32 v8, 0, v103
	s_mov_b32 s1, 0
.LBB44_153:                             ; =>This Inner Loop Header: Depth=1
	scratch_load_b64 v[9:10], v8, off
	ds_load_b64 v[11:12], v7
	v_add_nc_u32_e32 v6, 1, v6
	v_add_nc_u32_e32 v7, 8, v7
	v_add_nc_u32_e32 v8, 8, v8
	s_delay_alu instid0(VALU_DEP_3)
	v_cmp_lt_u32_e32 vcc_lo, 34, v6
	s_or_b32 s1, vcc_lo, s1
	s_waitcnt vmcnt(0) lgkmcnt(0)
	v_fma_f64 v[1:2], v[9:10], v[11:12], v[1:2]
	s_and_not1_b32 exec_lo, exec_lo, s1
	s_cbranch_execnz .LBB44_153
; %bb.154:
	s_or_b32 exec_lo, exec_lo, s1
	v_mov_b32_e32 v6, 0
	ds_load_b64 v[6:7], v6 offset:288
	s_waitcnt lgkmcnt(0)
	v_mul_f64 v[1:2], v[1:2], v[6:7]
	scratch_store_b64 off, v[1:2], off offset:288
.LBB44_155:
	s_or_b32 exec_lo, exec_lo, s0
	s_waitcnt_vscnt null, 0x0
	s_barrier
	buffer_gl0_inv
	scratch_load_b64 v[1:2], off, off offset:296
	s_mov_b32 s0, exec_lo
	s_waitcnt vmcnt(0)
	ds_store_b64 v4, v[1:2]
	s_waitcnt lgkmcnt(0)
	s_barrier
	buffer_gl0_inv
	v_cmpx_gt_u32_e32 37, v0
	s_cbranch_execz .LBB44_159
; %bb.156:
	v_dual_mov_b32 v1, 0 :: v_dual_add_nc_u32 v6, -1, v0
	v_dual_mov_b32 v2, 0 :: v_dual_add_nc_u32 v7, 0x170, v103
	v_add_nc_u32_e32 v8, 0, v103
	s_mov_b32 s1, 0
.LBB44_157:                             ; =>This Inner Loop Header: Depth=1
	scratch_load_b64 v[9:10], v8, off
	ds_load_b64 v[11:12], v7
	v_add_nc_u32_e32 v6, 1, v6
	v_add_nc_u32_e32 v7, 8, v7
	v_add_nc_u32_e32 v8, 8, v8
	s_delay_alu instid0(VALU_DEP_3)
	v_cmp_lt_u32_e32 vcc_lo, 35, v6
	s_or_b32 s1, vcc_lo, s1
	s_waitcnt vmcnt(0) lgkmcnt(0)
	v_fma_f64 v[1:2], v[9:10], v[11:12], v[1:2]
	s_and_not1_b32 exec_lo, exec_lo, s1
	s_cbranch_execnz .LBB44_157
; %bb.158:
	s_or_b32 exec_lo, exec_lo, s1
	v_mov_b32_e32 v6, 0
	ds_load_b64 v[6:7], v6 offset:296
	s_waitcnt lgkmcnt(0)
	v_mul_f64 v[1:2], v[1:2], v[6:7]
	scratch_store_b64 off, v[1:2], off offset:296
.LBB44_159:
	s_or_b32 exec_lo, exec_lo, s0
	s_waitcnt_vscnt null, 0x0
	s_barrier
	buffer_gl0_inv
	scratch_load_b64 v[1:2], off, off offset:304
	s_mov_b32 s0, exec_lo
	s_waitcnt vmcnt(0)
	ds_store_b64 v4, v[1:2]
	s_waitcnt lgkmcnt(0)
	s_barrier
	buffer_gl0_inv
	v_cmpx_gt_u32_e32 38, v0
	s_cbranch_execz .LBB44_163
; %bb.160:
	v_dual_mov_b32 v1, 0 :: v_dual_add_nc_u32 v6, -1, v0
	v_dual_mov_b32 v2, 0 :: v_dual_add_nc_u32 v7, 0x170, v103
	v_add_nc_u32_e32 v8, 0, v103
	s_mov_b32 s1, 0
.LBB44_161:                             ; =>This Inner Loop Header: Depth=1
	scratch_load_b64 v[9:10], v8, off
	ds_load_b64 v[11:12], v7
	v_add_nc_u32_e32 v6, 1, v6
	v_add_nc_u32_e32 v7, 8, v7
	v_add_nc_u32_e32 v8, 8, v8
	s_delay_alu instid0(VALU_DEP_3)
	v_cmp_lt_u32_e32 vcc_lo, 36, v6
	s_or_b32 s1, vcc_lo, s1
	s_waitcnt vmcnt(0) lgkmcnt(0)
	v_fma_f64 v[1:2], v[9:10], v[11:12], v[1:2]
	s_and_not1_b32 exec_lo, exec_lo, s1
	s_cbranch_execnz .LBB44_161
; %bb.162:
	s_or_b32 exec_lo, exec_lo, s1
	v_mov_b32_e32 v6, 0
	ds_load_b64 v[6:7], v6 offset:304
	s_waitcnt lgkmcnt(0)
	v_mul_f64 v[1:2], v[1:2], v[6:7]
	scratch_store_b64 off, v[1:2], off offset:304
.LBB44_163:
	s_or_b32 exec_lo, exec_lo, s0
	s_waitcnt_vscnt null, 0x0
	s_barrier
	buffer_gl0_inv
	scratch_load_b64 v[1:2], off, off offset:312
	s_mov_b32 s0, exec_lo
	s_waitcnt vmcnt(0)
	ds_store_b64 v4, v[1:2]
	s_waitcnt lgkmcnt(0)
	s_barrier
	buffer_gl0_inv
	v_cmpx_gt_u32_e32 39, v0
	s_cbranch_execz .LBB44_167
; %bb.164:
	v_dual_mov_b32 v1, 0 :: v_dual_add_nc_u32 v6, -1, v0
	v_dual_mov_b32 v2, 0 :: v_dual_add_nc_u32 v7, 0x170, v103
	v_add_nc_u32_e32 v8, 0, v103
	s_mov_b32 s1, 0
.LBB44_165:                             ; =>This Inner Loop Header: Depth=1
	scratch_load_b64 v[9:10], v8, off
	ds_load_b64 v[11:12], v7
	v_add_nc_u32_e32 v6, 1, v6
	v_add_nc_u32_e32 v7, 8, v7
	v_add_nc_u32_e32 v8, 8, v8
	s_delay_alu instid0(VALU_DEP_3)
	v_cmp_lt_u32_e32 vcc_lo, 37, v6
	s_or_b32 s1, vcc_lo, s1
	s_waitcnt vmcnt(0) lgkmcnt(0)
	v_fma_f64 v[1:2], v[9:10], v[11:12], v[1:2]
	s_and_not1_b32 exec_lo, exec_lo, s1
	s_cbranch_execnz .LBB44_165
; %bb.166:
	s_or_b32 exec_lo, exec_lo, s1
	v_mov_b32_e32 v6, 0
	ds_load_b64 v[6:7], v6 offset:312
	s_waitcnt lgkmcnt(0)
	v_mul_f64 v[1:2], v[1:2], v[6:7]
	scratch_store_b64 off, v[1:2], off offset:312
.LBB44_167:
	s_or_b32 exec_lo, exec_lo, s0
	s_waitcnt_vscnt null, 0x0
	s_barrier
	buffer_gl0_inv
	scratch_load_b64 v[1:2], off, off offset:320
	s_mov_b32 s0, exec_lo
	s_waitcnt vmcnt(0)
	ds_store_b64 v4, v[1:2]
	s_waitcnt lgkmcnt(0)
	s_barrier
	buffer_gl0_inv
	v_cmpx_gt_u32_e32 40, v0
	s_cbranch_execz .LBB44_171
; %bb.168:
	v_dual_mov_b32 v1, 0 :: v_dual_add_nc_u32 v6, -1, v0
	v_dual_mov_b32 v2, 0 :: v_dual_add_nc_u32 v7, 0x170, v103
	v_add_nc_u32_e32 v8, 0, v103
	s_mov_b32 s1, 0
.LBB44_169:                             ; =>This Inner Loop Header: Depth=1
	scratch_load_b64 v[9:10], v8, off
	ds_load_b64 v[11:12], v7
	v_add_nc_u32_e32 v6, 1, v6
	v_add_nc_u32_e32 v7, 8, v7
	v_add_nc_u32_e32 v8, 8, v8
	s_delay_alu instid0(VALU_DEP_3)
	v_cmp_lt_u32_e32 vcc_lo, 38, v6
	s_or_b32 s1, vcc_lo, s1
	s_waitcnt vmcnt(0) lgkmcnt(0)
	v_fma_f64 v[1:2], v[9:10], v[11:12], v[1:2]
	s_and_not1_b32 exec_lo, exec_lo, s1
	s_cbranch_execnz .LBB44_169
; %bb.170:
	s_or_b32 exec_lo, exec_lo, s1
	v_mov_b32_e32 v6, 0
	ds_load_b64 v[6:7], v6 offset:320
	s_waitcnt lgkmcnt(0)
	v_mul_f64 v[1:2], v[1:2], v[6:7]
	scratch_store_b64 off, v[1:2], off offset:320
.LBB44_171:
	s_or_b32 exec_lo, exec_lo, s0
	s_waitcnt_vscnt null, 0x0
	s_barrier
	buffer_gl0_inv
	scratch_load_b64 v[1:2], off, off offset:328
	s_mov_b32 s0, exec_lo
	s_waitcnt vmcnt(0)
	ds_store_b64 v4, v[1:2]
	s_waitcnt lgkmcnt(0)
	s_barrier
	buffer_gl0_inv
	v_cmpx_gt_u32_e32 41, v0
	s_cbranch_execz .LBB44_175
; %bb.172:
	v_dual_mov_b32 v1, 0 :: v_dual_add_nc_u32 v6, -1, v0
	v_dual_mov_b32 v2, 0 :: v_dual_add_nc_u32 v7, 0x170, v103
	v_add_nc_u32_e32 v8, 0, v103
	s_mov_b32 s1, 0
.LBB44_173:                             ; =>This Inner Loop Header: Depth=1
	scratch_load_b64 v[9:10], v8, off
	ds_load_b64 v[11:12], v7
	v_add_nc_u32_e32 v6, 1, v6
	v_add_nc_u32_e32 v7, 8, v7
	v_add_nc_u32_e32 v8, 8, v8
	s_delay_alu instid0(VALU_DEP_3)
	v_cmp_lt_u32_e32 vcc_lo, 39, v6
	s_or_b32 s1, vcc_lo, s1
	s_waitcnt vmcnt(0) lgkmcnt(0)
	v_fma_f64 v[1:2], v[9:10], v[11:12], v[1:2]
	s_and_not1_b32 exec_lo, exec_lo, s1
	s_cbranch_execnz .LBB44_173
; %bb.174:
	s_or_b32 exec_lo, exec_lo, s1
	v_mov_b32_e32 v6, 0
	ds_load_b64 v[6:7], v6 offset:328
	s_waitcnt lgkmcnt(0)
	v_mul_f64 v[1:2], v[1:2], v[6:7]
	scratch_store_b64 off, v[1:2], off offset:328
.LBB44_175:
	s_or_b32 exec_lo, exec_lo, s0
	s_waitcnt_vscnt null, 0x0
	s_barrier
	buffer_gl0_inv
	scratch_load_b64 v[1:2], off, off offset:336
	s_mov_b32 s0, exec_lo
	s_waitcnt vmcnt(0)
	ds_store_b64 v4, v[1:2]
	s_waitcnt lgkmcnt(0)
	s_barrier
	buffer_gl0_inv
	v_cmpx_gt_u32_e32 42, v0
	s_cbranch_execz .LBB44_179
; %bb.176:
	v_dual_mov_b32 v1, 0 :: v_dual_add_nc_u32 v6, -1, v0
	v_dual_mov_b32 v2, 0 :: v_dual_add_nc_u32 v7, 0x170, v103
	v_add_nc_u32_e32 v8, 0, v103
	s_mov_b32 s1, 0
.LBB44_177:                             ; =>This Inner Loop Header: Depth=1
	scratch_load_b64 v[9:10], v8, off
	ds_load_b64 v[11:12], v7
	v_add_nc_u32_e32 v6, 1, v6
	v_add_nc_u32_e32 v7, 8, v7
	v_add_nc_u32_e32 v8, 8, v8
	s_delay_alu instid0(VALU_DEP_3)
	v_cmp_lt_u32_e32 vcc_lo, 40, v6
	s_or_b32 s1, vcc_lo, s1
	s_waitcnt vmcnt(0) lgkmcnt(0)
	v_fma_f64 v[1:2], v[9:10], v[11:12], v[1:2]
	s_and_not1_b32 exec_lo, exec_lo, s1
	s_cbranch_execnz .LBB44_177
; %bb.178:
	s_or_b32 exec_lo, exec_lo, s1
	v_mov_b32_e32 v6, 0
	ds_load_b64 v[6:7], v6 offset:336
	s_waitcnt lgkmcnt(0)
	v_mul_f64 v[1:2], v[1:2], v[6:7]
	scratch_store_b64 off, v[1:2], off offset:336
.LBB44_179:
	s_or_b32 exec_lo, exec_lo, s0
	s_waitcnt_vscnt null, 0x0
	s_barrier
	buffer_gl0_inv
	scratch_load_b64 v[1:2], off, off offset:344
	s_mov_b32 s0, exec_lo
	s_waitcnt vmcnt(0)
	ds_store_b64 v4, v[1:2]
	s_waitcnt lgkmcnt(0)
	s_barrier
	buffer_gl0_inv
	v_cmpx_gt_u32_e32 43, v0
	s_cbranch_execz .LBB44_183
; %bb.180:
	v_dual_mov_b32 v1, 0 :: v_dual_add_nc_u32 v6, -1, v0
	v_dual_mov_b32 v2, 0 :: v_dual_add_nc_u32 v7, 0x170, v103
	v_add_nc_u32_e32 v8, 0, v103
	s_mov_b32 s1, 0
.LBB44_181:                             ; =>This Inner Loop Header: Depth=1
	scratch_load_b64 v[9:10], v8, off
	ds_load_b64 v[11:12], v7
	v_add_nc_u32_e32 v6, 1, v6
	v_add_nc_u32_e32 v7, 8, v7
	v_add_nc_u32_e32 v8, 8, v8
	s_delay_alu instid0(VALU_DEP_3)
	v_cmp_lt_u32_e32 vcc_lo, 41, v6
	s_or_b32 s1, vcc_lo, s1
	s_waitcnt vmcnt(0) lgkmcnt(0)
	v_fma_f64 v[1:2], v[9:10], v[11:12], v[1:2]
	s_and_not1_b32 exec_lo, exec_lo, s1
	s_cbranch_execnz .LBB44_181
; %bb.182:
	s_or_b32 exec_lo, exec_lo, s1
	v_mov_b32_e32 v6, 0
	ds_load_b64 v[6:7], v6 offset:344
	s_waitcnt lgkmcnt(0)
	v_mul_f64 v[1:2], v[1:2], v[6:7]
	scratch_store_b64 off, v[1:2], off offset:344
.LBB44_183:
	s_or_b32 exec_lo, exec_lo, s0
	s_waitcnt_vscnt null, 0x0
	s_barrier
	buffer_gl0_inv
	scratch_load_b64 v[1:2], off, off offset:352
	s_mov_b32 s0, exec_lo
	s_waitcnt vmcnt(0)
	ds_store_b64 v4, v[1:2]
	s_waitcnt lgkmcnt(0)
	s_barrier
	buffer_gl0_inv
	v_cmpx_ne_u32_e32 44, v0
	s_cbranch_execz .LBB44_187
; %bb.184:
	v_mov_b32_e32 v1, 0
	v_mov_b32_e32 v2, 0
	s_mov_b32 s1, 0
.LBB44_185:                             ; =>This Inner Loop Header: Depth=1
	scratch_load_b64 v[6:7], v3, off
	ds_load_b64 v[8:9], v4
	v_add_nc_u32_e32 v5, 1, v5
	v_add_nc_u32_e32 v4, 8, v4
	;; [unrolled: 1-line block ×3, first 2 shown]
	s_delay_alu instid0(VALU_DEP_3)
	v_cmp_lt_u32_e32 vcc_lo, 42, v5
	s_or_b32 s1, vcc_lo, s1
	s_waitcnt vmcnt(0) lgkmcnt(0)
	v_fma_f64 v[1:2], v[6:7], v[8:9], v[1:2]
	s_and_not1_b32 exec_lo, exec_lo, s1
	s_cbranch_execnz .LBB44_185
; %bb.186:
	s_or_b32 exec_lo, exec_lo, s1
	v_mov_b32_e32 v3, 0
	ds_load_b64 v[3:4], v3 offset:352
	s_waitcnt lgkmcnt(0)
	v_mul_f64 v[1:2], v[1:2], v[3:4]
	scratch_store_b64 off, v[1:2], off offset:352
.LBB44_187:
	s_or_b32 exec_lo, exec_lo, s0
	s_mov_b32 s1, -1
	s_waitcnt_vscnt null, 0x0
	s_barrier
	buffer_gl0_inv
.LBB44_188:
	s_and_b32 vcc_lo, exec_lo, s1
	s_cbranch_vccz .LBB44_190
; %bb.189:
	s_lshl_b64 s[0:1], s[14:15], 2
	v_mov_b32_e32 v1, 0
	s_add_u32 s0, s6, s0
	s_addc_u32 s1, s7, s1
	global_load_b32 v1, v1, s[0:1]
	s_waitcnt vmcnt(0)
	v_cmp_ne_u32_e32 vcc_lo, 0, v1
	s_cbranch_vccz .LBB44_191
.LBB44_190:
	s_endpgm
.LBB44_191:
	v_lshl_add_u32 v3, v0, 3, 0x170
	s_mov_b32 s0, exec_lo
	v_cmpx_eq_u32_e32 44, v0
	s_cbranch_execz .LBB44_193
; %bb.192:
	scratch_load_b64 v[1:2], off, off offset:344
	v_mov_b32_e32 v4, 0
	s_delay_alu instid0(VALU_DEP_1)
	v_mov_b32_e32 v5, v4
	scratch_store_b64 off, v[4:5], off offset:344
	s_waitcnt vmcnt(0)
	ds_store_b64 v3, v[1:2]
.LBB44_193:
	s_or_b32 exec_lo, exec_lo, s0
	s_waitcnt lgkmcnt(0)
	s_waitcnt_vscnt null, 0x0
	s_barrier
	buffer_gl0_inv
	scratch_load_b128 v[4:7], off, off offset:344
	v_mov_b32_e32 v1, 0
	s_mov_b32 s0, exec_lo
	ds_load_b64 v[8:9], v1 offset:720
	s_waitcnt vmcnt(0) lgkmcnt(0)
	v_fma_f64 v[6:7], v[6:7], v[8:9], 0
	s_delay_alu instid0(VALU_DEP_1)
	v_add_f64 v[4:5], v[4:5], -v[6:7]
	scratch_store_b64 off, v[4:5], off offset:344
	v_cmpx_lt_u32_e32 42, v0
	s_cbranch_execz .LBB44_195
; %bb.194:
	scratch_load_b64 v[4:5], off, off offset:336
	v_mov_b32_e32 v2, v1
	scratch_store_b64 off, v[1:2], off offset:336
	s_waitcnt vmcnt(0)
	ds_store_b64 v3, v[4:5]
.LBB44_195:
	s_or_b32 exec_lo, exec_lo, s0
	s_waitcnt lgkmcnt(0)
	s_waitcnt_vscnt null, 0x0
	s_barrier
	buffer_gl0_inv
	s_clause 0x1
	scratch_load_b128 v[4:7], off, off offset:336
	scratch_load_b64 v[103:104], off, off offset:352
	ds_load_2addr_b64 v[8:11], v1 offset0:89 offset1:90
	s_mov_b32 s0, exec_lo
	s_waitcnt vmcnt(1) lgkmcnt(0)
	v_fma_f64 v[1:2], v[6:7], v[8:9], 0
	s_waitcnt vmcnt(0)
	s_delay_alu instid0(VALU_DEP_1) | instskip(NEXT) | instid1(VALU_DEP_1)
	v_fma_f64 v[1:2], v[103:104], v[10:11], v[1:2]
	v_add_f64 v[1:2], v[4:5], -v[1:2]
	scratch_store_b64 off, v[1:2], off offset:336
	v_cmpx_lt_u32_e32 41, v0
	s_cbranch_execz .LBB44_197
; %bb.196:
	scratch_load_b64 v[1:2], off, off offset:328
	v_mov_b32_e32 v4, 0
	s_delay_alu instid0(VALU_DEP_1)
	v_mov_b32_e32 v5, v4
	scratch_store_b64 off, v[4:5], off offset:328
	s_waitcnt vmcnt(0)
	ds_store_b64 v3, v[1:2]
.LBB44_197:
	s_or_b32 exec_lo, exec_lo, s0
	s_waitcnt lgkmcnt(0)
	s_waitcnt_vscnt null, 0x0
	s_barrier
	buffer_gl0_inv
	s_clause 0x1
	scratch_load_b128 v[4:7], off, off offset:328
	scratch_load_b128 v[8:11], off, off offset:344
	v_mov_b32_e32 v1, 0
	ds_load_b128 v[103:106], v1 offset:704
	ds_load_b64 v[107:108], v1 offset:720
	s_mov_b32 s0, exec_lo
	s_waitcnt vmcnt(1) lgkmcnt(1)
	v_fma_f64 v[6:7], v[6:7], v[103:104], 0
	s_waitcnt vmcnt(0)
	s_delay_alu instid0(VALU_DEP_1) | instskip(SKIP_1) | instid1(VALU_DEP_1)
	v_fma_f64 v[6:7], v[8:9], v[105:106], v[6:7]
	s_waitcnt lgkmcnt(0)
	v_fma_f64 v[6:7], v[10:11], v[107:108], v[6:7]
	s_delay_alu instid0(VALU_DEP_1)
	v_add_f64 v[4:5], v[4:5], -v[6:7]
	scratch_store_b64 off, v[4:5], off offset:328
	v_cmpx_lt_u32_e32 40, v0
	s_cbranch_execz .LBB44_199
; %bb.198:
	scratch_load_b64 v[4:5], off, off offset:320
	v_mov_b32_e32 v2, v1
	scratch_store_b64 off, v[1:2], off offset:320
	s_waitcnt vmcnt(0)
	ds_store_b64 v3, v[4:5]
.LBB44_199:
	s_or_b32 exec_lo, exec_lo, s0
	s_waitcnt lgkmcnt(0)
	s_waitcnt_vscnt null, 0x0
	s_barrier
	buffer_gl0_inv
	s_clause 0x2
	scratch_load_b128 v[4:7], off, off offset:320
	scratch_load_b128 v[8:11], off, off offset:336
	scratch_load_b64 v[111:112], off, off offset:352
	ds_load_2addr_b64 v[103:106], v1 offset0:87 offset1:88
	ds_load_2addr_b64 v[107:110], v1 offset0:89 offset1:90
	s_mov_b32 s0, exec_lo
	s_waitcnt vmcnt(2) lgkmcnt(1)
	v_fma_f64 v[1:2], v[6:7], v[103:104], 0
	s_waitcnt vmcnt(1)
	s_delay_alu instid0(VALU_DEP_1) | instskip(SKIP_1) | instid1(VALU_DEP_1)
	v_fma_f64 v[1:2], v[8:9], v[105:106], v[1:2]
	s_waitcnt lgkmcnt(0)
	v_fma_f64 v[1:2], v[10:11], v[107:108], v[1:2]
	s_waitcnt vmcnt(0)
	s_delay_alu instid0(VALU_DEP_1) | instskip(NEXT) | instid1(VALU_DEP_1)
	v_fma_f64 v[1:2], v[111:112], v[109:110], v[1:2]
	v_add_f64 v[1:2], v[4:5], -v[1:2]
	scratch_store_b64 off, v[1:2], off offset:320
	v_cmpx_lt_u32_e32 39, v0
	s_cbranch_execz .LBB44_201
; %bb.200:
	scratch_load_b64 v[1:2], off, off offset:312
	v_mov_b32_e32 v4, 0
	s_delay_alu instid0(VALU_DEP_1)
	v_mov_b32_e32 v5, v4
	scratch_store_b64 off, v[4:5], off offset:312
	s_waitcnt vmcnt(0)
	ds_store_b64 v3, v[1:2]
.LBB44_201:
	s_or_b32 exec_lo, exec_lo, s0
	s_waitcnt lgkmcnt(0)
	s_waitcnt_vscnt null, 0x0
	s_barrier
	buffer_gl0_inv
	s_clause 0x2
	scratch_load_b128 v[4:7], off, off offset:312
	scratch_load_b128 v[8:11], off, off offset:328
	;; [unrolled: 1-line block ×3, first 2 shown]
	v_mov_b32_e32 v1, 0
	ds_load_b128 v[107:110], v1 offset:688
	ds_load_b128 v[111:114], v1 offset:704
	s_mov_b32 s0, exec_lo
	s_waitcnt vmcnt(2) lgkmcnt(1)
	v_fma_f64 v[6:7], v[6:7], v[107:108], 0
	s_waitcnt vmcnt(1)
	s_delay_alu instid0(VALU_DEP_1) | instskip(SKIP_4) | instid1(VALU_DEP_1)
	v_fma_f64 v[6:7], v[8:9], v[109:110], v[6:7]
	ds_load_b64 v[8:9], v1 offset:720
	s_waitcnt lgkmcnt(1)
	v_fma_f64 v[6:7], v[10:11], v[111:112], v[6:7]
	s_waitcnt vmcnt(0)
	v_fma_f64 v[6:7], v[103:104], v[113:114], v[6:7]
	s_waitcnt lgkmcnt(0)
	s_delay_alu instid0(VALU_DEP_1) | instskip(NEXT) | instid1(VALU_DEP_1)
	v_fma_f64 v[6:7], v[105:106], v[8:9], v[6:7]
	v_add_f64 v[4:5], v[4:5], -v[6:7]
	scratch_store_b64 off, v[4:5], off offset:312
	v_cmpx_lt_u32_e32 38, v0
	s_cbranch_execz .LBB44_203
; %bb.202:
	scratch_load_b64 v[4:5], off, off offset:304
	v_mov_b32_e32 v2, v1
	scratch_store_b64 off, v[1:2], off offset:304
	s_waitcnt vmcnt(0)
	ds_store_b64 v3, v[4:5]
.LBB44_203:
	s_or_b32 exec_lo, exec_lo, s0
	s_waitcnt lgkmcnt(0)
	s_waitcnt_vscnt null, 0x0
	s_barrier
	buffer_gl0_inv
	s_clause 0x3
	scratch_load_b128 v[4:7], off, off offset:304
	scratch_load_b128 v[8:11], off, off offset:320
	;; [unrolled: 1-line block ×3, first 2 shown]
	scratch_load_b64 v[115:116], off, off offset:352
	ds_load_2addr_b64 v[107:110], v1 offset0:85 offset1:86
	ds_load_2addr_b64 v[111:114], v1 offset0:87 offset1:88
	s_mov_b32 s0, exec_lo
	s_waitcnt vmcnt(3) lgkmcnt(1)
	v_fma_f64 v[6:7], v[6:7], v[107:108], 0
	s_waitcnt vmcnt(2)
	s_delay_alu instid0(VALU_DEP_1) | instskip(SKIP_1) | instid1(VALU_DEP_1)
	v_fma_f64 v[6:7], v[8:9], v[109:110], v[6:7]
	s_waitcnt lgkmcnt(0)
	v_fma_f64 v[6:7], v[10:11], v[111:112], v[6:7]
	s_waitcnt vmcnt(1)
	s_delay_alu instid0(VALU_DEP_1) | instskip(SKIP_4) | instid1(VALU_DEP_1)
	v_fma_f64 v[10:11], v[103:104], v[113:114], v[6:7]
	ds_load_2addr_b64 v[6:9], v1 offset0:89 offset1:90
	s_waitcnt lgkmcnt(0)
	v_fma_f64 v[1:2], v[105:106], v[6:7], v[10:11]
	s_waitcnt vmcnt(0)
	v_fma_f64 v[1:2], v[115:116], v[8:9], v[1:2]
	s_delay_alu instid0(VALU_DEP_1)
	v_add_f64 v[1:2], v[4:5], -v[1:2]
	scratch_store_b64 off, v[1:2], off offset:304
	v_cmpx_lt_u32_e32 37, v0
	s_cbranch_execz .LBB44_205
; %bb.204:
	scratch_load_b64 v[1:2], off, off offset:296
	v_mov_b32_e32 v4, 0
	s_delay_alu instid0(VALU_DEP_1)
	v_mov_b32_e32 v5, v4
	scratch_store_b64 off, v[4:5], off offset:296
	s_waitcnt vmcnt(0)
	ds_store_b64 v3, v[1:2]
.LBB44_205:
	s_or_b32 exec_lo, exec_lo, s0
	s_waitcnt lgkmcnt(0)
	s_waitcnt_vscnt null, 0x0
	s_barrier
	buffer_gl0_inv
	s_clause 0x3
	scratch_load_b128 v[4:7], off, off offset:296
	scratch_load_b128 v[8:11], off, off offset:312
	;; [unrolled: 1-line block ×4, first 2 shown]
	v_mov_b32_e32 v1, 0
	ds_load_b128 v[111:114], v1 offset:672
	ds_load_b128 v[115:118], v1 offset:688
	s_mov_b32 s0, exec_lo
	s_waitcnt vmcnt(3) lgkmcnt(1)
	v_fma_f64 v[6:7], v[6:7], v[111:112], 0
	s_waitcnt vmcnt(2)
	s_delay_alu instid0(VALU_DEP_1) | instskip(SKIP_1) | instid1(VALU_DEP_1)
	v_fma_f64 v[6:7], v[8:9], v[113:114], v[6:7]
	s_waitcnt lgkmcnt(0)
	v_fma_f64 v[6:7], v[10:11], v[115:116], v[6:7]
	s_waitcnt vmcnt(1)
	s_delay_alu instid0(VALU_DEP_1)
	v_fma_f64 v[10:11], v[103:104], v[117:118], v[6:7]
	ds_load_b128 v[6:9], v1 offset:704
	ds_load_b64 v[103:104], v1 offset:720
	s_waitcnt lgkmcnt(1)
	v_fma_f64 v[6:7], v[105:106], v[6:7], v[10:11]
	s_waitcnt vmcnt(0)
	s_delay_alu instid0(VALU_DEP_1) | instskip(SKIP_1) | instid1(VALU_DEP_1)
	v_fma_f64 v[6:7], v[107:108], v[8:9], v[6:7]
	s_waitcnt lgkmcnt(0)
	v_fma_f64 v[6:7], v[109:110], v[103:104], v[6:7]
	s_delay_alu instid0(VALU_DEP_1)
	v_add_f64 v[4:5], v[4:5], -v[6:7]
	scratch_store_b64 off, v[4:5], off offset:296
	v_cmpx_lt_u32_e32 36, v0
	s_cbranch_execz .LBB44_207
; %bb.206:
	scratch_load_b64 v[4:5], off, off offset:288
	v_mov_b32_e32 v2, v1
	scratch_store_b64 off, v[1:2], off offset:288
	s_waitcnt vmcnt(0)
	ds_store_b64 v3, v[4:5]
.LBB44_207:
	s_or_b32 exec_lo, exec_lo, s0
	s_waitcnt lgkmcnt(0)
	s_waitcnt_vscnt null, 0x0
	s_barrier
	buffer_gl0_inv
	s_clause 0x4
	scratch_load_b128 v[4:7], off, off offset:288
	scratch_load_b128 v[8:11], off, off offset:304
	;; [unrolled: 1-line block ×4, first 2 shown]
	scratch_load_b64 v[115:116], off, off offset:352
	ds_load_2addr_b64 v[111:114], v1 offset0:83 offset1:84
	s_mov_b32 s0, exec_lo
	s_waitcnt vmcnt(4) lgkmcnt(0)
	v_fma_f64 v[6:7], v[6:7], v[111:112], 0
	s_waitcnt vmcnt(3)
	s_delay_alu instid0(VALU_DEP_1) | instskip(SKIP_4) | instid1(VALU_DEP_1)
	v_fma_f64 v[111:112], v[8:9], v[113:114], v[6:7]
	ds_load_2addr_b64 v[6:9], v1 offset0:85 offset1:86
	s_waitcnt lgkmcnt(0)
	v_fma_f64 v[6:7], v[10:11], v[6:7], v[111:112]
	s_waitcnt vmcnt(2)
	v_fma_f64 v[10:11], v[103:104], v[8:9], v[6:7]
	ds_load_2addr_b64 v[6:9], v1 offset0:87 offset1:88
	s_waitcnt lgkmcnt(0)
	v_fma_f64 v[6:7], v[105:106], v[6:7], v[10:11]
	s_waitcnt vmcnt(1)
	s_delay_alu instid0(VALU_DEP_1) | instskip(SKIP_4) | instid1(VALU_DEP_1)
	v_fma_f64 v[10:11], v[107:108], v[8:9], v[6:7]
	ds_load_2addr_b64 v[6:9], v1 offset0:89 offset1:90
	s_waitcnt lgkmcnt(0)
	v_fma_f64 v[1:2], v[109:110], v[6:7], v[10:11]
	s_waitcnt vmcnt(0)
	v_fma_f64 v[1:2], v[115:116], v[8:9], v[1:2]
	s_delay_alu instid0(VALU_DEP_1)
	v_add_f64 v[1:2], v[4:5], -v[1:2]
	scratch_store_b64 off, v[1:2], off offset:288
	v_cmpx_lt_u32_e32 35, v0
	s_cbranch_execz .LBB44_209
; %bb.208:
	scratch_load_b64 v[1:2], off, off offset:280
	v_mov_b32_e32 v4, 0
	s_delay_alu instid0(VALU_DEP_1)
	v_mov_b32_e32 v5, v4
	scratch_store_b64 off, v[4:5], off offset:280
	s_waitcnt vmcnt(0)
	ds_store_b64 v3, v[1:2]
.LBB44_209:
	s_or_b32 exec_lo, exec_lo, s0
	s_waitcnt lgkmcnt(0)
	s_waitcnt_vscnt null, 0x0
	s_barrier
	buffer_gl0_inv
	s_clause 0x4
	scratch_load_b128 v[4:7], off, off offset:280
	scratch_load_b128 v[8:11], off, off offset:296
	;; [unrolled: 1-line block ×5, first 2 shown]
	v_mov_b32_e32 v1, 0
	s_mov_b32 s0, exec_lo
	ds_load_b128 v[115:118], v1 offset:656
	s_waitcnt vmcnt(4) lgkmcnt(0)
	v_fma_f64 v[6:7], v[6:7], v[115:116], 0
	s_waitcnt vmcnt(3)
	s_delay_alu instid0(VALU_DEP_1) | instskip(SKIP_4) | instid1(VALU_DEP_1)
	v_fma_f64 v[115:116], v[8:9], v[117:118], v[6:7]
	ds_load_b128 v[6:9], v1 offset:672
	s_waitcnt lgkmcnt(0)
	v_fma_f64 v[6:7], v[10:11], v[6:7], v[115:116]
	s_waitcnt vmcnt(2)
	v_fma_f64 v[10:11], v[103:104], v[8:9], v[6:7]
	ds_load_b128 v[6:9], v1 offset:688
	s_waitcnt lgkmcnt(0)
	v_fma_f64 v[6:7], v[105:106], v[6:7], v[10:11]
	s_waitcnt vmcnt(1)
	s_delay_alu instid0(VALU_DEP_1) | instskip(SKIP_4) | instid1(VALU_DEP_1)
	v_fma_f64 v[10:11], v[107:108], v[8:9], v[6:7]
	ds_load_b128 v[6:9], v1 offset:704
	s_waitcnt lgkmcnt(0)
	v_fma_f64 v[6:7], v[109:110], v[6:7], v[10:11]
	s_waitcnt vmcnt(0)
	v_fma_f64 v[6:7], v[111:112], v[8:9], v[6:7]
	ds_load_b64 v[8:9], v1 offset:720
	s_waitcnt lgkmcnt(0)
	v_fma_f64 v[6:7], v[113:114], v[8:9], v[6:7]
	s_delay_alu instid0(VALU_DEP_1)
	v_add_f64 v[4:5], v[4:5], -v[6:7]
	scratch_store_b64 off, v[4:5], off offset:280
	v_cmpx_lt_u32_e32 34, v0
	s_cbranch_execz .LBB44_211
; %bb.210:
	scratch_load_b64 v[4:5], off, off offset:272
	v_mov_b32_e32 v2, v1
	scratch_store_b64 off, v[1:2], off offset:272
	s_waitcnt vmcnt(0)
	ds_store_b64 v3, v[4:5]
.LBB44_211:
	s_or_b32 exec_lo, exec_lo, s0
	s_waitcnt lgkmcnt(0)
	s_waitcnt_vscnt null, 0x0
	s_barrier
	buffer_gl0_inv
	s_clause 0x4
	scratch_load_b128 v[4:7], off, off offset:272
	scratch_load_b128 v[8:11], off, off offset:288
	;; [unrolled: 1-line block ×5, first 2 shown]
	ds_load_2addr_b64 v[115:118], v1 offset0:81 offset1:82
	s_mov_b32 s0, exec_lo
	s_waitcnt vmcnt(4) lgkmcnt(0)
	v_fma_f64 v[6:7], v[6:7], v[115:116], 0
	scratch_load_b64 v[115:116], off, off offset:352
	s_waitcnt vmcnt(4)
	v_fma_f64 v[117:118], v[8:9], v[117:118], v[6:7]
	ds_load_2addr_b64 v[6:9], v1 offset0:83 offset1:84
	s_waitcnt lgkmcnt(0)
	v_fma_f64 v[6:7], v[10:11], v[6:7], v[117:118]
	s_waitcnt vmcnt(3)
	s_delay_alu instid0(VALU_DEP_1) | instskip(SKIP_4) | instid1(VALU_DEP_1)
	v_fma_f64 v[10:11], v[103:104], v[8:9], v[6:7]
	ds_load_2addr_b64 v[6:9], v1 offset0:85 offset1:86
	s_waitcnt lgkmcnt(0)
	v_fma_f64 v[6:7], v[105:106], v[6:7], v[10:11]
	s_waitcnt vmcnt(2)
	v_fma_f64 v[10:11], v[107:108], v[8:9], v[6:7]
	ds_load_2addr_b64 v[6:9], v1 offset0:87 offset1:88
	s_waitcnt lgkmcnt(0)
	v_fma_f64 v[6:7], v[109:110], v[6:7], v[10:11]
	s_waitcnt vmcnt(1)
	s_delay_alu instid0(VALU_DEP_1) | instskip(SKIP_4) | instid1(VALU_DEP_1)
	v_fma_f64 v[10:11], v[111:112], v[8:9], v[6:7]
	ds_load_2addr_b64 v[6:9], v1 offset0:89 offset1:90
	s_waitcnt lgkmcnt(0)
	v_fma_f64 v[1:2], v[113:114], v[6:7], v[10:11]
	s_waitcnt vmcnt(0)
	v_fma_f64 v[1:2], v[115:116], v[8:9], v[1:2]
	s_delay_alu instid0(VALU_DEP_1)
	v_add_f64 v[1:2], v[4:5], -v[1:2]
	scratch_store_b64 off, v[1:2], off offset:272
	v_cmpx_lt_u32_e32 33, v0
	s_cbranch_execz .LBB44_213
; %bb.212:
	scratch_load_b64 v[1:2], off, off offset:264
	v_mov_b32_e32 v4, 0
	s_delay_alu instid0(VALU_DEP_1)
	v_mov_b32_e32 v5, v4
	scratch_store_b64 off, v[4:5], off offset:264
	s_waitcnt vmcnt(0)
	ds_store_b64 v3, v[1:2]
.LBB44_213:
	s_or_b32 exec_lo, exec_lo, s0
	s_waitcnt lgkmcnt(0)
	s_waitcnt_vscnt null, 0x0
	s_barrier
	buffer_gl0_inv
	s_clause 0x4
	scratch_load_b128 v[4:7], off, off offset:264
	scratch_load_b128 v[8:11], off, off offset:280
	;; [unrolled: 1-line block ×5, first 2 shown]
	v_mov_b32_e32 v1, 0
	scratch_load_b128 v[119:122], off, off offset:344
	s_mov_b32 s0, exec_lo
	ds_load_b128 v[115:118], v1 offset:640
	s_waitcnt vmcnt(5) lgkmcnt(0)
	v_fma_f64 v[6:7], v[6:7], v[115:116], 0
	s_waitcnt vmcnt(4)
	s_delay_alu instid0(VALU_DEP_1) | instskip(SKIP_4) | instid1(VALU_DEP_1)
	v_fma_f64 v[115:116], v[8:9], v[117:118], v[6:7]
	ds_load_b128 v[6:9], v1 offset:656
	s_waitcnt lgkmcnt(0)
	v_fma_f64 v[6:7], v[10:11], v[6:7], v[115:116]
	s_waitcnt vmcnt(3)
	v_fma_f64 v[10:11], v[103:104], v[8:9], v[6:7]
	ds_load_b128 v[6:9], v1 offset:672
	s_waitcnt lgkmcnt(0)
	v_fma_f64 v[6:7], v[105:106], v[6:7], v[10:11]
	s_waitcnt vmcnt(2)
	s_delay_alu instid0(VALU_DEP_1) | instskip(SKIP_4) | instid1(VALU_DEP_1)
	v_fma_f64 v[10:11], v[107:108], v[8:9], v[6:7]
	ds_load_b128 v[6:9], v1 offset:688
	s_waitcnt lgkmcnt(0)
	v_fma_f64 v[6:7], v[109:110], v[6:7], v[10:11]
	s_waitcnt vmcnt(1)
	v_fma_f64 v[10:11], v[111:112], v[8:9], v[6:7]
	ds_load_b128 v[6:9], v1 offset:704
	s_waitcnt lgkmcnt(0)
	v_fma_f64 v[6:7], v[113:114], v[6:7], v[10:11]
	s_waitcnt vmcnt(0)
	s_delay_alu instid0(VALU_DEP_1) | instskip(SKIP_3) | instid1(VALU_DEP_1)
	v_fma_f64 v[6:7], v[119:120], v[8:9], v[6:7]
	ds_load_b64 v[8:9], v1 offset:720
	s_waitcnt lgkmcnt(0)
	v_fma_f64 v[6:7], v[121:122], v[8:9], v[6:7]
	v_add_f64 v[4:5], v[4:5], -v[6:7]
	scratch_store_b64 off, v[4:5], off offset:264
	v_cmpx_lt_u32_e32 32, v0
	s_cbranch_execz .LBB44_215
; %bb.214:
	scratch_load_b64 v[4:5], off, off offset:256
	v_mov_b32_e32 v2, v1
	scratch_store_b64 off, v[1:2], off offset:256
	s_waitcnt vmcnt(0)
	ds_store_b64 v3, v[4:5]
.LBB44_215:
	s_or_b32 exec_lo, exec_lo, s0
	s_waitcnt lgkmcnt(0)
	s_waitcnt_vscnt null, 0x0
	s_barrier
	buffer_gl0_inv
	s_clause 0x4
	scratch_load_b128 v[4:7], off, off offset:256
	scratch_load_b128 v[8:11], off, off offset:272
	;; [unrolled: 1-line block ×5, first 2 shown]
	ds_load_2addr_b64 v[115:118], v1 offset0:79 offset1:80
	ds_load_2addr_b64 v[119:122], v1 offset0:81 offset1:82
	scratch_load_b128 v[123:126], off, off offset:336
	s_mov_b32 s0, exec_lo
	s_waitcnt vmcnt(5) lgkmcnt(1)
	v_fma_f64 v[6:7], v[6:7], v[115:116], 0
	s_waitcnt vmcnt(4)
	s_delay_alu instid0(VALU_DEP_1) | instskip(SKIP_1) | instid1(VALU_DEP_1)
	v_fma_f64 v[6:7], v[8:9], v[117:118], v[6:7]
	s_waitcnt lgkmcnt(0)
	v_fma_f64 v[6:7], v[10:11], v[119:120], v[6:7]
	scratch_load_b64 v[10:11], off, off offset:352
	s_waitcnt vmcnt(4)
	v_fma_f64 v[103:104], v[103:104], v[121:122], v[6:7]
	ds_load_2addr_b64 v[6:9], v1 offset0:83 offset1:84
	ds_load_2addr_b64 v[115:118], v1 offset0:85 offset1:86
	s_waitcnt lgkmcnt(1)
	v_fma_f64 v[6:7], v[105:106], v[6:7], v[103:104]
	s_waitcnt vmcnt(3)
	s_delay_alu instid0(VALU_DEP_1) | instskip(SKIP_1) | instid1(VALU_DEP_1)
	v_fma_f64 v[6:7], v[107:108], v[8:9], v[6:7]
	s_waitcnt lgkmcnt(0)
	v_fma_f64 v[6:7], v[109:110], v[115:116], v[6:7]
	s_waitcnt vmcnt(2)
	s_delay_alu instid0(VALU_DEP_1)
	v_fma_f64 v[107:108], v[111:112], v[117:118], v[6:7]
	ds_load_2addr_b64 v[6:9], v1 offset0:87 offset1:88
	ds_load_2addr_b64 v[103:106], v1 offset0:89 offset1:90
	s_waitcnt lgkmcnt(1)
	v_fma_f64 v[1:2], v[113:114], v[6:7], v[107:108]
	s_waitcnt vmcnt(1)
	s_delay_alu instid0(VALU_DEP_1) | instskip(SKIP_1) | instid1(VALU_DEP_1)
	v_fma_f64 v[1:2], v[123:124], v[8:9], v[1:2]
	s_waitcnt lgkmcnt(0)
	v_fma_f64 v[1:2], v[125:126], v[103:104], v[1:2]
	s_waitcnt vmcnt(0)
	s_delay_alu instid0(VALU_DEP_1) | instskip(NEXT) | instid1(VALU_DEP_1)
	v_fma_f64 v[1:2], v[10:11], v[105:106], v[1:2]
	v_add_f64 v[1:2], v[4:5], -v[1:2]
	scratch_store_b64 off, v[1:2], off offset:256
	v_cmpx_lt_u32_e32 31, v0
	s_cbranch_execz .LBB44_217
; %bb.216:
	scratch_load_b64 v[1:2], off, off offset:248
	v_mov_b32_e32 v4, 0
	s_delay_alu instid0(VALU_DEP_1)
	v_mov_b32_e32 v5, v4
	scratch_store_b64 off, v[4:5], off offset:248
	s_waitcnt vmcnt(0)
	ds_store_b64 v3, v[1:2]
.LBB44_217:
	s_or_b32 exec_lo, exec_lo, s0
	s_waitcnt lgkmcnt(0)
	s_waitcnt_vscnt null, 0x0
	s_barrier
	buffer_gl0_inv
	s_clause 0x4
	scratch_load_b128 v[4:7], off, off offset:248
	scratch_load_b128 v[8:11], off, off offset:264
	scratch_load_b128 v[103:106], off, off offset:280
	scratch_load_b128 v[107:110], off, off offset:296
	scratch_load_b128 v[111:114], off, off offset:312
	v_mov_b32_e32 v1, 0
	ds_load_b128 v[115:118], v1 offset:624
	ds_load_b128 v[119:122], v1 offset:640
	scratch_load_b128 v[123:126], off, off offset:328
	s_mov_b32 s0, exec_lo
	s_waitcnt vmcnt(5) lgkmcnt(1)
	v_fma_f64 v[6:7], v[6:7], v[115:116], 0
	s_waitcnt vmcnt(4)
	s_delay_alu instid0(VALU_DEP_1) | instskip(SKIP_1) | instid1(VALU_DEP_1)
	v_fma_f64 v[6:7], v[8:9], v[117:118], v[6:7]
	s_waitcnt lgkmcnt(0)
	v_fma_f64 v[10:11], v[10:11], v[119:120], v[6:7]
	scratch_load_b128 v[6:9], off, off offset:344
	s_waitcnt vmcnt(4)
	v_fma_f64 v[10:11], v[103:104], v[121:122], v[10:11]
	ds_load_b128 v[115:118], v1 offset:656
	ds_load_b128 v[119:122], v1 offset:672
	s_waitcnt lgkmcnt(1)
	v_fma_f64 v[10:11], v[105:106], v[115:116], v[10:11]
	s_waitcnt vmcnt(3)
	s_delay_alu instid0(VALU_DEP_1) | instskip(SKIP_1) | instid1(VALU_DEP_1)
	v_fma_f64 v[10:11], v[107:108], v[117:118], v[10:11]
	s_waitcnt lgkmcnt(0)
	v_fma_f64 v[10:11], v[109:110], v[119:120], v[10:11]
	ds_load_b128 v[103:106], v1 offset:688
	ds_load_b128 v[107:110], v1 offset:704
	s_waitcnt vmcnt(2)
	v_fma_f64 v[10:11], v[111:112], v[121:122], v[10:11]
	s_waitcnt lgkmcnt(1)
	s_delay_alu instid0(VALU_DEP_1) | instskip(SKIP_1) | instid1(VALU_DEP_1)
	v_fma_f64 v[10:11], v[113:114], v[103:104], v[10:11]
	s_waitcnt vmcnt(1)
	v_fma_f64 v[10:11], v[123:124], v[105:106], v[10:11]
	s_waitcnt lgkmcnt(0)
	s_delay_alu instid0(VALU_DEP_1) | instskip(SKIP_1) | instid1(VALU_DEP_1)
	v_fma_f64 v[10:11], v[125:126], v[107:108], v[10:11]
	s_waitcnt vmcnt(0)
	v_fma_f64 v[6:7], v[6:7], v[109:110], v[10:11]
	ds_load_b64 v[10:11], v1 offset:720
	s_waitcnt lgkmcnt(0)
	v_fma_f64 v[6:7], v[8:9], v[10:11], v[6:7]
	s_delay_alu instid0(VALU_DEP_1)
	v_add_f64 v[4:5], v[4:5], -v[6:7]
	scratch_store_b64 off, v[4:5], off offset:248
	v_cmpx_lt_u32_e32 30, v0
	s_cbranch_execz .LBB44_219
; %bb.218:
	scratch_load_b64 v[4:5], off, off offset:240
	v_mov_b32_e32 v2, v1
	scratch_store_b64 off, v[1:2], off offset:240
	s_waitcnt vmcnt(0)
	ds_store_b64 v3, v[4:5]
.LBB44_219:
	s_or_b32 exec_lo, exec_lo, s0
	s_waitcnt lgkmcnt(0)
	s_waitcnt_vscnt null, 0x0
	s_barrier
	buffer_gl0_inv
	s_clause 0x4
	scratch_load_b128 v[4:7], off, off offset:240
	scratch_load_b128 v[8:11], off, off offset:256
	;; [unrolled: 1-line block ×5, first 2 shown]
	ds_load_2addr_b64 v[115:118], v1 offset0:77 offset1:78
	ds_load_2addr_b64 v[119:122], v1 offset0:79 offset1:80
	scratch_load_b128 v[123:126], off, off offset:320
	s_mov_b32 s0, exec_lo
	s_waitcnt vmcnt(5) lgkmcnt(1)
	v_fma_f64 v[6:7], v[6:7], v[115:116], 0
	s_waitcnt vmcnt(4)
	s_delay_alu instid0(VALU_DEP_1) | instskip(SKIP_1) | instid1(VALU_DEP_1)
	v_fma_f64 v[6:7], v[8:9], v[117:118], v[6:7]
	s_waitcnt lgkmcnt(0)
	v_fma_f64 v[10:11], v[10:11], v[119:120], v[6:7]
	scratch_load_b128 v[6:9], off, off offset:336
	s_waitcnt vmcnt(4)
	v_fma_f64 v[10:11], v[103:104], v[121:122], v[10:11]
	ds_load_2addr_b64 v[115:118], v1 offset0:81 offset1:82
	ds_load_2addr_b64 v[119:122], v1 offset0:83 offset1:84
	s_waitcnt lgkmcnt(1)
	v_fma_f64 v[10:11], v[105:106], v[115:116], v[10:11]
	scratch_load_b64 v[115:116], off, off offset:352
	s_waitcnt vmcnt(4)
	v_fma_f64 v[10:11], v[107:108], v[117:118], v[10:11]
	s_waitcnt lgkmcnt(0)
	s_delay_alu instid0(VALU_DEP_1)
	v_fma_f64 v[10:11], v[109:110], v[119:120], v[10:11]
	ds_load_2addr_b64 v[103:106], v1 offset0:85 offset1:86
	ds_load_2addr_b64 v[107:110], v1 offset0:87 offset1:88
	s_waitcnt vmcnt(3)
	v_fma_f64 v[10:11], v[111:112], v[121:122], v[10:11]
	s_waitcnt lgkmcnt(1)
	s_delay_alu instid0(VALU_DEP_1) | instskip(SKIP_1) | instid1(VALU_DEP_1)
	v_fma_f64 v[10:11], v[113:114], v[103:104], v[10:11]
	s_waitcnt vmcnt(2)
	v_fma_f64 v[10:11], v[123:124], v[105:106], v[10:11]
	ds_load_2addr_b64 v[103:106], v1 offset0:89 offset1:90
	s_waitcnt lgkmcnt(1)
	v_fma_f64 v[10:11], v[125:126], v[107:108], v[10:11]
	s_waitcnt vmcnt(1)
	s_delay_alu instid0(VALU_DEP_1) | instskip(SKIP_1) | instid1(VALU_DEP_1)
	v_fma_f64 v[6:7], v[6:7], v[109:110], v[10:11]
	s_waitcnt lgkmcnt(0)
	v_fma_f64 v[1:2], v[8:9], v[103:104], v[6:7]
	s_waitcnt vmcnt(0)
	s_delay_alu instid0(VALU_DEP_1) | instskip(NEXT) | instid1(VALU_DEP_1)
	v_fma_f64 v[1:2], v[115:116], v[105:106], v[1:2]
	v_add_f64 v[1:2], v[4:5], -v[1:2]
	scratch_store_b64 off, v[1:2], off offset:240
	v_cmpx_lt_u32_e32 29, v0
	s_cbranch_execz .LBB44_221
; %bb.220:
	scratch_load_b64 v[1:2], off, off offset:232
	v_mov_b32_e32 v4, 0
	s_delay_alu instid0(VALU_DEP_1)
	v_mov_b32_e32 v5, v4
	scratch_store_b64 off, v[4:5], off offset:232
	s_waitcnt vmcnt(0)
	ds_store_b64 v3, v[1:2]
.LBB44_221:
	s_or_b32 exec_lo, exec_lo, s0
	s_waitcnt lgkmcnt(0)
	s_waitcnt_vscnt null, 0x0
	s_barrier
	buffer_gl0_inv
	s_clause 0x4
	scratch_load_b128 v[4:7], off, off offset:232
	scratch_load_b128 v[8:11], off, off offset:248
	scratch_load_b128 v[103:106], off, off offset:264
	scratch_load_b128 v[107:110], off, off offset:280
	scratch_load_b128 v[111:114], off, off offset:296
	v_mov_b32_e32 v1, 0
	ds_load_b128 v[115:118], v1 offset:608
	ds_load_b128 v[119:122], v1 offset:624
	scratch_load_b128 v[123:126], off, off offset:312
	s_mov_b32 s0, exec_lo
	s_waitcnt vmcnt(5) lgkmcnt(1)
	v_fma_f64 v[6:7], v[6:7], v[115:116], 0
	s_waitcnt vmcnt(4)
	s_delay_alu instid0(VALU_DEP_1) | instskip(SKIP_1) | instid1(VALU_DEP_1)
	v_fma_f64 v[6:7], v[8:9], v[117:118], v[6:7]
	s_waitcnt lgkmcnt(0)
	v_fma_f64 v[10:11], v[10:11], v[119:120], v[6:7]
	scratch_load_b128 v[6:9], off, off offset:328
	s_waitcnt vmcnt(4)
	v_fma_f64 v[10:11], v[103:104], v[121:122], v[10:11]
	ds_load_b128 v[115:118], v1 offset:640
	ds_load_b128 v[119:122], v1 offset:656
	s_waitcnt lgkmcnt(1)
	v_fma_f64 v[10:11], v[105:106], v[115:116], v[10:11]
	scratch_load_b128 v[103:106], off, off offset:344
	s_waitcnt vmcnt(4)
	v_fma_f64 v[10:11], v[107:108], v[117:118], v[10:11]
	s_waitcnt lgkmcnt(0)
	s_delay_alu instid0(VALU_DEP_1)
	v_fma_f64 v[10:11], v[109:110], v[119:120], v[10:11]
	ds_load_b128 v[107:110], v1 offset:672
	ds_load_b128 v[115:118], v1 offset:688
	s_waitcnt vmcnt(3)
	v_fma_f64 v[10:11], v[111:112], v[121:122], v[10:11]
	s_waitcnt lgkmcnt(1)
	s_delay_alu instid0(VALU_DEP_1) | instskip(SKIP_1) | instid1(VALU_DEP_1)
	v_fma_f64 v[10:11], v[113:114], v[107:108], v[10:11]
	s_waitcnt vmcnt(2)
	v_fma_f64 v[10:11], v[123:124], v[109:110], v[10:11]
	s_waitcnt lgkmcnt(0)
	s_delay_alu instid0(VALU_DEP_1) | instskip(SKIP_1) | instid1(VALU_DEP_1)
	v_fma_f64 v[10:11], v[125:126], v[115:116], v[10:11]
	s_waitcnt vmcnt(1)
	v_fma_f64 v[6:7], v[6:7], v[117:118], v[10:11]
	ds_load_b128 v[107:110], v1 offset:704
	ds_load_b64 v[10:11], v1 offset:720
	s_waitcnt lgkmcnt(1)
	v_fma_f64 v[6:7], v[8:9], v[107:108], v[6:7]
	s_waitcnt vmcnt(0)
	s_delay_alu instid0(VALU_DEP_1) | instskip(SKIP_1) | instid1(VALU_DEP_1)
	v_fma_f64 v[6:7], v[103:104], v[109:110], v[6:7]
	s_waitcnt lgkmcnt(0)
	v_fma_f64 v[6:7], v[105:106], v[10:11], v[6:7]
	s_delay_alu instid0(VALU_DEP_1)
	v_add_f64 v[4:5], v[4:5], -v[6:7]
	scratch_store_b64 off, v[4:5], off offset:232
	v_cmpx_lt_u32_e32 28, v0
	s_cbranch_execz .LBB44_223
; %bb.222:
	scratch_load_b64 v[4:5], off, off offset:224
	v_mov_b32_e32 v2, v1
	scratch_store_b64 off, v[1:2], off offset:224
	s_waitcnt vmcnt(0)
	ds_store_b64 v3, v[4:5]
.LBB44_223:
	s_or_b32 exec_lo, exec_lo, s0
	s_waitcnt lgkmcnt(0)
	s_waitcnt_vscnt null, 0x0
	s_barrier
	buffer_gl0_inv
	s_clause 0x4
	scratch_load_b128 v[4:7], off, off offset:224
	scratch_load_b128 v[8:11], off, off offset:240
	;; [unrolled: 1-line block ×5, first 2 shown]
	ds_load_2addr_b64 v[115:118], v1 offset0:75 offset1:76
	ds_load_2addr_b64 v[119:122], v1 offset0:77 offset1:78
	scratch_load_b128 v[123:126], off, off offset:304
	s_mov_b32 s0, exec_lo
	s_waitcnt vmcnt(5) lgkmcnt(1)
	v_fma_f64 v[6:7], v[6:7], v[115:116], 0
	s_waitcnt vmcnt(4)
	s_delay_alu instid0(VALU_DEP_1) | instskip(SKIP_1) | instid1(VALU_DEP_1)
	v_fma_f64 v[6:7], v[8:9], v[117:118], v[6:7]
	s_waitcnt lgkmcnt(0)
	v_fma_f64 v[10:11], v[10:11], v[119:120], v[6:7]
	scratch_load_b128 v[6:9], off, off offset:320
	s_waitcnt vmcnt(4)
	v_fma_f64 v[10:11], v[103:104], v[121:122], v[10:11]
	ds_load_2addr_b64 v[115:118], v1 offset0:79 offset1:80
	ds_load_2addr_b64 v[119:122], v1 offset0:81 offset1:82
	s_waitcnt lgkmcnt(1)
	v_fma_f64 v[10:11], v[105:106], v[115:116], v[10:11]
	scratch_load_b128 v[103:106], off, off offset:336
	s_waitcnt vmcnt(4)
	v_fma_f64 v[10:11], v[107:108], v[117:118], v[10:11]
	s_waitcnt lgkmcnt(0)
	s_delay_alu instid0(VALU_DEP_1)
	v_fma_f64 v[10:11], v[109:110], v[119:120], v[10:11]
	scratch_load_b64 v[119:120], off, off offset:352
	ds_load_2addr_b64 v[107:110], v1 offset0:83 offset1:84
	ds_load_2addr_b64 v[115:118], v1 offset0:85 offset1:86
	s_waitcnt vmcnt(4)
	v_fma_f64 v[10:11], v[111:112], v[121:122], v[10:11]
	s_waitcnt lgkmcnt(1)
	s_delay_alu instid0(VALU_DEP_1) | instskip(SKIP_1) | instid1(VALU_DEP_1)
	v_fma_f64 v[10:11], v[113:114], v[107:108], v[10:11]
	s_waitcnt vmcnt(3)
	v_fma_f64 v[10:11], v[123:124], v[109:110], v[10:11]
	ds_load_2addr_b64 v[107:110], v1 offset0:87 offset1:88
	ds_load_2addr_b64 v[111:114], v1 offset0:89 offset1:90
	s_waitcnt lgkmcnt(2)
	v_fma_f64 v[10:11], v[125:126], v[115:116], v[10:11]
	s_waitcnt vmcnt(2)
	s_delay_alu instid0(VALU_DEP_1) | instskip(SKIP_1) | instid1(VALU_DEP_1)
	v_fma_f64 v[6:7], v[6:7], v[117:118], v[10:11]
	s_waitcnt lgkmcnt(1)
	v_fma_f64 v[1:2], v[8:9], v[107:108], v[6:7]
	s_waitcnt vmcnt(1)
	s_delay_alu instid0(VALU_DEP_1) | instskip(SKIP_1) | instid1(VALU_DEP_1)
	v_fma_f64 v[1:2], v[103:104], v[109:110], v[1:2]
	s_waitcnt lgkmcnt(0)
	v_fma_f64 v[1:2], v[105:106], v[111:112], v[1:2]
	s_waitcnt vmcnt(0)
	s_delay_alu instid0(VALU_DEP_1) | instskip(NEXT) | instid1(VALU_DEP_1)
	v_fma_f64 v[1:2], v[119:120], v[113:114], v[1:2]
	v_add_f64 v[1:2], v[4:5], -v[1:2]
	scratch_store_b64 off, v[1:2], off offset:224
	v_cmpx_lt_u32_e32 27, v0
	s_cbranch_execz .LBB44_225
; %bb.224:
	scratch_load_b64 v[1:2], off, off offset:216
	v_mov_b32_e32 v4, 0
	s_delay_alu instid0(VALU_DEP_1)
	v_mov_b32_e32 v5, v4
	scratch_store_b64 off, v[4:5], off offset:216
	s_waitcnt vmcnt(0)
	ds_store_b64 v3, v[1:2]
.LBB44_225:
	s_or_b32 exec_lo, exec_lo, s0
	s_waitcnt lgkmcnt(0)
	s_waitcnt_vscnt null, 0x0
	s_barrier
	buffer_gl0_inv
	s_clause 0x4
	scratch_load_b128 v[4:7], off, off offset:216
	scratch_load_b128 v[8:11], off, off offset:232
	;; [unrolled: 1-line block ×5, first 2 shown]
	v_mov_b32_e32 v1, 0
	ds_load_b128 v[115:118], v1 offset:592
	ds_load_b128 v[119:122], v1 offset:608
	scratch_load_b128 v[123:126], off, off offset:296
	s_mov_b32 s0, exec_lo
	s_waitcnt vmcnt(5) lgkmcnt(1)
	v_fma_f64 v[6:7], v[6:7], v[115:116], 0
	s_waitcnt vmcnt(4)
	s_delay_alu instid0(VALU_DEP_1) | instskip(SKIP_1) | instid1(VALU_DEP_1)
	v_fma_f64 v[6:7], v[8:9], v[117:118], v[6:7]
	s_waitcnt lgkmcnt(0)
	v_fma_f64 v[10:11], v[10:11], v[119:120], v[6:7]
	scratch_load_b128 v[6:9], off, off offset:312
	s_waitcnt vmcnt(4)
	v_fma_f64 v[10:11], v[103:104], v[121:122], v[10:11]
	ds_load_b128 v[115:118], v1 offset:624
	ds_load_b128 v[119:122], v1 offset:640
	s_waitcnt lgkmcnt(1)
	v_fma_f64 v[10:11], v[105:106], v[115:116], v[10:11]
	scratch_load_b128 v[103:106], off, off offset:328
	s_waitcnt vmcnt(4)
	v_fma_f64 v[10:11], v[107:108], v[117:118], v[10:11]
	s_waitcnt lgkmcnt(0)
	s_delay_alu instid0(VALU_DEP_1)
	v_fma_f64 v[10:11], v[109:110], v[119:120], v[10:11]
	scratch_load_b128 v[107:110], off, off offset:344
	s_waitcnt vmcnt(4)
	v_fma_f64 v[10:11], v[111:112], v[121:122], v[10:11]
	ds_load_b128 v[115:118], v1 offset:656
	ds_load_b128 v[119:122], v1 offset:672
	s_waitcnt lgkmcnt(1)
	v_fma_f64 v[10:11], v[113:114], v[115:116], v[10:11]
	s_waitcnt vmcnt(3)
	s_delay_alu instid0(VALU_DEP_1)
	v_fma_f64 v[10:11], v[123:124], v[117:118], v[10:11]
	ds_load_b128 v[111:114], v1 offset:688
	ds_load_b128 v[115:118], v1 offset:704
	s_waitcnt lgkmcnt(2)
	v_fma_f64 v[10:11], v[125:126], v[119:120], v[10:11]
	s_waitcnt vmcnt(2)
	s_delay_alu instid0(VALU_DEP_1) | instskip(SKIP_1) | instid1(VALU_DEP_1)
	v_fma_f64 v[6:7], v[6:7], v[121:122], v[10:11]
	s_waitcnt lgkmcnt(1)
	v_fma_f64 v[6:7], v[8:9], v[111:112], v[6:7]
	ds_load_b64 v[8:9], v1 offset:720
	s_waitcnt vmcnt(1)
	v_fma_f64 v[6:7], v[103:104], v[113:114], v[6:7]
	s_waitcnt lgkmcnt(1)
	s_delay_alu instid0(VALU_DEP_1) | instskip(SKIP_1) | instid1(VALU_DEP_1)
	v_fma_f64 v[6:7], v[105:106], v[115:116], v[6:7]
	s_waitcnt vmcnt(0)
	v_fma_f64 v[6:7], v[107:108], v[117:118], v[6:7]
	s_waitcnt lgkmcnt(0)
	s_delay_alu instid0(VALU_DEP_1) | instskip(NEXT) | instid1(VALU_DEP_1)
	v_fma_f64 v[6:7], v[109:110], v[8:9], v[6:7]
	v_add_f64 v[4:5], v[4:5], -v[6:7]
	scratch_store_b64 off, v[4:5], off offset:216
	v_cmpx_lt_u32_e32 26, v0
	s_cbranch_execz .LBB44_227
; %bb.226:
	scratch_load_b64 v[4:5], off, off offset:208
	v_mov_b32_e32 v2, v1
	scratch_store_b64 off, v[1:2], off offset:208
	s_waitcnt vmcnt(0)
	ds_store_b64 v3, v[4:5]
.LBB44_227:
	s_or_b32 exec_lo, exec_lo, s0
	s_waitcnt lgkmcnt(0)
	s_waitcnt_vscnt null, 0x0
	s_barrier
	buffer_gl0_inv
	s_clause 0x4
	scratch_load_b128 v[4:7], off, off offset:208
	scratch_load_b128 v[8:11], off, off offset:224
	;; [unrolled: 1-line block ×5, first 2 shown]
	ds_load_2addr_b64 v[115:118], v1 offset0:73 offset1:74
	ds_load_2addr_b64 v[119:122], v1 offset0:75 offset1:76
	scratch_load_b128 v[123:126], off, off offset:288
	s_mov_b32 s0, exec_lo
	s_waitcnt vmcnt(5) lgkmcnt(1)
	v_fma_f64 v[6:7], v[6:7], v[115:116], 0
	s_waitcnt vmcnt(4)
	s_delay_alu instid0(VALU_DEP_1) | instskip(SKIP_1) | instid1(VALU_DEP_1)
	v_fma_f64 v[6:7], v[8:9], v[117:118], v[6:7]
	s_waitcnt lgkmcnt(0)
	v_fma_f64 v[10:11], v[10:11], v[119:120], v[6:7]
	scratch_load_b128 v[6:9], off, off offset:304
	s_waitcnt vmcnt(4)
	v_fma_f64 v[10:11], v[103:104], v[121:122], v[10:11]
	ds_load_2addr_b64 v[115:118], v1 offset0:77 offset1:78
	ds_load_2addr_b64 v[119:122], v1 offset0:79 offset1:80
	s_waitcnt lgkmcnt(1)
	v_fma_f64 v[10:11], v[105:106], v[115:116], v[10:11]
	scratch_load_b128 v[103:106], off, off offset:320
	s_waitcnt vmcnt(4)
	v_fma_f64 v[10:11], v[107:108], v[117:118], v[10:11]
	s_waitcnt lgkmcnt(0)
	s_delay_alu instid0(VALU_DEP_1)
	v_fma_f64 v[10:11], v[109:110], v[119:120], v[10:11]
	scratch_load_b128 v[107:110], off, off offset:336
	s_waitcnt vmcnt(4)
	v_fma_f64 v[10:11], v[111:112], v[121:122], v[10:11]
	ds_load_2addr_b64 v[115:118], v1 offset0:81 offset1:82
	ds_load_2addr_b64 v[119:122], v1 offset0:83 offset1:84
	scratch_load_b64 v[127:128], off, off offset:352
	s_waitcnt lgkmcnt(1)
	v_fma_f64 v[10:11], v[113:114], v[115:116], v[10:11]
	s_waitcnt vmcnt(4)
	s_delay_alu instid0(VALU_DEP_1)
	v_fma_f64 v[10:11], v[123:124], v[117:118], v[10:11]
	ds_load_2addr_b64 v[111:114], v1 offset0:85 offset1:86
	ds_load_2addr_b64 v[115:118], v1 offset0:87 offset1:88
	s_waitcnt lgkmcnt(2)
	v_fma_f64 v[10:11], v[125:126], v[119:120], v[10:11]
	s_waitcnt vmcnt(3)
	s_delay_alu instid0(VALU_DEP_1) | instskip(SKIP_1) | instid1(VALU_DEP_1)
	v_fma_f64 v[6:7], v[6:7], v[121:122], v[10:11]
	s_waitcnt lgkmcnt(1)
	v_fma_f64 v[6:7], v[8:9], v[111:112], v[6:7]
	s_waitcnt vmcnt(2)
	s_delay_alu instid0(VALU_DEP_1) | instskip(SKIP_1) | instid1(VALU_DEP_1)
	v_fma_f64 v[6:7], v[103:104], v[113:114], v[6:7]
	s_waitcnt lgkmcnt(0)
	v_fma_f64 v[6:7], v[105:106], v[115:116], v[6:7]
	s_waitcnt vmcnt(1)
	s_delay_alu instid0(VALU_DEP_1) | instskip(SKIP_4) | instid1(VALU_DEP_1)
	v_fma_f64 v[10:11], v[107:108], v[117:118], v[6:7]
	ds_load_2addr_b64 v[6:9], v1 offset0:89 offset1:90
	s_waitcnt lgkmcnt(0)
	v_fma_f64 v[1:2], v[109:110], v[6:7], v[10:11]
	s_waitcnt vmcnt(0)
	v_fma_f64 v[1:2], v[127:128], v[8:9], v[1:2]
	s_delay_alu instid0(VALU_DEP_1)
	v_add_f64 v[1:2], v[4:5], -v[1:2]
	scratch_store_b64 off, v[1:2], off offset:208
	v_cmpx_lt_u32_e32 25, v0
	s_cbranch_execz .LBB44_229
; %bb.228:
	scratch_load_b64 v[1:2], off, off offset:200
	v_mov_b32_e32 v4, 0
	s_delay_alu instid0(VALU_DEP_1)
	v_mov_b32_e32 v5, v4
	scratch_store_b64 off, v[4:5], off offset:200
	s_waitcnt vmcnt(0)
	ds_store_b64 v3, v[1:2]
.LBB44_229:
	s_or_b32 exec_lo, exec_lo, s0
	s_waitcnt lgkmcnt(0)
	s_waitcnt_vscnt null, 0x0
	s_barrier
	buffer_gl0_inv
	s_clause 0x4
	scratch_load_b128 v[4:7], off, off offset:200
	scratch_load_b128 v[8:11], off, off offset:216
	;; [unrolled: 1-line block ×5, first 2 shown]
	v_mov_b32_e32 v1, 0
	ds_load_b128 v[115:118], v1 offset:576
	ds_load_b128 v[119:122], v1 offset:592
	scratch_load_b128 v[123:126], off, off offset:280
	s_mov_b32 s0, exec_lo
	s_waitcnt vmcnt(5) lgkmcnt(1)
	v_fma_f64 v[6:7], v[6:7], v[115:116], 0
	s_waitcnt vmcnt(4)
	s_delay_alu instid0(VALU_DEP_1) | instskip(SKIP_1) | instid1(VALU_DEP_1)
	v_fma_f64 v[6:7], v[8:9], v[117:118], v[6:7]
	s_waitcnt lgkmcnt(0)
	v_fma_f64 v[10:11], v[10:11], v[119:120], v[6:7]
	scratch_load_b128 v[6:9], off, off offset:296
	s_waitcnt vmcnt(4)
	v_fma_f64 v[10:11], v[103:104], v[121:122], v[10:11]
	ds_load_b128 v[115:118], v1 offset:608
	ds_load_b128 v[119:122], v1 offset:624
	s_waitcnt lgkmcnt(1)
	v_fma_f64 v[10:11], v[105:106], v[115:116], v[10:11]
	scratch_load_b128 v[103:106], off, off offset:312
	s_waitcnt vmcnt(4)
	v_fma_f64 v[10:11], v[107:108], v[117:118], v[10:11]
	s_waitcnt lgkmcnt(0)
	s_delay_alu instid0(VALU_DEP_1)
	v_fma_f64 v[10:11], v[109:110], v[119:120], v[10:11]
	scratch_load_b128 v[107:110], off, off offset:328
	s_waitcnt vmcnt(4)
	v_fma_f64 v[10:11], v[111:112], v[121:122], v[10:11]
	ds_load_b128 v[115:118], v1 offset:640
	ds_load_b128 v[119:122], v1 offset:656
	s_waitcnt lgkmcnt(1)
	v_fma_f64 v[10:11], v[113:114], v[115:116], v[10:11]
	scratch_load_b128 v[111:114], off, off offset:344
	s_waitcnt vmcnt(4)
	v_fma_f64 v[10:11], v[123:124], v[117:118], v[10:11]
	s_waitcnt lgkmcnt(0)
	s_delay_alu instid0(VALU_DEP_1) | instskip(SKIP_1) | instid1(VALU_DEP_1)
	v_fma_f64 v[10:11], v[125:126], v[119:120], v[10:11]
	s_waitcnt vmcnt(3)
	v_fma_f64 v[6:7], v[6:7], v[121:122], v[10:11]
	ds_load_b128 v[115:118], v1 offset:672
	ds_load_b128 v[119:122], v1 offset:688
	s_waitcnt lgkmcnt(1)
	v_fma_f64 v[6:7], v[8:9], v[115:116], v[6:7]
	s_waitcnt vmcnt(2)
	s_delay_alu instid0(VALU_DEP_1) | instskip(SKIP_1) | instid1(VALU_DEP_1)
	v_fma_f64 v[6:7], v[103:104], v[117:118], v[6:7]
	s_waitcnt lgkmcnt(0)
	v_fma_f64 v[6:7], v[105:106], v[119:120], v[6:7]
	s_waitcnt vmcnt(1)
	s_delay_alu instid0(VALU_DEP_1)
	v_fma_f64 v[10:11], v[107:108], v[121:122], v[6:7]
	ds_load_b128 v[6:9], v1 offset:704
	ds_load_b64 v[103:104], v1 offset:720
	s_waitcnt lgkmcnt(1)
	v_fma_f64 v[6:7], v[109:110], v[6:7], v[10:11]
	s_waitcnt vmcnt(0)
	s_delay_alu instid0(VALU_DEP_1) | instskip(SKIP_1) | instid1(VALU_DEP_1)
	v_fma_f64 v[6:7], v[111:112], v[8:9], v[6:7]
	s_waitcnt lgkmcnt(0)
	v_fma_f64 v[6:7], v[113:114], v[103:104], v[6:7]
	s_delay_alu instid0(VALU_DEP_1)
	v_add_f64 v[4:5], v[4:5], -v[6:7]
	scratch_store_b64 off, v[4:5], off offset:200
	v_cmpx_lt_u32_e32 24, v0
	s_cbranch_execz .LBB44_231
; %bb.230:
	scratch_load_b64 v[4:5], off, off offset:192
	v_mov_b32_e32 v2, v1
	scratch_store_b64 off, v[1:2], off offset:192
	s_waitcnt vmcnt(0)
	ds_store_b64 v3, v[4:5]
.LBB44_231:
	s_or_b32 exec_lo, exec_lo, s0
	s_waitcnt lgkmcnt(0)
	s_waitcnt_vscnt null, 0x0
	s_barrier
	buffer_gl0_inv
	s_clause 0x4
	scratch_load_b128 v[4:7], off, off offset:192
	scratch_load_b128 v[8:11], off, off offset:208
	scratch_load_b128 v[103:106], off, off offset:224
	scratch_load_b128 v[107:110], off, off offset:240
	scratch_load_b128 v[111:114], off, off offset:256
	ds_load_2addr_b64 v[115:118], v1 offset0:71 offset1:72
	ds_load_2addr_b64 v[119:122], v1 offset0:73 offset1:74
	scratch_load_b128 v[123:126], off, off offset:272
	s_mov_b32 s0, exec_lo
	s_waitcnt vmcnt(5) lgkmcnt(1)
	v_fma_f64 v[6:7], v[6:7], v[115:116], 0
	s_waitcnt vmcnt(4)
	s_delay_alu instid0(VALU_DEP_1) | instskip(SKIP_1) | instid1(VALU_DEP_1)
	v_fma_f64 v[6:7], v[8:9], v[117:118], v[6:7]
	s_waitcnt lgkmcnt(0)
	v_fma_f64 v[10:11], v[10:11], v[119:120], v[6:7]
	scratch_load_b128 v[6:9], off, off offset:288
	s_waitcnt vmcnt(4)
	v_fma_f64 v[10:11], v[103:104], v[121:122], v[10:11]
	ds_load_2addr_b64 v[115:118], v1 offset0:75 offset1:76
	ds_load_2addr_b64 v[119:122], v1 offset0:77 offset1:78
	s_waitcnt lgkmcnt(1)
	v_fma_f64 v[10:11], v[105:106], v[115:116], v[10:11]
	scratch_load_b128 v[103:106], off, off offset:304
	s_waitcnt vmcnt(4)
	v_fma_f64 v[10:11], v[107:108], v[117:118], v[10:11]
	s_waitcnt lgkmcnt(0)
	s_delay_alu instid0(VALU_DEP_1)
	v_fma_f64 v[10:11], v[109:110], v[119:120], v[10:11]
	scratch_load_b128 v[107:110], off, off offset:320
	s_waitcnt vmcnt(4)
	v_fma_f64 v[10:11], v[111:112], v[121:122], v[10:11]
	ds_load_2addr_b64 v[115:118], v1 offset0:79 offset1:80
	ds_load_2addr_b64 v[119:122], v1 offset0:81 offset1:82
	s_waitcnt lgkmcnt(1)
	v_fma_f64 v[10:11], v[113:114], v[115:116], v[10:11]
	scratch_load_b128 v[111:114], off, off offset:336
	s_waitcnt vmcnt(4)
	v_fma_f64 v[10:11], v[123:124], v[117:118], v[10:11]
	scratch_load_b64 v[123:124], off, off offset:352
	s_waitcnt lgkmcnt(0)
	v_fma_f64 v[10:11], v[125:126], v[119:120], v[10:11]
	s_waitcnt vmcnt(4)
	s_delay_alu instid0(VALU_DEP_1)
	v_fma_f64 v[6:7], v[6:7], v[121:122], v[10:11]
	ds_load_2addr_b64 v[115:118], v1 offset0:83 offset1:84
	ds_load_2addr_b64 v[119:122], v1 offset0:85 offset1:86
	s_waitcnt lgkmcnt(1)
	v_fma_f64 v[6:7], v[8:9], v[115:116], v[6:7]
	s_waitcnt vmcnt(3)
	s_delay_alu instid0(VALU_DEP_1) | instskip(SKIP_1) | instid1(VALU_DEP_1)
	v_fma_f64 v[6:7], v[103:104], v[117:118], v[6:7]
	s_waitcnt lgkmcnt(0)
	v_fma_f64 v[6:7], v[105:106], v[119:120], v[6:7]
	s_waitcnt vmcnt(2)
	s_delay_alu instid0(VALU_DEP_1)
	v_fma_f64 v[10:11], v[107:108], v[121:122], v[6:7]
	ds_load_2addr_b64 v[6:9], v1 offset0:87 offset1:88
	ds_load_2addr_b64 v[103:106], v1 offset0:89 offset1:90
	s_waitcnt lgkmcnt(1)
	v_fma_f64 v[1:2], v[109:110], v[6:7], v[10:11]
	s_waitcnt vmcnt(1)
	s_delay_alu instid0(VALU_DEP_1) | instskip(SKIP_1) | instid1(VALU_DEP_1)
	v_fma_f64 v[1:2], v[111:112], v[8:9], v[1:2]
	s_waitcnt lgkmcnt(0)
	v_fma_f64 v[1:2], v[113:114], v[103:104], v[1:2]
	s_waitcnt vmcnt(0)
	s_delay_alu instid0(VALU_DEP_1) | instskip(NEXT) | instid1(VALU_DEP_1)
	v_fma_f64 v[1:2], v[123:124], v[105:106], v[1:2]
	v_add_f64 v[1:2], v[4:5], -v[1:2]
	scratch_store_b64 off, v[1:2], off offset:192
	v_cmpx_lt_u32_e32 23, v0
	s_cbranch_execz .LBB44_233
; %bb.232:
	scratch_load_b64 v[1:2], off, off offset:184
	v_mov_b32_e32 v4, 0
	s_delay_alu instid0(VALU_DEP_1)
	v_mov_b32_e32 v5, v4
	scratch_store_b64 off, v[4:5], off offset:184
	s_waitcnt vmcnt(0)
	ds_store_b64 v3, v[1:2]
.LBB44_233:
	s_or_b32 exec_lo, exec_lo, s0
	s_waitcnt lgkmcnt(0)
	s_waitcnt_vscnt null, 0x0
	s_barrier
	buffer_gl0_inv
	s_clause 0x4
	scratch_load_b128 v[4:7], off, off offset:184
	scratch_load_b128 v[8:11], off, off offset:200
	;; [unrolled: 1-line block ×5, first 2 shown]
	v_mov_b32_e32 v1, 0
	ds_load_b128 v[115:118], v1 offset:560
	ds_load_b128 v[119:122], v1 offset:576
	scratch_load_b128 v[123:126], off, off offset:264
	s_mov_b32 s0, exec_lo
	s_waitcnt vmcnt(5) lgkmcnt(1)
	v_fma_f64 v[6:7], v[6:7], v[115:116], 0
	s_waitcnt vmcnt(4)
	s_delay_alu instid0(VALU_DEP_1) | instskip(SKIP_1) | instid1(VALU_DEP_1)
	v_fma_f64 v[6:7], v[8:9], v[117:118], v[6:7]
	s_waitcnt lgkmcnt(0)
	v_fma_f64 v[10:11], v[10:11], v[119:120], v[6:7]
	scratch_load_b128 v[6:9], off, off offset:280
	s_waitcnt vmcnt(4)
	v_fma_f64 v[10:11], v[103:104], v[121:122], v[10:11]
	ds_load_b128 v[115:118], v1 offset:592
	ds_load_b128 v[119:122], v1 offset:608
	s_waitcnt lgkmcnt(1)
	v_fma_f64 v[10:11], v[105:106], v[115:116], v[10:11]
	scratch_load_b128 v[103:106], off, off offset:296
	s_waitcnt vmcnt(4)
	v_fma_f64 v[10:11], v[107:108], v[117:118], v[10:11]
	s_waitcnt lgkmcnt(0)
	s_delay_alu instid0(VALU_DEP_1)
	v_fma_f64 v[10:11], v[109:110], v[119:120], v[10:11]
	scratch_load_b128 v[107:110], off, off offset:312
	s_waitcnt vmcnt(4)
	v_fma_f64 v[10:11], v[111:112], v[121:122], v[10:11]
	ds_load_b128 v[115:118], v1 offset:624
	ds_load_b128 v[119:122], v1 offset:640
	s_waitcnt lgkmcnt(1)
	v_fma_f64 v[10:11], v[113:114], v[115:116], v[10:11]
	scratch_load_b128 v[111:114], off, off offset:328
	s_waitcnt vmcnt(4)
	v_fma_f64 v[10:11], v[123:124], v[117:118], v[10:11]
	scratch_load_b128 v[115:118], off, off offset:344
	s_waitcnt lgkmcnt(0)
	v_fma_f64 v[10:11], v[125:126], v[119:120], v[10:11]
	s_waitcnt vmcnt(4)
	s_delay_alu instid0(VALU_DEP_1)
	v_fma_f64 v[6:7], v[6:7], v[121:122], v[10:11]
	ds_load_b128 v[119:122], v1 offset:656
	ds_load_b128 v[123:126], v1 offset:672
	s_waitcnt lgkmcnt(1)
	v_fma_f64 v[6:7], v[8:9], v[119:120], v[6:7]
	s_waitcnt vmcnt(3)
	s_delay_alu instid0(VALU_DEP_1) | instskip(SKIP_1) | instid1(VALU_DEP_1)
	v_fma_f64 v[6:7], v[103:104], v[121:122], v[6:7]
	s_waitcnt lgkmcnt(0)
	v_fma_f64 v[6:7], v[105:106], v[123:124], v[6:7]
	s_waitcnt vmcnt(2)
	s_delay_alu instid0(VALU_DEP_1)
	v_fma_f64 v[10:11], v[107:108], v[125:126], v[6:7]
	ds_load_b128 v[6:9], v1 offset:688
	ds_load_b128 v[103:106], v1 offset:704
	s_waitcnt lgkmcnt(1)
	v_fma_f64 v[6:7], v[109:110], v[6:7], v[10:11]
	s_waitcnt vmcnt(1)
	s_delay_alu instid0(VALU_DEP_1) | instskip(SKIP_4) | instid1(VALU_DEP_1)
	v_fma_f64 v[6:7], v[111:112], v[8:9], v[6:7]
	ds_load_b64 v[8:9], v1 offset:720
	s_waitcnt lgkmcnt(1)
	v_fma_f64 v[6:7], v[113:114], v[103:104], v[6:7]
	s_waitcnt vmcnt(0)
	v_fma_f64 v[6:7], v[115:116], v[105:106], v[6:7]
	s_waitcnt lgkmcnt(0)
	s_delay_alu instid0(VALU_DEP_1) | instskip(NEXT) | instid1(VALU_DEP_1)
	v_fma_f64 v[6:7], v[117:118], v[8:9], v[6:7]
	v_add_f64 v[4:5], v[4:5], -v[6:7]
	scratch_store_b64 off, v[4:5], off offset:184
	v_cmpx_lt_u32_e32 22, v0
	s_cbranch_execz .LBB44_235
; %bb.234:
	scratch_load_b64 v[4:5], off, off offset:176
	v_mov_b32_e32 v2, v1
	scratch_store_b64 off, v[1:2], off offset:176
	s_waitcnt vmcnt(0)
	ds_store_b64 v3, v[4:5]
.LBB44_235:
	s_or_b32 exec_lo, exec_lo, s0
	s_waitcnt lgkmcnt(0)
	s_waitcnt_vscnt null, 0x0
	s_barrier
	buffer_gl0_inv
	s_clause 0x4
	scratch_load_b128 v[4:7], off, off offset:176
	scratch_load_b128 v[8:11], off, off offset:192
	;; [unrolled: 1-line block ×5, first 2 shown]
	ds_load_2addr_b64 v[115:118], v1 offset0:69 offset1:70
	ds_load_2addr_b64 v[119:122], v1 offset0:71 offset1:72
	scratch_load_b128 v[123:126], off, off offset:256
	s_mov_b32 s0, exec_lo
	s_waitcnt vmcnt(5) lgkmcnt(1)
	v_fma_f64 v[6:7], v[6:7], v[115:116], 0
	s_waitcnt vmcnt(4)
	s_delay_alu instid0(VALU_DEP_1) | instskip(SKIP_1) | instid1(VALU_DEP_1)
	v_fma_f64 v[6:7], v[8:9], v[117:118], v[6:7]
	s_waitcnt lgkmcnt(0)
	v_fma_f64 v[10:11], v[10:11], v[119:120], v[6:7]
	scratch_load_b128 v[6:9], off, off offset:272
	s_waitcnt vmcnt(4)
	v_fma_f64 v[10:11], v[103:104], v[121:122], v[10:11]
	ds_load_2addr_b64 v[115:118], v1 offset0:73 offset1:74
	ds_load_2addr_b64 v[119:122], v1 offset0:75 offset1:76
	s_waitcnt lgkmcnt(1)
	v_fma_f64 v[10:11], v[105:106], v[115:116], v[10:11]
	scratch_load_b128 v[103:106], off, off offset:288
	s_waitcnt vmcnt(4)
	v_fma_f64 v[10:11], v[107:108], v[117:118], v[10:11]
	s_waitcnt lgkmcnt(0)
	s_delay_alu instid0(VALU_DEP_1)
	v_fma_f64 v[10:11], v[109:110], v[119:120], v[10:11]
	scratch_load_b128 v[107:110], off, off offset:304
	s_waitcnt vmcnt(4)
	v_fma_f64 v[10:11], v[111:112], v[121:122], v[10:11]
	ds_load_2addr_b64 v[115:118], v1 offset0:77 offset1:78
	ds_load_2addr_b64 v[119:122], v1 offset0:79 offset1:80
	s_waitcnt lgkmcnt(1)
	v_fma_f64 v[10:11], v[113:114], v[115:116], v[10:11]
	scratch_load_b128 v[111:114], off, off offset:320
	s_waitcnt vmcnt(4)
	v_fma_f64 v[10:11], v[123:124], v[117:118], v[10:11]
	scratch_load_b128 v[115:118], off, off offset:336
	s_waitcnt lgkmcnt(0)
	v_fma_f64 v[10:11], v[125:126], v[119:120], v[10:11]
	s_waitcnt vmcnt(4)
	s_delay_alu instid0(VALU_DEP_1)
	v_fma_f64 v[6:7], v[6:7], v[121:122], v[10:11]
	ds_load_2addr_b64 v[119:122], v1 offset0:81 offset1:82
	ds_load_2addr_b64 v[123:126], v1 offset0:83 offset1:84
	scratch_load_b64 v[10:11], off, off offset:352
	s_waitcnt lgkmcnt(1)
	v_fma_f64 v[6:7], v[8:9], v[119:120], v[6:7]
	s_waitcnt vmcnt(4)
	s_delay_alu instid0(VALU_DEP_1) | instskip(SKIP_1) | instid1(VALU_DEP_1)
	v_fma_f64 v[6:7], v[103:104], v[121:122], v[6:7]
	s_waitcnt lgkmcnt(0)
	v_fma_f64 v[6:7], v[105:106], v[123:124], v[6:7]
	s_waitcnt vmcnt(3)
	s_delay_alu instid0(VALU_DEP_1)
	v_fma_f64 v[107:108], v[107:108], v[125:126], v[6:7]
	ds_load_2addr_b64 v[6:9], v1 offset0:85 offset1:86
	ds_load_2addr_b64 v[103:106], v1 offset0:87 offset1:88
	s_waitcnt lgkmcnt(1)
	v_fma_f64 v[6:7], v[109:110], v[6:7], v[107:108]
	s_waitcnt vmcnt(2)
	s_delay_alu instid0(VALU_DEP_1) | instskip(SKIP_1) | instid1(VALU_DEP_1)
	v_fma_f64 v[6:7], v[111:112], v[8:9], v[6:7]
	s_waitcnt lgkmcnt(0)
	v_fma_f64 v[6:7], v[113:114], v[103:104], v[6:7]
	s_waitcnt vmcnt(1)
	s_delay_alu instid0(VALU_DEP_1) | instskip(SKIP_4) | instid1(VALU_DEP_1)
	v_fma_f64 v[103:104], v[115:116], v[105:106], v[6:7]
	ds_load_2addr_b64 v[6:9], v1 offset0:89 offset1:90
	s_waitcnt lgkmcnt(0)
	v_fma_f64 v[1:2], v[117:118], v[6:7], v[103:104]
	s_waitcnt vmcnt(0)
	v_fma_f64 v[1:2], v[10:11], v[8:9], v[1:2]
	s_delay_alu instid0(VALU_DEP_1)
	v_add_f64 v[1:2], v[4:5], -v[1:2]
	scratch_store_b64 off, v[1:2], off offset:176
	v_cmpx_lt_u32_e32 21, v0
	s_cbranch_execz .LBB44_237
; %bb.236:
	scratch_load_b64 v[1:2], off, off offset:168
	v_mov_b32_e32 v4, 0
	s_delay_alu instid0(VALU_DEP_1)
	v_mov_b32_e32 v5, v4
	scratch_store_b64 off, v[4:5], off offset:168
	s_waitcnt vmcnt(0)
	ds_store_b64 v3, v[1:2]
.LBB44_237:
	s_or_b32 exec_lo, exec_lo, s0
	s_waitcnt lgkmcnt(0)
	s_waitcnt_vscnt null, 0x0
	s_barrier
	buffer_gl0_inv
	s_clause 0x4
	scratch_load_b128 v[4:7], off, off offset:168
	scratch_load_b128 v[8:11], off, off offset:184
	;; [unrolled: 1-line block ×5, first 2 shown]
	v_mov_b32_e32 v1, 0
	ds_load_b128 v[115:118], v1 offset:544
	ds_load_b128 v[119:122], v1 offset:560
	scratch_load_b128 v[123:126], off, off offset:248
	s_mov_b32 s0, exec_lo
	s_waitcnt vmcnt(5) lgkmcnt(1)
	v_fma_f64 v[6:7], v[6:7], v[115:116], 0
	s_waitcnt vmcnt(4)
	s_delay_alu instid0(VALU_DEP_1) | instskip(SKIP_1) | instid1(VALU_DEP_1)
	v_fma_f64 v[6:7], v[8:9], v[117:118], v[6:7]
	s_waitcnt lgkmcnt(0)
	v_fma_f64 v[10:11], v[10:11], v[119:120], v[6:7]
	scratch_load_b128 v[6:9], off, off offset:264
	s_waitcnt vmcnt(4)
	v_fma_f64 v[10:11], v[103:104], v[121:122], v[10:11]
	ds_load_b128 v[115:118], v1 offset:576
	ds_load_b128 v[119:122], v1 offset:592
	s_waitcnt lgkmcnt(1)
	v_fma_f64 v[10:11], v[105:106], v[115:116], v[10:11]
	scratch_load_b128 v[103:106], off, off offset:280
	s_waitcnt vmcnt(4)
	v_fma_f64 v[10:11], v[107:108], v[117:118], v[10:11]
	s_waitcnt lgkmcnt(0)
	s_delay_alu instid0(VALU_DEP_1)
	v_fma_f64 v[10:11], v[109:110], v[119:120], v[10:11]
	scratch_load_b128 v[107:110], off, off offset:296
	s_waitcnt vmcnt(4)
	v_fma_f64 v[10:11], v[111:112], v[121:122], v[10:11]
	ds_load_b128 v[115:118], v1 offset:608
	ds_load_b128 v[119:122], v1 offset:624
	s_waitcnt lgkmcnt(1)
	v_fma_f64 v[10:11], v[113:114], v[115:116], v[10:11]
	scratch_load_b128 v[111:114], off, off offset:312
	s_waitcnt vmcnt(4)
	v_fma_f64 v[10:11], v[123:124], v[117:118], v[10:11]
	scratch_load_b128 v[115:118], off, off offset:328
	s_waitcnt lgkmcnt(0)
	v_fma_f64 v[10:11], v[125:126], v[119:120], v[10:11]
	s_waitcnt vmcnt(4)
	s_delay_alu instid0(VALU_DEP_1)
	v_fma_f64 v[6:7], v[6:7], v[121:122], v[10:11]
	ds_load_b128 v[119:122], v1 offset:640
	ds_load_b128 v[123:126], v1 offset:656
	s_waitcnt lgkmcnt(1)
	v_fma_f64 v[10:11], v[8:9], v[119:120], v[6:7]
	scratch_load_b128 v[6:9], off, off offset:344
	s_waitcnt vmcnt(4)
	v_fma_f64 v[10:11], v[103:104], v[121:122], v[10:11]
	s_waitcnt lgkmcnt(0)
	s_delay_alu instid0(VALU_DEP_1)
	v_fma_f64 v[10:11], v[105:106], v[123:124], v[10:11]
	ds_load_b128 v[103:106], v1 offset:672
	ds_load_b128 v[119:122], v1 offset:688
	s_waitcnt vmcnt(3)
	v_fma_f64 v[10:11], v[107:108], v[125:126], v[10:11]
	s_waitcnt lgkmcnt(1)
	s_delay_alu instid0(VALU_DEP_1) | instskip(SKIP_1) | instid1(VALU_DEP_1)
	v_fma_f64 v[10:11], v[109:110], v[103:104], v[10:11]
	s_waitcnt vmcnt(2)
	v_fma_f64 v[10:11], v[111:112], v[105:106], v[10:11]
	ds_load_b128 v[103:106], v1 offset:704
	ds_load_b64 v[107:108], v1 offset:720
	s_waitcnt lgkmcnt(2)
	v_fma_f64 v[10:11], v[113:114], v[119:120], v[10:11]
	s_waitcnt vmcnt(1)
	s_delay_alu instid0(VALU_DEP_1) | instskip(SKIP_1) | instid1(VALU_DEP_1)
	v_fma_f64 v[10:11], v[115:116], v[121:122], v[10:11]
	s_waitcnt lgkmcnt(1)
	v_fma_f64 v[10:11], v[117:118], v[103:104], v[10:11]
	s_waitcnt vmcnt(0)
	s_delay_alu instid0(VALU_DEP_1) | instskip(SKIP_1) | instid1(VALU_DEP_1)
	v_fma_f64 v[6:7], v[6:7], v[105:106], v[10:11]
	s_waitcnt lgkmcnt(0)
	v_fma_f64 v[6:7], v[8:9], v[107:108], v[6:7]
	s_delay_alu instid0(VALU_DEP_1)
	v_add_f64 v[4:5], v[4:5], -v[6:7]
	scratch_store_b64 off, v[4:5], off offset:168
	v_cmpx_lt_u32_e32 20, v0
	s_cbranch_execz .LBB44_239
; %bb.238:
	scratch_load_b64 v[4:5], off, off offset:160
	v_mov_b32_e32 v2, v1
	scratch_store_b64 off, v[1:2], off offset:160
	s_waitcnt vmcnt(0)
	ds_store_b64 v3, v[4:5]
.LBB44_239:
	s_or_b32 exec_lo, exec_lo, s0
	s_waitcnt lgkmcnt(0)
	s_waitcnt_vscnt null, 0x0
	s_barrier
	buffer_gl0_inv
	s_clause 0x4
	scratch_load_b128 v[4:7], off, off offset:160
	scratch_load_b128 v[8:11], off, off offset:176
	;; [unrolled: 1-line block ×5, first 2 shown]
	ds_load_2addr_b64 v[115:118], v1 offset0:67 offset1:68
	ds_load_2addr_b64 v[119:122], v1 offset0:69 offset1:70
	scratch_load_b128 v[123:126], off, off offset:240
	s_mov_b32 s0, exec_lo
	s_waitcnt vmcnt(5) lgkmcnt(1)
	v_fma_f64 v[6:7], v[6:7], v[115:116], 0
	s_waitcnt vmcnt(4)
	s_delay_alu instid0(VALU_DEP_1) | instskip(SKIP_1) | instid1(VALU_DEP_1)
	v_fma_f64 v[6:7], v[8:9], v[117:118], v[6:7]
	s_waitcnt lgkmcnt(0)
	v_fma_f64 v[10:11], v[10:11], v[119:120], v[6:7]
	scratch_load_b128 v[6:9], off, off offset:256
	s_waitcnt vmcnt(4)
	v_fma_f64 v[10:11], v[103:104], v[121:122], v[10:11]
	ds_load_2addr_b64 v[115:118], v1 offset0:71 offset1:72
	ds_load_2addr_b64 v[119:122], v1 offset0:73 offset1:74
	s_waitcnt lgkmcnt(1)
	v_fma_f64 v[10:11], v[105:106], v[115:116], v[10:11]
	scratch_load_b128 v[103:106], off, off offset:272
	s_waitcnt vmcnt(4)
	v_fma_f64 v[10:11], v[107:108], v[117:118], v[10:11]
	s_waitcnt lgkmcnt(0)
	s_delay_alu instid0(VALU_DEP_1)
	v_fma_f64 v[10:11], v[109:110], v[119:120], v[10:11]
	scratch_load_b128 v[107:110], off, off offset:288
	s_waitcnt vmcnt(4)
	v_fma_f64 v[10:11], v[111:112], v[121:122], v[10:11]
	ds_load_2addr_b64 v[115:118], v1 offset0:75 offset1:76
	ds_load_2addr_b64 v[119:122], v1 offset0:77 offset1:78
	s_waitcnt lgkmcnt(1)
	v_fma_f64 v[10:11], v[113:114], v[115:116], v[10:11]
	scratch_load_b128 v[111:114], off, off offset:304
	s_waitcnt vmcnt(4)
	v_fma_f64 v[10:11], v[123:124], v[117:118], v[10:11]
	scratch_load_b128 v[115:118], off, off offset:320
	s_waitcnt lgkmcnt(0)
	v_fma_f64 v[10:11], v[125:126], v[119:120], v[10:11]
	s_waitcnt vmcnt(4)
	s_delay_alu instid0(VALU_DEP_1)
	v_fma_f64 v[6:7], v[6:7], v[121:122], v[10:11]
	ds_load_2addr_b64 v[119:122], v1 offset0:79 offset1:80
	ds_load_2addr_b64 v[123:126], v1 offset0:81 offset1:82
	s_waitcnt lgkmcnt(1)
	v_fma_f64 v[10:11], v[8:9], v[119:120], v[6:7]
	scratch_load_b128 v[6:9], off, off offset:336
	s_waitcnt vmcnt(4)
	v_fma_f64 v[10:11], v[103:104], v[121:122], v[10:11]
	s_waitcnt lgkmcnt(0)
	s_delay_alu instid0(VALU_DEP_1)
	v_fma_f64 v[10:11], v[105:106], v[123:124], v[10:11]
	scratch_load_b64 v[123:124], off, off offset:352
	ds_load_2addr_b64 v[103:106], v1 offset0:83 offset1:84
	ds_load_2addr_b64 v[119:122], v1 offset0:85 offset1:86
	s_waitcnt vmcnt(4)
	v_fma_f64 v[10:11], v[107:108], v[125:126], v[10:11]
	s_waitcnt lgkmcnt(1)
	s_delay_alu instid0(VALU_DEP_1) | instskip(SKIP_1) | instid1(VALU_DEP_1)
	v_fma_f64 v[10:11], v[109:110], v[103:104], v[10:11]
	s_waitcnt vmcnt(3)
	v_fma_f64 v[10:11], v[111:112], v[105:106], v[10:11]
	ds_load_2addr_b64 v[103:106], v1 offset0:87 offset1:88
	ds_load_2addr_b64 v[107:110], v1 offset0:89 offset1:90
	s_waitcnt lgkmcnt(2)
	v_fma_f64 v[10:11], v[113:114], v[119:120], v[10:11]
	s_waitcnt vmcnt(2)
	s_delay_alu instid0(VALU_DEP_1) | instskip(SKIP_1) | instid1(VALU_DEP_1)
	v_fma_f64 v[10:11], v[115:116], v[121:122], v[10:11]
	s_waitcnt lgkmcnt(1)
	v_fma_f64 v[1:2], v[117:118], v[103:104], v[10:11]
	s_waitcnt vmcnt(1)
	s_delay_alu instid0(VALU_DEP_1) | instskip(SKIP_1) | instid1(VALU_DEP_1)
	v_fma_f64 v[1:2], v[6:7], v[105:106], v[1:2]
	s_waitcnt lgkmcnt(0)
	v_fma_f64 v[1:2], v[8:9], v[107:108], v[1:2]
	s_waitcnt vmcnt(0)
	s_delay_alu instid0(VALU_DEP_1) | instskip(NEXT) | instid1(VALU_DEP_1)
	v_fma_f64 v[1:2], v[123:124], v[109:110], v[1:2]
	v_add_f64 v[1:2], v[4:5], -v[1:2]
	scratch_store_b64 off, v[1:2], off offset:160
	v_cmpx_lt_u32_e32 19, v0
	s_cbranch_execz .LBB44_241
; %bb.240:
	scratch_load_b64 v[1:2], off, off offset:152
	v_mov_b32_e32 v4, 0
	s_delay_alu instid0(VALU_DEP_1)
	v_mov_b32_e32 v5, v4
	scratch_store_b64 off, v[4:5], off offset:152
	s_waitcnt vmcnt(0)
	ds_store_b64 v3, v[1:2]
.LBB44_241:
	s_or_b32 exec_lo, exec_lo, s0
	s_waitcnt lgkmcnt(0)
	s_waitcnt_vscnt null, 0x0
	s_barrier
	buffer_gl0_inv
	s_clause 0x4
	scratch_load_b128 v[4:7], off, off offset:152
	scratch_load_b128 v[8:11], off, off offset:168
	;; [unrolled: 1-line block ×5, first 2 shown]
	v_mov_b32_e32 v1, 0
	ds_load_b128 v[115:118], v1 offset:528
	ds_load_b128 v[119:122], v1 offset:544
	scratch_load_b128 v[123:126], off, off offset:232
	s_mov_b32 s0, exec_lo
	s_waitcnt vmcnt(5) lgkmcnt(1)
	v_fma_f64 v[6:7], v[6:7], v[115:116], 0
	s_waitcnt vmcnt(4)
	s_delay_alu instid0(VALU_DEP_1) | instskip(SKIP_1) | instid1(VALU_DEP_1)
	v_fma_f64 v[6:7], v[8:9], v[117:118], v[6:7]
	s_waitcnt lgkmcnt(0)
	v_fma_f64 v[10:11], v[10:11], v[119:120], v[6:7]
	scratch_load_b128 v[6:9], off, off offset:248
	s_waitcnt vmcnt(4)
	v_fma_f64 v[10:11], v[103:104], v[121:122], v[10:11]
	ds_load_b128 v[115:118], v1 offset:560
	ds_load_b128 v[119:122], v1 offset:576
	s_waitcnt lgkmcnt(1)
	v_fma_f64 v[10:11], v[105:106], v[115:116], v[10:11]
	scratch_load_b128 v[103:106], off, off offset:264
	s_waitcnt vmcnt(4)
	v_fma_f64 v[10:11], v[107:108], v[117:118], v[10:11]
	s_waitcnt lgkmcnt(0)
	s_delay_alu instid0(VALU_DEP_1)
	v_fma_f64 v[10:11], v[109:110], v[119:120], v[10:11]
	scratch_load_b128 v[107:110], off, off offset:280
	s_waitcnt vmcnt(4)
	v_fma_f64 v[10:11], v[111:112], v[121:122], v[10:11]
	ds_load_b128 v[115:118], v1 offset:592
	ds_load_b128 v[119:122], v1 offset:608
	s_waitcnt lgkmcnt(1)
	v_fma_f64 v[10:11], v[113:114], v[115:116], v[10:11]
	scratch_load_b128 v[111:114], off, off offset:296
	s_waitcnt vmcnt(4)
	v_fma_f64 v[10:11], v[123:124], v[117:118], v[10:11]
	scratch_load_b128 v[115:118], off, off offset:312
	s_waitcnt lgkmcnt(0)
	v_fma_f64 v[10:11], v[125:126], v[119:120], v[10:11]
	s_waitcnt vmcnt(4)
	s_delay_alu instid0(VALU_DEP_1)
	v_fma_f64 v[6:7], v[6:7], v[121:122], v[10:11]
	ds_load_b128 v[119:122], v1 offset:624
	ds_load_b128 v[123:126], v1 offset:640
	s_waitcnt lgkmcnt(1)
	v_fma_f64 v[10:11], v[8:9], v[119:120], v[6:7]
	scratch_load_b128 v[6:9], off, off offset:328
	s_waitcnt vmcnt(4)
	v_fma_f64 v[10:11], v[103:104], v[121:122], v[10:11]
	s_waitcnt lgkmcnt(0)
	s_delay_alu instid0(VALU_DEP_1)
	v_fma_f64 v[10:11], v[105:106], v[123:124], v[10:11]
	scratch_load_b128 v[103:106], off, off offset:344
	s_waitcnt vmcnt(4)
	v_fma_f64 v[10:11], v[107:108], v[125:126], v[10:11]
	ds_load_b128 v[119:122], v1 offset:656
	ds_load_b128 v[123:126], v1 offset:672
	s_waitcnt lgkmcnt(1)
	v_fma_f64 v[10:11], v[109:110], v[119:120], v[10:11]
	s_waitcnt vmcnt(3)
	s_delay_alu instid0(VALU_DEP_1) | instskip(SKIP_1) | instid1(VALU_DEP_1)
	v_fma_f64 v[10:11], v[111:112], v[121:122], v[10:11]
	s_waitcnt lgkmcnt(0)
	v_fma_f64 v[10:11], v[113:114], v[123:124], v[10:11]
	ds_load_b128 v[107:110], v1 offset:688
	ds_load_b128 v[111:114], v1 offset:704
	s_waitcnt vmcnt(2)
	v_fma_f64 v[10:11], v[115:116], v[125:126], v[10:11]
	s_waitcnt lgkmcnt(1)
	s_delay_alu instid0(VALU_DEP_1) | instskip(SKIP_1) | instid1(VALU_DEP_1)
	v_fma_f64 v[10:11], v[117:118], v[107:108], v[10:11]
	s_waitcnt vmcnt(1)
	v_fma_f64 v[6:7], v[6:7], v[109:110], v[10:11]
	s_waitcnt lgkmcnt(0)
	s_delay_alu instid0(VALU_DEP_1) | instskip(SKIP_4) | instid1(VALU_DEP_1)
	v_fma_f64 v[6:7], v[8:9], v[111:112], v[6:7]
	ds_load_b64 v[8:9], v1 offset:720
	s_waitcnt vmcnt(0)
	v_fma_f64 v[6:7], v[103:104], v[113:114], v[6:7]
	s_waitcnt lgkmcnt(0)
	v_fma_f64 v[6:7], v[105:106], v[8:9], v[6:7]
	s_delay_alu instid0(VALU_DEP_1)
	v_add_f64 v[4:5], v[4:5], -v[6:7]
	scratch_store_b64 off, v[4:5], off offset:152
	v_cmpx_lt_u32_e32 18, v0
	s_cbranch_execz .LBB44_243
; %bb.242:
	scratch_load_b64 v[4:5], off, off offset:144
	v_mov_b32_e32 v2, v1
	scratch_store_b64 off, v[1:2], off offset:144
	s_waitcnt vmcnt(0)
	ds_store_b64 v3, v[4:5]
.LBB44_243:
	s_or_b32 exec_lo, exec_lo, s0
	s_waitcnt lgkmcnt(0)
	s_waitcnt_vscnt null, 0x0
	s_barrier
	buffer_gl0_inv
	s_clause 0x4
	scratch_load_b128 v[4:7], off, off offset:144
	scratch_load_b128 v[8:11], off, off offset:160
	;; [unrolled: 1-line block ×5, first 2 shown]
	ds_load_2addr_b64 v[115:118], v1 offset0:65 offset1:66
	ds_load_2addr_b64 v[119:122], v1 offset0:67 offset1:68
	scratch_load_b128 v[123:126], off, off offset:224
	s_mov_b32 s0, exec_lo
	s_waitcnt vmcnt(5) lgkmcnt(1)
	v_fma_f64 v[6:7], v[6:7], v[115:116], 0
	s_waitcnt vmcnt(4)
	s_delay_alu instid0(VALU_DEP_1) | instskip(SKIP_1) | instid1(VALU_DEP_1)
	v_fma_f64 v[6:7], v[8:9], v[117:118], v[6:7]
	s_waitcnt lgkmcnt(0)
	v_fma_f64 v[10:11], v[10:11], v[119:120], v[6:7]
	scratch_load_b128 v[6:9], off, off offset:240
	s_waitcnt vmcnt(4)
	v_fma_f64 v[10:11], v[103:104], v[121:122], v[10:11]
	ds_load_2addr_b64 v[115:118], v1 offset0:69 offset1:70
	ds_load_2addr_b64 v[119:122], v1 offset0:71 offset1:72
	s_waitcnt lgkmcnt(1)
	v_fma_f64 v[10:11], v[105:106], v[115:116], v[10:11]
	scratch_load_b128 v[103:106], off, off offset:256
	s_waitcnt vmcnt(4)
	v_fma_f64 v[10:11], v[107:108], v[117:118], v[10:11]
	s_waitcnt lgkmcnt(0)
	s_delay_alu instid0(VALU_DEP_1)
	v_fma_f64 v[10:11], v[109:110], v[119:120], v[10:11]
	scratch_load_b128 v[107:110], off, off offset:272
	s_waitcnt vmcnt(4)
	v_fma_f64 v[10:11], v[111:112], v[121:122], v[10:11]
	ds_load_2addr_b64 v[115:118], v1 offset0:73 offset1:74
	ds_load_2addr_b64 v[119:122], v1 offset0:75 offset1:76
	s_waitcnt lgkmcnt(1)
	v_fma_f64 v[10:11], v[113:114], v[115:116], v[10:11]
	scratch_load_b128 v[111:114], off, off offset:288
	s_waitcnt vmcnt(4)
	v_fma_f64 v[10:11], v[123:124], v[117:118], v[10:11]
	scratch_load_b128 v[115:118], off, off offset:304
	s_waitcnt lgkmcnt(0)
	v_fma_f64 v[10:11], v[125:126], v[119:120], v[10:11]
	s_waitcnt vmcnt(4)
	s_delay_alu instid0(VALU_DEP_1)
	v_fma_f64 v[6:7], v[6:7], v[121:122], v[10:11]
	ds_load_2addr_b64 v[119:122], v1 offset0:77 offset1:78
	ds_load_2addr_b64 v[123:126], v1 offset0:79 offset1:80
	s_waitcnt lgkmcnt(1)
	v_fma_f64 v[10:11], v[8:9], v[119:120], v[6:7]
	scratch_load_b128 v[6:9], off, off offset:320
	s_waitcnt vmcnt(4)
	v_fma_f64 v[10:11], v[103:104], v[121:122], v[10:11]
	s_waitcnt lgkmcnt(0)
	s_delay_alu instid0(VALU_DEP_1)
	v_fma_f64 v[10:11], v[105:106], v[123:124], v[10:11]
	scratch_load_b128 v[103:106], off, off offset:336
	s_waitcnt vmcnt(4)
	v_fma_f64 v[10:11], v[107:108], v[125:126], v[10:11]
	ds_load_2addr_b64 v[119:122], v1 offset0:81 offset1:82
	ds_load_2addr_b64 v[123:126], v1 offset0:83 offset1:84
	s_waitcnt lgkmcnt(1)
	v_fma_f64 v[10:11], v[109:110], v[119:120], v[10:11]
	scratch_load_b64 v[119:120], off, off offset:352
	s_waitcnt vmcnt(4)
	v_fma_f64 v[10:11], v[111:112], v[121:122], v[10:11]
	s_waitcnt lgkmcnt(0)
	s_delay_alu instid0(VALU_DEP_1)
	v_fma_f64 v[10:11], v[113:114], v[123:124], v[10:11]
	ds_load_2addr_b64 v[107:110], v1 offset0:85 offset1:86
	ds_load_2addr_b64 v[111:114], v1 offset0:87 offset1:88
	s_waitcnt vmcnt(3)
	v_fma_f64 v[10:11], v[115:116], v[125:126], v[10:11]
	s_waitcnt lgkmcnt(1)
	s_delay_alu instid0(VALU_DEP_1) | instskip(SKIP_1) | instid1(VALU_DEP_1)
	v_fma_f64 v[10:11], v[117:118], v[107:108], v[10:11]
	s_waitcnt vmcnt(2)
	v_fma_f64 v[6:7], v[6:7], v[109:110], v[10:11]
	s_waitcnt lgkmcnt(0)
	s_delay_alu instid0(VALU_DEP_1) | instskip(SKIP_1) | instid1(VALU_DEP_1)
	v_fma_f64 v[6:7], v[8:9], v[111:112], v[6:7]
	s_waitcnt vmcnt(1)
	v_fma_f64 v[10:11], v[103:104], v[113:114], v[6:7]
	ds_load_2addr_b64 v[6:9], v1 offset0:89 offset1:90
	s_waitcnt lgkmcnt(0)
	v_fma_f64 v[1:2], v[105:106], v[6:7], v[10:11]
	s_waitcnt vmcnt(0)
	s_delay_alu instid0(VALU_DEP_1) | instskip(NEXT) | instid1(VALU_DEP_1)
	v_fma_f64 v[1:2], v[119:120], v[8:9], v[1:2]
	v_add_f64 v[1:2], v[4:5], -v[1:2]
	scratch_store_b64 off, v[1:2], off offset:144
	v_cmpx_lt_u32_e32 17, v0
	s_cbranch_execz .LBB44_245
; %bb.244:
	scratch_load_b64 v[1:2], off, off offset:136
	v_mov_b32_e32 v4, 0
	s_delay_alu instid0(VALU_DEP_1)
	v_mov_b32_e32 v5, v4
	scratch_store_b64 off, v[4:5], off offset:136
	s_waitcnt vmcnt(0)
	ds_store_b64 v3, v[1:2]
.LBB44_245:
	s_or_b32 exec_lo, exec_lo, s0
	s_waitcnt lgkmcnt(0)
	s_waitcnt_vscnt null, 0x0
	s_barrier
	buffer_gl0_inv
	s_clause 0x4
	scratch_load_b128 v[4:7], off, off offset:136
	scratch_load_b128 v[8:11], off, off offset:152
	;; [unrolled: 1-line block ×5, first 2 shown]
	v_mov_b32_e32 v1, 0
	ds_load_b128 v[115:118], v1 offset:512
	ds_load_b128 v[119:122], v1 offset:528
	scratch_load_b128 v[123:126], off, off offset:216
	s_mov_b32 s0, exec_lo
	s_waitcnt vmcnt(5) lgkmcnt(1)
	v_fma_f64 v[6:7], v[6:7], v[115:116], 0
	s_waitcnt vmcnt(4)
	s_delay_alu instid0(VALU_DEP_1) | instskip(SKIP_1) | instid1(VALU_DEP_1)
	v_fma_f64 v[6:7], v[8:9], v[117:118], v[6:7]
	s_waitcnt lgkmcnt(0)
	v_fma_f64 v[10:11], v[10:11], v[119:120], v[6:7]
	scratch_load_b128 v[6:9], off, off offset:232
	s_waitcnt vmcnt(4)
	v_fma_f64 v[10:11], v[103:104], v[121:122], v[10:11]
	ds_load_b128 v[115:118], v1 offset:544
	ds_load_b128 v[119:122], v1 offset:560
	s_waitcnt lgkmcnt(1)
	v_fma_f64 v[10:11], v[105:106], v[115:116], v[10:11]
	scratch_load_b128 v[103:106], off, off offset:248
	s_waitcnt vmcnt(4)
	v_fma_f64 v[10:11], v[107:108], v[117:118], v[10:11]
	s_waitcnt lgkmcnt(0)
	s_delay_alu instid0(VALU_DEP_1)
	v_fma_f64 v[10:11], v[109:110], v[119:120], v[10:11]
	scratch_load_b128 v[107:110], off, off offset:264
	s_waitcnt vmcnt(4)
	v_fma_f64 v[10:11], v[111:112], v[121:122], v[10:11]
	ds_load_b128 v[115:118], v1 offset:576
	ds_load_b128 v[119:122], v1 offset:592
	s_waitcnt lgkmcnt(1)
	v_fma_f64 v[10:11], v[113:114], v[115:116], v[10:11]
	scratch_load_b128 v[111:114], off, off offset:280
	s_waitcnt vmcnt(4)
	v_fma_f64 v[10:11], v[123:124], v[117:118], v[10:11]
	scratch_load_b128 v[115:118], off, off offset:296
	s_waitcnt lgkmcnt(0)
	v_fma_f64 v[10:11], v[125:126], v[119:120], v[10:11]
	s_waitcnt vmcnt(4)
	s_delay_alu instid0(VALU_DEP_1)
	v_fma_f64 v[6:7], v[6:7], v[121:122], v[10:11]
	ds_load_b128 v[119:122], v1 offset:608
	ds_load_b128 v[123:126], v1 offset:624
	s_waitcnt lgkmcnt(1)
	v_fma_f64 v[10:11], v[8:9], v[119:120], v[6:7]
	scratch_load_b128 v[6:9], off, off offset:312
	s_waitcnt vmcnt(4)
	v_fma_f64 v[10:11], v[103:104], v[121:122], v[10:11]
	s_waitcnt lgkmcnt(0)
	s_delay_alu instid0(VALU_DEP_1)
	v_fma_f64 v[10:11], v[105:106], v[123:124], v[10:11]
	scratch_load_b128 v[103:106], off, off offset:328
	s_waitcnt vmcnt(4)
	v_fma_f64 v[10:11], v[107:108], v[125:126], v[10:11]
	ds_load_b128 v[119:122], v1 offset:640
	ds_load_b128 v[123:126], v1 offset:656
	s_waitcnt lgkmcnt(1)
	v_fma_f64 v[10:11], v[109:110], v[119:120], v[10:11]
	scratch_load_b128 v[107:110], off, off offset:344
	s_waitcnt vmcnt(4)
	v_fma_f64 v[10:11], v[111:112], v[121:122], v[10:11]
	s_waitcnt lgkmcnt(0)
	s_delay_alu instid0(VALU_DEP_1)
	v_fma_f64 v[10:11], v[113:114], v[123:124], v[10:11]
	ds_load_b128 v[111:114], v1 offset:672
	ds_load_b128 v[119:122], v1 offset:688
	s_waitcnt vmcnt(3)
	v_fma_f64 v[10:11], v[115:116], v[125:126], v[10:11]
	s_waitcnt lgkmcnt(1)
	s_delay_alu instid0(VALU_DEP_1) | instskip(SKIP_1) | instid1(VALU_DEP_1)
	v_fma_f64 v[10:11], v[117:118], v[111:112], v[10:11]
	s_waitcnt vmcnt(2)
	v_fma_f64 v[6:7], v[6:7], v[113:114], v[10:11]
	s_waitcnt lgkmcnt(0)
	s_delay_alu instid0(VALU_DEP_1) | instskip(SKIP_1) | instid1(VALU_DEP_1)
	v_fma_f64 v[6:7], v[8:9], v[119:120], v[6:7]
	s_waitcnt vmcnt(1)
	v_fma_f64 v[10:11], v[103:104], v[121:122], v[6:7]
	ds_load_b128 v[6:9], v1 offset:704
	ds_load_b64 v[103:104], v1 offset:720
	s_waitcnt lgkmcnt(1)
	v_fma_f64 v[6:7], v[105:106], v[6:7], v[10:11]
	s_waitcnt vmcnt(0)
	s_delay_alu instid0(VALU_DEP_1) | instskip(SKIP_1) | instid1(VALU_DEP_1)
	v_fma_f64 v[6:7], v[107:108], v[8:9], v[6:7]
	s_waitcnt lgkmcnt(0)
	v_fma_f64 v[6:7], v[109:110], v[103:104], v[6:7]
	s_delay_alu instid0(VALU_DEP_1)
	v_add_f64 v[4:5], v[4:5], -v[6:7]
	scratch_store_b64 off, v[4:5], off offset:136
	v_cmpx_lt_u32_e32 16, v0
	s_cbranch_execz .LBB44_247
; %bb.246:
	scratch_load_b64 v[4:5], off, off offset:128
	v_mov_b32_e32 v2, v1
	scratch_store_b64 off, v[1:2], off offset:128
	s_waitcnt vmcnt(0)
	ds_store_b64 v3, v[4:5]
.LBB44_247:
	s_or_b32 exec_lo, exec_lo, s0
	s_waitcnt lgkmcnt(0)
	s_waitcnt_vscnt null, 0x0
	s_barrier
	buffer_gl0_inv
	s_clause 0x4
	scratch_load_b128 v[4:7], off, off offset:128
	scratch_load_b128 v[8:11], off, off offset:144
	;; [unrolled: 1-line block ×5, first 2 shown]
	ds_load_2addr_b64 v[115:118], v1 offset0:63 offset1:64
	ds_load_2addr_b64 v[119:122], v1 offset0:65 offset1:66
	scratch_load_b128 v[123:126], off, off offset:208
	s_mov_b32 s0, exec_lo
	s_waitcnt vmcnt(5) lgkmcnt(1)
	v_fma_f64 v[6:7], v[6:7], v[115:116], 0
	s_waitcnt vmcnt(4)
	s_delay_alu instid0(VALU_DEP_1) | instskip(SKIP_1) | instid1(VALU_DEP_1)
	v_fma_f64 v[6:7], v[8:9], v[117:118], v[6:7]
	s_waitcnt lgkmcnt(0)
	v_fma_f64 v[10:11], v[10:11], v[119:120], v[6:7]
	scratch_load_b128 v[6:9], off, off offset:224
	s_waitcnt vmcnt(4)
	v_fma_f64 v[10:11], v[103:104], v[121:122], v[10:11]
	ds_load_2addr_b64 v[115:118], v1 offset0:67 offset1:68
	ds_load_2addr_b64 v[119:122], v1 offset0:69 offset1:70
	s_waitcnt lgkmcnt(1)
	v_fma_f64 v[10:11], v[105:106], v[115:116], v[10:11]
	scratch_load_b128 v[103:106], off, off offset:240
	s_waitcnt vmcnt(4)
	v_fma_f64 v[10:11], v[107:108], v[117:118], v[10:11]
	s_waitcnt lgkmcnt(0)
	s_delay_alu instid0(VALU_DEP_1)
	v_fma_f64 v[10:11], v[109:110], v[119:120], v[10:11]
	scratch_load_b128 v[107:110], off, off offset:256
	s_waitcnt vmcnt(4)
	v_fma_f64 v[10:11], v[111:112], v[121:122], v[10:11]
	ds_load_2addr_b64 v[115:118], v1 offset0:71 offset1:72
	ds_load_2addr_b64 v[119:122], v1 offset0:73 offset1:74
	s_waitcnt lgkmcnt(1)
	v_fma_f64 v[10:11], v[113:114], v[115:116], v[10:11]
	scratch_load_b128 v[111:114], off, off offset:272
	s_waitcnt vmcnt(4)
	v_fma_f64 v[10:11], v[123:124], v[117:118], v[10:11]
	scratch_load_b128 v[115:118], off, off offset:288
	s_waitcnt lgkmcnt(0)
	v_fma_f64 v[10:11], v[125:126], v[119:120], v[10:11]
	s_waitcnt vmcnt(4)
	s_delay_alu instid0(VALU_DEP_1)
	v_fma_f64 v[6:7], v[6:7], v[121:122], v[10:11]
	ds_load_2addr_b64 v[119:122], v1 offset0:75 offset1:76
	ds_load_2addr_b64 v[123:126], v1 offset0:77 offset1:78
	s_waitcnt lgkmcnt(1)
	v_fma_f64 v[10:11], v[8:9], v[119:120], v[6:7]
	scratch_load_b128 v[6:9], off, off offset:304
	s_waitcnt vmcnt(4)
	v_fma_f64 v[10:11], v[103:104], v[121:122], v[10:11]
	s_waitcnt lgkmcnt(0)
	s_delay_alu instid0(VALU_DEP_1)
	v_fma_f64 v[10:11], v[105:106], v[123:124], v[10:11]
	scratch_load_b128 v[103:106], off, off offset:320
	s_waitcnt vmcnt(4)
	v_fma_f64 v[10:11], v[107:108], v[125:126], v[10:11]
	ds_load_2addr_b64 v[119:122], v1 offset0:79 offset1:80
	ds_load_2addr_b64 v[123:126], v1 offset0:81 offset1:82
	s_waitcnt lgkmcnt(1)
	v_fma_f64 v[10:11], v[109:110], v[119:120], v[10:11]
	scratch_load_b128 v[107:110], off, off offset:336
	s_waitcnt vmcnt(4)
	v_fma_f64 v[10:11], v[111:112], v[121:122], v[10:11]
	s_waitcnt lgkmcnt(0)
	s_delay_alu instid0(VALU_DEP_1)
	v_fma_f64 v[10:11], v[113:114], v[123:124], v[10:11]
	scratch_load_b64 v[123:124], off, off offset:352
	ds_load_2addr_b64 v[111:114], v1 offset0:83 offset1:84
	ds_load_2addr_b64 v[119:122], v1 offset0:85 offset1:86
	s_waitcnt vmcnt(4)
	v_fma_f64 v[10:11], v[115:116], v[125:126], v[10:11]
	s_waitcnt lgkmcnt(1)
	s_delay_alu instid0(VALU_DEP_1) | instskip(SKIP_1) | instid1(VALU_DEP_1)
	v_fma_f64 v[10:11], v[117:118], v[111:112], v[10:11]
	s_waitcnt vmcnt(3)
	v_fma_f64 v[6:7], v[6:7], v[113:114], v[10:11]
	s_waitcnt lgkmcnt(0)
	s_delay_alu instid0(VALU_DEP_1) | instskip(SKIP_1) | instid1(VALU_DEP_1)
	v_fma_f64 v[6:7], v[8:9], v[119:120], v[6:7]
	s_waitcnt vmcnt(2)
	v_fma_f64 v[10:11], v[103:104], v[121:122], v[6:7]
	ds_load_2addr_b64 v[6:9], v1 offset0:87 offset1:88
	ds_load_2addr_b64 v[111:114], v1 offset0:89 offset1:90
	s_waitcnt lgkmcnt(1)
	v_fma_f64 v[1:2], v[105:106], v[6:7], v[10:11]
	s_waitcnt vmcnt(1)
	s_delay_alu instid0(VALU_DEP_1) | instskip(SKIP_1) | instid1(VALU_DEP_1)
	v_fma_f64 v[1:2], v[107:108], v[8:9], v[1:2]
	s_waitcnt lgkmcnt(0)
	v_fma_f64 v[1:2], v[109:110], v[111:112], v[1:2]
	s_waitcnt vmcnt(0)
	s_delay_alu instid0(VALU_DEP_1) | instskip(NEXT) | instid1(VALU_DEP_1)
	v_fma_f64 v[1:2], v[123:124], v[113:114], v[1:2]
	v_add_f64 v[1:2], v[4:5], -v[1:2]
	scratch_store_b64 off, v[1:2], off offset:128
	v_cmpx_lt_u32_e32 15, v0
	s_cbranch_execz .LBB44_249
; %bb.248:
	scratch_load_b64 v[1:2], off, off offset:120
	v_mov_b32_e32 v4, 0
	s_delay_alu instid0(VALU_DEP_1)
	v_mov_b32_e32 v5, v4
	scratch_store_b64 off, v[4:5], off offset:120
	s_waitcnt vmcnt(0)
	ds_store_b64 v3, v[1:2]
.LBB44_249:
	s_or_b32 exec_lo, exec_lo, s0
	s_waitcnt lgkmcnt(0)
	s_waitcnt_vscnt null, 0x0
	s_barrier
	buffer_gl0_inv
	s_clause 0x4
	scratch_load_b128 v[4:7], off, off offset:120
	scratch_load_b128 v[8:11], off, off offset:136
	;; [unrolled: 1-line block ×5, first 2 shown]
	v_mov_b32_e32 v1, 0
	ds_load_b128 v[115:118], v1 offset:496
	ds_load_b128 v[119:122], v1 offset:512
	scratch_load_b128 v[123:126], off, off offset:200
	s_mov_b32 s0, exec_lo
	s_waitcnt vmcnt(5) lgkmcnt(1)
	v_fma_f64 v[6:7], v[6:7], v[115:116], 0
	s_waitcnt vmcnt(4)
	s_delay_alu instid0(VALU_DEP_1) | instskip(SKIP_1) | instid1(VALU_DEP_1)
	v_fma_f64 v[6:7], v[8:9], v[117:118], v[6:7]
	s_waitcnt lgkmcnt(0)
	v_fma_f64 v[10:11], v[10:11], v[119:120], v[6:7]
	scratch_load_b128 v[6:9], off, off offset:216
	s_waitcnt vmcnt(4)
	v_fma_f64 v[10:11], v[103:104], v[121:122], v[10:11]
	ds_load_b128 v[115:118], v1 offset:528
	ds_load_b128 v[119:122], v1 offset:544
	s_waitcnt lgkmcnt(1)
	v_fma_f64 v[10:11], v[105:106], v[115:116], v[10:11]
	scratch_load_b128 v[103:106], off, off offset:232
	s_waitcnt vmcnt(4)
	v_fma_f64 v[10:11], v[107:108], v[117:118], v[10:11]
	s_waitcnt lgkmcnt(0)
	s_delay_alu instid0(VALU_DEP_1)
	v_fma_f64 v[10:11], v[109:110], v[119:120], v[10:11]
	scratch_load_b128 v[107:110], off, off offset:248
	s_waitcnt vmcnt(4)
	v_fma_f64 v[10:11], v[111:112], v[121:122], v[10:11]
	ds_load_b128 v[115:118], v1 offset:560
	ds_load_b128 v[119:122], v1 offset:576
	s_waitcnt lgkmcnt(1)
	v_fma_f64 v[10:11], v[113:114], v[115:116], v[10:11]
	scratch_load_b128 v[111:114], off, off offset:264
	s_waitcnt vmcnt(4)
	v_fma_f64 v[10:11], v[123:124], v[117:118], v[10:11]
	scratch_load_b128 v[115:118], off, off offset:280
	s_waitcnt lgkmcnt(0)
	v_fma_f64 v[10:11], v[125:126], v[119:120], v[10:11]
	s_waitcnt vmcnt(4)
	s_delay_alu instid0(VALU_DEP_1)
	v_fma_f64 v[6:7], v[6:7], v[121:122], v[10:11]
	ds_load_b128 v[119:122], v1 offset:592
	ds_load_b128 v[123:126], v1 offset:608
	s_waitcnt lgkmcnt(1)
	v_fma_f64 v[10:11], v[8:9], v[119:120], v[6:7]
	scratch_load_b128 v[6:9], off, off offset:296
	s_waitcnt vmcnt(4)
	v_fma_f64 v[10:11], v[103:104], v[121:122], v[10:11]
	s_waitcnt lgkmcnt(0)
	s_delay_alu instid0(VALU_DEP_1)
	v_fma_f64 v[10:11], v[105:106], v[123:124], v[10:11]
	scratch_load_b128 v[103:106], off, off offset:312
	s_waitcnt vmcnt(4)
	v_fma_f64 v[10:11], v[107:108], v[125:126], v[10:11]
	ds_load_b128 v[119:122], v1 offset:624
	ds_load_b128 v[123:126], v1 offset:640
	s_waitcnt lgkmcnt(1)
	v_fma_f64 v[10:11], v[109:110], v[119:120], v[10:11]
	scratch_load_b128 v[107:110], off, off offset:328
	s_waitcnt vmcnt(4)
	v_fma_f64 v[10:11], v[111:112], v[121:122], v[10:11]
	s_waitcnt lgkmcnt(0)
	s_delay_alu instid0(VALU_DEP_1)
	v_fma_f64 v[10:11], v[113:114], v[123:124], v[10:11]
	scratch_load_b128 v[111:114], off, off offset:344
	s_waitcnt vmcnt(4)
	v_fma_f64 v[10:11], v[115:116], v[125:126], v[10:11]
	ds_load_b128 v[119:122], v1 offset:656
	ds_load_b128 v[123:126], v1 offset:672
	s_waitcnt lgkmcnt(1)
	v_fma_f64 v[10:11], v[117:118], v[119:120], v[10:11]
	s_waitcnt vmcnt(3)
	s_delay_alu instid0(VALU_DEP_1) | instskip(SKIP_1) | instid1(VALU_DEP_1)
	v_fma_f64 v[6:7], v[6:7], v[121:122], v[10:11]
	s_waitcnt lgkmcnt(0)
	v_fma_f64 v[6:7], v[8:9], v[123:124], v[6:7]
	s_waitcnt vmcnt(2)
	s_delay_alu instid0(VALU_DEP_1)
	v_fma_f64 v[10:11], v[103:104], v[125:126], v[6:7]
	ds_load_b128 v[6:9], v1 offset:688
	ds_load_b128 v[115:118], v1 offset:704
	s_waitcnt lgkmcnt(1)
	v_fma_f64 v[6:7], v[105:106], v[6:7], v[10:11]
	s_waitcnt vmcnt(1)
	s_delay_alu instid0(VALU_DEP_1) | instskip(SKIP_4) | instid1(VALU_DEP_1)
	v_fma_f64 v[6:7], v[107:108], v[8:9], v[6:7]
	ds_load_b64 v[8:9], v1 offset:720
	s_waitcnt lgkmcnt(1)
	v_fma_f64 v[6:7], v[109:110], v[115:116], v[6:7]
	s_waitcnt vmcnt(0)
	v_fma_f64 v[6:7], v[111:112], v[117:118], v[6:7]
	s_waitcnt lgkmcnt(0)
	s_delay_alu instid0(VALU_DEP_1) | instskip(NEXT) | instid1(VALU_DEP_1)
	v_fma_f64 v[6:7], v[113:114], v[8:9], v[6:7]
	v_add_f64 v[4:5], v[4:5], -v[6:7]
	scratch_store_b64 off, v[4:5], off offset:120
	v_cmpx_lt_u32_e32 14, v0
	s_cbranch_execz .LBB44_251
; %bb.250:
	scratch_load_b64 v[4:5], off, off offset:112
	v_mov_b32_e32 v2, v1
	scratch_store_b64 off, v[1:2], off offset:112
	s_waitcnt vmcnt(0)
	ds_store_b64 v3, v[4:5]
.LBB44_251:
	s_or_b32 exec_lo, exec_lo, s0
	s_waitcnt lgkmcnt(0)
	s_waitcnt_vscnt null, 0x0
	s_barrier
	buffer_gl0_inv
	s_clause 0x4
	scratch_load_b128 v[4:7], off, off offset:112
	scratch_load_b128 v[8:11], off, off offset:128
	scratch_load_b128 v[103:106], off, off offset:144
	scratch_load_b128 v[107:110], off, off offset:160
	scratch_load_b128 v[111:114], off, off offset:176
	ds_load_2addr_b64 v[115:118], v1 offset0:61 offset1:62
	ds_load_2addr_b64 v[119:122], v1 offset0:63 offset1:64
	scratch_load_b128 v[123:126], off, off offset:192
	s_mov_b32 s0, exec_lo
	s_waitcnt vmcnt(5) lgkmcnt(1)
	v_fma_f64 v[6:7], v[6:7], v[115:116], 0
	s_waitcnt vmcnt(4)
	s_delay_alu instid0(VALU_DEP_1) | instskip(SKIP_1) | instid1(VALU_DEP_1)
	v_fma_f64 v[6:7], v[8:9], v[117:118], v[6:7]
	s_waitcnt lgkmcnt(0)
	v_fma_f64 v[10:11], v[10:11], v[119:120], v[6:7]
	scratch_load_b128 v[6:9], off, off offset:208
	s_waitcnt vmcnt(4)
	v_fma_f64 v[10:11], v[103:104], v[121:122], v[10:11]
	ds_load_2addr_b64 v[115:118], v1 offset0:65 offset1:66
	ds_load_2addr_b64 v[119:122], v1 offset0:67 offset1:68
	s_waitcnt lgkmcnt(1)
	v_fma_f64 v[10:11], v[105:106], v[115:116], v[10:11]
	scratch_load_b128 v[103:106], off, off offset:224
	s_waitcnt vmcnt(4)
	v_fma_f64 v[10:11], v[107:108], v[117:118], v[10:11]
	s_waitcnt lgkmcnt(0)
	s_delay_alu instid0(VALU_DEP_1)
	v_fma_f64 v[10:11], v[109:110], v[119:120], v[10:11]
	scratch_load_b128 v[107:110], off, off offset:240
	s_waitcnt vmcnt(4)
	v_fma_f64 v[10:11], v[111:112], v[121:122], v[10:11]
	ds_load_2addr_b64 v[115:118], v1 offset0:69 offset1:70
	ds_load_2addr_b64 v[119:122], v1 offset0:71 offset1:72
	s_waitcnt lgkmcnt(1)
	v_fma_f64 v[10:11], v[113:114], v[115:116], v[10:11]
	scratch_load_b128 v[111:114], off, off offset:256
	s_waitcnt vmcnt(4)
	v_fma_f64 v[10:11], v[123:124], v[117:118], v[10:11]
	scratch_load_b128 v[115:118], off, off offset:272
	s_waitcnt lgkmcnt(0)
	v_fma_f64 v[10:11], v[125:126], v[119:120], v[10:11]
	s_waitcnt vmcnt(4)
	s_delay_alu instid0(VALU_DEP_1)
	v_fma_f64 v[6:7], v[6:7], v[121:122], v[10:11]
	ds_load_2addr_b64 v[119:122], v1 offset0:73 offset1:74
	ds_load_2addr_b64 v[123:126], v1 offset0:75 offset1:76
	s_waitcnt lgkmcnt(1)
	v_fma_f64 v[10:11], v[8:9], v[119:120], v[6:7]
	scratch_load_b128 v[6:9], off, off offset:288
	s_waitcnt vmcnt(4)
	v_fma_f64 v[10:11], v[103:104], v[121:122], v[10:11]
	s_waitcnt lgkmcnt(0)
	s_delay_alu instid0(VALU_DEP_1)
	v_fma_f64 v[10:11], v[105:106], v[123:124], v[10:11]
	scratch_load_b128 v[103:106], off, off offset:304
	s_waitcnt vmcnt(4)
	v_fma_f64 v[10:11], v[107:108], v[125:126], v[10:11]
	ds_load_2addr_b64 v[119:122], v1 offset0:77 offset1:78
	ds_load_2addr_b64 v[123:126], v1 offset0:79 offset1:80
	s_waitcnt lgkmcnt(1)
	v_fma_f64 v[10:11], v[109:110], v[119:120], v[10:11]
	scratch_load_b128 v[107:110], off, off offset:320
	s_waitcnt vmcnt(4)
	v_fma_f64 v[10:11], v[111:112], v[121:122], v[10:11]
	s_waitcnt lgkmcnt(0)
	s_delay_alu instid0(VALU_DEP_1)
	v_fma_f64 v[10:11], v[113:114], v[123:124], v[10:11]
	scratch_load_b128 v[111:114], off, off offset:336
	s_waitcnt vmcnt(4)
	v_fma_f64 v[10:11], v[115:116], v[125:126], v[10:11]
	ds_load_2addr_b64 v[119:122], v1 offset0:81 offset1:82
	ds_load_2addr_b64 v[123:126], v1 offset0:83 offset1:84
	s_waitcnt lgkmcnt(1)
	v_fma_f64 v[10:11], v[117:118], v[119:120], v[10:11]
	scratch_load_b64 v[119:120], off, off offset:352
	s_waitcnt vmcnt(4)
	v_fma_f64 v[6:7], v[6:7], v[121:122], v[10:11]
	s_waitcnt lgkmcnt(0)
	s_delay_alu instid0(VALU_DEP_1) | instskip(SKIP_1) | instid1(VALU_DEP_1)
	v_fma_f64 v[6:7], v[8:9], v[123:124], v[6:7]
	s_waitcnt vmcnt(3)
	v_fma_f64 v[10:11], v[103:104], v[125:126], v[6:7]
	ds_load_2addr_b64 v[6:9], v1 offset0:85 offset1:86
	ds_load_2addr_b64 v[115:118], v1 offset0:87 offset1:88
	s_waitcnt lgkmcnt(1)
	v_fma_f64 v[6:7], v[105:106], v[6:7], v[10:11]
	s_waitcnt vmcnt(2)
	s_delay_alu instid0(VALU_DEP_1) | instskip(SKIP_1) | instid1(VALU_DEP_1)
	v_fma_f64 v[6:7], v[107:108], v[8:9], v[6:7]
	s_waitcnt lgkmcnt(0)
	v_fma_f64 v[6:7], v[109:110], v[115:116], v[6:7]
	s_waitcnt vmcnt(1)
	s_delay_alu instid0(VALU_DEP_1) | instskip(SKIP_4) | instid1(VALU_DEP_1)
	v_fma_f64 v[10:11], v[111:112], v[117:118], v[6:7]
	ds_load_2addr_b64 v[6:9], v1 offset0:89 offset1:90
	s_waitcnt lgkmcnt(0)
	v_fma_f64 v[1:2], v[113:114], v[6:7], v[10:11]
	s_waitcnt vmcnt(0)
	v_fma_f64 v[1:2], v[119:120], v[8:9], v[1:2]
	s_delay_alu instid0(VALU_DEP_1)
	v_add_f64 v[1:2], v[4:5], -v[1:2]
	scratch_store_b64 off, v[1:2], off offset:112
	v_cmpx_lt_u32_e32 13, v0
	s_cbranch_execz .LBB44_253
; %bb.252:
	scratch_load_b64 v[1:2], off, off offset:104
	v_mov_b32_e32 v4, 0
	s_delay_alu instid0(VALU_DEP_1)
	v_mov_b32_e32 v5, v4
	scratch_store_b64 off, v[4:5], off offset:104
	s_waitcnt vmcnt(0)
	ds_store_b64 v3, v[1:2]
.LBB44_253:
	s_or_b32 exec_lo, exec_lo, s0
	s_waitcnt lgkmcnt(0)
	s_waitcnt_vscnt null, 0x0
	s_barrier
	buffer_gl0_inv
	s_clause 0x4
	scratch_load_b128 v[4:7], off, off offset:104
	scratch_load_b128 v[8:11], off, off offset:120
	;; [unrolled: 1-line block ×5, first 2 shown]
	v_mov_b32_e32 v1, 0
	ds_load_b128 v[115:118], v1 offset:480
	ds_load_b128 v[119:122], v1 offset:496
	scratch_load_b128 v[123:126], off, off offset:184
	s_mov_b32 s0, exec_lo
	s_waitcnt vmcnt(5) lgkmcnt(1)
	v_fma_f64 v[6:7], v[6:7], v[115:116], 0
	s_waitcnt vmcnt(4)
	s_delay_alu instid0(VALU_DEP_1) | instskip(SKIP_1) | instid1(VALU_DEP_1)
	v_fma_f64 v[6:7], v[8:9], v[117:118], v[6:7]
	s_waitcnt lgkmcnt(0)
	v_fma_f64 v[10:11], v[10:11], v[119:120], v[6:7]
	scratch_load_b128 v[6:9], off, off offset:200
	s_waitcnt vmcnt(4)
	v_fma_f64 v[10:11], v[103:104], v[121:122], v[10:11]
	ds_load_b128 v[115:118], v1 offset:512
	ds_load_b128 v[119:122], v1 offset:528
	s_waitcnt lgkmcnt(1)
	v_fma_f64 v[10:11], v[105:106], v[115:116], v[10:11]
	scratch_load_b128 v[103:106], off, off offset:216
	s_waitcnt vmcnt(4)
	v_fma_f64 v[10:11], v[107:108], v[117:118], v[10:11]
	s_waitcnt lgkmcnt(0)
	s_delay_alu instid0(VALU_DEP_1)
	v_fma_f64 v[10:11], v[109:110], v[119:120], v[10:11]
	scratch_load_b128 v[107:110], off, off offset:232
	s_waitcnt vmcnt(4)
	v_fma_f64 v[10:11], v[111:112], v[121:122], v[10:11]
	ds_load_b128 v[115:118], v1 offset:544
	ds_load_b128 v[119:122], v1 offset:560
	s_waitcnt lgkmcnt(1)
	v_fma_f64 v[10:11], v[113:114], v[115:116], v[10:11]
	scratch_load_b128 v[111:114], off, off offset:248
	s_waitcnt vmcnt(4)
	v_fma_f64 v[10:11], v[123:124], v[117:118], v[10:11]
	scratch_load_b128 v[115:118], off, off offset:264
	s_waitcnt lgkmcnt(0)
	v_fma_f64 v[10:11], v[125:126], v[119:120], v[10:11]
	s_waitcnt vmcnt(4)
	s_delay_alu instid0(VALU_DEP_1)
	v_fma_f64 v[6:7], v[6:7], v[121:122], v[10:11]
	ds_load_b128 v[119:122], v1 offset:576
	ds_load_b128 v[123:126], v1 offset:592
	s_waitcnt lgkmcnt(1)
	v_fma_f64 v[10:11], v[8:9], v[119:120], v[6:7]
	scratch_load_b128 v[6:9], off, off offset:280
	s_waitcnt vmcnt(4)
	v_fma_f64 v[10:11], v[103:104], v[121:122], v[10:11]
	s_waitcnt lgkmcnt(0)
	s_delay_alu instid0(VALU_DEP_1)
	v_fma_f64 v[10:11], v[105:106], v[123:124], v[10:11]
	scratch_load_b128 v[103:106], off, off offset:296
	s_waitcnt vmcnt(4)
	v_fma_f64 v[10:11], v[107:108], v[125:126], v[10:11]
	ds_load_b128 v[119:122], v1 offset:608
	ds_load_b128 v[123:126], v1 offset:624
	s_waitcnt lgkmcnt(1)
	v_fma_f64 v[10:11], v[109:110], v[119:120], v[10:11]
	scratch_load_b128 v[107:110], off, off offset:312
	s_waitcnt vmcnt(4)
	v_fma_f64 v[10:11], v[111:112], v[121:122], v[10:11]
	s_waitcnt lgkmcnt(0)
	s_delay_alu instid0(VALU_DEP_1)
	v_fma_f64 v[10:11], v[113:114], v[123:124], v[10:11]
	scratch_load_b128 v[111:114], off, off offset:328
	s_waitcnt vmcnt(4)
	v_fma_f64 v[10:11], v[115:116], v[125:126], v[10:11]
	ds_load_b128 v[119:122], v1 offset:640
	ds_load_b128 v[123:126], v1 offset:656
	s_waitcnt lgkmcnt(1)
	v_fma_f64 v[10:11], v[117:118], v[119:120], v[10:11]
	scratch_load_b128 v[115:118], off, off offset:344
	s_waitcnt vmcnt(4)
	v_fma_f64 v[6:7], v[6:7], v[121:122], v[10:11]
	s_waitcnt lgkmcnt(0)
	s_delay_alu instid0(VALU_DEP_1) | instskip(SKIP_1) | instid1(VALU_DEP_1)
	v_fma_f64 v[6:7], v[8:9], v[123:124], v[6:7]
	s_waitcnt vmcnt(3)
	v_fma_f64 v[10:11], v[103:104], v[125:126], v[6:7]
	ds_load_b128 v[6:9], v1 offset:672
	ds_load_b128 v[119:122], v1 offset:688
	s_waitcnt lgkmcnt(1)
	v_fma_f64 v[6:7], v[105:106], v[6:7], v[10:11]
	s_waitcnt vmcnt(2)
	s_delay_alu instid0(VALU_DEP_1) | instskip(SKIP_1) | instid1(VALU_DEP_1)
	v_fma_f64 v[6:7], v[107:108], v[8:9], v[6:7]
	s_waitcnt lgkmcnt(0)
	v_fma_f64 v[6:7], v[109:110], v[119:120], v[6:7]
	s_waitcnt vmcnt(1)
	s_delay_alu instid0(VALU_DEP_1)
	v_fma_f64 v[10:11], v[111:112], v[121:122], v[6:7]
	ds_load_b128 v[6:9], v1 offset:704
	ds_load_b64 v[103:104], v1 offset:720
	s_waitcnt lgkmcnt(1)
	v_fma_f64 v[6:7], v[113:114], v[6:7], v[10:11]
	s_waitcnt vmcnt(0)
	s_delay_alu instid0(VALU_DEP_1) | instskip(SKIP_1) | instid1(VALU_DEP_1)
	v_fma_f64 v[6:7], v[115:116], v[8:9], v[6:7]
	s_waitcnt lgkmcnt(0)
	v_fma_f64 v[6:7], v[117:118], v[103:104], v[6:7]
	s_delay_alu instid0(VALU_DEP_1)
	v_add_f64 v[4:5], v[4:5], -v[6:7]
	scratch_store_b64 off, v[4:5], off offset:104
	v_cmpx_lt_u32_e32 12, v0
	s_cbranch_execz .LBB44_255
; %bb.254:
	scratch_load_b64 v[4:5], off, off offset:96
	v_mov_b32_e32 v2, v1
	scratch_store_b64 off, v[1:2], off offset:96
	s_waitcnt vmcnt(0)
	ds_store_b64 v3, v[4:5]
.LBB44_255:
	s_or_b32 exec_lo, exec_lo, s0
	s_waitcnt lgkmcnt(0)
	s_waitcnt_vscnt null, 0x0
	s_barrier
	buffer_gl0_inv
	s_clause 0x4
	scratch_load_b128 v[4:7], off, off offset:96
	scratch_load_b128 v[8:11], off, off offset:112
	;; [unrolled: 1-line block ×5, first 2 shown]
	ds_load_2addr_b64 v[115:118], v1 offset0:59 offset1:60
	ds_load_2addr_b64 v[119:122], v1 offset0:61 offset1:62
	scratch_load_b128 v[123:126], off, off offset:176
	s_mov_b32 s0, exec_lo
	s_waitcnt vmcnt(5) lgkmcnt(1)
	v_fma_f64 v[6:7], v[6:7], v[115:116], 0
	s_waitcnt vmcnt(4)
	s_delay_alu instid0(VALU_DEP_1) | instskip(SKIP_1) | instid1(VALU_DEP_1)
	v_fma_f64 v[6:7], v[8:9], v[117:118], v[6:7]
	s_waitcnt lgkmcnt(0)
	v_fma_f64 v[10:11], v[10:11], v[119:120], v[6:7]
	scratch_load_b128 v[6:9], off, off offset:192
	s_waitcnt vmcnt(4)
	v_fma_f64 v[10:11], v[103:104], v[121:122], v[10:11]
	ds_load_2addr_b64 v[115:118], v1 offset0:63 offset1:64
	ds_load_2addr_b64 v[119:122], v1 offset0:65 offset1:66
	s_waitcnt lgkmcnt(1)
	v_fma_f64 v[10:11], v[105:106], v[115:116], v[10:11]
	scratch_load_b128 v[103:106], off, off offset:208
	s_waitcnt vmcnt(4)
	v_fma_f64 v[10:11], v[107:108], v[117:118], v[10:11]
	s_waitcnt lgkmcnt(0)
	s_delay_alu instid0(VALU_DEP_1)
	v_fma_f64 v[10:11], v[109:110], v[119:120], v[10:11]
	scratch_load_b128 v[107:110], off, off offset:224
	s_waitcnt vmcnt(4)
	v_fma_f64 v[10:11], v[111:112], v[121:122], v[10:11]
	ds_load_2addr_b64 v[115:118], v1 offset0:67 offset1:68
	ds_load_2addr_b64 v[119:122], v1 offset0:69 offset1:70
	s_waitcnt lgkmcnt(1)
	v_fma_f64 v[10:11], v[113:114], v[115:116], v[10:11]
	scratch_load_b128 v[111:114], off, off offset:240
	s_waitcnt vmcnt(4)
	v_fma_f64 v[10:11], v[123:124], v[117:118], v[10:11]
	scratch_load_b128 v[115:118], off, off offset:256
	s_waitcnt lgkmcnt(0)
	v_fma_f64 v[10:11], v[125:126], v[119:120], v[10:11]
	s_waitcnt vmcnt(4)
	s_delay_alu instid0(VALU_DEP_1)
	v_fma_f64 v[6:7], v[6:7], v[121:122], v[10:11]
	ds_load_2addr_b64 v[119:122], v1 offset0:71 offset1:72
	ds_load_2addr_b64 v[123:126], v1 offset0:73 offset1:74
	s_waitcnt lgkmcnt(1)
	v_fma_f64 v[10:11], v[8:9], v[119:120], v[6:7]
	scratch_load_b128 v[6:9], off, off offset:272
	s_waitcnt vmcnt(4)
	v_fma_f64 v[10:11], v[103:104], v[121:122], v[10:11]
	s_waitcnt lgkmcnt(0)
	s_delay_alu instid0(VALU_DEP_1)
	v_fma_f64 v[10:11], v[105:106], v[123:124], v[10:11]
	scratch_load_b128 v[103:106], off, off offset:288
	s_waitcnt vmcnt(4)
	v_fma_f64 v[10:11], v[107:108], v[125:126], v[10:11]
	ds_load_2addr_b64 v[119:122], v1 offset0:75 offset1:76
	ds_load_2addr_b64 v[123:126], v1 offset0:77 offset1:78
	s_waitcnt lgkmcnt(1)
	v_fma_f64 v[10:11], v[109:110], v[119:120], v[10:11]
	scratch_load_b128 v[107:110], off, off offset:304
	s_waitcnt vmcnt(4)
	v_fma_f64 v[10:11], v[111:112], v[121:122], v[10:11]
	s_waitcnt lgkmcnt(0)
	s_delay_alu instid0(VALU_DEP_1)
	v_fma_f64 v[10:11], v[113:114], v[123:124], v[10:11]
	scratch_load_b128 v[111:114], off, off offset:320
	s_waitcnt vmcnt(4)
	v_fma_f64 v[10:11], v[115:116], v[125:126], v[10:11]
	ds_load_2addr_b64 v[119:122], v1 offset0:79 offset1:80
	ds_load_2addr_b64 v[123:126], v1 offset0:81 offset1:82
	s_waitcnt lgkmcnt(1)
	v_fma_f64 v[10:11], v[117:118], v[119:120], v[10:11]
	scratch_load_b128 v[115:118], off, off offset:336
	s_waitcnt vmcnt(4)
	v_fma_f64 v[6:7], v[6:7], v[121:122], v[10:11]
	scratch_load_b64 v[10:11], off, off offset:352
	s_waitcnt lgkmcnt(0)
	v_fma_f64 v[6:7], v[8:9], v[123:124], v[6:7]
	s_waitcnt vmcnt(4)
	s_delay_alu instid0(VALU_DEP_1)
	v_fma_f64 v[103:104], v[103:104], v[125:126], v[6:7]
	ds_load_2addr_b64 v[6:9], v1 offset0:83 offset1:84
	ds_load_2addr_b64 v[119:122], v1 offset0:85 offset1:86
	s_waitcnt lgkmcnt(1)
	v_fma_f64 v[6:7], v[105:106], v[6:7], v[103:104]
	s_waitcnt vmcnt(3)
	s_delay_alu instid0(VALU_DEP_1) | instskip(SKIP_1) | instid1(VALU_DEP_1)
	v_fma_f64 v[6:7], v[107:108], v[8:9], v[6:7]
	s_waitcnt lgkmcnt(0)
	v_fma_f64 v[6:7], v[109:110], v[119:120], v[6:7]
	s_waitcnt vmcnt(2)
	s_delay_alu instid0(VALU_DEP_1)
	v_fma_f64 v[107:108], v[111:112], v[121:122], v[6:7]
	ds_load_2addr_b64 v[6:9], v1 offset0:87 offset1:88
	ds_load_2addr_b64 v[103:106], v1 offset0:89 offset1:90
	s_waitcnt lgkmcnt(1)
	v_fma_f64 v[1:2], v[113:114], v[6:7], v[107:108]
	s_waitcnt vmcnt(1)
	s_delay_alu instid0(VALU_DEP_1) | instskip(SKIP_1) | instid1(VALU_DEP_1)
	v_fma_f64 v[1:2], v[115:116], v[8:9], v[1:2]
	s_waitcnt lgkmcnt(0)
	v_fma_f64 v[1:2], v[117:118], v[103:104], v[1:2]
	s_waitcnt vmcnt(0)
	s_delay_alu instid0(VALU_DEP_1) | instskip(NEXT) | instid1(VALU_DEP_1)
	v_fma_f64 v[1:2], v[10:11], v[105:106], v[1:2]
	v_add_f64 v[1:2], v[4:5], -v[1:2]
	scratch_store_b64 off, v[1:2], off offset:96
	v_cmpx_lt_u32_e32 11, v0
	s_cbranch_execz .LBB44_257
; %bb.256:
	scratch_load_b64 v[1:2], off, off offset:88
	v_mov_b32_e32 v4, 0
	s_delay_alu instid0(VALU_DEP_1)
	v_mov_b32_e32 v5, v4
	scratch_store_b64 off, v[4:5], off offset:88
	s_waitcnt vmcnt(0)
	ds_store_b64 v3, v[1:2]
.LBB44_257:
	s_or_b32 exec_lo, exec_lo, s0
	s_waitcnt lgkmcnt(0)
	s_waitcnt_vscnt null, 0x0
	s_barrier
	buffer_gl0_inv
	s_clause 0x4
	scratch_load_b128 v[4:7], off, off offset:88
	scratch_load_b128 v[8:11], off, off offset:104
	;; [unrolled: 1-line block ×5, first 2 shown]
	v_mov_b32_e32 v1, 0
	ds_load_b128 v[115:118], v1 offset:464
	ds_load_b128 v[119:122], v1 offset:480
	scratch_load_b128 v[123:126], off, off offset:168
	s_mov_b32 s0, exec_lo
	s_waitcnt vmcnt(5) lgkmcnt(1)
	v_fma_f64 v[6:7], v[6:7], v[115:116], 0
	s_waitcnt vmcnt(4)
	s_delay_alu instid0(VALU_DEP_1) | instskip(SKIP_1) | instid1(VALU_DEP_1)
	v_fma_f64 v[6:7], v[8:9], v[117:118], v[6:7]
	s_waitcnt lgkmcnt(0)
	v_fma_f64 v[10:11], v[10:11], v[119:120], v[6:7]
	scratch_load_b128 v[6:9], off, off offset:184
	s_waitcnt vmcnt(4)
	v_fma_f64 v[10:11], v[103:104], v[121:122], v[10:11]
	ds_load_b128 v[115:118], v1 offset:496
	ds_load_b128 v[119:122], v1 offset:512
	s_waitcnt lgkmcnt(1)
	v_fma_f64 v[10:11], v[105:106], v[115:116], v[10:11]
	scratch_load_b128 v[103:106], off, off offset:200
	s_waitcnt vmcnt(4)
	v_fma_f64 v[10:11], v[107:108], v[117:118], v[10:11]
	s_waitcnt lgkmcnt(0)
	s_delay_alu instid0(VALU_DEP_1)
	v_fma_f64 v[10:11], v[109:110], v[119:120], v[10:11]
	scratch_load_b128 v[107:110], off, off offset:216
	s_waitcnt vmcnt(4)
	v_fma_f64 v[10:11], v[111:112], v[121:122], v[10:11]
	ds_load_b128 v[115:118], v1 offset:528
	ds_load_b128 v[119:122], v1 offset:544
	s_waitcnt lgkmcnt(1)
	v_fma_f64 v[10:11], v[113:114], v[115:116], v[10:11]
	scratch_load_b128 v[111:114], off, off offset:232
	s_waitcnt vmcnt(4)
	v_fma_f64 v[10:11], v[123:124], v[117:118], v[10:11]
	scratch_load_b128 v[115:118], off, off offset:248
	s_waitcnt lgkmcnt(0)
	v_fma_f64 v[10:11], v[125:126], v[119:120], v[10:11]
	s_waitcnt vmcnt(4)
	s_delay_alu instid0(VALU_DEP_1)
	v_fma_f64 v[6:7], v[6:7], v[121:122], v[10:11]
	ds_load_b128 v[119:122], v1 offset:560
	ds_load_b128 v[123:126], v1 offset:576
	s_waitcnt lgkmcnt(1)
	v_fma_f64 v[10:11], v[8:9], v[119:120], v[6:7]
	scratch_load_b128 v[6:9], off, off offset:264
	s_waitcnt vmcnt(4)
	v_fma_f64 v[10:11], v[103:104], v[121:122], v[10:11]
	s_waitcnt lgkmcnt(0)
	s_delay_alu instid0(VALU_DEP_1)
	v_fma_f64 v[10:11], v[105:106], v[123:124], v[10:11]
	scratch_load_b128 v[103:106], off, off offset:280
	s_waitcnt vmcnt(4)
	v_fma_f64 v[10:11], v[107:108], v[125:126], v[10:11]
	ds_load_b128 v[119:122], v1 offset:592
	ds_load_b128 v[123:126], v1 offset:608
	s_waitcnt lgkmcnt(1)
	v_fma_f64 v[10:11], v[109:110], v[119:120], v[10:11]
	scratch_load_b128 v[107:110], off, off offset:296
	s_waitcnt vmcnt(4)
	v_fma_f64 v[10:11], v[111:112], v[121:122], v[10:11]
	s_waitcnt lgkmcnt(0)
	s_delay_alu instid0(VALU_DEP_1)
	v_fma_f64 v[10:11], v[113:114], v[123:124], v[10:11]
	scratch_load_b128 v[111:114], off, off offset:312
	s_waitcnt vmcnt(4)
	;; [unrolled: 13-line block ×3, first 2 shown]
	v_fma_f64 v[10:11], v[103:104], v[125:126], v[10:11]
	ds_load_b128 v[119:122], v1 offset:656
	ds_load_b128 v[123:126], v1 offset:672
	s_waitcnt lgkmcnt(1)
	v_fma_f64 v[10:11], v[105:106], v[119:120], v[10:11]
	s_waitcnt vmcnt(3)
	s_delay_alu instid0(VALU_DEP_1) | instskip(SKIP_1) | instid1(VALU_DEP_1)
	v_fma_f64 v[10:11], v[107:108], v[121:122], v[10:11]
	s_waitcnt lgkmcnt(0)
	v_fma_f64 v[10:11], v[109:110], v[123:124], v[10:11]
	ds_load_b128 v[103:106], v1 offset:688
	ds_load_b128 v[107:110], v1 offset:704
	s_waitcnt vmcnt(2)
	v_fma_f64 v[10:11], v[111:112], v[125:126], v[10:11]
	s_waitcnt lgkmcnt(1)
	s_delay_alu instid0(VALU_DEP_1) | instskip(SKIP_1) | instid1(VALU_DEP_1)
	v_fma_f64 v[10:11], v[113:114], v[103:104], v[10:11]
	s_waitcnt vmcnt(1)
	v_fma_f64 v[10:11], v[115:116], v[105:106], v[10:11]
	s_waitcnt lgkmcnt(0)
	s_delay_alu instid0(VALU_DEP_1) | instskip(SKIP_1) | instid1(VALU_DEP_1)
	v_fma_f64 v[10:11], v[117:118], v[107:108], v[10:11]
	s_waitcnt vmcnt(0)
	v_fma_f64 v[6:7], v[6:7], v[109:110], v[10:11]
	ds_load_b64 v[10:11], v1 offset:720
	s_waitcnt lgkmcnt(0)
	v_fma_f64 v[6:7], v[8:9], v[10:11], v[6:7]
	s_delay_alu instid0(VALU_DEP_1)
	v_add_f64 v[4:5], v[4:5], -v[6:7]
	scratch_store_b64 off, v[4:5], off offset:88
	v_cmpx_lt_u32_e32 10, v0
	s_cbranch_execz .LBB44_259
; %bb.258:
	scratch_load_b64 v[4:5], off, off offset:80
	v_mov_b32_e32 v2, v1
	scratch_store_b64 off, v[1:2], off offset:80
	s_waitcnt vmcnt(0)
	ds_store_b64 v3, v[4:5]
.LBB44_259:
	s_or_b32 exec_lo, exec_lo, s0
	s_waitcnt lgkmcnt(0)
	s_waitcnt_vscnt null, 0x0
	s_barrier
	buffer_gl0_inv
	s_clause 0x4
	scratch_load_b128 v[4:7], off, off offset:80
	scratch_load_b128 v[8:11], off, off offset:96
	;; [unrolled: 1-line block ×5, first 2 shown]
	ds_load_2addr_b64 v[115:118], v1 offset0:57 offset1:58
	ds_load_2addr_b64 v[119:122], v1 offset0:59 offset1:60
	scratch_load_b128 v[123:126], off, off offset:160
	s_mov_b32 s0, exec_lo
	s_waitcnt vmcnt(5) lgkmcnt(1)
	v_fma_f64 v[6:7], v[6:7], v[115:116], 0
	s_waitcnt vmcnt(4)
	s_delay_alu instid0(VALU_DEP_1) | instskip(SKIP_1) | instid1(VALU_DEP_1)
	v_fma_f64 v[6:7], v[8:9], v[117:118], v[6:7]
	s_waitcnt lgkmcnt(0)
	v_fma_f64 v[10:11], v[10:11], v[119:120], v[6:7]
	scratch_load_b128 v[6:9], off, off offset:176
	s_waitcnt vmcnt(4)
	v_fma_f64 v[10:11], v[103:104], v[121:122], v[10:11]
	ds_load_2addr_b64 v[115:118], v1 offset0:61 offset1:62
	ds_load_2addr_b64 v[119:122], v1 offset0:63 offset1:64
	s_waitcnt lgkmcnt(1)
	v_fma_f64 v[10:11], v[105:106], v[115:116], v[10:11]
	scratch_load_b128 v[103:106], off, off offset:192
	s_waitcnt vmcnt(4)
	v_fma_f64 v[10:11], v[107:108], v[117:118], v[10:11]
	s_waitcnt lgkmcnt(0)
	s_delay_alu instid0(VALU_DEP_1)
	v_fma_f64 v[10:11], v[109:110], v[119:120], v[10:11]
	scratch_load_b128 v[107:110], off, off offset:208
	s_waitcnt vmcnt(4)
	v_fma_f64 v[10:11], v[111:112], v[121:122], v[10:11]
	ds_load_2addr_b64 v[115:118], v1 offset0:65 offset1:66
	ds_load_2addr_b64 v[119:122], v1 offset0:67 offset1:68
	s_waitcnt lgkmcnt(1)
	v_fma_f64 v[10:11], v[113:114], v[115:116], v[10:11]
	scratch_load_b128 v[111:114], off, off offset:224
	s_waitcnt vmcnt(4)
	v_fma_f64 v[10:11], v[123:124], v[117:118], v[10:11]
	scratch_load_b128 v[115:118], off, off offset:240
	s_waitcnt lgkmcnt(0)
	v_fma_f64 v[10:11], v[125:126], v[119:120], v[10:11]
	s_waitcnt vmcnt(4)
	s_delay_alu instid0(VALU_DEP_1)
	v_fma_f64 v[6:7], v[6:7], v[121:122], v[10:11]
	ds_load_2addr_b64 v[119:122], v1 offset0:69 offset1:70
	ds_load_2addr_b64 v[123:126], v1 offset0:71 offset1:72
	s_waitcnt lgkmcnt(1)
	v_fma_f64 v[10:11], v[8:9], v[119:120], v[6:7]
	scratch_load_b128 v[6:9], off, off offset:256
	s_waitcnt vmcnt(4)
	v_fma_f64 v[10:11], v[103:104], v[121:122], v[10:11]
	s_waitcnt lgkmcnt(0)
	s_delay_alu instid0(VALU_DEP_1)
	v_fma_f64 v[10:11], v[105:106], v[123:124], v[10:11]
	scratch_load_b128 v[103:106], off, off offset:272
	s_waitcnt vmcnt(4)
	v_fma_f64 v[10:11], v[107:108], v[125:126], v[10:11]
	ds_load_2addr_b64 v[119:122], v1 offset0:73 offset1:74
	ds_load_2addr_b64 v[123:126], v1 offset0:75 offset1:76
	s_waitcnt lgkmcnt(1)
	v_fma_f64 v[10:11], v[109:110], v[119:120], v[10:11]
	scratch_load_b128 v[107:110], off, off offset:288
	s_waitcnt vmcnt(4)
	v_fma_f64 v[10:11], v[111:112], v[121:122], v[10:11]
	s_waitcnt lgkmcnt(0)
	s_delay_alu instid0(VALU_DEP_1)
	v_fma_f64 v[10:11], v[113:114], v[123:124], v[10:11]
	scratch_load_b128 v[111:114], off, off offset:304
	s_waitcnt vmcnt(4)
	;; [unrolled: 13-line block ×3, first 2 shown]
	v_fma_f64 v[10:11], v[103:104], v[125:126], v[10:11]
	ds_load_2addr_b64 v[119:122], v1 offset0:81 offset1:82
	ds_load_2addr_b64 v[123:126], v1 offset0:83 offset1:84
	s_waitcnt lgkmcnt(1)
	v_fma_f64 v[10:11], v[105:106], v[119:120], v[10:11]
	scratch_load_b64 v[119:120], off, off offset:352
	s_waitcnt vmcnt(4)
	v_fma_f64 v[10:11], v[107:108], v[121:122], v[10:11]
	s_waitcnt lgkmcnt(0)
	s_delay_alu instid0(VALU_DEP_1)
	v_fma_f64 v[10:11], v[109:110], v[123:124], v[10:11]
	ds_load_2addr_b64 v[103:106], v1 offset0:85 offset1:86
	ds_load_2addr_b64 v[107:110], v1 offset0:87 offset1:88
	s_waitcnt vmcnt(3)
	v_fma_f64 v[10:11], v[111:112], v[125:126], v[10:11]
	s_waitcnt lgkmcnt(1)
	s_delay_alu instid0(VALU_DEP_1) | instskip(SKIP_1) | instid1(VALU_DEP_1)
	v_fma_f64 v[10:11], v[113:114], v[103:104], v[10:11]
	s_waitcnt vmcnt(2)
	v_fma_f64 v[10:11], v[115:116], v[105:106], v[10:11]
	ds_load_2addr_b64 v[103:106], v1 offset0:89 offset1:90
	s_waitcnt lgkmcnt(1)
	v_fma_f64 v[10:11], v[117:118], v[107:108], v[10:11]
	s_waitcnt vmcnt(1)
	s_delay_alu instid0(VALU_DEP_1) | instskip(SKIP_1) | instid1(VALU_DEP_1)
	v_fma_f64 v[6:7], v[6:7], v[109:110], v[10:11]
	s_waitcnt lgkmcnt(0)
	v_fma_f64 v[1:2], v[8:9], v[103:104], v[6:7]
	s_waitcnt vmcnt(0)
	s_delay_alu instid0(VALU_DEP_1) | instskip(NEXT) | instid1(VALU_DEP_1)
	v_fma_f64 v[1:2], v[119:120], v[105:106], v[1:2]
	v_add_f64 v[1:2], v[4:5], -v[1:2]
	scratch_store_b64 off, v[1:2], off offset:80
	v_cmpx_lt_u32_e32 9, v0
	s_cbranch_execz .LBB44_261
; %bb.260:
	scratch_load_b64 v[1:2], off, off offset:72
	v_mov_b32_e32 v4, 0
	s_delay_alu instid0(VALU_DEP_1)
	v_mov_b32_e32 v5, v4
	scratch_store_b64 off, v[4:5], off offset:72
	s_waitcnt vmcnt(0)
	ds_store_b64 v3, v[1:2]
.LBB44_261:
	s_or_b32 exec_lo, exec_lo, s0
	s_waitcnt lgkmcnt(0)
	s_waitcnt_vscnt null, 0x0
	s_barrier
	buffer_gl0_inv
	s_clause 0x4
	scratch_load_b128 v[4:7], off, off offset:72
	scratch_load_b128 v[8:11], off, off offset:88
	;; [unrolled: 1-line block ×5, first 2 shown]
	v_mov_b32_e32 v1, 0
	ds_load_b128 v[115:118], v1 offset:448
	ds_load_b128 v[119:122], v1 offset:464
	scratch_load_b128 v[123:126], off, off offset:152
	s_mov_b32 s0, exec_lo
	s_waitcnt vmcnt(5) lgkmcnt(1)
	v_fma_f64 v[6:7], v[6:7], v[115:116], 0
	s_waitcnt vmcnt(4)
	s_delay_alu instid0(VALU_DEP_1) | instskip(SKIP_1) | instid1(VALU_DEP_1)
	v_fma_f64 v[6:7], v[8:9], v[117:118], v[6:7]
	s_waitcnt lgkmcnt(0)
	v_fma_f64 v[10:11], v[10:11], v[119:120], v[6:7]
	scratch_load_b128 v[6:9], off, off offset:168
	s_waitcnt vmcnt(4)
	v_fma_f64 v[10:11], v[103:104], v[121:122], v[10:11]
	ds_load_b128 v[115:118], v1 offset:480
	ds_load_b128 v[119:122], v1 offset:496
	s_waitcnt lgkmcnt(1)
	v_fma_f64 v[10:11], v[105:106], v[115:116], v[10:11]
	scratch_load_b128 v[103:106], off, off offset:184
	s_waitcnt vmcnt(4)
	v_fma_f64 v[10:11], v[107:108], v[117:118], v[10:11]
	s_waitcnt lgkmcnt(0)
	s_delay_alu instid0(VALU_DEP_1)
	v_fma_f64 v[10:11], v[109:110], v[119:120], v[10:11]
	scratch_load_b128 v[107:110], off, off offset:200
	s_waitcnt vmcnt(4)
	v_fma_f64 v[10:11], v[111:112], v[121:122], v[10:11]
	ds_load_b128 v[115:118], v1 offset:512
	ds_load_b128 v[119:122], v1 offset:528
	s_waitcnt lgkmcnt(1)
	v_fma_f64 v[10:11], v[113:114], v[115:116], v[10:11]
	scratch_load_b128 v[111:114], off, off offset:216
	s_waitcnt vmcnt(4)
	v_fma_f64 v[10:11], v[123:124], v[117:118], v[10:11]
	scratch_load_b128 v[115:118], off, off offset:232
	s_waitcnt lgkmcnt(0)
	v_fma_f64 v[10:11], v[125:126], v[119:120], v[10:11]
	s_waitcnt vmcnt(4)
	s_delay_alu instid0(VALU_DEP_1)
	v_fma_f64 v[6:7], v[6:7], v[121:122], v[10:11]
	ds_load_b128 v[119:122], v1 offset:544
	ds_load_b128 v[123:126], v1 offset:560
	s_waitcnt lgkmcnt(1)
	v_fma_f64 v[10:11], v[8:9], v[119:120], v[6:7]
	scratch_load_b128 v[6:9], off, off offset:248
	s_waitcnt vmcnt(4)
	v_fma_f64 v[10:11], v[103:104], v[121:122], v[10:11]
	s_waitcnt lgkmcnt(0)
	s_delay_alu instid0(VALU_DEP_1)
	v_fma_f64 v[10:11], v[105:106], v[123:124], v[10:11]
	scratch_load_b128 v[103:106], off, off offset:264
	s_waitcnt vmcnt(4)
	v_fma_f64 v[10:11], v[107:108], v[125:126], v[10:11]
	ds_load_b128 v[119:122], v1 offset:576
	ds_load_b128 v[123:126], v1 offset:592
	s_waitcnt lgkmcnt(1)
	v_fma_f64 v[10:11], v[109:110], v[119:120], v[10:11]
	scratch_load_b128 v[107:110], off, off offset:280
	s_waitcnt vmcnt(4)
	v_fma_f64 v[10:11], v[111:112], v[121:122], v[10:11]
	s_waitcnt lgkmcnt(0)
	s_delay_alu instid0(VALU_DEP_1)
	v_fma_f64 v[10:11], v[113:114], v[123:124], v[10:11]
	scratch_load_b128 v[111:114], off, off offset:296
	s_waitcnt vmcnt(4)
	;; [unrolled: 13-line block ×3, first 2 shown]
	v_fma_f64 v[10:11], v[103:104], v[125:126], v[10:11]
	ds_load_b128 v[119:122], v1 offset:640
	ds_load_b128 v[123:126], v1 offset:656
	s_waitcnt lgkmcnt(1)
	v_fma_f64 v[10:11], v[105:106], v[119:120], v[10:11]
	scratch_load_b128 v[103:106], off, off offset:344
	s_waitcnt vmcnt(4)
	v_fma_f64 v[10:11], v[107:108], v[121:122], v[10:11]
	s_waitcnt lgkmcnt(0)
	s_delay_alu instid0(VALU_DEP_1)
	v_fma_f64 v[10:11], v[109:110], v[123:124], v[10:11]
	ds_load_b128 v[107:110], v1 offset:672
	ds_load_b128 v[119:122], v1 offset:688
	s_waitcnt vmcnt(3)
	v_fma_f64 v[10:11], v[111:112], v[125:126], v[10:11]
	s_waitcnt lgkmcnt(1)
	s_delay_alu instid0(VALU_DEP_1) | instskip(SKIP_1) | instid1(VALU_DEP_1)
	v_fma_f64 v[10:11], v[113:114], v[107:108], v[10:11]
	s_waitcnt vmcnt(2)
	v_fma_f64 v[10:11], v[115:116], v[109:110], v[10:11]
	s_waitcnt lgkmcnt(0)
	s_delay_alu instid0(VALU_DEP_1) | instskip(SKIP_1) | instid1(VALU_DEP_1)
	v_fma_f64 v[10:11], v[117:118], v[119:120], v[10:11]
	s_waitcnt vmcnt(1)
	v_fma_f64 v[6:7], v[6:7], v[121:122], v[10:11]
	ds_load_b128 v[107:110], v1 offset:704
	ds_load_b64 v[10:11], v1 offset:720
	s_waitcnt lgkmcnt(1)
	v_fma_f64 v[6:7], v[8:9], v[107:108], v[6:7]
	s_waitcnt vmcnt(0)
	s_delay_alu instid0(VALU_DEP_1) | instskip(SKIP_1) | instid1(VALU_DEP_1)
	v_fma_f64 v[6:7], v[103:104], v[109:110], v[6:7]
	s_waitcnt lgkmcnt(0)
	v_fma_f64 v[6:7], v[105:106], v[10:11], v[6:7]
	s_delay_alu instid0(VALU_DEP_1)
	v_add_f64 v[4:5], v[4:5], -v[6:7]
	scratch_store_b64 off, v[4:5], off offset:72
	v_cmpx_lt_u32_e32 8, v0
	s_cbranch_execz .LBB44_263
; %bb.262:
	scratch_load_b64 v[4:5], off, off offset:64
	v_mov_b32_e32 v2, v1
	scratch_store_b64 off, v[1:2], off offset:64
	s_waitcnt vmcnt(0)
	ds_store_b64 v3, v[4:5]
.LBB44_263:
	s_or_b32 exec_lo, exec_lo, s0
	s_waitcnt lgkmcnt(0)
	s_waitcnt_vscnt null, 0x0
	s_barrier
	buffer_gl0_inv
	s_clause 0x4
	scratch_load_b128 v[4:7], off, off offset:64
	scratch_load_b128 v[8:11], off, off offset:80
	;; [unrolled: 1-line block ×5, first 2 shown]
	ds_load_2addr_b64 v[115:118], v1 offset0:55 offset1:56
	ds_load_2addr_b64 v[119:122], v1 offset0:57 offset1:58
	scratch_load_b128 v[123:126], off, off offset:144
	s_mov_b32 s0, exec_lo
	s_waitcnt vmcnt(5) lgkmcnt(1)
	v_fma_f64 v[6:7], v[6:7], v[115:116], 0
	s_waitcnt vmcnt(4)
	s_delay_alu instid0(VALU_DEP_1) | instskip(SKIP_1) | instid1(VALU_DEP_1)
	v_fma_f64 v[6:7], v[8:9], v[117:118], v[6:7]
	s_waitcnt lgkmcnt(0)
	v_fma_f64 v[10:11], v[10:11], v[119:120], v[6:7]
	scratch_load_b128 v[6:9], off, off offset:160
	s_waitcnt vmcnt(4)
	v_fma_f64 v[10:11], v[103:104], v[121:122], v[10:11]
	ds_load_2addr_b64 v[115:118], v1 offset0:59 offset1:60
	ds_load_2addr_b64 v[119:122], v1 offset0:61 offset1:62
	s_waitcnt lgkmcnt(1)
	v_fma_f64 v[10:11], v[105:106], v[115:116], v[10:11]
	scratch_load_b128 v[103:106], off, off offset:176
	s_waitcnt vmcnt(4)
	v_fma_f64 v[10:11], v[107:108], v[117:118], v[10:11]
	s_waitcnt lgkmcnt(0)
	s_delay_alu instid0(VALU_DEP_1)
	v_fma_f64 v[10:11], v[109:110], v[119:120], v[10:11]
	scratch_load_b128 v[107:110], off, off offset:192
	s_waitcnt vmcnt(4)
	v_fma_f64 v[10:11], v[111:112], v[121:122], v[10:11]
	ds_load_2addr_b64 v[115:118], v1 offset0:63 offset1:64
	ds_load_2addr_b64 v[119:122], v1 offset0:65 offset1:66
	s_waitcnt lgkmcnt(1)
	v_fma_f64 v[10:11], v[113:114], v[115:116], v[10:11]
	scratch_load_b128 v[111:114], off, off offset:208
	s_waitcnt vmcnt(4)
	v_fma_f64 v[10:11], v[123:124], v[117:118], v[10:11]
	scratch_load_b128 v[115:118], off, off offset:224
	s_waitcnt lgkmcnt(0)
	v_fma_f64 v[10:11], v[125:126], v[119:120], v[10:11]
	s_waitcnt vmcnt(4)
	s_delay_alu instid0(VALU_DEP_1)
	v_fma_f64 v[6:7], v[6:7], v[121:122], v[10:11]
	ds_load_2addr_b64 v[119:122], v1 offset0:67 offset1:68
	ds_load_2addr_b64 v[123:126], v1 offset0:69 offset1:70
	s_waitcnt lgkmcnt(1)
	v_fma_f64 v[10:11], v[8:9], v[119:120], v[6:7]
	scratch_load_b128 v[6:9], off, off offset:240
	s_waitcnt vmcnt(4)
	v_fma_f64 v[10:11], v[103:104], v[121:122], v[10:11]
	s_waitcnt lgkmcnt(0)
	s_delay_alu instid0(VALU_DEP_1)
	v_fma_f64 v[10:11], v[105:106], v[123:124], v[10:11]
	scratch_load_b128 v[103:106], off, off offset:256
	s_waitcnt vmcnt(4)
	v_fma_f64 v[10:11], v[107:108], v[125:126], v[10:11]
	ds_load_2addr_b64 v[119:122], v1 offset0:71 offset1:72
	ds_load_2addr_b64 v[123:126], v1 offset0:73 offset1:74
	s_waitcnt lgkmcnt(1)
	v_fma_f64 v[10:11], v[109:110], v[119:120], v[10:11]
	scratch_load_b128 v[107:110], off, off offset:272
	s_waitcnt vmcnt(4)
	v_fma_f64 v[10:11], v[111:112], v[121:122], v[10:11]
	s_waitcnt lgkmcnt(0)
	s_delay_alu instid0(VALU_DEP_1)
	v_fma_f64 v[10:11], v[113:114], v[123:124], v[10:11]
	scratch_load_b128 v[111:114], off, off offset:288
	s_waitcnt vmcnt(4)
	;; [unrolled: 13-line block ×3, first 2 shown]
	v_fma_f64 v[10:11], v[103:104], v[125:126], v[10:11]
	ds_load_2addr_b64 v[119:122], v1 offset0:79 offset1:80
	ds_load_2addr_b64 v[123:126], v1 offset0:81 offset1:82
	s_waitcnt lgkmcnt(1)
	v_fma_f64 v[10:11], v[105:106], v[119:120], v[10:11]
	scratch_load_b128 v[103:106], off, off offset:336
	s_waitcnt vmcnt(4)
	v_fma_f64 v[10:11], v[107:108], v[121:122], v[10:11]
	s_waitcnt lgkmcnt(0)
	s_delay_alu instid0(VALU_DEP_1)
	v_fma_f64 v[10:11], v[109:110], v[123:124], v[10:11]
	scratch_load_b64 v[123:124], off, off offset:352
	ds_load_2addr_b64 v[107:110], v1 offset0:83 offset1:84
	ds_load_2addr_b64 v[119:122], v1 offset0:85 offset1:86
	s_waitcnt vmcnt(4)
	v_fma_f64 v[10:11], v[111:112], v[125:126], v[10:11]
	s_waitcnt lgkmcnt(1)
	s_delay_alu instid0(VALU_DEP_1) | instskip(SKIP_1) | instid1(VALU_DEP_1)
	v_fma_f64 v[10:11], v[113:114], v[107:108], v[10:11]
	s_waitcnt vmcnt(3)
	v_fma_f64 v[10:11], v[115:116], v[109:110], v[10:11]
	ds_load_2addr_b64 v[107:110], v1 offset0:87 offset1:88
	ds_load_2addr_b64 v[111:114], v1 offset0:89 offset1:90
	s_waitcnt lgkmcnt(2)
	v_fma_f64 v[10:11], v[117:118], v[119:120], v[10:11]
	s_waitcnt vmcnt(2)
	s_delay_alu instid0(VALU_DEP_1) | instskip(SKIP_1) | instid1(VALU_DEP_1)
	v_fma_f64 v[6:7], v[6:7], v[121:122], v[10:11]
	s_waitcnt lgkmcnt(1)
	v_fma_f64 v[1:2], v[8:9], v[107:108], v[6:7]
	s_waitcnt vmcnt(1)
	s_delay_alu instid0(VALU_DEP_1) | instskip(SKIP_1) | instid1(VALU_DEP_1)
	v_fma_f64 v[1:2], v[103:104], v[109:110], v[1:2]
	s_waitcnt lgkmcnt(0)
	v_fma_f64 v[1:2], v[105:106], v[111:112], v[1:2]
	s_waitcnt vmcnt(0)
	s_delay_alu instid0(VALU_DEP_1) | instskip(NEXT) | instid1(VALU_DEP_1)
	v_fma_f64 v[1:2], v[123:124], v[113:114], v[1:2]
	v_add_f64 v[1:2], v[4:5], -v[1:2]
	scratch_store_b64 off, v[1:2], off offset:64
	v_cmpx_lt_u32_e32 7, v0
	s_cbranch_execz .LBB44_265
; %bb.264:
	scratch_load_b64 v[1:2], off, off offset:56
	v_mov_b32_e32 v4, 0
	s_delay_alu instid0(VALU_DEP_1)
	v_mov_b32_e32 v5, v4
	scratch_store_b64 off, v[4:5], off offset:56
	s_waitcnt vmcnt(0)
	ds_store_b64 v3, v[1:2]
.LBB44_265:
	s_or_b32 exec_lo, exec_lo, s0
	s_waitcnt lgkmcnt(0)
	s_waitcnt_vscnt null, 0x0
	s_barrier
	buffer_gl0_inv
	s_clause 0x4
	scratch_load_b128 v[4:7], off, off offset:56
	scratch_load_b128 v[8:11], off, off offset:72
	scratch_load_b128 v[103:106], off, off offset:88
	scratch_load_b128 v[107:110], off, off offset:104
	scratch_load_b128 v[111:114], off, off offset:120
	v_mov_b32_e32 v1, 0
	ds_load_b128 v[115:118], v1 offset:432
	ds_load_b128 v[119:122], v1 offset:448
	scratch_load_b128 v[123:126], off, off offset:136
	s_mov_b32 s0, exec_lo
	s_waitcnt vmcnt(5) lgkmcnt(1)
	v_fma_f64 v[6:7], v[6:7], v[115:116], 0
	s_waitcnt vmcnt(4)
	s_delay_alu instid0(VALU_DEP_1) | instskip(SKIP_1) | instid1(VALU_DEP_1)
	v_fma_f64 v[6:7], v[8:9], v[117:118], v[6:7]
	s_waitcnt lgkmcnt(0)
	v_fma_f64 v[10:11], v[10:11], v[119:120], v[6:7]
	scratch_load_b128 v[6:9], off, off offset:152
	s_waitcnt vmcnt(4)
	v_fma_f64 v[10:11], v[103:104], v[121:122], v[10:11]
	ds_load_b128 v[115:118], v1 offset:464
	ds_load_b128 v[119:122], v1 offset:480
	s_waitcnt lgkmcnt(1)
	v_fma_f64 v[10:11], v[105:106], v[115:116], v[10:11]
	scratch_load_b128 v[103:106], off, off offset:168
	s_waitcnt vmcnt(4)
	v_fma_f64 v[10:11], v[107:108], v[117:118], v[10:11]
	s_waitcnt lgkmcnt(0)
	s_delay_alu instid0(VALU_DEP_1)
	v_fma_f64 v[10:11], v[109:110], v[119:120], v[10:11]
	scratch_load_b128 v[107:110], off, off offset:184
	s_waitcnt vmcnt(4)
	v_fma_f64 v[10:11], v[111:112], v[121:122], v[10:11]
	ds_load_b128 v[115:118], v1 offset:496
	ds_load_b128 v[119:122], v1 offset:512
	s_waitcnt lgkmcnt(1)
	v_fma_f64 v[10:11], v[113:114], v[115:116], v[10:11]
	scratch_load_b128 v[111:114], off, off offset:200
	s_waitcnt vmcnt(4)
	v_fma_f64 v[10:11], v[123:124], v[117:118], v[10:11]
	scratch_load_b128 v[115:118], off, off offset:216
	s_waitcnt lgkmcnt(0)
	v_fma_f64 v[10:11], v[125:126], v[119:120], v[10:11]
	s_waitcnt vmcnt(4)
	s_delay_alu instid0(VALU_DEP_1)
	v_fma_f64 v[6:7], v[6:7], v[121:122], v[10:11]
	ds_load_b128 v[119:122], v1 offset:528
	ds_load_b128 v[123:126], v1 offset:544
	s_waitcnt lgkmcnt(1)
	v_fma_f64 v[10:11], v[8:9], v[119:120], v[6:7]
	scratch_load_b128 v[6:9], off, off offset:232
	s_waitcnt vmcnt(4)
	v_fma_f64 v[10:11], v[103:104], v[121:122], v[10:11]
	s_waitcnt lgkmcnt(0)
	s_delay_alu instid0(VALU_DEP_1)
	v_fma_f64 v[10:11], v[105:106], v[123:124], v[10:11]
	scratch_load_b128 v[103:106], off, off offset:248
	s_waitcnt vmcnt(4)
	v_fma_f64 v[10:11], v[107:108], v[125:126], v[10:11]
	ds_load_b128 v[119:122], v1 offset:560
	ds_load_b128 v[123:126], v1 offset:576
	s_waitcnt lgkmcnt(1)
	v_fma_f64 v[10:11], v[109:110], v[119:120], v[10:11]
	scratch_load_b128 v[107:110], off, off offset:264
	s_waitcnt vmcnt(4)
	v_fma_f64 v[10:11], v[111:112], v[121:122], v[10:11]
	s_waitcnt lgkmcnt(0)
	s_delay_alu instid0(VALU_DEP_1)
	v_fma_f64 v[10:11], v[113:114], v[123:124], v[10:11]
	scratch_load_b128 v[111:114], off, off offset:280
	s_waitcnt vmcnt(4)
	;; [unrolled: 13-line block ×4, first 2 shown]
	v_fma_f64 v[10:11], v[111:112], v[125:126], v[10:11]
	ds_load_b128 v[119:122], v1 offset:656
	ds_load_b128 v[123:126], v1 offset:672
	s_waitcnt lgkmcnt(1)
	v_fma_f64 v[10:11], v[113:114], v[119:120], v[10:11]
	s_waitcnt vmcnt(3)
	s_delay_alu instid0(VALU_DEP_1) | instskip(SKIP_1) | instid1(VALU_DEP_1)
	v_fma_f64 v[10:11], v[115:116], v[121:122], v[10:11]
	s_waitcnt lgkmcnt(0)
	v_fma_f64 v[10:11], v[117:118], v[123:124], v[10:11]
	ds_load_b128 v[111:114], v1 offset:688
	ds_load_b128 v[115:118], v1 offset:704
	s_waitcnt vmcnt(2)
	v_fma_f64 v[6:7], v[6:7], v[125:126], v[10:11]
	s_waitcnt lgkmcnt(1)
	s_delay_alu instid0(VALU_DEP_1) | instskip(SKIP_4) | instid1(VALU_DEP_1)
	v_fma_f64 v[6:7], v[8:9], v[111:112], v[6:7]
	ds_load_b64 v[8:9], v1 offset:720
	s_waitcnt vmcnt(1)
	v_fma_f64 v[6:7], v[103:104], v[113:114], v[6:7]
	s_waitcnt lgkmcnt(1)
	v_fma_f64 v[6:7], v[105:106], v[115:116], v[6:7]
	s_waitcnt vmcnt(0)
	s_delay_alu instid0(VALU_DEP_1) | instskip(SKIP_1) | instid1(VALU_DEP_1)
	v_fma_f64 v[6:7], v[107:108], v[117:118], v[6:7]
	s_waitcnt lgkmcnt(0)
	v_fma_f64 v[6:7], v[109:110], v[8:9], v[6:7]
	s_delay_alu instid0(VALU_DEP_1)
	v_add_f64 v[4:5], v[4:5], -v[6:7]
	scratch_store_b64 off, v[4:5], off offset:56
	v_cmpx_lt_u32_e32 6, v0
	s_cbranch_execz .LBB44_267
; %bb.266:
	scratch_load_b64 v[4:5], off, off offset:48
	v_mov_b32_e32 v2, v1
	scratch_store_b64 off, v[1:2], off offset:48
	s_waitcnt vmcnt(0)
	ds_store_b64 v3, v[4:5]
.LBB44_267:
	s_or_b32 exec_lo, exec_lo, s0
	s_waitcnt lgkmcnt(0)
	s_waitcnt_vscnt null, 0x0
	s_barrier
	buffer_gl0_inv
	s_clause 0x4
	scratch_load_b128 v[4:7], off, off offset:48
	scratch_load_b128 v[8:11], off, off offset:64
	;; [unrolled: 1-line block ×5, first 2 shown]
	ds_load_2addr_b64 v[115:118], v1 offset0:53 offset1:54
	ds_load_2addr_b64 v[119:122], v1 offset0:55 offset1:56
	scratch_load_b128 v[123:126], off, off offset:128
	s_mov_b32 s0, exec_lo
	s_waitcnt vmcnt(5) lgkmcnt(1)
	v_fma_f64 v[6:7], v[6:7], v[115:116], 0
	s_waitcnt vmcnt(4)
	s_delay_alu instid0(VALU_DEP_1) | instskip(SKIP_1) | instid1(VALU_DEP_1)
	v_fma_f64 v[6:7], v[8:9], v[117:118], v[6:7]
	s_waitcnt lgkmcnt(0)
	v_fma_f64 v[10:11], v[10:11], v[119:120], v[6:7]
	scratch_load_b128 v[6:9], off, off offset:144
	s_waitcnt vmcnt(4)
	v_fma_f64 v[10:11], v[103:104], v[121:122], v[10:11]
	ds_load_2addr_b64 v[115:118], v1 offset0:57 offset1:58
	ds_load_2addr_b64 v[119:122], v1 offset0:59 offset1:60
	s_waitcnt lgkmcnt(1)
	v_fma_f64 v[10:11], v[105:106], v[115:116], v[10:11]
	scratch_load_b128 v[103:106], off, off offset:160
	s_waitcnt vmcnt(4)
	v_fma_f64 v[10:11], v[107:108], v[117:118], v[10:11]
	s_waitcnt lgkmcnt(0)
	s_delay_alu instid0(VALU_DEP_1)
	v_fma_f64 v[10:11], v[109:110], v[119:120], v[10:11]
	scratch_load_b128 v[107:110], off, off offset:176
	s_waitcnt vmcnt(4)
	v_fma_f64 v[10:11], v[111:112], v[121:122], v[10:11]
	ds_load_2addr_b64 v[115:118], v1 offset0:61 offset1:62
	ds_load_2addr_b64 v[119:122], v1 offset0:63 offset1:64
	s_waitcnt lgkmcnt(1)
	v_fma_f64 v[10:11], v[113:114], v[115:116], v[10:11]
	scratch_load_b128 v[111:114], off, off offset:192
	s_waitcnt vmcnt(4)
	v_fma_f64 v[10:11], v[123:124], v[117:118], v[10:11]
	scratch_load_b128 v[115:118], off, off offset:208
	s_waitcnt lgkmcnt(0)
	v_fma_f64 v[10:11], v[125:126], v[119:120], v[10:11]
	s_waitcnt vmcnt(4)
	s_delay_alu instid0(VALU_DEP_1)
	v_fma_f64 v[6:7], v[6:7], v[121:122], v[10:11]
	ds_load_2addr_b64 v[119:122], v1 offset0:65 offset1:66
	ds_load_2addr_b64 v[123:126], v1 offset0:67 offset1:68
	s_waitcnt lgkmcnt(1)
	v_fma_f64 v[10:11], v[8:9], v[119:120], v[6:7]
	scratch_load_b128 v[6:9], off, off offset:224
	s_waitcnt vmcnt(4)
	v_fma_f64 v[10:11], v[103:104], v[121:122], v[10:11]
	s_waitcnt lgkmcnt(0)
	s_delay_alu instid0(VALU_DEP_1)
	v_fma_f64 v[10:11], v[105:106], v[123:124], v[10:11]
	scratch_load_b128 v[103:106], off, off offset:240
	s_waitcnt vmcnt(4)
	v_fma_f64 v[10:11], v[107:108], v[125:126], v[10:11]
	ds_load_2addr_b64 v[119:122], v1 offset0:69 offset1:70
	ds_load_2addr_b64 v[123:126], v1 offset0:71 offset1:72
	s_waitcnt lgkmcnt(1)
	v_fma_f64 v[10:11], v[109:110], v[119:120], v[10:11]
	scratch_load_b128 v[107:110], off, off offset:256
	s_waitcnt vmcnt(4)
	v_fma_f64 v[10:11], v[111:112], v[121:122], v[10:11]
	s_waitcnt lgkmcnt(0)
	s_delay_alu instid0(VALU_DEP_1)
	v_fma_f64 v[10:11], v[113:114], v[123:124], v[10:11]
	scratch_load_b128 v[111:114], off, off offset:272
	s_waitcnt vmcnt(4)
	v_fma_f64 v[10:11], v[115:116], v[125:126], v[10:11]
	ds_load_2addr_b64 v[119:122], v1 offset0:73 offset1:74
	ds_load_2addr_b64 v[123:126], v1 offset0:75 offset1:76
	s_waitcnt lgkmcnt(1)
	v_fma_f64 v[10:11], v[117:118], v[119:120], v[10:11]
	scratch_load_b128 v[115:118], off, off offset:288
	s_waitcnt vmcnt(4)
	v_fma_f64 v[6:7], v[6:7], v[121:122], v[10:11]
	s_waitcnt lgkmcnt(0)
	s_delay_alu instid0(VALU_DEP_1)
	v_fma_f64 v[10:11], v[8:9], v[123:124], v[6:7]
	scratch_load_b128 v[6:9], off, off offset:304
	s_waitcnt vmcnt(4)
	v_fma_f64 v[10:11], v[103:104], v[125:126], v[10:11]
	ds_load_2addr_b64 v[119:122], v1 offset0:77 offset1:78
	ds_load_2addr_b64 v[123:126], v1 offset0:79 offset1:80
	s_waitcnt lgkmcnt(1)
	v_fma_f64 v[10:11], v[105:106], v[119:120], v[10:11]
	scratch_load_b128 v[103:106], off, off offset:320
	s_waitcnt vmcnt(4)
	v_fma_f64 v[10:11], v[107:108], v[121:122], v[10:11]
	s_waitcnt lgkmcnt(0)
	s_delay_alu instid0(VALU_DEP_1)
	v_fma_f64 v[10:11], v[109:110], v[123:124], v[10:11]
	scratch_load_b128 v[107:110], off, off offset:336
	s_waitcnt vmcnt(4)
	v_fma_f64 v[10:11], v[111:112], v[125:126], v[10:11]
	ds_load_2addr_b64 v[119:122], v1 offset0:81 offset1:82
	ds_load_2addr_b64 v[123:126], v1 offset0:83 offset1:84
	s_waitcnt lgkmcnt(1)
	v_fma_f64 v[10:11], v[113:114], v[119:120], v[10:11]
	scratch_load_b64 v[119:120], off, off offset:352
	s_waitcnt vmcnt(4)
	v_fma_f64 v[10:11], v[115:116], v[121:122], v[10:11]
	s_waitcnt lgkmcnt(0)
	s_delay_alu instid0(VALU_DEP_1)
	v_fma_f64 v[10:11], v[117:118], v[123:124], v[10:11]
	ds_load_2addr_b64 v[111:114], v1 offset0:85 offset1:86
	ds_load_2addr_b64 v[115:118], v1 offset0:87 offset1:88
	s_waitcnt vmcnt(3)
	v_fma_f64 v[6:7], v[6:7], v[125:126], v[10:11]
	s_waitcnt lgkmcnt(1)
	s_delay_alu instid0(VALU_DEP_1) | instskip(SKIP_1) | instid1(VALU_DEP_1)
	v_fma_f64 v[6:7], v[8:9], v[111:112], v[6:7]
	s_waitcnt vmcnt(2)
	v_fma_f64 v[6:7], v[103:104], v[113:114], v[6:7]
	s_waitcnt lgkmcnt(0)
	s_delay_alu instid0(VALU_DEP_1) | instskip(SKIP_1) | instid1(VALU_DEP_1)
	v_fma_f64 v[6:7], v[105:106], v[115:116], v[6:7]
	s_waitcnt vmcnt(1)
	v_fma_f64 v[10:11], v[107:108], v[117:118], v[6:7]
	ds_load_2addr_b64 v[6:9], v1 offset0:89 offset1:90
	s_waitcnt lgkmcnt(0)
	v_fma_f64 v[1:2], v[109:110], v[6:7], v[10:11]
	s_waitcnt vmcnt(0)
	s_delay_alu instid0(VALU_DEP_1) | instskip(NEXT) | instid1(VALU_DEP_1)
	v_fma_f64 v[1:2], v[119:120], v[8:9], v[1:2]
	v_add_f64 v[1:2], v[4:5], -v[1:2]
	scratch_store_b64 off, v[1:2], off offset:48
	v_cmpx_lt_u32_e32 5, v0
	s_cbranch_execz .LBB44_269
; %bb.268:
	scratch_load_b64 v[1:2], off, off offset:40
	v_mov_b32_e32 v4, 0
	s_delay_alu instid0(VALU_DEP_1)
	v_mov_b32_e32 v5, v4
	scratch_store_b64 off, v[4:5], off offset:40
	s_waitcnt vmcnt(0)
	ds_store_b64 v3, v[1:2]
.LBB44_269:
	s_or_b32 exec_lo, exec_lo, s0
	s_waitcnt lgkmcnt(0)
	s_waitcnt_vscnt null, 0x0
	s_barrier
	buffer_gl0_inv
	s_clause 0x4
	scratch_load_b128 v[4:7], off, off offset:40
	scratch_load_b128 v[8:11], off, off offset:56
	;; [unrolled: 1-line block ×5, first 2 shown]
	v_mov_b32_e32 v1, 0
	ds_load_b128 v[115:118], v1 offset:416
	ds_load_b128 v[119:122], v1 offset:432
	scratch_load_b128 v[123:126], off, off offset:120
	s_mov_b32 s0, exec_lo
	s_waitcnt vmcnt(5) lgkmcnt(1)
	v_fma_f64 v[6:7], v[6:7], v[115:116], 0
	s_waitcnt vmcnt(4)
	s_delay_alu instid0(VALU_DEP_1) | instskip(SKIP_1) | instid1(VALU_DEP_1)
	v_fma_f64 v[6:7], v[8:9], v[117:118], v[6:7]
	s_waitcnt lgkmcnt(0)
	v_fma_f64 v[10:11], v[10:11], v[119:120], v[6:7]
	scratch_load_b128 v[6:9], off, off offset:136
	s_waitcnt vmcnt(4)
	v_fma_f64 v[10:11], v[103:104], v[121:122], v[10:11]
	ds_load_b128 v[115:118], v1 offset:448
	ds_load_b128 v[119:122], v1 offset:464
	s_waitcnt lgkmcnt(1)
	v_fma_f64 v[10:11], v[105:106], v[115:116], v[10:11]
	scratch_load_b128 v[103:106], off, off offset:152
	s_waitcnt vmcnt(4)
	v_fma_f64 v[10:11], v[107:108], v[117:118], v[10:11]
	s_waitcnt lgkmcnt(0)
	s_delay_alu instid0(VALU_DEP_1)
	v_fma_f64 v[10:11], v[109:110], v[119:120], v[10:11]
	scratch_load_b128 v[107:110], off, off offset:168
	s_waitcnt vmcnt(4)
	v_fma_f64 v[10:11], v[111:112], v[121:122], v[10:11]
	ds_load_b128 v[115:118], v1 offset:480
	ds_load_b128 v[119:122], v1 offset:496
	s_waitcnt lgkmcnt(1)
	v_fma_f64 v[10:11], v[113:114], v[115:116], v[10:11]
	scratch_load_b128 v[111:114], off, off offset:184
	s_waitcnt vmcnt(4)
	v_fma_f64 v[10:11], v[123:124], v[117:118], v[10:11]
	scratch_load_b128 v[115:118], off, off offset:200
	s_waitcnt lgkmcnt(0)
	v_fma_f64 v[10:11], v[125:126], v[119:120], v[10:11]
	s_waitcnt vmcnt(4)
	s_delay_alu instid0(VALU_DEP_1)
	v_fma_f64 v[6:7], v[6:7], v[121:122], v[10:11]
	ds_load_b128 v[119:122], v1 offset:512
	ds_load_b128 v[123:126], v1 offset:528
	s_waitcnt lgkmcnt(1)
	v_fma_f64 v[10:11], v[8:9], v[119:120], v[6:7]
	scratch_load_b128 v[6:9], off, off offset:216
	s_waitcnt vmcnt(4)
	v_fma_f64 v[10:11], v[103:104], v[121:122], v[10:11]
	s_waitcnt lgkmcnt(0)
	s_delay_alu instid0(VALU_DEP_1)
	v_fma_f64 v[10:11], v[105:106], v[123:124], v[10:11]
	scratch_load_b128 v[103:106], off, off offset:232
	s_waitcnt vmcnt(4)
	v_fma_f64 v[10:11], v[107:108], v[125:126], v[10:11]
	ds_load_b128 v[119:122], v1 offset:544
	ds_load_b128 v[123:126], v1 offset:560
	s_waitcnt lgkmcnt(1)
	v_fma_f64 v[10:11], v[109:110], v[119:120], v[10:11]
	scratch_load_b128 v[107:110], off, off offset:248
	s_waitcnt vmcnt(4)
	v_fma_f64 v[10:11], v[111:112], v[121:122], v[10:11]
	s_waitcnt lgkmcnt(0)
	s_delay_alu instid0(VALU_DEP_1)
	v_fma_f64 v[10:11], v[113:114], v[123:124], v[10:11]
	scratch_load_b128 v[111:114], off, off offset:264
	s_waitcnt vmcnt(4)
	;; [unrolled: 13-line block ×4, first 2 shown]
	v_fma_f64 v[10:11], v[111:112], v[125:126], v[10:11]
	ds_load_b128 v[119:122], v1 offset:640
	ds_load_b128 v[123:126], v1 offset:656
	s_waitcnt lgkmcnt(1)
	v_fma_f64 v[10:11], v[113:114], v[119:120], v[10:11]
	scratch_load_b128 v[111:114], off, off offset:344
	s_waitcnt vmcnt(4)
	v_fma_f64 v[10:11], v[115:116], v[121:122], v[10:11]
	s_waitcnt lgkmcnt(0)
	s_delay_alu instid0(VALU_DEP_1)
	v_fma_f64 v[10:11], v[117:118], v[123:124], v[10:11]
	ds_load_b128 v[115:118], v1 offset:672
	ds_load_b128 v[119:122], v1 offset:688
	s_waitcnt vmcnt(3)
	v_fma_f64 v[6:7], v[6:7], v[125:126], v[10:11]
	s_waitcnt lgkmcnt(1)
	s_delay_alu instid0(VALU_DEP_1) | instskip(SKIP_1) | instid1(VALU_DEP_1)
	v_fma_f64 v[6:7], v[8:9], v[115:116], v[6:7]
	s_waitcnt vmcnt(2)
	v_fma_f64 v[6:7], v[103:104], v[117:118], v[6:7]
	s_waitcnt lgkmcnt(0)
	s_delay_alu instid0(VALU_DEP_1) | instskip(SKIP_1) | instid1(VALU_DEP_1)
	v_fma_f64 v[6:7], v[105:106], v[119:120], v[6:7]
	s_waitcnt vmcnt(1)
	v_fma_f64 v[10:11], v[107:108], v[121:122], v[6:7]
	ds_load_b128 v[6:9], v1 offset:704
	ds_load_b64 v[103:104], v1 offset:720
	s_waitcnt lgkmcnt(1)
	v_fma_f64 v[6:7], v[109:110], v[6:7], v[10:11]
	s_waitcnt vmcnt(0)
	s_delay_alu instid0(VALU_DEP_1) | instskip(SKIP_1) | instid1(VALU_DEP_1)
	v_fma_f64 v[6:7], v[111:112], v[8:9], v[6:7]
	s_waitcnt lgkmcnt(0)
	v_fma_f64 v[6:7], v[113:114], v[103:104], v[6:7]
	s_delay_alu instid0(VALU_DEP_1)
	v_add_f64 v[4:5], v[4:5], -v[6:7]
	scratch_store_b64 off, v[4:5], off offset:40
	v_cmpx_lt_u32_e32 4, v0
	s_cbranch_execz .LBB44_271
; %bb.270:
	scratch_load_b64 v[4:5], off, off offset:32
	v_mov_b32_e32 v2, v1
	scratch_store_b64 off, v[1:2], off offset:32
	s_waitcnt vmcnt(0)
	ds_store_b64 v3, v[4:5]
.LBB44_271:
	s_or_b32 exec_lo, exec_lo, s0
	s_waitcnt lgkmcnt(0)
	s_waitcnt_vscnt null, 0x0
	s_barrier
	buffer_gl0_inv
	s_clause 0x4
	scratch_load_b128 v[4:7], off, off offset:32
	scratch_load_b128 v[8:11], off, off offset:48
	;; [unrolled: 1-line block ×5, first 2 shown]
	ds_load_2addr_b64 v[115:118], v1 offset0:51 offset1:52
	ds_load_2addr_b64 v[119:122], v1 offset0:53 offset1:54
	scratch_load_b128 v[123:126], off, off offset:112
	s_mov_b32 s0, exec_lo
	s_waitcnt vmcnt(5) lgkmcnt(1)
	v_fma_f64 v[6:7], v[6:7], v[115:116], 0
	s_waitcnt vmcnt(4)
	s_delay_alu instid0(VALU_DEP_1) | instskip(SKIP_1) | instid1(VALU_DEP_1)
	v_fma_f64 v[6:7], v[8:9], v[117:118], v[6:7]
	s_waitcnt lgkmcnt(0)
	v_fma_f64 v[10:11], v[10:11], v[119:120], v[6:7]
	scratch_load_b128 v[6:9], off, off offset:128
	s_waitcnt vmcnt(4)
	v_fma_f64 v[10:11], v[103:104], v[121:122], v[10:11]
	ds_load_2addr_b64 v[115:118], v1 offset0:55 offset1:56
	ds_load_2addr_b64 v[119:122], v1 offset0:57 offset1:58
	s_waitcnt lgkmcnt(1)
	v_fma_f64 v[10:11], v[105:106], v[115:116], v[10:11]
	scratch_load_b128 v[103:106], off, off offset:144
	s_waitcnt vmcnt(4)
	v_fma_f64 v[10:11], v[107:108], v[117:118], v[10:11]
	s_waitcnt lgkmcnt(0)
	s_delay_alu instid0(VALU_DEP_1)
	v_fma_f64 v[10:11], v[109:110], v[119:120], v[10:11]
	scratch_load_b128 v[107:110], off, off offset:160
	s_waitcnt vmcnt(4)
	v_fma_f64 v[10:11], v[111:112], v[121:122], v[10:11]
	ds_load_2addr_b64 v[115:118], v1 offset0:59 offset1:60
	ds_load_2addr_b64 v[119:122], v1 offset0:61 offset1:62
	s_waitcnt lgkmcnt(1)
	v_fma_f64 v[10:11], v[113:114], v[115:116], v[10:11]
	scratch_load_b128 v[111:114], off, off offset:176
	s_waitcnt vmcnt(4)
	v_fma_f64 v[10:11], v[123:124], v[117:118], v[10:11]
	scratch_load_b128 v[115:118], off, off offset:192
	s_waitcnt lgkmcnt(0)
	v_fma_f64 v[10:11], v[125:126], v[119:120], v[10:11]
	s_waitcnt vmcnt(4)
	s_delay_alu instid0(VALU_DEP_1)
	v_fma_f64 v[6:7], v[6:7], v[121:122], v[10:11]
	ds_load_2addr_b64 v[119:122], v1 offset0:63 offset1:64
	ds_load_2addr_b64 v[123:126], v1 offset0:65 offset1:66
	s_waitcnt lgkmcnt(1)
	v_fma_f64 v[10:11], v[8:9], v[119:120], v[6:7]
	scratch_load_b128 v[6:9], off, off offset:208
	s_waitcnt vmcnt(4)
	v_fma_f64 v[10:11], v[103:104], v[121:122], v[10:11]
	s_waitcnt lgkmcnt(0)
	s_delay_alu instid0(VALU_DEP_1)
	v_fma_f64 v[10:11], v[105:106], v[123:124], v[10:11]
	scratch_load_b128 v[103:106], off, off offset:224
	s_waitcnt vmcnt(4)
	v_fma_f64 v[10:11], v[107:108], v[125:126], v[10:11]
	ds_load_2addr_b64 v[119:122], v1 offset0:67 offset1:68
	ds_load_2addr_b64 v[123:126], v1 offset0:69 offset1:70
	s_waitcnt lgkmcnt(1)
	v_fma_f64 v[10:11], v[109:110], v[119:120], v[10:11]
	scratch_load_b128 v[107:110], off, off offset:240
	s_waitcnt vmcnt(4)
	v_fma_f64 v[10:11], v[111:112], v[121:122], v[10:11]
	s_waitcnt lgkmcnt(0)
	s_delay_alu instid0(VALU_DEP_1)
	v_fma_f64 v[10:11], v[113:114], v[123:124], v[10:11]
	scratch_load_b128 v[111:114], off, off offset:256
	s_waitcnt vmcnt(4)
	;; [unrolled: 13-line block ×4, first 2 shown]
	v_fma_f64 v[10:11], v[111:112], v[125:126], v[10:11]
	ds_load_2addr_b64 v[119:122], v1 offset0:79 offset1:80
	ds_load_2addr_b64 v[123:126], v1 offset0:81 offset1:82
	s_waitcnt lgkmcnt(1)
	v_fma_f64 v[10:11], v[113:114], v[119:120], v[10:11]
	scratch_load_b128 v[111:114], off, off offset:336
	s_waitcnt vmcnt(4)
	v_fma_f64 v[10:11], v[115:116], v[121:122], v[10:11]
	s_waitcnt lgkmcnt(0)
	s_delay_alu instid0(VALU_DEP_1)
	v_fma_f64 v[10:11], v[117:118], v[123:124], v[10:11]
	scratch_load_b64 v[123:124], off, off offset:352
	ds_load_2addr_b64 v[115:118], v1 offset0:83 offset1:84
	ds_load_2addr_b64 v[119:122], v1 offset0:85 offset1:86
	s_waitcnt vmcnt(4)
	v_fma_f64 v[6:7], v[6:7], v[125:126], v[10:11]
	s_waitcnt lgkmcnt(1)
	s_delay_alu instid0(VALU_DEP_1) | instskip(SKIP_1) | instid1(VALU_DEP_1)
	v_fma_f64 v[6:7], v[8:9], v[115:116], v[6:7]
	s_waitcnt vmcnt(3)
	v_fma_f64 v[6:7], v[103:104], v[117:118], v[6:7]
	s_waitcnt lgkmcnt(0)
	s_delay_alu instid0(VALU_DEP_1) | instskip(SKIP_1) | instid1(VALU_DEP_1)
	v_fma_f64 v[6:7], v[105:106], v[119:120], v[6:7]
	s_waitcnt vmcnt(2)
	v_fma_f64 v[10:11], v[107:108], v[121:122], v[6:7]
	ds_load_2addr_b64 v[6:9], v1 offset0:87 offset1:88
	ds_load_2addr_b64 v[103:106], v1 offset0:89 offset1:90
	s_waitcnt lgkmcnt(1)
	v_fma_f64 v[1:2], v[109:110], v[6:7], v[10:11]
	s_waitcnt vmcnt(1)
	s_delay_alu instid0(VALU_DEP_1) | instskip(SKIP_1) | instid1(VALU_DEP_1)
	v_fma_f64 v[1:2], v[111:112], v[8:9], v[1:2]
	s_waitcnt lgkmcnt(0)
	v_fma_f64 v[1:2], v[113:114], v[103:104], v[1:2]
	s_waitcnt vmcnt(0)
	s_delay_alu instid0(VALU_DEP_1) | instskip(NEXT) | instid1(VALU_DEP_1)
	v_fma_f64 v[1:2], v[123:124], v[105:106], v[1:2]
	v_add_f64 v[1:2], v[4:5], -v[1:2]
	scratch_store_b64 off, v[1:2], off offset:32
	v_cmpx_lt_u32_e32 3, v0
	s_cbranch_execz .LBB44_273
; %bb.272:
	scratch_load_b64 v[1:2], off, off offset:24
	v_mov_b32_e32 v4, 0
	s_delay_alu instid0(VALU_DEP_1)
	v_mov_b32_e32 v5, v4
	scratch_store_b64 off, v[4:5], off offset:24
	s_waitcnt vmcnt(0)
	ds_store_b64 v3, v[1:2]
.LBB44_273:
	s_or_b32 exec_lo, exec_lo, s0
	s_waitcnt lgkmcnt(0)
	s_waitcnt_vscnt null, 0x0
	s_barrier
	buffer_gl0_inv
	s_clause 0x4
	scratch_load_b128 v[4:7], off, off offset:24
	scratch_load_b128 v[8:11], off, off offset:40
	;; [unrolled: 1-line block ×5, first 2 shown]
	v_mov_b32_e32 v1, 0
	ds_load_b128 v[115:118], v1 offset:400
	ds_load_b128 v[119:122], v1 offset:416
	scratch_load_b128 v[123:126], off, off offset:104
	s_mov_b32 s0, exec_lo
	s_waitcnt vmcnt(5) lgkmcnt(1)
	v_fma_f64 v[6:7], v[6:7], v[115:116], 0
	s_waitcnt vmcnt(4)
	s_delay_alu instid0(VALU_DEP_1) | instskip(SKIP_1) | instid1(VALU_DEP_1)
	v_fma_f64 v[6:7], v[8:9], v[117:118], v[6:7]
	s_waitcnt lgkmcnt(0)
	v_fma_f64 v[10:11], v[10:11], v[119:120], v[6:7]
	scratch_load_b128 v[6:9], off, off offset:120
	s_waitcnt vmcnt(4)
	v_fma_f64 v[10:11], v[103:104], v[121:122], v[10:11]
	ds_load_b128 v[115:118], v1 offset:432
	ds_load_b128 v[119:122], v1 offset:448
	s_waitcnt lgkmcnt(1)
	v_fma_f64 v[10:11], v[105:106], v[115:116], v[10:11]
	scratch_load_b128 v[103:106], off, off offset:136
	s_waitcnt vmcnt(4)
	v_fma_f64 v[10:11], v[107:108], v[117:118], v[10:11]
	s_waitcnt lgkmcnt(0)
	s_delay_alu instid0(VALU_DEP_1)
	v_fma_f64 v[10:11], v[109:110], v[119:120], v[10:11]
	scratch_load_b128 v[107:110], off, off offset:152
	s_waitcnt vmcnt(4)
	v_fma_f64 v[10:11], v[111:112], v[121:122], v[10:11]
	ds_load_b128 v[115:118], v1 offset:464
	ds_load_b128 v[119:122], v1 offset:480
	s_waitcnt lgkmcnt(1)
	v_fma_f64 v[10:11], v[113:114], v[115:116], v[10:11]
	scratch_load_b128 v[111:114], off, off offset:168
	s_waitcnt vmcnt(4)
	v_fma_f64 v[10:11], v[123:124], v[117:118], v[10:11]
	scratch_load_b128 v[115:118], off, off offset:184
	s_waitcnt lgkmcnt(0)
	v_fma_f64 v[10:11], v[125:126], v[119:120], v[10:11]
	s_waitcnt vmcnt(4)
	s_delay_alu instid0(VALU_DEP_1)
	v_fma_f64 v[6:7], v[6:7], v[121:122], v[10:11]
	ds_load_b128 v[119:122], v1 offset:496
	ds_load_b128 v[123:126], v1 offset:512
	s_waitcnt lgkmcnt(1)
	v_fma_f64 v[10:11], v[8:9], v[119:120], v[6:7]
	scratch_load_b128 v[6:9], off, off offset:200
	s_waitcnt vmcnt(4)
	v_fma_f64 v[10:11], v[103:104], v[121:122], v[10:11]
	s_waitcnt lgkmcnt(0)
	s_delay_alu instid0(VALU_DEP_1)
	v_fma_f64 v[10:11], v[105:106], v[123:124], v[10:11]
	scratch_load_b128 v[103:106], off, off offset:216
	s_waitcnt vmcnt(4)
	v_fma_f64 v[10:11], v[107:108], v[125:126], v[10:11]
	ds_load_b128 v[119:122], v1 offset:528
	ds_load_b128 v[123:126], v1 offset:544
	s_waitcnt lgkmcnt(1)
	v_fma_f64 v[10:11], v[109:110], v[119:120], v[10:11]
	scratch_load_b128 v[107:110], off, off offset:232
	s_waitcnt vmcnt(4)
	v_fma_f64 v[10:11], v[111:112], v[121:122], v[10:11]
	s_waitcnt lgkmcnt(0)
	s_delay_alu instid0(VALU_DEP_1)
	v_fma_f64 v[10:11], v[113:114], v[123:124], v[10:11]
	scratch_load_b128 v[111:114], off, off offset:248
	s_waitcnt vmcnt(4)
	;; [unrolled: 13-line block ×5, first 2 shown]
	v_fma_f64 v[6:7], v[6:7], v[125:126], v[10:11]
	ds_load_b128 v[119:122], v1 offset:656
	ds_load_b128 v[123:126], v1 offset:672
	s_waitcnt lgkmcnt(1)
	v_fma_f64 v[6:7], v[8:9], v[119:120], v[6:7]
	s_waitcnt vmcnt(3)
	s_delay_alu instid0(VALU_DEP_1) | instskip(SKIP_1) | instid1(VALU_DEP_1)
	v_fma_f64 v[6:7], v[103:104], v[121:122], v[6:7]
	s_waitcnt lgkmcnt(0)
	v_fma_f64 v[6:7], v[105:106], v[123:124], v[6:7]
	s_waitcnt vmcnt(2)
	s_delay_alu instid0(VALU_DEP_1)
	v_fma_f64 v[10:11], v[107:108], v[125:126], v[6:7]
	ds_load_b128 v[6:9], v1 offset:688
	ds_load_b128 v[103:106], v1 offset:704
	s_waitcnt lgkmcnt(1)
	v_fma_f64 v[6:7], v[109:110], v[6:7], v[10:11]
	s_waitcnt vmcnt(1)
	s_delay_alu instid0(VALU_DEP_1) | instskip(SKIP_4) | instid1(VALU_DEP_1)
	v_fma_f64 v[6:7], v[111:112], v[8:9], v[6:7]
	ds_load_b64 v[8:9], v1 offset:720
	s_waitcnt lgkmcnt(1)
	v_fma_f64 v[6:7], v[113:114], v[103:104], v[6:7]
	s_waitcnt vmcnt(0)
	v_fma_f64 v[6:7], v[115:116], v[105:106], v[6:7]
	s_waitcnt lgkmcnt(0)
	s_delay_alu instid0(VALU_DEP_1) | instskip(NEXT) | instid1(VALU_DEP_1)
	v_fma_f64 v[6:7], v[117:118], v[8:9], v[6:7]
	v_add_f64 v[4:5], v[4:5], -v[6:7]
	scratch_store_b64 off, v[4:5], off offset:24
	v_cmpx_lt_u32_e32 2, v0
	s_cbranch_execz .LBB44_275
; %bb.274:
	scratch_load_b64 v[4:5], off, off offset:16
	v_mov_b32_e32 v2, v1
	scratch_store_b64 off, v[1:2], off offset:16
	s_waitcnt vmcnt(0)
	ds_store_b64 v3, v[4:5]
.LBB44_275:
	s_or_b32 exec_lo, exec_lo, s0
	s_waitcnt lgkmcnt(0)
	s_waitcnt_vscnt null, 0x0
	s_barrier
	buffer_gl0_inv
	s_clause 0x4
	scratch_load_b128 v[4:7], off, off offset:16
	scratch_load_b128 v[8:11], off, off offset:32
	;; [unrolled: 1-line block ×5, first 2 shown]
	ds_load_2addr_b64 v[115:118], v1 offset0:49 offset1:50
	ds_load_2addr_b64 v[119:122], v1 offset0:51 offset1:52
	scratch_load_b128 v[123:126], off, off offset:96
	s_mov_b32 s0, exec_lo
	s_waitcnt vmcnt(5) lgkmcnt(1)
	v_fma_f64 v[6:7], v[6:7], v[115:116], 0
	s_waitcnt vmcnt(4)
	s_delay_alu instid0(VALU_DEP_1) | instskip(SKIP_1) | instid1(VALU_DEP_1)
	v_fma_f64 v[6:7], v[8:9], v[117:118], v[6:7]
	s_waitcnt lgkmcnt(0)
	v_fma_f64 v[10:11], v[10:11], v[119:120], v[6:7]
	scratch_load_b128 v[6:9], off, off offset:112
	s_waitcnt vmcnt(4)
	v_fma_f64 v[10:11], v[103:104], v[121:122], v[10:11]
	ds_load_2addr_b64 v[115:118], v1 offset0:53 offset1:54
	ds_load_2addr_b64 v[119:122], v1 offset0:55 offset1:56
	s_waitcnt lgkmcnt(1)
	v_fma_f64 v[10:11], v[105:106], v[115:116], v[10:11]
	scratch_load_b128 v[103:106], off, off offset:128
	s_waitcnt vmcnt(4)
	v_fma_f64 v[10:11], v[107:108], v[117:118], v[10:11]
	s_waitcnt lgkmcnt(0)
	s_delay_alu instid0(VALU_DEP_1)
	v_fma_f64 v[10:11], v[109:110], v[119:120], v[10:11]
	scratch_load_b128 v[107:110], off, off offset:144
	s_waitcnt vmcnt(4)
	v_fma_f64 v[10:11], v[111:112], v[121:122], v[10:11]
	ds_load_2addr_b64 v[115:118], v1 offset0:57 offset1:58
	ds_load_2addr_b64 v[119:122], v1 offset0:59 offset1:60
	s_waitcnt lgkmcnt(1)
	v_fma_f64 v[10:11], v[113:114], v[115:116], v[10:11]
	scratch_load_b128 v[111:114], off, off offset:160
	s_waitcnt vmcnt(4)
	v_fma_f64 v[10:11], v[123:124], v[117:118], v[10:11]
	scratch_load_b128 v[115:118], off, off offset:176
	s_waitcnt lgkmcnt(0)
	v_fma_f64 v[10:11], v[125:126], v[119:120], v[10:11]
	s_waitcnt vmcnt(4)
	s_delay_alu instid0(VALU_DEP_1)
	v_fma_f64 v[6:7], v[6:7], v[121:122], v[10:11]
	ds_load_2addr_b64 v[119:122], v1 offset0:61 offset1:62
	ds_load_2addr_b64 v[123:126], v1 offset0:63 offset1:64
	s_waitcnt lgkmcnt(1)
	v_fma_f64 v[10:11], v[8:9], v[119:120], v[6:7]
	scratch_load_b128 v[6:9], off, off offset:192
	s_waitcnt vmcnt(4)
	v_fma_f64 v[10:11], v[103:104], v[121:122], v[10:11]
	s_waitcnt lgkmcnt(0)
	s_delay_alu instid0(VALU_DEP_1)
	v_fma_f64 v[10:11], v[105:106], v[123:124], v[10:11]
	scratch_load_b128 v[103:106], off, off offset:208
	s_waitcnt vmcnt(4)
	v_fma_f64 v[10:11], v[107:108], v[125:126], v[10:11]
	ds_load_2addr_b64 v[119:122], v1 offset0:65 offset1:66
	ds_load_2addr_b64 v[123:126], v1 offset0:67 offset1:68
	s_waitcnt lgkmcnt(1)
	v_fma_f64 v[10:11], v[109:110], v[119:120], v[10:11]
	scratch_load_b128 v[107:110], off, off offset:224
	s_waitcnt vmcnt(4)
	v_fma_f64 v[10:11], v[111:112], v[121:122], v[10:11]
	s_waitcnt lgkmcnt(0)
	s_delay_alu instid0(VALU_DEP_1)
	v_fma_f64 v[10:11], v[113:114], v[123:124], v[10:11]
	scratch_load_b128 v[111:114], off, off offset:240
	s_waitcnt vmcnt(4)
	;; [unrolled: 13-line block ×5, first 2 shown]
	v_fma_f64 v[6:7], v[6:7], v[125:126], v[10:11]
	ds_load_2addr_b64 v[119:122], v1 offset0:81 offset1:82
	ds_load_2addr_b64 v[123:126], v1 offset0:83 offset1:84
	scratch_load_b64 v[10:11], off, off offset:352
	s_waitcnt lgkmcnt(1)
	v_fma_f64 v[6:7], v[8:9], v[119:120], v[6:7]
	s_waitcnt vmcnt(4)
	s_delay_alu instid0(VALU_DEP_1) | instskip(SKIP_1) | instid1(VALU_DEP_1)
	v_fma_f64 v[6:7], v[103:104], v[121:122], v[6:7]
	s_waitcnt lgkmcnt(0)
	v_fma_f64 v[6:7], v[105:106], v[123:124], v[6:7]
	s_waitcnt vmcnt(3)
	s_delay_alu instid0(VALU_DEP_1)
	v_fma_f64 v[107:108], v[107:108], v[125:126], v[6:7]
	ds_load_2addr_b64 v[6:9], v1 offset0:85 offset1:86
	ds_load_2addr_b64 v[103:106], v1 offset0:87 offset1:88
	s_waitcnt lgkmcnt(1)
	v_fma_f64 v[6:7], v[109:110], v[6:7], v[107:108]
	s_waitcnt vmcnt(2)
	s_delay_alu instid0(VALU_DEP_1) | instskip(SKIP_1) | instid1(VALU_DEP_1)
	v_fma_f64 v[6:7], v[111:112], v[8:9], v[6:7]
	s_waitcnt lgkmcnt(0)
	v_fma_f64 v[6:7], v[113:114], v[103:104], v[6:7]
	s_waitcnt vmcnt(1)
	s_delay_alu instid0(VALU_DEP_1) | instskip(SKIP_4) | instid1(VALU_DEP_1)
	v_fma_f64 v[103:104], v[115:116], v[105:106], v[6:7]
	ds_load_2addr_b64 v[6:9], v1 offset0:89 offset1:90
	s_waitcnt lgkmcnt(0)
	v_fma_f64 v[1:2], v[117:118], v[6:7], v[103:104]
	s_waitcnt vmcnt(0)
	v_fma_f64 v[1:2], v[10:11], v[8:9], v[1:2]
	s_delay_alu instid0(VALU_DEP_1)
	v_add_f64 v[1:2], v[4:5], -v[1:2]
	scratch_store_b64 off, v[1:2], off offset:16
	v_cmpx_lt_u32_e32 1, v0
	s_cbranch_execz .LBB44_277
; %bb.276:
	scratch_load_b64 v[1:2], off, off offset:8
	v_mov_b32_e32 v4, 0
	s_delay_alu instid0(VALU_DEP_1)
	v_mov_b32_e32 v5, v4
	scratch_store_b64 off, v[4:5], off offset:8
	s_waitcnt vmcnt(0)
	ds_store_b64 v3, v[1:2]
.LBB44_277:
	s_or_b32 exec_lo, exec_lo, s0
	s_waitcnt lgkmcnt(0)
	s_waitcnt_vscnt null, 0x0
	s_barrier
	buffer_gl0_inv
	s_clause 0x4
	scratch_load_b128 v[5:8], off, off offset:8
	scratch_load_b128 v[9:12], off, off offset:24
	;; [unrolled: 1-line block ×5, first 2 shown]
	v_mov_b32_e32 v4, 0
	ds_load_b128 v[115:118], v4 offset:384
	ds_load_b128 v[119:122], v4 offset:400
	scratch_load_b128 v[123:126], off, off offset:88
	s_mov_b32 s0, exec_lo
	s_waitcnt vmcnt(5) lgkmcnt(1)
	v_fma_f64 v[1:2], v[7:8], v[115:116], 0
	s_waitcnt vmcnt(4)
	s_delay_alu instid0(VALU_DEP_1) | instskip(SKIP_4) | instid1(VALU_DEP_1)
	v_fma_f64 v[1:2], v[9:10], v[117:118], v[1:2]
	scratch_load_b128 v[7:10], off, off offset:104
	s_waitcnt lgkmcnt(0)
	v_fma_f64 v[1:2], v[11:12], v[119:120], v[1:2]
	s_waitcnt vmcnt(4)
	v_fma_f64 v[1:2], v[103:104], v[121:122], v[1:2]
	ds_load_b128 v[115:118], v4 offset:416
	ds_load_b128 v[119:122], v4 offset:432
	s_waitcnt lgkmcnt(1)
	v_fma_f64 v[1:2], v[105:106], v[115:116], v[1:2]
	scratch_load_b128 v[103:106], off, off offset:120
	s_waitcnt vmcnt(4)
	v_fma_f64 v[1:2], v[107:108], v[117:118], v[1:2]
	s_waitcnt lgkmcnt(0)
	s_delay_alu instid0(VALU_DEP_1)
	v_fma_f64 v[1:2], v[109:110], v[119:120], v[1:2]
	scratch_load_b128 v[107:110], off, off offset:136
	s_waitcnt vmcnt(4)
	v_fma_f64 v[1:2], v[111:112], v[121:122], v[1:2]
	ds_load_b128 v[115:118], v4 offset:448
	ds_load_b128 v[119:122], v4 offset:464
	s_waitcnt lgkmcnt(1)
	v_fma_f64 v[1:2], v[113:114], v[115:116], v[1:2]
	scratch_load_b128 v[111:114], off, off offset:152
	s_waitcnt vmcnt(4)
	v_fma_f64 v[1:2], v[123:124], v[117:118], v[1:2]
	scratch_load_b128 v[115:118], off, off offset:168
	s_waitcnt lgkmcnt(0)
	v_fma_f64 v[1:2], v[125:126], v[119:120], v[1:2]
	s_waitcnt vmcnt(4)
	s_delay_alu instid0(VALU_DEP_1)
	v_fma_f64 v[1:2], v[7:8], v[121:122], v[1:2]
	ds_load_b128 v[119:122], v4 offset:480
	ds_load_b128 v[123:126], v4 offset:496
	s_waitcnt lgkmcnt(1)
	v_fma_f64 v[1:2], v[9:10], v[119:120], v[1:2]
	scratch_load_b128 v[7:10], off, off offset:184
	s_waitcnt vmcnt(4)
	v_fma_f64 v[1:2], v[103:104], v[121:122], v[1:2]
	s_waitcnt lgkmcnt(0)
	s_delay_alu instid0(VALU_DEP_1)
	v_fma_f64 v[1:2], v[105:106], v[123:124], v[1:2]
	scratch_load_b128 v[103:106], off, off offset:200
	s_waitcnt vmcnt(4)
	v_fma_f64 v[1:2], v[107:108], v[125:126], v[1:2]
	ds_load_b128 v[119:122], v4 offset:512
	ds_load_b128 v[123:126], v4 offset:528
	s_waitcnt lgkmcnt(1)
	v_fma_f64 v[1:2], v[109:110], v[119:120], v[1:2]
	scratch_load_b128 v[107:110], off, off offset:216
	s_waitcnt vmcnt(4)
	v_fma_f64 v[1:2], v[111:112], v[121:122], v[1:2]
	s_waitcnt lgkmcnt(0)
	s_delay_alu instid0(VALU_DEP_1)
	v_fma_f64 v[1:2], v[113:114], v[123:124], v[1:2]
	scratch_load_b128 v[111:114], off, off offset:232
	s_waitcnt vmcnt(4)
	v_fma_f64 v[1:2], v[115:116], v[125:126], v[1:2]
	ds_load_b128 v[119:122], v4 offset:544
	ds_load_b128 v[123:126], v4 offset:560
	s_waitcnt lgkmcnt(1)
	v_fma_f64 v[1:2], v[117:118], v[119:120], v[1:2]
	scratch_load_b128 v[115:118], off, off offset:248
	s_waitcnt vmcnt(4)
	v_fma_f64 v[1:2], v[7:8], v[121:122], v[1:2]
	s_waitcnt lgkmcnt(0)
	s_delay_alu instid0(VALU_DEP_1)
	v_fma_f64 v[1:2], v[9:10], v[123:124], v[1:2]
	scratch_load_b128 v[7:10], off, off offset:264
	s_waitcnt vmcnt(4)
	v_fma_f64 v[1:2], v[103:104], v[125:126], v[1:2]
	ds_load_b128 v[119:122], v4 offset:576
	ds_load_b128 v[123:126], v4 offset:592
	s_waitcnt lgkmcnt(1)
	v_fma_f64 v[1:2], v[105:106], v[119:120], v[1:2]
	scratch_load_b128 v[103:106], off, off offset:280
	s_waitcnt vmcnt(4)
	v_fma_f64 v[1:2], v[107:108], v[121:122], v[1:2]
	s_waitcnt lgkmcnt(0)
	s_delay_alu instid0(VALU_DEP_1)
	v_fma_f64 v[1:2], v[109:110], v[123:124], v[1:2]
	scratch_load_b128 v[107:110], off, off offset:296
	s_waitcnt vmcnt(4)
	v_fma_f64 v[1:2], v[111:112], v[125:126], v[1:2]
	ds_load_b128 v[119:122], v4 offset:608
	ds_load_b128 v[123:126], v4 offset:624
	s_waitcnt lgkmcnt(1)
	v_fma_f64 v[1:2], v[113:114], v[119:120], v[1:2]
	scratch_load_b128 v[111:114], off, off offset:312
	s_waitcnt vmcnt(4)
	v_fma_f64 v[1:2], v[115:116], v[121:122], v[1:2]
	s_waitcnt lgkmcnt(0)
	s_delay_alu instid0(VALU_DEP_1)
	v_fma_f64 v[1:2], v[117:118], v[123:124], v[1:2]
	scratch_load_b128 v[115:118], off, off offset:328
	s_waitcnt vmcnt(4)
	v_fma_f64 v[1:2], v[7:8], v[125:126], v[1:2]
	ds_load_b128 v[119:122], v4 offset:640
	ds_load_b128 v[123:126], v4 offset:656
	s_waitcnt lgkmcnt(1)
	v_fma_f64 v[1:2], v[9:10], v[119:120], v[1:2]
	scratch_load_b128 v[7:10], off, off offset:344
	s_waitcnt vmcnt(4)
	v_fma_f64 v[1:2], v[103:104], v[121:122], v[1:2]
	s_waitcnt lgkmcnt(0)
	s_delay_alu instid0(VALU_DEP_1)
	v_fma_f64 v[1:2], v[105:106], v[123:124], v[1:2]
	ds_load_b128 v[103:106], v4 offset:672
	ds_load_b128 v[119:122], v4 offset:688
	s_waitcnt vmcnt(3)
	v_fma_f64 v[1:2], v[107:108], v[125:126], v[1:2]
	s_waitcnt lgkmcnt(1)
	s_delay_alu instid0(VALU_DEP_1) | instskip(SKIP_1) | instid1(VALU_DEP_1)
	v_fma_f64 v[1:2], v[109:110], v[103:104], v[1:2]
	s_waitcnt vmcnt(2)
	v_fma_f64 v[1:2], v[111:112], v[105:106], v[1:2]
	ds_load_b128 v[103:106], v4 offset:704
	ds_load_b64 v[11:12], v4 offset:720
	s_waitcnt lgkmcnt(2)
	v_fma_f64 v[1:2], v[113:114], v[119:120], v[1:2]
	s_waitcnt vmcnt(1)
	s_delay_alu instid0(VALU_DEP_1) | instskip(SKIP_1) | instid1(VALU_DEP_1)
	v_fma_f64 v[1:2], v[115:116], v[121:122], v[1:2]
	s_waitcnt lgkmcnt(1)
	v_fma_f64 v[1:2], v[117:118], v[103:104], v[1:2]
	s_waitcnt vmcnt(0)
	s_delay_alu instid0(VALU_DEP_1) | instskip(SKIP_1) | instid1(VALU_DEP_1)
	v_fma_f64 v[1:2], v[7:8], v[105:106], v[1:2]
	s_waitcnt lgkmcnt(0)
	v_fma_f64 v[1:2], v[9:10], v[11:12], v[1:2]
	s_delay_alu instid0(VALU_DEP_1)
	v_add_f64 v[1:2], v[5:6], -v[1:2]
	scratch_store_b64 off, v[1:2], off offset:8
	v_cmpx_ne_u32_e32 0, v0
	s_cbranch_execz .LBB44_279
; %bb.278:
	scratch_load_b64 v[0:1], off, off
	v_mov_b32_e32 v5, v4
	scratch_store_b64 off, v[4:5], off
	s_waitcnt vmcnt(0)
	ds_store_b64 v3, v[0:1]
.LBB44_279:
	s_or_b32 exec_lo, exec_lo, s0
	s_waitcnt lgkmcnt(0)
	s_waitcnt_vscnt null, 0x0
	s_barrier
	buffer_gl0_inv
	s_clause 0x4
	scratch_load_b128 v[5:8], off, off
	scratch_load_b128 v[0:3], off, off offset:16
	scratch_load_b128 v[9:12], off, off offset:32
	;; [unrolled: 1-line block ×4, first 2 shown]
	ds_load_2addr_b64 v[111:114], v4 offset0:47 offset1:48
	ds_load_2addr_b64 v[115:118], v4 offset0:49 offset1:50
	scratch_load_b128 v[119:122], off, off offset:80
	s_and_b32 vcc_lo, exec_lo, s16
	s_waitcnt vmcnt(5) lgkmcnt(1)
	v_fma_f64 v[7:8], v[7:8], v[111:112], 0
	s_waitcnt vmcnt(4)
	s_delay_alu instid0(VALU_DEP_1) | instskip(SKIP_1) | instid1(VALU_DEP_1)
	v_fma_f64 v[0:1], v[0:1], v[113:114], v[7:8]
	s_waitcnt lgkmcnt(0)
	v_fma_f64 v[7:8], v[2:3], v[115:116], v[0:1]
	scratch_load_b128 v[0:3], off, off offset:96
	s_waitcnt vmcnt(4)
	v_fma_f64 v[115:116], v[9:10], v[117:118], v[7:8]
	ds_load_2addr_b64 v[7:10], v4 offset0:51 offset1:52
	ds_load_2addr_b64 v[111:114], v4 offset0:53 offset1:54
	s_waitcnt lgkmcnt(1)
	v_fma_f64 v[7:8], v[11:12], v[7:8], v[115:116]
	scratch_load_b128 v[115:118], off, off offset:112
	s_waitcnt vmcnt(4)
	v_fma_f64 v[7:8], v[103:104], v[9:10], v[7:8]
	s_waitcnt lgkmcnt(0)
	s_delay_alu instid0(VALU_DEP_1)
	v_fma_f64 v[11:12], v[105:106], v[111:112], v[7:8]
	scratch_load_b128 v[7:10], off, off offset:128
	s_waitcnt vmcnt(4)
	v_fma_f64 v[11:12], v[107:108], v[113:114], v[11:12]
	ds_load_2addr_b64 v[103:106], v4 offset0:55 offset1:56
	ds_load_2addr_b64 v[111:114], v4 offset0:57 offset1:58
	s_waitcnt lgkmcnt(1)
	v_fma_f64 v[11:12], v[109:110], v[103:104], v[11:12]
	scratch_load_b128 v[107:110], off, off offset:144
	s_waitcnt vmcnt(4)
	v_fma_f64 v[11:12], v[119:120], v[105:106], v[11:12]
	scratch_load_b128 v[103:106], off, off offset:160
	s_waitcnt lgkmcnt(0)
	v_fma_f64 v[11:12], v[121:122], v[111:112], v[11:12]
	s_waitcnt vmcnt(4)
	s_delay_alu instid0(VALU_DEP_1)
	v_fma_f64 v[0:1], v[0:1], v[113:114], v[11:12]
	ds_load_2addr_b64 v[111:114], v4 offset0:59 offset1:60
	ds_load_2addr_b64 v[119:122], v4 offset0:61 offset1:62
	s_waitcnt lgkmcnt(1)
	v_fma_f64 v[11:12], v[2:3], v[111:112], v[0:1]
	scratch_load_b128 v[0:3], off, off offset:176
	s_waitcnt vmcnt(4)
	v_fma_f64 v[11:12], v[115:116], v[113:114], v[11:12]
	scratch_load_b128 v[111:114], off, off offset:192
	s_waitcnt lgkmcnt(0)
	v_fma_f64 v[11:12], v[117:118], v[119:120], v[11:12]
	s_waitcnt vmcnt(4)
	s_delay_alu instid0(VALU_DEP_1)
	v_fma_f64 v[7:8], v[7:8], v[121:122], v[11:12]
	ds_load_2addr_b64 v[115:118], v4 offset0:63 offset1:64
	ds_load_2addr_b64 v[119:122], v4 offset0:65 offset1:66
	s_waitcnt lgkmcnt(1)
	v_fma_f64 v[11:12], v[9:10], v[115:116], v[7:8]
	scratch_load_b128 v[7:10], off, off offset:208
	s_waitcnt vmcnt(4)
	v_fma_f64 v[11:12], v[107:108], v[117:118], v[11:12]
	s_waitcnt lgkmcnt(0)
	s_delay_alu instid0(VALU_DEP_1)
	v_fma_f64 v[11:12], v[109:110], v[119:120], v[11:12]
	scratch_load_b128 v[107:110], off, off offset:224
	s_waitcnt vmcnt(4)
	v_fma_f64 v[11:12], v[103:104], v[121:122], v[11:12]
	ds_load_2addr_b64 v[115:118], v4 offset0:67 offset1:68
	ds_load_2addr_b64 v[119:122], v4 offset0:69 offset1:70
	s_waitcnt lgkmcnt(1)
	v_fma_f64 v[11:12], v[105:106], v[115:116], v[11:12]
	scratch_load_b128 v[103:106], off, off offset:240
	s_waitcnt vmcnt(4)
	v_fma_f64 v[0:1], v[0:1], v[117:118], v[11:12]
	s_waitcnt lgkmcnt(0)
	s_delay_alu instid0(VALU_DEP_1)
	v_fma_f64 v[11:12], v[2:3], v[119:120], v[0:1]
	scratch_load_b128 v[0:3], off, off offset:256
	s_waitcnt vmcnt(4)
	;; [unrolled: 13-line block ×4, first 2 shown]
	v_fma_f64 v[0:1], v[0:1], v[121:122], v[11:12]
	ds_load_2addr_b64 v[115:118], v4 offset0:79 offset1:80
	ds_load_2addr_b64 v[119:122], v4 offset0:81 offset1:82
	s_waitcnt lgkmcnt(1)
	v_fma_f64 v[11:12], v[2:3], v[115:116], v[0:1]
	scratch_load_b128 v[0:3], off, off offset:336
	s_waitcnt vmcnt(4)
	v_fma_f64 v[11:12], v[111:112], v[117:118], v[11:12]
	s_waitcnt lgkmcnt(0)
	s_delay_alu instid0(VALU_DEP_1)
	v_fma_f64 v[11:12], v[113:114], v[119:120], v[11:12]
	scratch_load_b64 v[119:120], off, off offset:352
	ds_load_2addr_b64 v[111:114], v4 offset0:83 offset1:84
	ds_load_2addr_b64 v[115:118], v4 offset0:85 offset1:86
	s_waitcnt vmcnt(4)
	v_fma_f64 v[7:8], v[7:8], v[121:122], v[11:12]
	s_waitcnt lgkmcnt(1)
	s_delay_alu instid0(VALU_DEP_1) | instskip(SKIP_1) | instid1(VALU_DEP_1)
	v_fma_f64 v[7:8], v[9:10], v[111:112], v[7:8]
	s_waitcnt vmcnt(3)
	v_fma_f64 v[7:8], v[107:108], v[113:114], v[7:8]
	s_waitcnt lgkmcnt(0)
	s_delay_alu instid0(VALU_DEP_1) | instskip(SKIP_1) | instid1(VALU_DEP_1)
	v_fma_f64 v[7:8], v[109:110], v[115:116], v[7:8]
	s_waitcnt vmcnt(2)
	v_fma_f64 v[11:12], v[103:104], v[117:118], v[7:8]
	ds_load_2addr_b64 v[7:10], v4 offset0:87 offset1:88
	ds_load_2addr_b64 v[107:110], v4 offset0:89 offset1:90
	s_waitcnt lgkmcnt(1)
	v_fma_f64 v[7:8], v[105:106], v[7:8], v[11:12]
	s_waitcnt vmcnt(1)
	s_delay_alu instid0(VALU_DEP_1) | instskip(SKIP_1) | instid1(VALU_DEP_1)
	v_fma_f64 v[0:1], v[0:1], v[9:10], v[7:8]
	s_waitcnt lgkmcnt(0)
	v_fma_f64 v[0:1], v[2:3], v[107:108], v[0:1]
	s_waitcnt vmcnt(0)
	s_delay_alu instid0(VALU_DEP_1) | instskip(NEXT) | instid1(VALU_DEP_1)
	v_fma_f64 v[0:1], v[119:120], v[109:110], v[0:1]
	v_add_f64 v[0:1], v[5:6], -v[0:1]
	scratch_store_b64 off, v[0:1], off
	s_cbranch_vccz .LBB44_369
; %bb.280:
	v_dual_mov_b32 v0, s12 :: v_dual_mov_b32 v1, s13
	s_mov_b32 s0, exec_lo
	flat_load_b32 v0, v[0:1] offset:172
	s_waitcnt vmcnt(0) lgkmcnt(0)
	v_cmpx_ne_u32_e32 44, v0
	s_cbranch_execz .LBB44_282
; %bb.281:
	v_lshl_add_u32 v4, v0, 3, 0
	scratch_load_b64 v[0:1], v4, off offset:-8
	s_waitcnt vmcnt(0)
	scratch_store_b64 off, v[0:1], off offset:344
	scratch_store_b64 v4, v[2:3], off offset:-8
.LBB44_282:
	s_or_b32 exec_lo, exec_lo, s0
	v_dual_mov_b32 v0, s12 :: v_dual_mov_b32 v1, s13
	s_mov_b32 s0, exec_lo
	flat_load_b32 v0, v[0:1] offset:168
	s_waitcnt vmcnt(0) lgkmcnt(0)
	v_cmpx_ne_u32_e32 43, v0
	s_cbranch_execz .LBB44_284
; %bb.283:
	v_lshl_add_u32 v4, v0, 3, 0
	scratch_load_b64 v[0:1], v4, off offset:-8
	scratch_load_b64 v[2:3], off, off offset:336
	s_waitcnt vmcnt(1)
	scratch_store_b64 off, v[0:1], off offset:336
	s_waitcnt vmcnt(0)
	scratch_store_b64 v4, v[2:3], off offset:-8
.LBB44_284:
	s_or_b32 exec_lo, exec_lo, s0
	v_dual_mov_b32 v0, s12 :: v_dual_mov_b32 v1, s13
	s_mov_b32 s0, exec_lo
	flat_load_b32 v0, v[0:1] offset:164
	s_waitcnt vmcnt(0) lgkmcnt(0)
	v_cmpx_ne_u32_e32 42, v0
	s_cbranch_execz .LBB44_286
; %bb.285:
	v_lshl_add_u32 v4, v0, 3, 0
	scratch_load_b64 v[0:1], v4, off offset:-8
	scratch_load_b64 v[2:3], off, off offset:328
	s_waitcnt vmcnt(1)
	scratch_store_b64 off, v[0:1], off offset:328
	s_waitcnt vmcnt(0)
	scratch_store_b64 v4, v[2:3], off offset:-8
.LBB44_286:
	;; [unrolled: 16-line block ×42, first 2 shown]
	s_or_b32 exec_lo, exec_lo, s0
	v_dual_mov_b32 v0, s12 :: v_dual_mov_b32 v1, s13
	s_mov_b32 s0, exec_lo
	flat_load_b32 v2, v[0:1]
	scratch_load_b64 v[0:1], off, off
	s_waitcnt vmcnt(1) lgkmcnt(0)
	v_cmpx_ne_u32_e32 1, v2
	s_cbranch_execz .LBB44_368
; %bb.367:
	v_lshl_add_u32 v4, v2, 3, 0
	scratch_load_b64 v[2:3], v4, off offset:-8
	s_waitcnt vmcnt(0)
	scratch_store_b64 off, v[2:3], off
	scratch_store_b64 v4, v[0:1], off offset:-8
	scratch_load_b64 v[0:1], off, off
.LBB44_368:
	s_or_b32 exec_lo, exec_lo, s0
.LBB44_369:
	s_clause 0xa
	scratch_load_b128 v[2:5], off, off offset:8
	scratch_load_b128 v[6:9], off, off offset:24
	;; [unrolled: 1-line block ×11, first 2 shown]
	s_waitcnt vmcnt(11)
	global_store_b64 v[13:14], v[0:1], off
	s_clause 0x1
	scratch_load_b128 v[10:13], off, off offset:184
	scratch_load_b128 v[139:142], off, off offset:264
	s_waitcnt vmcnt(12)
	global_store_b64 v[15:16], v[2:3], off
	scratch_load_b128 v[0:3], off, off offset:200
	global_store_b64 v[17:18], v[4:5], off
	scratch_load_b128 v[14:17], off, off offset:216
	s_waitcnt vmcnt(13)
	global_store_b64 v[19:20], v[6:7], off
	scratch_load_b128 v[4:7], off, off offset:232
	global_store_b64 v[21:22], v[8:9], off
	scratch_load_b128 v[18:21], off, off offset:248
	s_waitcnt vmcnt(14)
	s_clause 0x1
	global_store_b64 v[23:24], v[103:104], off
	global_store_b64 v[25:26], v[105:106], off
	s_clause 0x1
	scratch_load_b128 v[22:25], off, off offset:280
	scratch_load_b128 v[103:106], off, off offset:296
	s_waitcnt vmcnt(15)
	s_clause 0x1
	global_store_b64 v[27:28], v[107:108], off
	global_store_b64 v[29:30], v[109:110], off
	s_clause 0x1
	scratch_load_b128 v[26:29], off, off offset:312
	scratch_load_b128 v[107:110], off, off offset:328
	s_waitcnt vmcnt(16)
	s_clause 0x1
	global_store_b64 v[31:32], v[111:112], off
	global_store_b64 v[33:34], v[113:114], off
	scratch_load_b128 v[30:33], off, off offset:344
	s_waitcnt vmcnt(16)
	s_clause 0x1
	global_store_b64 v[35:36], v[115:116], off
	global_store_b64 v[37:38], v[117:118], off
	s_waitcnt vmcnt(15)
	s_clause 0x1
	global_store_b64 v[39:40], v[119:120], off
	global_store_b64 v[41:42], v[121:122], off
	;; [unrolled: 4-line block ×11, first 2 shown]
	global_store_b64 v[79:80], v[139:140], off
	global_store_b64 v[81:82], v[141:142], off
	s_waitcnt vmcnt(4)
	s_clause 0x1
	global_store_b64 v[83:84], v[22:23], off
	global_store_b64 v[85:86], v[24:25], off
	s_waitcnt vmcnt(3)
	s_clause 0x1
	;; [unrolled: 4-line block ×5, first 2 shown]
	global_store_b64 v[95:96], v[30:31], off
	global_store_b64 v[99:100], v[32:33], off
	s_endpgm
	.section	.rodata,"a",@progbits
	.p2align	6, 0x0
	.amdhsa_kernel _ZN9rocsolver6v33100L18getri_kernel_smallILi45EdPdEEvT1_iilPiilS4_bb
		.amdhsa_group_segment_fixed_size 728
		.amdhsa_private_segment_fixed_size 368
		.amdhsa_kernarg_size 60
		.amdhsa_user_sgpr_count 15
		.amdhsa_user_sgpr_dispatch_ptr 0
		.amdhsa_user_sgpr_queue_ptr 0
		.amdhsa_user_sgpr_kernarg_segment_ptr 1
		.amdhsa_user_sgpr_dispatch_id 0
		.amdhsa_user_sgpr_private_segment_size 0
		.amdhsa_wavefront_size32 1
		.amdhsa_uses_dynamic_stack 0
		.amdhsa_enable_private_segment 1
		.amdhsa_system_sgpr_workgroup_id_x 1
		.amdhsa_system_sgpr_workgroup_id_y 0
		.amdhsa_system_sgpr_workgroup_id_z 0
		.amdhsa_system_sgpr_workgroup_info 0
		.amdhsa_system_vgpr_workitem_id 0
		.amdhsa_next_free_vgpr 143
		.amdhsa_next_free_sgpr 18
		.amdhsa_reserve_vcc 1
		.amdhsa_float_round_mode_32 0
		.amdhsa_float_round_mode_16_64 0
		.amdhsa_float_denorm_mode_32 3
		.amdhsa_float_denorm_mode_16_64 3
		.amdhsa_dx10_clamp 1
		.amdhsa_ieee_mode 1
		.amdhsa_fp16_overflow 0
		.amdhsa_workgroup_processor_mode 1
		.amdhsa_memory_ordered 1
		.amdhsa_forward_progress 0
		.amdhsa_shared_vgpr_count 0
		.amdhsa_exception_fp_ieee_invalid_op 0
		.amdhsa_exception_fp_denorm_src 0
		.amdhsa_exception_fp_ieee_div_zero 0
		.amdhsa_exception_fp_ieee_overflow 0
		.amdhsa_exception_fp_ieee_underflow 0
		.amdhsa_exception_fp_ieee_inexact 0
		.amdhsa_exception_int_div_zero 0
	.end_amdhsa_kernel
	.section	.text._ZN9rocsolver6v33100L18getri_kernel_smallILi45EdPdEEvT1_iilPiilS4_bb,"axG",@progbits,_ZN9rocsolver6v33100L18getri_kernel_smallILi45EdPdEEvT1_iilPiilS4_bb,comdat
.Lfunc_end44:
	.size	_ZN9rocsolver6v33100L18getri_kernel_smallILi45EdPdEEvT1_iilPiilS4_bb, .Lfunc_end44-_ZN9rocsolver6v33100L18getri_kernel_smallILi45EdPdEEvT1_iilPiilS4_bb
                                        ; -- End function
	.section	.AMDGPU.csdata,"",@progbits
; Kernel info:
; codeLenInByte = 41048
; NumSgprs: 20
; NumVgprs: 143
; ScratchSize: 368
; MemoryBound: 0
; FloatMode: 240
; IeeeMode: 1
; LDSByteSize: 728 bytes/workgroup (compile time only)
; SGPRBlocks: 2
; VGPRBlocks: 17
; NumSGPRsForWavesPerEU: 20
; NumVGPRsForWavesPerEU: 143
; Occupancy: 10
; WaveLimiterHint : 1
; COMPUTE_PGM_RSRC2:SCRATCH_EN: 1
; COMPUTE_PGM_RSRC2:USER_SGPR: 15
; COMPUTE_PGM_RSRC2:TRAP_HANDLER: 0
; COMPUTE_PGM_RSRC2:TGID_X_EN: 1
; COMPUTE_PGM_RSRC2:TGID_Y_EN: 0
; COMPUTE_PGM_RSRC2:TGID_Z_EN: 0
; COMPUTE_PGM_RSRC2:TIDIG_COMP_CNT: 0
	.section	.text._ZN9rocsolver6v33100L18getri_kernel_smallILi46EdPdEEvT1_iilPiilS4_bb,"axG",@progbits,_ZN9rocsolver6v33100L18getri_kernel_smallILi46EdPdEEvT1_iilPiilS4_bb,comdat
	.globl	_ZN9rocsolver6v33100L18getri_kernel_smallILi46EdPdEEvT1_iilPiilS4_bb ; -- Begin function _ZN9rocsolver6v33100L18getri_kernel_smallILi46EdPdEEvT1_iilPiilS4_bb
	.p2align	8
	.type	_ZN9rocsolver6v33100L18getri_kernel_smallILi46EdPdEEvT1_iilPiilS4_bb,@function
_ZN9rocsolver6v33100L18getri_kernel_smallILi46EdPdEEvT1_iilPiilS4_bb: ; @_ZN9rocsolver6v33100L18getri_kernel_smallILi46EdPdEEvT1_iilPiilS4_bb
; %bb.0:
	s_mov_b32 s2, exec_lo
	v_cmpx_gt_u32_e32 46, v0
	s_cbranch_execz .LBB45_194
; %bb.1:
	s_clause 0x2
	s_load_b32 s17, s[0:1], 0x38
	s_load_b128 s[8:11], s[0:1], 0x10
	s_load_b128 s[4:7], s[0:1], 0x28
	s_mov_b32 s14, s15
                                        ; implicit-def: $sgpr12_sgpr13
	s_waitcnt lgkmcnt(0)
	s_bitcmp1_b32 s17, 8
	s_cselect_b32 s16, -1, 0
	s_bfe_u32 s2, s17, 0x10008
	s_ashr_i32 s15, s15, 31
	s_cmp_eq_u32 s2, 0
	s_cbranch_scc1 .LBB45_3
; %bb.2:
	s_load_b32 s2, s[0:1], 0x20
	s_mul_i32 s3, s14, s5
	s_mul_hi_u32 s5, s14, s4
	s_mul_i32 s12, s15, s4
	s_add_i32 s3, s5, s3
	s_mul_i32 s4, s14, s4
	s_add_i32 s5, s3, s12
	s_delay_alu instid0(SALU_CYCLE_1)
	s_lshl_b64 s[4:5], s[4:5], 2
	s_waitcnt lgkmcnt(0)
	s_ashr_i32 s3, s2, 31
	s_add_u32 s4, s10, s4
	s_addc_u32 s5, s11, s5
	s_lshl_b64 s[2:3], s[2:3], 2
	s_delay_alu instid0(SALU_CYCLE_1)
	s_add_u32 s12, s4, s2
	s_addc_u32 s13, s5, s3
.LBB45_3:
	s_load_b128 s[0:3], s[0:1], 0x0
	s_mul_i32 s4, s14, s9
	s_mul_hi_u32 s5, s14, s8
	s_mul_i32 s9, s15, s8
	s_add_i32 s5, s5, s4
	s_mul_i32 s4, s14, s8
	s_add_i32 s5, s5, s9
	v_lshlrev_b32_e32 v3, 3, v0
	s_lshl_b64 s[4:5], s[4:5], 3
	s_waitcnt lgkmcnt(0)
	s_ashr_i32 s9, s2, 31
	s_mov_b32 s8, s2
	s_add_u32 s2, s0, s4
	s_addc_u32 s5, s1, s5
	s_lshl_b64 s[0:1], s[8:9], 3
	v_add3_u32 v1, s3, s3, v0
	s_add_u32 s0, s2, s0
	s_addc_u32 s1, s5, s1
	v_add_co_u32 v24, s2, s0, v3
	s_mov_b32 s4, s3
	s_ashr_i32 s5, s3, 31
	v_add_co_ci_u32_e64 v25, null, s1, 0, s2
	s_lshl_b64 s[4:5], s[4:5], 3
	v_add_nc_u32_e32 v4, s3, v1
	v_add_co_u32 v14, vcc_lo, v24, s4
	v_ashrrev_i32_e32 v2, 31, v1
	v_add_co_ci_u32_e32 v15, vcc_lo, s5, v25, vcc_lo
	s_delay_alu instid0(VALU_DEP_4)
	v_ashrrev_i32_e32 v5, 31, v4
	s_clause 0x1
	global_load_b64 v[52:53], v3, s[0:1]
	global_load_b64 v[54:55], v[14:15], off
	v_lshlrev_b64 v[1:2], 3, v[1:2]
	s_bitcmp0_b32 s17, 0
	v_lshlrev_b64 v[6:7], 3, v[4:5]
	s_delay_alu instid0(VALU_DEP_2) | instskip(NEXT) | instid1(VALU_DEP_3)
	v_add_co_u32 v10, vcc_lo, s0, v1
	v_add_co_ci_u32_e32 v11, vcc_lo, s1, v2, vcc_lo
	s_delay_alu instid0(VALU_DEP_3) | instskip(NEXT) | instid1(VALU_DEP_4)
	v_add_co_u32 v6, vcc_lo, s0, v6
	v_add_co_ci_u32_e32 v7, vcc_lo, s1, v7, vcc_lo
	s_clause 0x1
	global_load_b64 v[56:57], v[10:11], off
	global_load_b64 v[58:59], v[6:7], off
	v_add_nc_u32_e32 v1, s3, v4
	s_delay_alu instid0(VALU_DEP_1) | instskip(SKIP_1) | instid1(VALU_DEP_2)
	v_add_nc_u32_e32 v4, s3, v1
	v_ashrrev_i32_e32 v2, 31, v1
	v_add_nc_u32_e32 v8, s3, v4
	s_delay_alu instid0(VALU_DEP_2) | instskip(SKIP_1) | instid1(VALU_DEP_3)
	v_lshlrev_b64 v[1:2], 3, v[1:2]
	v_ashrrev_i32_e32 v5, 31, v4
	v_add_nc_u32_e32 v12, s3, v8
	v_ashrrev_i32_e32 v9, 31, v8
	s_delay_alu instid0(VALU_DEP_4) | instskip(NEXT) | instid1(VALU_DEP_4)
	v_add_co_u32 v34, vcc_lo, s0, v1
	v_lshlrev_b64 v[4:5], 3, v[4:5]
	s_delay_alu instid0(VALU_DEP_4) | instskip(SKIP_3) | instid1(VALU_DEP_4)
	v_add_nc_u32_e32 v16, s3, v12
	v_ashrrev_i32_e32 v13, 31, v12
	v_add_co_ci_u32_e32 v35, vcc_lo, s1, v2, vcc_lo
	v_lshlrev_b64 v[8:9], 3, v[8:9]
	v_add_nc_u32_e32 v18, s3, v16
	v_add_co_u32 v32, vcc_lo, s0, v4
	v_add_co_ci_u32_e32 v33, vcc_lo, s1, v5, vcc_lo
	s_delay_alu instid0(VALU_DEP_3) | instskip(SKIP_3) | instid1(VALU_DEP_4)
	v_add_nc_u32_e32 v22, s3, v18
	v_lshlrev_b64 v[4:5], 3, v[12:13]
	v_ashrrev_i32_e32 v17, 31, v16
	v_add_co_u32 v26, vcc_lo, s0, v8
	v_add_nc_u32_e32 v30, s3, v22
	v_ashrrev_i32_e32 v19, 31, v18
	v_add_co_ci_u32_e32 v27, vcc_lo, s1, v9, vcc_lo
	v_lshlrev_b64 v[8:9], 3, v[16:17]
	s_delay_alu instid0(VALU_DEP_4) | instskip(SKIP_2) | instid1(VALU_DEP_3)
	v_add_nc_u32_e32 v36, s3, v30
	v_add_co_u32 v28, vcc_lo, s0, v4
	v_add_co_ci_u32_e32 v29, vcc_lo, s1, v5, vcc_lo
	v_add_nc_u32_e32 v38, s3, v36
	v_lshlrev_b64 v[4:5], 3, v[18:19]
	v_ashrrev_i32_e32 v23, 31, v22
	v_add_co_u32 v20, vcc_lo, s0, v8
	s_delay_alu instid0(VALU_DEP_4)
	v_add_nc_u32_e32 v40, s3, v38
	v_ashrrev_i32_e32 v31, 31, v30
	s_clause 0x1
	global_load_b64 v[60:61], v[34:35], off
	global_load_b64 v[62:63], v[32:33], off
	v_add_co_ci_u32_e32 v21, vcc_lo, s1, v9, vcc_lo
	v_add_nc_u32_e32 v42, s3, v40
	v_lshlrev_b64 v[8:9], 3, v[22:23]
	v_add_co_u32 v18, vcc_lo, s0, v4
	v_add_co_ci_u32_e32 v19, vcc_lo, s1, v5, vcc_lo
	s_delay_alu instid0(VALU_DEP_4) | instskip(SKIP_3) | instid1(VALU_DEP_4)
	v_add_nc_u32_e32 v44, s3, v42
	v_lshlrev_b64 v[4:5], 3, v[30:31]
	v_ashrrev_i32_e32 v37, 31, v36
	v_add_co_u32 v16, vcc_lo, s0, v8
	v_add_nc_u32_e32 v46, s3, v44
	v_ashrrev_i32_e32 v39, 31, v38
	v_add_co_ci_u32_e32 v17, vcc_lo, s1, v9, vcc_lo
	v_lshlrev_b64 v[12:13], 3, v[36:37]
	s_delay_alu instid0(VALU_DEP_4) | instskip(SKIP_2) | instid1(VALU_DEP_3)
	v_add_nc_u32_e32 v48, s3, v46
	v_add_co_u32 v8, vcc_lo, s0, v4
	v_add_co_ci_u32_e32 v9, vcc_lo, s1, v5, vcc_lo
	v_add_nc_u32_e32 v50, s3, v48
	v_lshlrev_b64 v[4:5], 3, v[38:39]
	v_ashrrev_i32_e32 v41, 31, v40
	s_clause 0x3
	global_load_b64 v[66:67], v[26:27], off
	global_load_b64 v[68:69], v[28:29], off
	;; [unrolled: 1-line block ×4, first 2 shown]
	v_add_nc_u32_e32 v64, s3, v50
	v_add_co_u32 v12, vcc_lo, s0, v12
	v_ashrrev_i32_e32 v43, 31, v42
	v_add_co_ci_u32_e32 v13, vcc_lo, s1, v13, vcc_lo
	s_delay_alu instid0(VALU_DEP_4) | instskip(SKIP_3) | instid1(VALU_DEP_4)
	v_add_nc_u32_e32 v90, s3, v64
	v_lshlrev_b64 v[30:31], 3, v[40:41]
	v_add_co_u32 v22, vcc_lo, s0, v4
	v_add_co_ci_u32_e32 v23, vcc_lo, s1, v5, vcc_lo
	v_add_nc_u32_e32 v98, s3, v90
	v_lshlrev_b64 v[4:5], 3, v[42:43]
	v_ashrrev_i32_e32 v45, 31, v44
	v_add_co_u32 v30, vcc_lo, s0, v30
	s_delay_alu instid0(VALU_DEP_4) | instskip(SKIP_3) | instid1(VALU_DEP_4)
	v_add_nc_u32_e32 v102, s3, v98
	v_ashrrev_i32_e32 v47, 31, v46
	v_add_co_ci_u32_e32 v31, vcc_lo, s1, v31, vcc_lo
	v_lshlrev_b64 v[38:39], 3, v[44:45]
	v_add_nc_u32_e32 v106, s3, v102
	v_add_co_u32 v36, vcc_lo, s0, v4
	v_add_co_ci_u32_e32 v37, vcc_lo, s1, v5, vcc_lo
	s_delay_alu instid0(VALU_DEP_3)
	v_add_nc_u32_e32 v108, s3, v106
	v_lshlrev_b64 v[4:5], 3, v[46:47]
	s_clause 0x3
	global_load_b64 v[74:75], v[16:17], off
	global_load_b64 v[76:77], v[8:9], off
	;; [unrolled: 1-line block ×4, first 2 shown]
	v_add_co_u32 v38, vcc_lo, s0, v38
	v_add_nc_u32_e32 v110, s3, v108
	v_ashrrev_i32_e32 v49, 31, v48
	v_add_co_ci_u32_e32 v39, vcc_lo, s1, v39, vcc_lo
	v_add_co_u32 v40, vcc_lo, s0, v4
	s_delay_alu instid0(VALU_DEP_4) | instskip(NEXT) | instid1(VALU_DEP_4)
	v_add_nc_u32_e32 v112, s3, v110
	v_lshlrev_b64 v[42:43], 3, v[48:49]
	v_ashrrev_i32_e32 v51, 31, v50
	v_ashrrev_i32_e32 v65, 31, v64
	v_add_co_ci_u32_e32 v41, vcc_lo, s1, v5, vcc_lo
	v_add_nc_u32_e32 v1, s3, v112
	s_delay_alu instid0(VALU_DEP_4)
	v_lshlrev_b64 v[46:47], 3, v[50:51]
	v_add_co_u32 v44, vcc_lo, s0, v42
	s_clause 0x2
	global_load_b64 v[82:83], v[30:31], off
	global_load_b64 v[84:85], v[36:37], off
	;; [unrolled: 1-line block ×3, first 2 shown]
	v_add_nc_u32_e32 v114, s3, v1
	v_add_co_ci_u32_e32 v45, vcc_lo, s1, v43, vcc_lo
	v_lshlrev_b64 v[42:43], 3, v[64:65]
	global_load_b64 v[88:89], v[40:41], off
	v_add_nc_u32_e32 v116, s3, v114
	v_ashrrev_i32_e32 v91, 31, v90
	v_add_co_u32 v46, vcc_lo, s0, v46
	v_add_co_ci_u32_e32 v47, vcc_lo, s1, v47, vcc_lo
	s_delay_alu instid0(VALU_DEP_4) | instskip(NEXT) | instid1(VALU_DEP_4)
	v_add_nc_u32_e32 v118, s3, v116
	v_lshlrev_b64 v[50:51], 3, v[90:91]
	v_ashrrev_i32_e32 v99, 31, v98
	v_ashrrev_i32_e32 v103, 31, v102
	;; [unrolled: 1-line block ×3, first 2 shown]
	v_add_nc_u32_e32 v120, s3, v118
	v_ashrrev_i32_e32 v109, 31, v108
	v_ashrrev_i32_e32 v111, 31, v110
	;; [unrolled: 1-line block ×4, first 2 shown]
	v_add_nc_u32_e32 v122, s3, v120
	v_ashrrev_i32_e32 v115, 31, v114
	v_ashrrev_i32_e32 v117, 31, v116
	;; [unrolled: 1-line block ×3, first 2 shown]
	v_lshlrev_b64 v[1:2], 3, v[1:2]
	v_add_nc_u32_e32 v124, s3, v122
	v_ashrrev_i32_e32 v121, 31, v120
	v_ashrrev_i32_e32 v123, 31, v122
	s_delay_alu instid0(VALU_DEP_3) | instskip(SKIP_1) | instid1(VALU_DEP_2)
	v_add_nc_u32_e32 v126, s3, v124
	v_ashrrev_i32_e32 v125, 31, v124
	v_add_nc_u32_e32 v128, s3, v126
	v_ashrrev_i32_e32 v127, 31, v126
	s_delay_alu instid0(VALU_DEP_2) | instskip(SKIP_1) | instid1(VALU_DEP_2)
	v_add_nc_u32_e32 v130, s3, v128
	v_ashrrev_i32_e32 v129, 31, v128
	v_add_nc_u32_e32 v132, s3, v130
	v_ashrrev_i32_e32 v131, 31, v130
	s_delay_alu instid0(VALU_DEP_2) | instskip(SKIP_1) | instid1(VALU_DEP_2)
	;; [unrolled: 5-line block ×5, first 2 shown]
	v_add_nc_u32_e32 v48, s3, v4
	v_ashrrev_i32_e32 v5, 31, v4
	v_ashrrev_i32_e32 v49, 31, v48
	s_delay_alu instid0(VALU_DEP_1) | instskip(SKIP_2) | instid1(VALU_DEP_3)
	v_lshlrev_b64 v[64:65], 3, v[48:49]
	v_add_co_u32 v48, vcc_lo, s0, v42
	v_add_co_ci_u32_e32 v49, vcc_lo, s1, v43, vcc_lo
	v_add_co_u32 v42, vcc_lo, s0, v64
	s_delay_alu instid0(VALU_DEP_4)
	v_add_co_ci_u32_e32 v43, vcc_lo, s1, v65, vcc_lo
	v_add_co_u32 v50, vcc_lo, s0, v50
	v_add_co_ci_u32_e32 v51, vcc_lo, s1, v51, vcc_lo
	global_load_b64 v[100:101], v[42:43], off
	v_lshlrev_b64 v[64:65], 3, v[110:111]
	s_waitcnt vmcnt(17)
	scratch_store_b128 off, v[52:55], off
	v_lshlrev_b64 v[52:53], 3, v[98:99]
	s_clause 0x3
	global_load_b64 v[90:91], v[44:45], off
	global_load_b64 v[92:93], v[46:47], off
	;; [unrolled: 1-line block ×4, first 2 shown]
	v_lshlrev_b64 v[54:55], 3, v[102:103]
	v_lshlrev_b64 v[98:99], 3, v[114:115]
	v_add_co_u32 v52, vcc_lo, s0, v52
	v_add_co_ci_u32_e32 v53, vcc_lo, s1, v53, vcc_lo
	s_delay_alu instid0(VALU_DEP_4)
	v_add_co_u32 v54, vcc_lo, s0, v54
	v_add_co_ci_u32_e32 v55, vcc_lo, s1, v55, vcc_lo
	s_waitcnt vmcnt(19)
	scratch_store_b128 off, v[56:59], off offset:16
	s_clause 0x1
	global_load_b64 v[102:103], v[52:53], off
	global_load_b64 v[104:105], v[54:55], off
	v_lshlrev_b64 v[56:57], 3, v[106:107]
	v_lshlrev_b64 v[58:59], 3, v[108:109]
	s_delay_alu instid0(VALU_DEP_2) | instskip(NEXT) | instid1(VALU_DEP_3)
	v_add_co_u32 v56, vcc_lo, s0, v56
	v_add_co_ci_u32_e32 v57, vcc_lo, s1, v57, vcc_lo
	s_delay_alu instid0(VALU_DEP_3) | instskip(NEXT) | instid1(VALU_DEP_4)
	v_add_co_u32 v58, vcc_lo, s0, v58
	v_add_co_ci_u32_e32 v59, vcc_lo, s1, v59, vcc_lo
	global_load_b64 v[106:107], v[56:57], off
	s_waitcnt vmcnt(20)
	scratch_store_b128 off, v[60:63], off offset:32
	v_lshlrev_b64 v[62:63], 3, v[112:113]
	v_add_co_u32 v60, vcc_lo, s0, v64
	v_add_co_ci_u32_e32 v61, vcc_lo, s1, v65, vcc_lo
	s_waitcnt vmcnt(18)
	scratch_store_b128 off, v[66:69], off offset:48
	s_waitcnt vmcnt(16)
	scratch_store_b128 off, v[70:73], off offset:64
	v_add_co_u32 v62, vcc_lo, s0, v62
	v_add_co_ci_u32_e32 v63, vcc_lo, s1, v63, vcc_lo
	v_add_co_u32 v64, vcc_lo, s0, v1
	v_add_co_ci_u32_e32 v65, vcc_lo, s1, v2, vcc_lo
	v_lshlrev_b64 v[1:2], 3, v[116:117]
	v_add_co_u32 v66, vcc_lo, s0, v98
	v_add_co_ci_u32_e32 v67, vcc_lo, s1, v99, vcc_lo
	v_lshlrev_b64 v[70:71], 3, v[118:119]
	s_delay_alu instid0(VALU_DEP_4) | instskip(SKIP_2) | instid1(VALU_DEP_4)
	v_add_co_u32 v68, vcc_lo, s0, v1
	v_add_co_ci_u32_e32 v69, vcc_lo, s1, v2, vcc_lo
	v_lshlrev_b64 v[1:2], 3, v[120:121]
	v_add_co_u32 v70, vcc_lo, s0, v70
	v_add_co_ci_u32_e32 v71, vcc_lo, s1, v71, vcc_lo
	v_lshlrev_b64 v[98:99], 3, v[122:123]
	s_delay_alu instid0(VALU_DEP_4)
	v_add_co_u32 v72, vcc_lo, s0, v1
	v_add_co_ci_u32_e32 v73, vcc_lo, s1, v2, vcc_lo
	v_lshlrev_b64 v[1:2], 3, v[124:125]
	s_clause 0x3
	global_load_b64 v[108:109], v[58:59], off
	global_load_b64 v[110:111], v[60:61], off
	;; [unrolled: 1-line block ×4, first 2 shown]
	s_waitcnt vmcnt(18)
	scratch_store_b128 off, v[74:77], off offset:80
	s_waitcnt vmcnt(16)
	scratch_store_b128 off, v[78:81], off offset:96
	v_add_co_u32 v74, vcc_lo, s0, v98
	v_add_co_ci_u32_e32 v75, vcc_lo, s1, v99, vcc_lo
	v_lshlrev_b64 v[78:79], 3, v[126:127]
	v_add_co_u32 v76, vcc_lo, s0, v1
	v_add_co_ci_u32_e32 v77, vcc_lo, s1, v2, vcc_lo
	v_lshlrev_b64 v[1:2], 3, v[128:129]
	s_delay_alu instid0(VALU_DEP_4) | instskip(SKIP_2) | instid1(VALU_DEP_4)
	v_add_co_u32 v78, vcc_lo, s0, v78
	v_add_co_ci_u32_e32 v79, vcc_lo, s1, v79, vcc_lo
	v_lshlrev_b64 v[98:99], 3, v[130:131]
	v_add_co_u32 v80, vcc_lo, s0, v1
	v_add_co_ci_u32_e32 v81, vcc_lo, s1, v2, vcc_lo
	v_lshlrev_b64 v[1:2], 3, v[132:133]
	s_clause 0x3
	global_load_b64 v[116:117], v[66:67], off
	global_load_b64 v[118:119], v[68:69], off
	;; [unrolled: 1-line block ×4, first 2 shown]
	s_waitcnt vmcnt(18)
	scratch_store_b128 off, v[82:85], off offset:112
	s_waitcnt vmcnt(16)
	scratch_store_b128 off, v[86:89], off offset:128
	v_add_co_u32 v82, vcc_lo, s0, v98
	v_add_co_ci_u32_e32 v83, vcc_lo, s1, v99, vcc_lo
	v_lshlrev_b64 v[86:87], 3, v[134:135]
	v_add_co_u32 v84, vcc_lo, s0, v1
	v_add_co_ci_u32_e32 v85, vcc_lo, s1, v2, vcc_lo
	v_lshlrev_b64 v[1:2], 3, v[136:137]
	s_delay_alu instid0(VALU_DEP_4) | instskip(SKIP_2) | instid1(VALU_DEP_4)
	v_add_co_u32 v86, vcc_lo, s0, v86
	v_add_co_ci_u32_e32 v87, vcc_lo, s1, v87, vcc_lo
	v_lshlrev_b64 v[98:99], 3, v[138:139]
	v_add_co_u32 v88, vcc_lo, s0, v1
	v_add_co_ci_u32_e32 v89, vcc_lo, s1, v2, vcc_lo
	v_lshlrev_b64 v[1:2], 3, v[140:141]
	s_clause 0x3
	global_load_b64 v[124:125], v[74:75], off
	global_load_b64 v[126:127], v[76:77], off
	;; [unrolled: 1-line block ×4, first 2 shown]
	s_waitcnt vmcnt(17)
	scratch_store_b128 off, v[90:93], off offset:144
	s_waitcnt vmcnt(15)
	scratch_store_b128 off, v[94:97], off offset:160
	v_add_co_u32 v90, vcc_lo, s0, v98
	v_add_co_ci_u32_e32 v91, vcc_lo, s1, v99, vcc_lo
	v_lshlrev_b64 v[94:95], 3, v[142:143]
	v_add_co_u32 v92, vcc_lo, s0, v1
	v_add_co_ci_u32_e32 v93, vcc_lo, s1, v2, vcc_lo
	v_lshlrev_b64 v[1:2], 3, v[4:5]
	s_delay_alu instid0(VALU_DEP_4)
	v_add_co_u32 v94, vcc_lo, s0, v94
	v_add_co_ci_u32_e32 v95, vcc_lo, s1, v95, vcc_lo
	s_clause 0x3
	global_load_b64 v[132:133], v[82:83], off
	global_load_b64 v[134:135], v[84:85], off
	;; [unrolled: 1-line block ×4, first 2 shown]
	v_add_co_u32 v96, vcc_lo, s0, v1
	v_add_co_ci_u32_e32 v97, vcc_lo, s1, v2, vcc_lo
	s_waitcnt vmcnt(17)
	scratch_store_b128 off, v[102:105], off offset:176
	s_clause 0x3
	global_load_b64 v[140:141], v[90:91], off
	global_load_b64 v[102:103], v[92:93], off
	;; [unrolled: 1-line block ×4, first 2 shown]
	s_mov_b32 s1, -1
	s_waitcnt vmcnt(19)
	scratch_store_b128 off, v[106:109], off offset:192
	s_waitcnt vmcnt(17)
	scratch_store_b128 off, v[110:113], off offset:208
	;; [unrolled: 2-line block ×11, first 2 shown]
	s_cbranch_scc1 .LBB45_192
; %bb.4:
	v_cmp_eq_u32_e64 s0, 0, v0
	s_delay_alu instid0(VALU_DEP_1)
	s_and_saveexec_b32 s1, s0
	s_cbranch_execz .LBB45_6
; %bb.5:
	v_mov_b32_e32 v1, 0
	ds_store_b32 v1, v1 offset:736
.LBB45_6:
	s_or_b32 exec_lo, exec_lo, s1
	s_waitcnt lgkmcnt(0)
	s_waitcnt_vscnt null, 0x0
	s_barrier
	buffer_gl0_inv
	scratch_load_b64 v[1:2], v3, off
	s_mov_b32 s2, exec_lo
	s_waitcnt vmcnt(0)
	v_cmpx_eq_f64_e32 0, v[1:2]
	s_cbranch_execz .LBB45_10
; %bb.7:
	v_mov_b32_e32 v1, 0
	s_mov_b32 s3, 0
	ds_load_b32 v2, v1 offset:736
	s_waitcnt lgkmcnt(0)
	v_readfirstlane_b32 s1, v2
	v_add_nc_u32_e32 v2, 1, v0
	s_delay_alu instid0(VALU_DEP_2) | instskip(NEXT) | instid1(VALU_DEP_1)
	s_cmp_eq_u32 s1, 0
	v_cmp_gt_i32_e32 vcc_lo, s1, v2
	s_cselect_b32 s4, -1, 0
	s_delay_alu instid0(SALU_CYCLE_1) | instskip(NEXT) | instid1(SALU_CYCLE_1)
	s_or_b32 s4, s4, vcc_lo
	s_and_b32 exec_lo, exec_lo, s4
	s_cbranch_execz .LBB45_10
; %bb.8:
	v_mov_b32_e32 v4, s1
.LBB45_9:                               ; =>This Inner Loop Header: Depth=1
	ds_cmpstore_rtn_b32 v4, v1, v2, v4 offset:736
	s_waitcnt lgkmcnt(0)
	v_cmp_ne_u32_e32 vcc_lo, 0, v4
	v_cmp_le_i32_e64 s1, v4, v2
	s_delay_alu instid0(VALU_DEP_1) | instskip(NEXT) | instid1(SALU_CYCLE_1)
	s_and_b32 s1, vcc_lo, s1
	s_and_b32 s1, exec_lo, s1
	s_delay_alu instid0(SALU_CYCLE_1) | instskip(NEXT) | instid1(SALU_CYCLE_1)
	s_or_b32 s3, s1, s3
	s_and_not1_b32 exec_lo, exec_lo, s3
	s_cbranch_execnz .LBB45_9
.LBB45_10:
	s_or_b32 exec_lo, exec_lo, s2
	v_mov_b32_e32 v1, 0
	s_barrier
	buffer_gl0_inv
	ds_load_b32 v2, v1 offset:736
	s_and_saveexec_b32 s1, s0
	s_cbranch_execz .LBB45_12
; %bb.11:
	s_lshl_b64 s[2:3], s[14:15], 2
	s_delay_alu instid0(SALU_CYCLE_1)
	s_add_u32 s2, s6, s2
	s_addc_u32 s3, s7, s3
	s_waitcnt lgkmcnt(0)
	global_store_b32 v1, v2, s[2:3]
.LBB45_12:
	s_or_b32 exec_lo, exec_lo, s1
	s_waitcnt lgkmcnt(0)
	v_cmp_ne_u32_e32 vcc_lo, 0, v2
	s_mov_b32 s1, 0
	s_cbranch_vccnz .LBB45_192
; %bb.13:
	v_add_nc_u32_e32 v4, 0, v3
	v_add_nc_u32_e32 v5, 0x170, v3
	scratch_load_b64 v[1:2], v4, off
	s_waitcnt vmcnt(0)
	v_div_scale_f64 v[98:99], null, v[1:2], v[1:2], 1.0
	v_div_scale_f64 v[104:105], vcc_lo, 1.0, v[1:2], 1.0
	s_delay_alu instid0(VALU_DEP_2) | instskip(SKIP_2) | instid1(VALU_DEP_1)
	v_rcp_f64_e32 v[100:101], v[98:99]
	s_waitcnt_depctr 0xfff
	v_fma_f64 v[102:103], -v[98:99], v[100:101], 1.0
	v_fma_f64 v[100:101], v[100:101], v[102:103], v[100:101]
	s_delay_alu instid0(VALU_DEP_1) | instskip(NEXT) | instid1(VALU_DEP_1)
	v_fma_f64 v[102:103], -v[98:99], v[100:101], 1.0
	v_fma_f64 v[100:101], v[100:101], v[102:103], v[100:101]
	s_delay_alu instid0(VALU_DEP_1) | instskip(NEXT) | instid1(VALU_DEP_1)
	v_mul_f64 v[102:103], v[104:105], v[100:101]
	v_fma_f64 v[98:99], -v[98:99], v[102:103], v[104:105]
	s_delay_alu instid0(VALU_DEP_1) | instskip(NEXT) | instid1(VALU_DEP_1)
	v_div_fmas_f64 v[98:99], v[98:99], v[100:101], v[102:103]
	v_div_fixup_f64 v[1:2], v[98:99], v[1:2], 1.0
	scratch_store_b64 v4, v[1:2], off
	scratch_load_b64 v[98:99], off, off offset:8
	v_xor_b32_e32 v2, 0x80000000, v2
	s_waitcnt vmcnt(0)
	ds_store_2addr_b64 v3, v[1:2], v[98:99] offset1:46
	s_waitcnt lgkmcnt(0)
	s_waitcnt_vscnt null, 0x0
	s_barrier
	buffer_gl0_inv
	s_and_saveexec_b32 s1, s0
	s_cbranch_execz .LBB45_15
; %bb.14:
	scratch_load_b64 v[1:2], v4, off
	ds_load_b64 v[98:99], v5
	s_waitcnt vmcnt(0) lgkmcnt(0)
	v_fma_f64 v[1:2], v[1:2], v[98:99], 0
	v_mov_b32_e32 v98, 0
	ds_load_b64 v[98:99], v98 offset:8
	s_waitcnt lgkmcnt(0)
	v_mul_f64 v[1:2], v[1:2], v[98:99]
	scratch_store_b64 off, v[1:2], off offset:8
.LBB45_15:
	s_or_b32 exec_lo, exec_lo, s1
	s_waitcnt_vscnt null, 0x0
	s_barrier
	buffer_gl0_inv
	scratch_load_b64 v[1:2], off, off offset:16
	s_mov_b32 s1, exec_lo
	s_waitcnt vmcnt(0)
	ds_store_b64 v5, v[1:2]
	s_waitcnt lgkmcnt(0)
	s_barrier
	buffer_gl0_inv
	v_cmpx_gt_u32_e32 2, v0
	s_cbranch_execz .LBB45_19
; %bb.16:
	scratch_load_b64 v[1:2], v4, off
	ds_load_b64 v[98:99], v5
	s_waitcnt vmcnt(0) lgkmcnt(0)
	v_fma_f64 v[1:2], v[1:2], v[98:99], 0
	s_and_saveexec_b32 s2, s0
	s_cbranch_execz .LBB45_18
; %bb.17:
	scratch_load_b64 v[98:99], off, off offset:8
	v_mov_b32_e32 v100, 0
	ds_load_b64 v[100:101], v100 offset:376
	s_waitcnt vmcnt(0) lgkmcnt(0)
	v_fma_f64 v[1:2], v[98:99], v[100:101], v[1:2]
.LBB45_18:
	s_or_b32 exec_lo, exec_lo, s2
	v_mov_b32_e32 v98, 0
	ds_load_b64 v[98:99], v98 offset:16
	s_waitcnt lgkmcnt(0)
	v_mul_f64 v[1:2], v[1:2], v[98:99]
	scratch_store_b64 off, v[1:2], off offset:16
.LBB45_19:
	s_or_b32 exec_lo, exec_lo, s1
	s_waitcnt_vscnt null, 0x0
	s_barrier
	buffer_gl0_inv
	scratch_load_b64 v[1:2], off, off offset:24
	v_add_nc_u32_e32 v98, -1, v0
	s_mov_b32 s0, exec_lo
	s_waitcnt vmcnt(0)
	ds_store_b64 v5, v[1:2]
	s_waitcnt lgkmcnt(0)
	s_barrier
	buffer_gl0_inv
	v_cmpx_gt_u32_e32 3, v0
	s_cbranch_execz .LBB45_23
; %bb.20:
	v_dual_mov_b32 v1, 0 :: v_dual_add_nc_u32 v100, 0x170, v3
	v_dual_mov_b32 v2, 0 :: v_dual_add_nc_u32 v99, -1, v0
	v_add_nc_u32_e32 v101, 0, v3
	s_mov_b32 s1, 0
.LBB45_21:                              ; =>This Inner Loop Header: Depth=1
	scratch_load_b64 v[102:103], v101, off
	ds_load_b64 v[104:105], v100
	v_add_nc_u32_e32 v99, 1, v99
	v_add_nc_u32_e32 v100, 8, v100
	v_add_nc_u32_e32 v101, 8, v101
	s_delay_alu instid0(VALU_DEP_3)
	v_cmp_lt_u32_e32 vcc_lo, 1, v99
	s_or_b32 s1, vcc_lo, s1
	s_waitcnt vmcnt(0) lgkmcnt(0)
	v_fma_f64 v[1:2], v[102:103], v[104:105], v[1:2]
	s_and_not1_b32 exec_lo, exec_lo, s1
	s_cbranch_execnz .LBB45_21
; %bb.22:
	s_or_b32 exec_lo, exec_lo, s1
	v_mov_b32_e32 v99, 0
	ds_load_b64 v[99:100], v99 offset:24
	s_waitcnt lgkmcnt(0)
	v_mul_f64 v[1:2], v[1:2], v[99:100]
	scratch_store_b64 off, v[1:2], off offset:24
.LBB45_23:
	s_or_b32 exec_lo, exec_lo, s0
	s_waitcnt_vscnt null, 0x0
	s_barrier
	buffer_gl0_inv
	scratch_load_b64 v[1:2], off, off offset:32
	s_mov_b32 s0, exec_lo
	s_waitcnt vmcnt(0)
	ds_store_b64 v5, v[1:2]
	s_waitcnt lgkmcnt(0)
	s_barrier
	buffer_gl0_inv
	v_cmpx_gt_u32_e32 4, v0
	s_cbranch_execz .LBB45_27
; %bb.24:
	v_dual_mov_b32 v1, 0 :: v_dual_add_nc_u32 v100, 0x170, v3
	v_dual_mov_b32 v2, 0 :: v_dual_add_nc_u32 v99, -1, v0
	v_add_nc_u32_e32 v101, 0, v3
	s_mov_b32 s1, 0
.LBB45_25:                              ; =>This Inner Loop Header: Depth=1
	scratch_load_b64 v[102:103], v101, off
	ds_load_b64 v[104:105], v100
	v_add_nc_u32_e32 v99, 1, v99
	v_add_nc_u32_e32 v100, 8, v100
	v_add_nc_u32_e32 v101, 8, v101
	s_delay_alu instid0(VALU_DEP_3)
	v_cmp_lt_u32_e32 vcc_lo, 2, v99
	s_or_b32 s1, vcc_lo, s1
	s_waitcnt vmcnt(0) lgkmcnt(0)
	v_fma_f64 v[1:2], v[102:103], v[104:105], v[1:2]
	s_and_not1_b32 exec_lo, exec_lo, s1
	s_cbranch_execnz .LBB45_25
; %bb.26:
	s_or_b32 exec_lo, exec_lo, s1
	v_mov_b32_e32 v99, 0
	ds_load_b64 v[99:100], v99 offset:32
	s_waitcnt lgkmcnt(0)
	v_mul_f64 v[1:2], v[1:2], v[99:100]
	scratch_store_b64 off, v[1:2], off offset:32
.LBB45_27:
	s_or_b32 exec_lo, exec_lo, s0
	s_waitcnt_vscnt null, 0x0
	s_barrier
	buffer_gl0_inv
	scratch_load_b64 v[1:2], off, off offset:40
	;; [unrolled: 39-line block ×20, first 2 shown]
	s_mov_b32 s0, exec_lo
	s_waitcnt vmcnt(0)
	ds_store_b64 v5, v[1:2]
	s_waitcnt lgkmcnt(0)
	s_barrier
	buffer_gl0_inv
	v_cmpx_gt_u32_e32 23, v0
	s_cbranch_execz .LBB45_103
; %bb.100:
	v_dual_mov_b32 v1, 0 :: v_dual_add_nc_u32 v100, 0x170, v3
	v_dual_mov_b32 v2, 0 :: v_dual_add_nc_u32 v99, -1, v0
	v_add_nc_u32_e32 v101, 0, v3
	s_mov_b32 s1, 0
.LBB45_101:                             ; =>This Inner Loop Header: Depth=1
	scratch_load_b64 v[102:103], v101, off
	ds_load_b64 v[104:105], v100
	v_add_nc_u32_e32 v99, 1, v99
	v_add_nc_u32_e32 v100, 8, v100
	v_add_nc_u32_e32 v101, 8, v101
	s_delay_alu instid0(VALU_DEP_3)
	v_cmp_lt_u32_e32 vcc_lo, 21, v99
	s_or_b32 s1, vcc_lo, s1
	s_waitcnt vmcnt(0) lgkmcnt(0)
	v_fma_f64 v[1:2], v[102:103], v[104:105], v[1:2]
	s_and_not1_b32 exec_lo, exec_lo, s1
	s_cbranch_execnz .LBB45_101
; %bb.102:
	s_or_b32 exec_lo, exec_lo, s1
	v_mov_b32_e32 v99, 0
	ds_load_b64 v[99:100], v99 offset:184
	s_waitcnt lgkmcnt(0)
	v_mul_f64 v[1:2], v[1:2], v[99:100]
	scratch_store_b64 off, v[1:2], off offset:184
.LBB45_103:
	s_or_b32 exec_lo, exec_lo, s0
	s_waitcnt_vscnt null, 0x0
	s_barrier
	buffer_gl0_inv
	scratch_load_b64 v[1:2], off, off offset:192
	s_mov_b32 s0, exec_lo
	s_waitcnt vmcnt(0)
	ds_store_b64 v5, v[1:2]
	s_waitcnt lgkmcnt(0)
	s_barrier
	buffer_gl0_inv
	v_cmpx_gt_u32_e32 24, v0
	s_cbranch_execz .LBB45_107
; %bb.104:
	v_dual_mov_b32 v1, 0 :: v_dual_add_nc_u32 v100, 0x170, v3
	v_dual_mov_b32 v2, 0 :: v_dual_add_nc_u32 v99, -1, v0
	v_add_nc_u32_e32 v101, 0, v3
	s_mov_b32 s1, 0
.LBB45_105:                             ; =>This Inner Loop Header: Depth=1
	scratch_load_b64 v[102:103], v101, off
	ds_load_b64 v[104:105], v100
	v_add_nc_u32_e32 v99, 1, v99
	v_add_nc_u32_e32 v100, 8, v100
	v_add_nc_u32_e32 v101, 8, v101
	s_delay_alu instid0(VALU_DEP_3)
	v_cmp_lt_u32_e32 vcc_lo, 22, v99
	s_or_b32 s1, vcc_lo, s1
	s_waitcnt vmcnt(0) lgkmcnt(0)
	v_fma_f64 v[1:2], v[102:103], v[104:105], v[1:2]
	s_and_not1_b32 exec_lo, exec_lo, s1
	s_cbranch_execnz .LBB45_105
; %bb.106:
	s_or_b32 exec_lo, exec_lo, s1
	v_mov_b32_e32 v99, 0
	ds_load_b64 v[99:100], v99 offset:192
	s_waitcnt lgkmcnt(0)
	v_mul_f64 v[1:2], v[1:2], v[99:100]
	scratch_store_b64 off, v[1:2], off offset:192
.LBB45_107:
	s_or_b32 exec_lo, exec_lo, s0
	s_waitcnt_vscnt null, 0x0
	s_barrier
	buffer_gl0_inv
	scratch_load_b64 v[1:2], off, off offset:200
	;; [unrolled: 39-line block ×22, first 2 shown]
	s_mov_b32 s0, exec_lo
	s_waitcnt vmcnt(0)
	ds_store_b64 v5, v[1:2]
	s_waitcnt lgkmcnt(0)
	s_barrier
	buffer_gl0_inv
	v_cmpx_ne_u32_e32 45, v0
	s_cbranch_execz .LBB45_191
; %bb.188:
	v_mov_b32_e32 v1, 0
	v_mov_b32_e32 v2, 0
	s_mov_b32 s1, 0
.LBB45_189:                             ; =>This Inner Loop Header: Depth=1
	scratch_load_b64 v[99:100], v4, off
	ds_load_b64 v[101:102], v5
	v_add_nc_u32_e32 v98, 1, v98
	v_add_nc_u32_e32 v5, 8, v5
	;; [unrolled: 1-line block ×3, first 2 shown]
	s_delay_alu instid0(VALU_DEP_3)
	v_cmp_lt_u32_e32 vcc_lo, 43, v98
	s_or_b32 s1, vcc_lo, s1
	s_waitcnt vmcnt(0) lgkmcnt(0)
	v_fma_f64 v[1:2], v[99:100], v[101:102], v[1:2]
	s_and_not1_b32 exec_lo, exec_lo, s1
	s_cbranch_execnz .LBB45_189
; %bb.190:
	s_or_b32 exec_lo, exec_lo, s1
	v_mov_b32_e32 v3, 0
	ds_load_b64 v[3:4], v3 offset:360
	s_waitcnt lgkmcnt(0)
	v_mul_f64 v[1:2], v[1:2], v[3:4]
	scratch_store_b64 off, v[1:2], off offset:360
.LBB45_191:
	s_or_b32 exec_lo, exec_lo, s0
	s_mov_b32 s1, -1
	s_waitcnt_vscnt null, 0x0
	s_barrier
	buffer_gl0_inv
.LBB45_192:
	s_and_b32 vcc_lo, exec_lo, s1
	s_cbranch_vccz .LBB45_194
; %bb.193:
	s_lshl_b64 s[0:1], s[14:15], 2
	v_mov_b32_e32 v1, 0
	s_add_u32 s0, s6, s0
	s_addc_u32 s1, s7, s1
	global_load_b32 v1, v1, s[0:1]
	s_waitcnt vmcnt(0)
	v_cmp_ne_u32_e32 vcc_lo, 0, v1
	s_cbranch_vccz .LBB45_195
.LBB45_194:
	s_endpgm
.LBB45_195:
	v_lshl_add_u32 v3, v0, 3, 0x170
	s_mov_b32 s0, exec_lo
	v_cmpx_eq_u32_e32 45, v0
	s_cbranch_execz .LBB45_197
; %bb.196:
	scratch_load_b64 v[1:2], off, off offset:352
	v_mov_b32_e32 v4, 0
	s_delay_alu instid0(VALU_DEP_1)
	v_mov_b32_e32 v5, v4
	scratch_store_b64 off, v[4:5], off offset:352
	s_waitcnt vmcnt(0)
	ds_store_b64 v3, v[1:2]
.LBB45_197:
	s_or_b32 exec_lo, exec_lo, s0
	s_waitcnt lgkmcnt(0)
	s_waitcnt_vscnt null, 0x0
	s_barrier
	buffer_gl0_inv
	scratch_load_b128 v[98:101], off, off offset:352
	v_mov_b32_e32 v1, 0
	s_mov_b32 s0, exec_lo
	ds_load_b64 v[4:5], v1 offset:728
	s_waitcnt vmcnt(0) lgkmcnt(0)
	v_fma_f64 v[4:5], v[100:101], v[4:5], 0
	s_delay_alu instid0(VALU_DEP_1)
	v_add_f64 v[4:5], v[98:99], -v[4:5]
	scratch_store_b64 off, v[4:5], off offset:352
	v_cmpx_lt_u32_e32 43, v0
	s_cbranch_execz .LBB45_199
; %bb.198:
	scratch_load_b64 v[4:5], off, off offset:344
	v_mov_b32_e32 v2, v1
	scratch_store_b64 off, v[1:2], off offset:344
	s_waitcnt vmcnt(0)
	ds_store_b64 v3, v[4:5]
.LBB45_199:
	s_or_b32 exec_lo, exec_lo, s0
	s_waitcnt lgkmcnt(0)
	s_waitcnt_vscnt null, 0x0
	s_barrier
	buffer_gl0_inv
	s_clause 0x1
	scratch_load_b128 v[98:101], off, off offset:344
	scratch_load_b64 v[4:5], off, off offset:360
	ds_load_b128 v[102:105], v1 offset:720
	s_mov_b32 s0, exec_lo
	s_waitcnt vmcnt(1) lgkmcnt(0)
	v_fma_f64 v[1:2], v[100:101], v[102:103], 0
	s_waitcnt vmcnt(0)
	s_delay_alu instid0(VALU_DEP_1) | instskip(NEXT) | instid1(VALU_DEP_1)
	v_fma_f64 v[1:2], v[4:5], v[104:105], v[1:2]
	v_add_f64 v[1:2], v[98:99], -v[1:2]
	scratch_store_b64 off, v[1:2], off offset:344
	v_cmpx_lt_u32_e32 42, v0
	s_cbranch_execz .LBB45_201
; %bb.200:
	scratch_load_b64 v[1:2], off, off offset:336
	v_mov_b32_e32 v4, 0
	s_delay_alu instid0(VALU_DEP_1)
	v_mov_b32_e32 v5, v4
	scratch_store_b64 off, v[4:5], off offset:336
	s_waitcnt vmcnt(0)
	ds_store_b64 v3, v[1:2]
.LBB45_201:
	s_or_b32 exec_lo, exec_lo, s0
	s_waitcnt lgkmcnt(0)
	s_waitcnt_vscnt null, 0x0
	s_barrier
	buffer_gl0_inv
	s_clause 0x1
	scratch_load_b128 v[98:101], off, off offset:336
	scratch_load_b128 v[102:105], off, off offset:352
	v_mov_b32_e32 v1, 0
	ds_load_2addr_b64 v[106:109], v1 offset0:89 offset1:90
	ds_load_b64 v[4:5], v1 offset:728
	s_mov_b32 s0, exec_lo
	s_waitcnt vmcnt(1) lgkmcnt(1)
	v_fma_f64 v[100:101], v[100:101], v[106:107], 0
	s_waitcnt vmcnt(0)
	s_delay_alu instid0(VALU_DEP_1) | instskip(SKIP_1) | instid1(VALU_DEP_1)
	v_fma_f64 v[100:101], v[102:103], v[108:109], v[100:101]
	s_waitcnt lgkmcnt(0)
	v_fma_f64 v[4:5], v[104:105], v[4:5], v[100:101]
	s_delay_alu instid0(VALU_DEP_1)
	v_add_f64 v[4:5], v[98:99], -v[4:5]
	scratch_store_b64 off, v[4:5], off offset:336
	v_cmpx_lt_u32_e32 41, v0
	s_cbranch_execz .LBB45_203
; %bb.202:
	scratch_load_b64 v[4:5], off, off offset:328
	v_mov_b32_e32 v2, v1
	scratch_store_b64 off, v[1:2], off offset:328
	s_waitcnt vmcnt(0)
	ds_store_b64 v3, v[4:5]
.LBB45_203:
	s_or_b32 exec_lo, exec_lo, s0
	s_waitcnt lgkmcnt(0)
	s_waitcnt_vscnt null, 0x0
	s_barrier
	buffer_gl0_inv
	s_clause 0x2
	scratch_load_b128 v[98:101], off, off offset:328
	scratch_load_b128 v[102:105], off, off offset:344
	scratch_load_b64 v[4:5], off, off offset:360
	ds_load_b128 v[106:109], v1 offset:704
	ds_load_b128 v[110:113], v1 offset:720
	s_mov_b32 s0, exec_lo
	s_waitcnt vmcnt(2) lgkmcnt(1)
	v_fma_f64 v[1:2], v[100:101], v[106:107], 0
	s_waitcnt vmcnt(1)
	s_delay_alu instid0(VALU_DEP_1) | instskip(SKIP_1) | instid1(VALU_DEP_1)
	v_fma_f64 v[1:2], v[102:103], v[108:109], v[1:2]
	s_waitcnt lgkmcnt(0)
	v_fma_f64 v[1:2], v[104:105], v[110:111], v[1:2]
	s_waitcnt vmcnt(0)
	s_delay_alu instid0(VALU_DEP_1) | instskip(NEXT) | instid1(VALU_DEP_1)
	v_fma_f64 v[1:2], v[4:5], v[112:113], v[1:2]
	v_add_f64 v[1:2], v[98:99], -v[1:2]
	scratch_store_b64 off, v[1:2], off offset:328
	v_cmpx_lt_u32_e32 40, v0
	s_cbranch_execz .LBB45_205
; %bb.204:
	scratch_load_b64 v[1:2], off, off offset:320
	v_mov_b32_e32 v4, 0
	s_delay_alu instid0(VALU_DEP_1)
	v_mov_b32_e32 v5, v4
	scratch_store_b64 off, v[4:5], off offset:320
	s_waitcnt vmcnt(0)
	ds_store_b64 v3, v[1:2]
.LBB45_205:
	s_or_b32 exec_lo, exec_lo, s0
	s_waitcnt lgkmcnt(0)
	s_waitcnt_vscnt null, 0x0
	s_barrier
	buffer_gl0_inv
	s_clause 0x2
	scratch_load_b128 v[98:101], off, off offset:320
	scratch_load_b128 v[102:105], off, off offset:336
	;; [unrolled: 1-line block ×3, first 2 shown]
	v_mov_b32_e32 v1, 0
	ds_load_2addr_b64 v[110:113], v1 offset0:87 offset1:88
	ds_load_2addr_b64 v[114:117], v1 offset0:89 offset1:90
	s_mov_b32 s0, exec_lo
	s_waitcnt vmcnt(2) lgkmcnt(1)
	v_fma_f64 v[4:5], v[100:101], v[110:111], 0
	ds_load_b64 v[100:101], v1 offset:728
	s_waitcnt vmcnt(1)
	v_fma_f64 v[4:5], v[102:103], v[112:113], v[4:5]
	s_waitcnt lgkmcnt(1)
	s_delay_alu instid0(VALU_DEP_1) | instskip(SKIP_1) | instid1(VALU_DEP_1)
	v_fma_f64 v[4:5], v[104:105], v[114:115], v[4:5]
	s_waitcnt vmcnt(0)
	v_fma_f64 v[4:5], v[106:107], v[116:117], v[4:5]
	s_waitcnt lgkmcnt(0)
	s_delay_alu instid0(VALU_DEP_1) | instskip(NEXT) | instid1(VALU_DEP_1)
	v_fma_f64 v[4:5], v[108:109], v[100:101], v[4:5]
	v_add_f64 v[4:5], v[98:99], -v[4:5]
	scratch_store_b64 off, v[4:5], off offset:320
	v_cmpx_lt_u32_e32 39, v0
	s_cbranch_execz .LBB45_207
; %bb.206:
	scratch_load_b64 v[4:5], off, off offset:312
	v_mov_b32_e32 v2, v1
	scratch_store_b64 off, v[1:2], off offset:312
	s_waitcnt vmcnt(0)
	ds_store_b64 v3, v[4:5]
.LBB45_207:
	s_or_b32 exec_lo, exec_lo, s0
	s_waitcnt lgkmcnt(0)
	s_waitcnt_vscnt null, 0x0
	s_barrier
	buffer_gl0_inv
	s_clause 0x3
	scratch_load_b128 v[98:101], off, off offset:312
	scratch_load_b128 v[102:105], off, off offset:328
	;; [unrolled: 1-line block ×3, first 2 shown]
	scratch_load_b64 v[4:5], off, off offset:360
	ds_load_b128 v[110:113], v1 offset:688
	ds_load_b128 v[114:117], v1 offset:704
	s_mov_b32 s0, exec_lo
	s_waitcnt vmcnt(3) lgkmcnt(1)
	v_fma_f64 v[100:101], v[100:101], v[110:111], 0
	s_waitcnt vmcnt(2)
	s_delay_alu instid0(VALU_DEP_1) | instskip(SKIP_1) | instid1(VALU_DEP_1)
	v_fma_f64 v[100:101], v[102:103], v[112:113], v[100:101]
	s_waitcnt lgkmcnt(0)
	v_fma_f64 v[100:101], v[104:105], v[114:115], v[100:101]
	s_waitcnt vmcnt(1)
	s_delay_alu instid0(VALU_DEP_1) | instskip(SKIP_4) | instid1(VALU_DEP_1)
	v_fma_f64 v[104:105], v[106:107], v[116:117], v[100:101]
	ds_load_b128 v[100:103], v1 offset:720
	s_waitcnt lgkmcnt(0)
	v_fma_f64 v[1:2], v[108:109], v[100:101], v[104:105]
	s_waitcnt vmcnt(0)
	v_fma_f64 v[1:2], v[4:5], v[102:103], v[1:2]
	s_delay_alu instid0(VALU_DEP_1)
	v_add_f64 v[1:2], v[98:99], -v[1:2]
	scratch_store_b64 off, v[1:2], off offset:312
	v_cmpx_lt_u32_e32 38, v0
	s_cbranch_execz .LBB45_209
; %bb.208:
	scratch_load_b64 v[1:2], off, off offset:304
	v_mov_b32_e32 v4, 0
	s_delay_alu instid0(VALU_DEP_1)
	v_mov_b32_e32 v5, v4
	scratch_store_b64 off, v[4:5], off offset:304
	s_waitcnt vmcnt(0)
	ds_store_b64 v3, v[1:2]
.LBB45_209:
	s_or_b32 exec_lo, exec_lo, s0
	s_waitcnt lgkmcnt(0)
	s_waitcnt_vscnt null, 0x0
	s_barrier
	buffer_gl0_inv
	s_clause 0x3
	scratch_load_b128 v[98:101], off, off offset:304
	scratch_load_b128 v[102:105], off, off offset:320
	scratch_load_b128 v[106:109], off, off offset:336
	scratch_load_b128 v[110:113], off, off offset:352
	v_mov_b32_e32 v1, 0
	s_mov_b32 s0, exec_lo
	ds_load_2addr_b64 v[114:117], v1 offset0:85 offset1:86
	s_waitcnt vmcnt(3) lgkmcnt(0)
	v_fma_f64 v[4:5], v[100:101], v[114:115], 0
	s_waitcnt vmcnt(2)
	s_delay_alu instid0(VALU_DEP_1) | instskip(SKIP_4) | instid1(VALU_DEP_1)
	v_fma_f64 v[4:5], v[102:103], v[116:117], v[4:5]
	ds_load_2addr_b64 v[100:103], v1 offset0:87 offset1:88
	s_waitcnt lgkmcnt(0)
	v_fma_f64 v[4:5], v[104:105], v[100:101], v[4:5]
	s_waitcnt vmcnt(1)
	v_fma_f64 v[4:5], v[106:107], v[102:103], v[4:5]
	ds_load_2addr_b64 v[100:103], v1 offset0:89 offset1:90
	s_waitcnt lgkmcnt(0)
	v_fma_f64 v[4:5], v[108:109], v[100:101], v[4:5]
	ds_load_b64 v[100:101], v1 offset:728
	s_waitcnt vmcnt(0)
	v_fma_f64 v[4:5], v[110:111], v[102:103], v[4:5]
	s_waitcnt lgkmcnt(0)
	s_delay_alu instid0(VALU_DEP_1) | instskip(NEXT) | instid1(VALU_DEP_1)
	v_fma_f64 v[4:5], v[112:113], v[100:101], v[4:5]
	v_add_f64 v[4:5], v[98:99], -v[4:5]
	scratch_store_b64 off, v[4:5], off offset:304
	v_cmpx_lt_u32_e32 37, v0
	s_cbranch_execz .LBB45_211
; %bb.210:
	scratch_load_b64 v[4:5], off, off offset:296
	v_mov_b32_e32 v2, v1
	scratch_store_b64 off, v[1:2], off offset:296
	s_waitcnt vmcnt(0)
	ds_store_b64 v3, v[4:5]
.LBB45_211:
	s_or_b32 exec_lo, exec_lo, s0
	s_waitcnt lgkmcnt(0)
	s_waitcnt_vscnt null, 0x0
	s_barrier
	buffer_gl0_inv
	s_clause 0x4
	scratch_load_b128 v[98:101], off, off offset:296
	scratch_load_b128 v[102:105], off, off offset:312
	;; [unrolled: 1-line block ×4, first 2 shown]
	scratch_load_b64 v[4:5], off, off offset:360
	ds_load_b128 v[114:117], v1 offset:672
	s_mov_b32 s0, exec_lo
	s_waitcnt vmcnt(4) lgkmcnt(0)
	v_fma_f64 v[100:101], v[100:101], v[114:115], 0
	s_waitcnt vmcnt(3)
	s_delay_alu instid0(VALU_DEP_1) | instskip(SKIP_4) | instid1(VALU_DEP_1)
	v_fma_f64 v[114:115], v[102:103], v[116:117], v[100:101]
	ds_load_b128 v[100:103], v1 offset:688
	s_waitcnt lgkmcnt(0)
	v_fma_f64 v[100:101], v[104:105], v[100:101], v[114:115]
	s_waitcnt vmcnt(2)
	v_fma_f64 v[104:105], v[106:107], v[102:103], v[100:101]
	ds_load_b128 v[100:103], v1 offset:704
	s_waitcnt lgkmcnt(0)
	v_fma_f64 v[100:101], v[108:109], v[100:101], v[104:105]
	s_waitcnt vmcnt(1)
	s_delay_alu instid0(VALU_DEP_1) | instskip(SKIP_4) | instid1(VALU_DEP_1)
	v_fma_f64 v[104:105], v[110:111], v[102:103], v[100:101]
	ds_load_b128 v[100:103], v1 offset:720
	s_waitcnt lgkmcnt(0)
	v_fma_f64 v[1:2], v[112:113], v[100:101], v[104:105]
	s_waitcnt vmcnt(0)
	v_fma_f64 v[1:2], v[4:5], v[102:103], v[1:2]
	s_delay_alu instid0(VALU_DEP_1)
	v_add_f64 v[1:2], v[98:99], -v[1:2]
	scratch_store_b64 off, v[1:2], off offset:296
	v_cmpx_lt_u32_e32 36, v0
	s_cbranch_execz .LBB45_213
; %bb.212:
	scratch_load_b64 v[1:2], off, off offset:288
	v_mov_b32_e32 v4, 0
	s_delay_alu instid0(VALU_DEP_1)
	v_mov_b32_e32 v5, v4
	scratch_store_b64 off, v[4:5], off offset:288
	s_waitcnt vmcnt(0)
	ds_store_b64 v3, v[1:2]
.LBB45_213:
	s_or_b32 exec_lo, exec_lo, s0
	s_waitcnt lgkmcnt(0)
	s_waitcnt_vscnt null, 0x0
	s_barrier
	buffer_gl0_inv
	s_clause 0x4
	scratch_load_b128 v[98:101], off, off offset:288
	scratch_load_b128 v[102:105], off, off offset:304
	;; [unrolled: 1-line block ×5, first 2 shown]
	v_mov_b32_e32 v1, 0
	s_mov_b32 s0, exec_lo
	ds_load_2addr_b64 v[118:121], v1 offset0:83 offset1:84
	s_waitcnt vmcnt(4) lgkmcnt(0)
	v_fma_f64 v[4:5], v[100:101], v[118:119], 0
	s_waitcnt vmcnt(3)
	s_delay_alu instid0(VALU_DEP_1) | instskip(SKIP_4) | instid1(VALU_DEP_1)
	v_fma_f64 v[4:5], v[102:103], v[120:121], v[4:5]
	ds_load_2addr_b64 v[100:103], v1 offset0:85 offset1:86
	s_waitcnt lgkmcnt(0)
	v_fma_f64 v[4:5], v[104:105], v[100:101], v[4:5]
	s_waitcnt vmcnt(2)
	v_fma_f64 v[4:5], v[106:107], v[102:103], v[4:5]
	ds_load_2addr_b64 v[100:103], v1 offset0:87 offset1:88
	s_waitcnt lgkmcnt(0)
	v_fma_f64 v[4:5], v[108:109], v[100:101], v[4:5]
	s_waitcnt vmcnt(1)
	s_delay_alu instid0(VALU_DEP_1)
	v_fma_f64 v[4:5], v[110:111], v[102:103], v[4:5]
	ds_load_2addr_b64 v[100:103], v1 offset0:89 offset1:90
	s_waitcnt lgkmcnt(0)
	v_fma_f64 v[4:5], v[112:113], v[100:101], v[4:5]
	ds_load_b64 v[100:101], v1 offset:728
	s_waitcnt vmcnt(0)
	v_fma_f64 v[4:5], v[114:115], v[102:103], v[4:5]
	s_waitcnt lgkmcnt(0)
	s_delay_alu instid0(VALU_DEP_1) | instskip(NEXT) | instid1(VALU_DEP_1)
	v_fma_f64 v[4:5], v[116:117], v[100:101], v[4:5]
	v_add_f64 v[4:5], v[98:99], -v[4:5]
	scratch_store_b64 off, v[4:5], off offset:288
	v_cmpx_lt_u32_e32 35, v0
	s_cbranch_execz .LBB45_215
; %bb.214:
	scratch_load_b64 v[4:5], off, off offset:280
	v_mov_b32_e32 v2, v1
	scratch_store_b64 off, v[1:2], off offset:280
	s_waitcnt vmcnt(0)
	ds_store_b64 v3, v[4:5]
.LBB45_215:
	s_or_b32 exec_lo, exec_lo, s0
	s_waitcnt lgkmcnt(0)
	s_waitcnt_vscnt null, 0x0
	s_barrier
	buffer_gl0_inv
	s_clause 0x4
	scratch_load_b128 v[98:101], off, off offset:280
	scratch_load_b128 v[102:105], off, off offset:296
	scratch_load_b128 v[106:109], off, off offset:312
	scratch_load_b128 v[110:113], off, off offset:328
	scratch_load_b128 v[114:117], off, off offset:344
	ds_load_b128 v[118:121], v1 offset:656
	ds_load_b128 v[122:125], v1 offset:672
	s_mov_b32 s0, exec_lo
	s_waitcnt vmcnt(4) lgkmcnt(1)
	v_fma_f64 v[4:5], v[100:101], v[118:119], 0
	scratch_load_b64 v[118:119], off, off offset:360
	s_waitcnt vmcnt(4)
	v_fma_f64 v[4:5], v[102:103], v[120:121], v[4:5]
	s_waitcnt lgkmcnt(0)
	s_delay_alu instid0(VALU_DEP_1) | instskip(SKIP_1) | instid1(VALU_DEP_1)
	v_fma_f64 v[4:5], v[104:105], v[122:123], v[4:5]
	s_waitcnt vmcnt(3)
	v_fma_f64 v[4:5], v[106:107], v[124:125], v[4:5]
	ds_load_b128 v[100:103], v1 offset:688
	ds_load_b128 v[104:107], v1 offset:704
	s_waitcnt lgkmcnt(1)
	v_fma_f64 v[4:5], v[108:109], v[100:101], v[4:5]
	s_waitcnt vmcnt(2)
	s_delay_alu instid0(VALU_DEP_1) | instskip(SKIP_4) | instid1(VALU_DEP_1)
	v_fma_f64 v[4:5], v[110:111], v[102:103], v[4:5]
	ds_load_b128 v[100:103], v1 offset:720
	s_waitcnt lgkmcnt(1)
	v_fma_f64 v[4:5], v[112:113], v[104:105], v[4:5]
	s_waitcnt vmcnt(1)
	v_fma_f64 v[4:5], v[114:115], v[106:107], v[4:5]
	s_waitcnt lgkmcnt(0)
	s_delay_alu instid0(VALU_DEP_1) | instskip(SKIP_1) | instid1(VALU_DEP_1)
	v_fma_f64 v[1:2], v[116:117], v[100:101], v[4:5]
	s_waitcnt vmcnt(0)
	v_fma_f64 v[1:2], v[118:119], v[102:103], v[1:2]
	s_delay_alu instid0(VALU_DEP_1)
	v_add_f64 v[1:2], v[98:99], -v[1:2]
	scratch_store_b64 off, v[1:2], off offset:280
	v_cmpx_lt_u32_e32 34, v0
	s_cbranch_execz .LBB45_217
; %bb.216:
	scratch_load_b64 v[1:2], off, off offset:272
	v_mov_b32_e32 v4, 0
	s_delay_alu instid0(VALU_DEP_1)
	v_mov_b32_e32 v5, v4
	scratch_store_b64 off, v[4:5], off offset:272
	s_waitcnt vmcnt(0)
	ds_store_b64 v3, v[1:2]
.LBB45_217:
	s_or_b32 exec_lo, exec_lo, s0
	s_waitcnt lgkmcnt(0)
	s_waitcnt_vscnt null, 0x0
	s_barrier
	buffer_gl0_inv
	s_clause 0x4
	scratch_load_b128 v[98:101], off, off offset:272
	scratch_load_b128 v[102:105], off, off offset:288
	;; [unrolled: 1-line block ×5, first 2 shown]
	v_mov_b32_e32 v1, 0
	ds_load_2addr_b64 v[118:121], v1 offset0:81 offset1:82
	ds_load_2addr_b64 v[122:125], v1 offset0:83 offset1:84
	scratch_load_b128 v[126:129], off, off offset:352
	s_mov_b32 s0, exec_lo
	s_waitcnt vmcnt(5) lgkmcnt(1)
	v_fma_f64 v[4:5], v[100:101], v[118:119], 0
	s_waitcnt vmcnt(4)
	s_delay_alu instid0(VALU_DEP_1) | instskip(SKIP_1) | instid1(VALU_DEP_1)
	v_fma_f64 v[4:5], v[102:103], v[120:121], v[4:5]
	s_waitcnt lgkmcnt(0)
	v_fma_f64 v[4:5], v[104:105], v[122:123], v[4:5]
	s_waitcnt vmcnt(3)
	s_delay_alu instid0(VALU_DEP_1)
	v_fma_f64 v[4:5], v[106:107], v[124:125], v[4:5]
	ds_load_2addr_b64 v[100:103], v1 offset0:85 offset1:86
	ds_load_2addr_b64 v[104:107], v1 offset0:87 offset1:88
	s_waitcnt lgkmcnt(1)
	v_fma_f64 v[4:5], v[108:109], v[100:101], v[4:5]
	s_waitcnt vmcnt(2)
	s_delay_alu instid0(VALU_DEP_1) | instskip(SKIP_1) | instid1(VALU_DEP_1)
	v_fma_f64 v[4:5], v[110:111], v[102:103], v[4:5]
	s_waitcnt lgkmcnt(0)
	v_fma_f64 v[4:5], v[112:113], v[104:105], v[4:5]
	ds_load_2addr_b64 v[100:103], v1 offset0:89 offset1:90
	ds_load_b64 v[104:105], v1 offset:728
	s_waitcnt vmcnt(1)
	v_fma_f64 v[4:5], v[114:115], v[106:107], v[4:5]
	s_waitcnt lgkmcnt(1)
	s_delay_alu instid0(VALU_DEP_1) | instskip(SKIP_1) | instid1(VALU_DEP_1)
	v_fma_f64 v[4:5], v[116:117], v[100:101], v[4:5]
	s_waitcnt vmcnt(0)
	v_fma_f64 v[4:5], v[126:127], v[102:103], v[4:5]
	s_waitcnt lgkmcnt(0)
	s_delay_alu instid0(VALU_DEP_1) | instskip(NEXT) | instid1(VALU_DEP_1)
	v_fma_f64 v[4:5], v[128:129], v[104:105], v[4:5]
	v_add_f64 v[4:5], v[98:99], -v[4:5]
	scratch_store_b64 off, v[4:5], off offset:272
	v_cmpx_lt_u32_e32 33, v0
	s_cbranch_execz .LBB45_219
; %bb.218:
	scratch_load_b64 v[4:5], off, off offset:264
	v_mov_b32_e32 v2, v1
	scratch_store_b64 off, v[1:2], off offset:264
	s_waitcnt vmcnt(0)
	ds_store_b64 v3, v[4:5]
.LBB45_219:
	s_or_b32 exec_lo, exec_lo, s0
	s_waitcnt lgkmcnt(0)
	s_waitcnt_vscnt null, 0x0
	s_barrier
	buffer_gl0_inv
	s_clause 0x4
	scratch_load_b128 v[98:101], off, off offset:264
	scratch_load_b128 v[102:105], off, off offset:280
	;; [unrolled: 1-line block ×5, first 2 shown]
	ds_load_b128 v[118:121], v1 offset:640
	ds_load_b128 v[122:125], v1 offset:656
	scratch_load_b128 v[126:129], off, off offset:344
	s_mov_b32 s0, exec_lo
	s_waitcnt vmcnt(5) lgkmcnt(1)
	v_fma_f64 v[4:5], v[100:101], v[118:119], 0
	scratch_load_b64 v[118:119], off, off offset:360
	s_waitcnt vmcnt(5)
	v_fma_f64 v[4:5], v[102:103], v[120:121], v[4:5]
	s_waitcnt lgkmcnt(0)
	s_delay_alu instid0(VALU_DEP_1) | instskip(SKIP_1) | instid1(VALU_DEP_1)
	v_fma_f64 v[4:5], v[104:105], v[122:123], v[4:5]
	s_waitcnt vmcnt(4)
	v_fma_f64 v[4:5], v[106:107], v[124:125], v[4:5]
	ds_load_b128 v[100:103], v1 offset:672
	ds_load_b128 v[104:107], v1 offset:688
	s_waitcnt lgkmcnt(1)
	v_fma_f64 v[4:5], v[108:109], v[100:101], v[4:5]
	s_waitcnt vmcnt(3)
	s_delay_alu instid0(VALU_DEP_1) | instskip(SKIP_1) | instid1(VALU_DEP_1)
	v_fma_f64 v[4:5], v[110:111], v[102:103], v[4:5]
	s_waitcnt lgkmcnt(0)
	v_fma_f64 v[4:5], v[112:113], v[104:105], v[4:5]
	s_waitcnt vmcnt(2)
	s_delay_alu instid0(VALU_DEP_1)
	v_fma_f64 v[4:5], v[114:115], v[106:107], v[4:5]
	ds_load_b128 v[100:103], v1 offset:704
	ds_load_b128 v[104:107], v1 offset:720
	s_waitcnt lgkmcnt(1)
	v_fma_f64 v[1:2], v[116:117], v[100:101], v[4:5]
	s_waitcnt vmcnt(1)
	s_delay_alu instid0(VALU_DEP_1) | instskip(SKIP_1) | instid1(VALU_DEP_1)
	v_fma_f64 v[1:2], v[126:127], v[102:103], v[1:2]
	s_waitcnt lgkmcnt(0)
	v_fma_f64 v[1:2], v[128:129], v[104:105], v[1:2]
	s_waitcnt vmcnt(0)
	s_delay_alu instid0(VALU_DEP_1) | instskip(NEXT) | instid1(VALU_DEP_1)
	v_fma_f64 v[1:2], v[118:119], v[106:107], v[1:2]
	v_add_f64 v[1:2], v[98:99], -v[1:2]
	scratch_store_b64 off, v[1:2], off offset:264
	v_cmpx_lt_u32_e32 32, v0
	s_cbranch_execz .LBB45_221
; %bb.220:
	scratch_load_b64 v[1:2], off, off offset:256
	v_mov_b32_e32 v4, 0
	s_delay_alu instid0(VALU_DEP_1)
	v_mov_b32_e32 v5, v4
	scratch_store_b64 off, v[4:5], off offset:256
	s_waitcnt vmcnt(0)
	ds_store_b64 v3, v[1:2]
.LBB45_221:
	s_or_b32 exec_lo, exec_lo, s0
	s_waitcnt lgkmcnt(0)
	s_waitcnt_vscnt null, 0x0
	s_barrier
	buffer_gl0_inv
	s_clause 0x4
	scratch_load_b128 v[98:101], off, off offset:256
	scratch_load_b128 v[102:105], off, off offset:272
	;; [unrolled: 1-line block ×5, first 2 shown]
	v_mov_b32_e32 v1, 0
	ds_load_2addr_b64 v[118:121], v1 offset0:79 offset1:80
	ds_load_2addr_b64 v[122:125], v1 offset0:81 offset1:82
	scratch_load_b128 v[126:129], off, off offset:336
	s_mov_b32 s0, exec_lo
	s_waitcnt vmcnt(5) lgkmcnt(1)
	v_fma_f64 v[4:5], v[100:101], v[118:119], 0
	s_waitcnt vmcnt(4)
	s_delay_alu instid0(VALU_DEP_1) | instskip(SKIP_4) | instid1(VALU_DEP_1)
	v_fma_f64 v[4:5], v[102:103], v[120:121], v[4:5]
	scratch_load_b128 v[100:103], off, off offset:352
	s_waitcnt lgkmcnt(0)
	v_fma_f64 v[4:5], v[104:105], v[122:123], v[4:5]
	s_waitcnt vmcnt(4)
	v_fma_f64 v[4:5], v[106:107], v[124:125], v[4:5]
	ds_load_2addr_b64 v[104:107], v1 offset0:83 offset1:84
	ds_load_2addr_b64 v[118:121], v1 offset0:85 offset1:86
	s_waitcnt lgkmcnt(1)
	v_fma_f64 v[4:5], v[108:109], v[104:105], v[4:5]
	s_waitcnt vmcnt(3)
	s_delay_alu instid0(VALU_DEP_1)
	v_fma_f64 v[4:5], v[110:111], v[106:107], v[4:5]
	ds_load_2addr_b64 v[104:107], v1 offset0:87 offset1:88
	ds_load_2addr_b64 v[108:111], v1 offset0:89 offset1:90
	s_waitcnt lgkmcnt(2)
	v_fma_f64 v[4:5], v[112:113], v[118:119], v[4:5]
	s_waitcnt vmcnt(2)
	s_delay_alu instid0(VALU_DEP_1) | instskip(SKIP_1) | instid1(VALU_DEP_1)
	v_fma_f64 v[4:5], v[114:115], v[120:121], v[4:5]
	s_waitcnt lgkmcnt(1)
	v_fma_f64 v[4:5], v[116:117], v[104:105], v[4:5]
	s_waitcnt vmcnt(1)
	s_delay_alu instid0(VALU_DEP_1) | instskip(SKIP_1) | instid1(VALU_DEP_1)
	v_fma_f64 v[4:5], v[126:127], v[106:107], v[4:5]
	s_waitcnt lgkmcnt(0)
	v_fma_f64 v[4:5], v[128:129], v[108:109], v[4:5]
	s_waitcnt vmcnt(0)
	s_delay_alu instid0(VALU_DEP_1) | instskip(SKIP_3) | instid1(VALU_DEP_1)
	v_fma_f64 v[4:5], v[100:101], v[110:111], v[4:5]
	ds_load_b64 v[100:101], v1 offset:728
	s_waitcnt lgkmcnt(0)
	v_fma_f64 v[4:5], v[102:103], v[100:101], v[4:5]
	v_add_f64 v[4:5], v[98:99], -v[4:5]
	scratch_store_b64 off, v[4:5], off offset:256
	v_cmpx_lt_u32_e32 31, v0
	s_cbranch_execz .LBB45_223
; %bb.222:
	scratch_load_b64 v[4:5], off, off offset:248
	v_mov_b32_e32 v2, v1
	scratch_store_b64 off, v[1:2], off offset:248
	s_waitcnt vmcnt(0)
	ds_store_b64 v3, v[4:5]
.LBB45_223:
	s_or_b32 exec_lo, exec_lo, s0
	s_waitcnt lgkmcnt(0)
	s_waitcnt_vscnt null, 0x0
	s_barrier
	buffer_gl0_inv
	s_clause 0x4
	scratch_load_b128 v[98:101], off, off offset:248
	scratch_load_b128 v[102:105], off, off offset:264
	;; [unrolled: 1-line block ×5, first 2 shown]
	ds_load_b128 v[118:121], v1 offset:624
	ds_load_b128 v[122:125], v1 offset:640
	scratch_load_b128 v[126:129], off, off offset:328
	s_mov_b32 s0, exec_lo
	s_waitcnt vmcnt(5) lgkmcnt(1)
	v_fma_f64 v[4:5], v[100:101], v[118:119], 0
	s_waitcnt vmcnt(4)
	s_delay_alu instid0(VALU_DEP_1) | instskip(SKIP_4) | instid1(VALU_DEP_1)
	v_fma_f64 v[4:5], v[102:103], v[120:121], v[4:5]
	scratch_load_b128 v[100:103], off, off offset:344
	s_waitcnt lgkmcnt(0)
	v_fma_f64 v[4:5], v[104:105], v[122:123], v[4:5]
	s_waitcnt vmcnt(4)
	v_fma_f64 v[4:5], v[106:107], v[124:125], v[4:5]
	ds_load_b128 v[104:107], v1 offset:656
	ds_load_b128 v[118:121], v1 offset:672
	scratch_load_b64 v[122:123], off, off offset:360
	s_waitcnt lgkmcnt(1)
	v_fma_f64 v[4:5], v[108:109], v[104:105], v[4:5]
	s_waitcnt vmcnt(4)
	s_delay_alu instid0(VALU_DEP_1)
	v_fma_f64 v[4:5], v[110:111], v[106:107], v[4:5]
	ds_load_b128 v[104:107], v1 offset:688
	ds_load_b128 v[108:111], v1 offset:704
	s_waitcnt lgkmcnt(2)
	v_fma_f64 v[4:5], v[112:113], v[118:119], v[4:5]
	s_waitcnt vmcnt(3)
	s_delay_alu instid0(VALU_DEP_1) | instskip(SKIP_1) | instid1(VALU_DEP_1)
	v_fma_f64 v[4:5], v[114:115], v[120:121], v[4:5]
	s_waitcnt lgkmcnt(1)
	v_fma_f64 v[4:5], v[116:117], v[104:105], v[4:5]
	s_waitcnt vmcnt(2)
	s_delay_alu instid0(VALU_DEP_1) | instskip(SKIP_4) | instid1(VALU_DEP_1)
	v_fma_f64 v[4:5], v[126:127], v[106:107], v[4:5]
	ds_load_b128 v[104:107], v1 offset:720
	s_waitcnt lgkmcnt(1)
	v_fma_f64 v[4:5], v[128:129], v[108:109], v[4:5]
	s_waitcnt vmcnt(1)
	v_fma_f64 v[4:5], v[100:101], v[110:111], v[4:5]
	s_waitcnt lgkmcnt(0)
	s_delay_alu instid0(VALU_DEP_1) | instskip(SKIP_1) | instid1(VALU_DEP_1)
	v_fma_f64 v[1:2], v[102:103], v[104:105], v[4:5]
	s_waitcnt vmcnt(0)
	v_fma_f64 v[1:2], v[122:123], v[106:107], v[1:2]
	s_delay_alu instid0(VALU_DEP_1)
	v_add_f64 v[1:2], v[98:99], -v[1:2]
	scratch_store_b64 off, v[1:2], off offset:248
	v_cmpx_lt_u32_e32 30, v0
	s_cbranch_execz .LBB45_225
; %bb.224:
	scratch_load_b64 v[1:2], off, off offset:240
	v_mov_b32_e32 v4, 0
	s_delay_alu instid0(VALU_DEP_1)
	v_mov_b32_e32 v5, v4
	scratch_store_b64 off, v[4:5], off offset:240
	s_waitcnt vmcnt(0)
	ds_store_b64 v3, v[1:2]
.LBB45_225:
	s_or_b32 exec_lo, exec_lo, s0
	s_waitcnt lgkmcnt(0)
	s_waitcnt_vscnt null, 0x0
	s_barrier
	buffer_gl0_inv
	s_clause 0x4
	scratch_load_b128 v[98:101], off, off offset:240
	scratch_load_b128 v[102:105], off, off offset:256
	;; [unrolled: 1-line block ×5, first 2 shown]
	v_mov_b32_e32 v1, 0
	ds_load_2addr_b64 v[118:121], v1 offset0:77 offset1:78
	ds_load_2addr_b64 v[122:125], v1 offset0:79 offset1:80
	scratch_load_b128 v[126:129], off, off offset:320
	s_mov_b32 s0, exec_lo
	s_waitcnt vmcnt(5) lgkmcnt(1)
	v_fma_f64 v[4:5], v[100:101], v[118:119], 0
	s_waitcnt vmcnt(4)
	s_delay_alu instid0(VALU_DEP_1) | instskip(SKIP_4) | instid1(VALU_DEP_1)
	v_fma_f64 v[4:5], v[102:103], v[120:121], v[4:5]
	scratch_load_b128 v[100:103], off, off offset:336
	s_waitcnt lgkmcnt(0)
	v_fma_f64 v[4:5], v[104:105], v[122:123], v[4:5]
	s_waitcnt vmcnt(4)
	v_fma_f64 v[4:5], v[106:107], v[124:125], v[4:5]
	ds_load_2addr_b64 v[104:107], v1 offset0:81 offset1:82
	ds_load_2addr_b64 v[118:121], v1 offset0:83 offset1:84
	scratch_load_b128 v[122:125], off, off offset:352
	s_waitcnt lgkmcnt(1)
	v_fma_f64 v[4:5], v[108:109], v[104:105], v[4:5]
	s_waitcnt vmcnt(4)
	s_delay_alu instid0(VALU_DEP_1)
	v_fma_f64 v[4:5], v[110:111], v[106:107], v[4:5]
	ds_load_2addr_b64 v[104:107], v1 offset0:85 offset1:86
	ds_load_2addr_b64 v[108:111], v1 offset0:87 offset1:88
	s_waitcnt lgkmcnt(2)
	v_fma_f64 v[4:5], v[112:113], v[118:119], v[4:5]
	s_waitcnt vmcnt(3)
	s_delay_alu instid0(VALU_DEP_1) | instskip(SKIP_1) | instid1(VALU_DEP_1)
	v_fma_f64 v[4:5], v[114:115], v[120:121], v[4:5]
	s_waitcnt lgkmcnt(1)
	v_fma_f64 v[4:5], v[116:117], v[104:105], v[4:5]
	s_waitcnt vmcnt(2)
	s_delay_alu instid0(VALU_DEP_1) | instskip(SKIP_1) | instid1(VALU_DEP_1)
	v_fma_f64 v[4:5], v[126:127], v[106:107], v[4:5]
	s_waitcnt lgkmcnt(0)
	v_fma_f64 v[4:5], v[128:129], v[108:109], v[4:5]
	s_waitcnt vmcnt(1)
	s_delay_alu instid0(VALU_DEP_1)
	v_fma_f64 v[4:5], v[100:101], v[110:111], v[4:5]
	ds_load_2addr_b64 v[104:107], v1 offset0:89 offset1:90
	ds_load_b64 v[100:101], v1 offset:728
	s_waitcnt lgkmcnt(1)
	v_fma_f64 v[4:5], v[102:103], v[104:105], v[4:5]
	s_waitcnt vmcnt(0)
	s_delay_alu instid0(VALU_DEP_1) | instskip(SKIP_1) | instid1(VALU_DEP_1)
	v_fma_f64 v[4:5], v[122:123], v[106:107], v[4:5]
	s_waitcnt lgkmcnt(0)
	v_fma_f64 v[4:5], v[124:125], v[100:101], v[4:5]
	s_delay_alu instid0(VALU_DEP_1)
	v_add_f64 v[4:5], v[98:99], -v[4:5]
	scratch_store_b64 off, v[4:5], off offset:240
	v_cmpx_lt_u32_e32 29, v0
	s_cbranch_execz .LBB45_227
; %bb.226:
	scratch_load_b64 v[4:5], off, off offset:232
	v_mov_b32_e32 v2, v1
	scratch_store_b64 off, v[1:2], off offset:232
	s_waitcnt vmcnt(0)
	ds_store_b64 v3, v[4:5]
.LBB45_227:
	s_or_b32 exec_lo, exec_lo, s0
	s_waitcnt lgkmcnt(0)
	s_waitcnt_vscnt null, 0x0
	s_barrier
	buffer_gl0_inv
	s_clause 0x4
	scratch_load_b128 v[98:101], off, off offset:232
	scratch_load_b128 v[102:105], off, off offset:248
	;; [unrolled: 1-line block ×5, first 2 shown]
	ds_load_b128 v[118:121], v1 offset:608
	ds_load_b128 v[122:125], v1 offset:624
	scratch_load_b128 v[126:129], off, off offset:312
	s_mov_b32 s0, exec_lo
	s_waitcnt vmcnt(5) lgkmcnt(1)
	v_fma_f64 v[4:5], v[100:101], v[118:119], 0
	s_waitcnt vmcnt(4)
	s_delay_alu instid0(VALU_DEP_1) | instskip(SKIP_4) | instid1(VALU_DEP_1)
	v_fma_f64 v[4:5], v[102:103], v[120:121], v[4:5]
	scratch_load_b128 v[100:103], off, off offset:328
	s_waitcnt lgkmcnt(0)
	v_fma_f64 v[4:5], v[104:105], v[122:123], v[4:5]
	s_waitcnt vmcnt(4)
	v_fma_f64 v[4:5], v[106:107], v[124:125], v[4:5]
	ds_load_b128 v[104:107], v1 offset:640
	ds_load_b128 v[118:121], v1 offset:656
	scratch_load_b128 v[122:125], off, off offset:344
	s_waitcnt lgkmcnt(1)
	v_fma_f64 v[4:5], v[108:109], v[104:105], v[4:5]
	s_waitcnt vmcnt(4)
	s_delay_alu instid0(VALU_DEP_1) | instskip(SKIP_1) | instid1(VALU_DEP_1)
	v_fma_f64 v[4:5], v[110:111], v[106:107], v[4:5]
	s_waitcnt lgkmcnt(0)
	v_fma_f64 v[4:5], v[112:113], v[118:119], v[4:5]
	scratch_load_b64 v[112:113], off, off offset:360
	ds_load_b128 v[104:107], v1 offset:672
	ds_load_b128 v[108:111], v1 offset:688
	s_waitcnt vmcnt(4)
	v_fma_f64 v[4:5], v[114:115], v[120:121], v[4:5]
	s_waitcnt lgkmcnt(1)
	s_delay_alu instid0(VALU_DEP_1) | instskip(SKIP_1) | instid1(VALU_DEP_1)
	v_fma_f64 v[4:5], v[116:117], v[104:105], v[4:5]
	s_waitcnt vmcnt(3)
	v_fma_f64 v[4:5], v[126:127], v[106:107], v[4:5]
	s_waitcnt lgkmcnt(0)
	s_delay_alu instid0(VALU_DEP_1) | instskip(SKIP_1) | instid1(VALU_DEP_1)
	v_fma_f64 v[4:5], v[128:129], v[108:109], v[4:5]
	s_waitcnt vmcnt(2)
	v_fma_f64 v[4:5], v[100:101], v[110:111], v[4:5]
	ds_load_b128 v[104:107], v1 offset:704
	ds_load_b128 v[108:111], v1 offset:720
	s_waitcnt lgkmcnt(1)
	v_fma_f64 v[1:2], v[102:103], v[104:105], v[4:5]
	s_waitcnt vmcnt(1)
	s_delay_alu instid0(VALU_DEP_1) | instskip(SKIP_1) | instid1(VALU_DEP_1)
	v_fma_f64 v[1:2], v[122:123], v[106:107], v[1:2]
	s_waitcnt lgkmcnt(0)
	v_fma_f64 v[1:2], v[124:125], v[108:109], v[1:2]
	s_waitcnt vmcnt(0)
	s_delay_alu instid0(VALU_DEP_1) | instskip(NEXT) | instid1(VALU_DEP_1)
	v_fma_f64 v[1:2], v[112:113], v[110:111], v[1:2]
	v_add_f64 v[1:2], v[98:99], -v[1:2]
	scratch_store_b64 off, v[1:2], off offset:232
	v_cmpx_lt_u32_e32 28, v0
	s_cbranch_execz .LBB45_229
; %bb.228:
	scratch_load_b64 v[1:2], off, off offset:224
	v_mov_b32_e32 v4, 0
	s_delay_alu instid0(VALU_DEP_1)
	v_mov_b32_e32 v5, v4
	scratch_store_b64 off, v[4:5], off offset:224
	s_waitcnt vmcnt(0)
	ds_store_b64 v3, v[1:2]
.LBB45_229:
	s_or_b32 exec_lo, exec_lo, s0
	s_waitcnt lgkmcnt(0)
	s_waitcnt_vscnt null, 0x0
	s_barrier
	buffer_gl0_inv
	s_clause 0x4
	scratch_load_b128 v[98:101], off, off offset:224
	scratch_load_b128 v[102:105], off, off offset:240
	;; [unrolled: 1-line block ×5, first 2 shown]
	v_mov_b32_e32 v1, 0
	ds_load_2addr_b64 v[118:121], v1 offset0:75 offset1:76
	ds_load_2addr_b64 v[122:125], v1 offset0:77 offset1:78
	scratch_load_b128 v[126:129], off, off offset:304
	s_mov_b32 s0, exec_lo
	s_waitcnt vmcnt(5) lgkmcnt(1)
	v_fma_f64 v[4:5], v[100:101], v[118:119], 0
	s_waitcnt vmcnt(4)
	s_delay_alu instid0(VALU_DEP_1) | instskip(SKIP_4) | instid1(VALU_DEP_1)
	v_fma_f64 v[4:5], v[102:103], v[120:121], v[4:5]
	scratch_load_b128 v[100:103], off, off offset:320
	s_waitcnt lgkmcnt(0)
	v_fma_f64 v[4:5], v[104:105], v[122:123], v[4:5]
	s_waitcnt vmcnt(4)
	v_fma_f64 v[4:5], v[106:107], v[124:125], v[4:5]
	ds_load_2addr_b64 v[104:107], v1 offset0:79 offset1:80
	ds_load_2addr_b64 v[118:121], v1 offset0:81 offset1:82
	scratch_load_b128 v[122:125], off, off offset:336
	s_waitcnt lgkmcnt(1)
	v_fma_f64 v[4:5], v[108:109], v[104:105], v[4:5]
	s_waitcnt vmcnt(4)
	s_delay_alu instid0(VALU_DEP_1) | instskip(SKIP_4) | instid1(VALU_DEP_1)
	v_fma_f64 v[4:5], v[110:111], v[106:107], v[4:5]
	scratch_load_b128 v[104:107], off, off offset:352
	s_waitcnt lgkmcnt(0)
	v_fma_f64 v[4:5], v[112:113], v[118:119], v[4:5]
	s_waitcnt vmcnt(4)
	v_fma_f64 v[4:5], v[114:115], v[120:121], v[4:5]
	ds_load_2addr_b64 v[108:111], v1 offset0:83 offset1:84
	ds_load_2addr_b64 v[112:115], v1 offset0:85 offset1:86
	s_waitcnt lgkmcnt(1)
	v_fma_f64 v[4:5], v[116:117], v[108:109], v[4:5]
	s_waitcnt vmcnt(3)
	s_delay_alu instid0(VALU_DEP_1) | instskip(SKIP_1) | instid1(VALU_DEP_1)
	v_fma_f64 v[4:5], v[126:127], v[110:111], v[4:5]
	s_waitcnt lgkmcnt(0)
	v_fma_f64 v[4:5], v[128:129], v[112:113], v[4:5]
	s_waitcnt vmcnt(2)
	s_delay_alu instid0(VALU_DEP_1)
	v_fma_f64 v[4:5], v[100:101], v[114:115], v[4:5]
	ds_load_2addr_b64 v[108:111], v1 offset0:87 offset1:88
	ds_load_2addr_b64 v[112:115], v1 offset0:89 offset1:90
	ds_load_b64 v[100:101], v1 offset:728
	s_waitcnt lgkmcnt(2)
	v_fma_f64 v[4:5], v[102:103], v[108:109], v[4:5]
	s_waitcnt vmcnt(1)
	s_delay_alu instid0(VALU_DEP_1) | instskip(SKIP_1) | instid1(VALU_DEP_1)
	v_fma_f64 v[4:5], v[122:123], v[110:111], v[4:5]
	s_waitcnt lgkmcnt(1)
	v_fma_f64 v[4:5], v[124:125], v[112:113], v[4:5]
	s_waitcnt vmcnt(0)
	s_delay_alu instid0(VALU_DEP_1) | instskip(SKIP_1) | instid1(VALU_DEP_1)
	v_fma_f64 v[4:5], v[104:105], v[114:115], v[4:5]
	s_waitcnt lgkmcnt(0)
	v_fma_f64 v[4:5], v[106:107], v[100:101], v[4:5]
	s_delay_alu instid0(VALU_DEP_1)
	v_add_f64 v[4:5], v[98:99], -v[4:5]
	scratch_store_b64 off, v[4:5], off offset:224
	v_cmpx_lt_u32_e32 27, v0
	s_cbranch_execz .LBB45_231
; %bb.230:
	scratch_load_b64 v[4:5], off, off offset:216
	v_mov_b32_e32 v2, v1
	scratch_store_b64 off, v[1:2], off offset:216
	s_waitcnt vmcnt(0)
	ds_store_b64 v3, v[4:5]
.LBB45_231:
	s_or_b32 exec_lo, exec_lo, s0
	s_waitcnt lgkmcnt(0)
	s_waitcnt_vscnt null, 0x0
	s_barrier
	buffer_gl0_inv
	s_clause 0x4
	scratch_load_b128 v[98:101], off, off offset:216
	scratch_load_b128 v[102:105], off, off offset:232
	;; [unrolled: 1-line block ×5, first 2 shown]
	ds_load_b128 v[118:121], v1 offset:592
	ds_load_b128 v[122:125], v1 offset:608
	scratch_load_b128 v[126:129], off, off offset:296
	s_mov_b32 s0, exec_lo
	s_waitcnt vmcnt(5) lgkmcnt(1)
	v_fma_f64 v[4:5], v[100:101], v[118:119], 0
	s_waitcnt vmcnt(4)
	s_delay_alu instid0(VALU_DEP_1) | instskip(SKIP_4) | instid1(VALU_DEP_1)
	v_fma_f64 v[4:5], v[102:103], v[120:121], v[4:5]
	scratch_load_b128 v[100:103], off, off offset:312
	s_waitcnt lgkmcnt(0)
	v_fma_f64 v[4:5], v[104:105], v[122:123], v[4:5]
	s_waitcnt vmcnt(4)
	v_fma_f64 v[4:5], v[106:107], v[124:125], v[4:5]
	ds_load_b128 v[104:107], v1 offset:624
	ds_load_b128 v[118:121], v1 offset:640
	scratch_load_b128 v[122:125], off, off offset:328
	s_waitcnt lgkmcnt(1)
	v_fma_f64 v[4:5], v[108:109], v[104:105], v[4:5]
	s_waitcnt vmcnt(4)
	s_delay_alu instid0(VALU_DEP_1) | instskip(SKIP_4) | instid1(VALU_DEP_1)
	v_fma_f64 v[4:5], v[110:111], v[106:107], v[4:5]
	scratch_load_b128 v[104:107], off, off offset:344
	s_waitcnt lgkmcnt(0)
	v_fma_f64 v[4:5], v[112:113], v[118:119], v[4:5]
	s_waitcnt vmcnt(4)
	v_fma_f64 v[4:5], v[114:115], v[120:121], v[4:5]
	ds_load_b128 v[108:111], v1 offset:656
	ds_load_b128 v[112:115], v1 offset:672
	s_waitcnt lgkmcnt(1)
	v_fma_f64 v[4:5], v[116:117], v[108:109], v[4:5]
	scratch_load_b64 v[116:117], off, off offset:360
	s_waitcnt vmcnt(4)
	v_fma_f64 v[4:5], v[126:127], v[110:111], v[4:5]
	s_waitcnt lgkmcnt(0)
	s_delay_alu instid0(VALU_DEP_1) | instskip(SKIP_1) | instid1(VALU_DEP_1)
	v_fma_f64 v[4:5], v[128:129], v[112:113], v[4:5]
	s_waitcnt vmcnt(3)
	v_fma_f64 v[4:5], v[100:101], v[114:115], v[4:5]
	ds_load_b128 v[108:111], v1 offset:688
	ds_load_b128 v[112:115], v1 offset:704
	s_waitcnt lgkmcnt(1)
	v_fma_f64 v[4:5], v[102:103], v[108:109], v[4:5]
	ds_load_b128 v[100:103], v1 offset:720
	s_waitcnt vmcnt(2)
	v_fma_f64 v[4:5], v[122:123], v[110:111], v[4:5]
	s_waitcnt lgkmcnt(1)
	s_delay_alu instid0(VALU_DEP_1) | instskip(SKIP_1) | instid1(VALU_DEP_1)
	v_fma_f64 v[4:5], v[124:125], v[112:113], v[4:5]
	s_waitcnt vmcnt(1)
	v_fma_f64 v[4:5], v[104:105], v[114:115], v[4:5]
	s_waitcnt lgkmcnt(0)
	s_delay_alu instid0(VALU_DEP_1) | instskip(SKIP_1) | instid1(VALU_DEP_1)
	v_fma_f64 v[1:2], v[106:107], v[100:101], v[4:5]
	s_waitcnt vmcnt(0)
	v_fma_f64 v[1:2], v[116:117], v[102:103], v[1:2]
	s_delay_alu instid0(VALU_DEP_1)
	v_add_f64 v[1:2], v[98:99], -v[1:2]
	scratch_store_b64 off, v[1:2], off offset:216
	v_cmpx_lt_u32_e32 26, v0
	s_cbranch_execz .LBB45_233
; %bb.232:
	scratch_load_b64 v[1:2], off, off offset:208
	v_mov_b32_e32 v4, 0
	s_delay_alu instid0(VALU_DEP_1)
	v_mov_b32_e32 v5, v4
	scratch_store_b64 off, v[4:5], off offset:208
	s_waitcnt vmcnt(0)
	ds_store_b64 v3, v[1:2]
.LBB45_233:
	s_or_b32 exec_lo, exec_lo, s0
	s_waitcnt lgkmcnt(0)
	s_waitcnt_vscnt null, 0x0
	s_barrier
	buffer_gl0_inv
	s_clause 0x4
	scratch_load_b128 v[98:101], off, off offset:208
	scratch_load_b128 v[102:105], off, off offset:224
	;; [unrolled: 1-line block ×5, first 2 shown]
	v_mov_b32_e32 v1, 0
	ds_load_2addr_b64 v[118:121], v1 offset0:73 offset1:74
	ds_load_2addr_b64 v[122:125], v1 offset0:75 offset1:76
	scratch_load_b128 v[126:129], off, off offset:288
	s_mov_b32 s0, exec_lo
	s_waitcnt vmcnt(5) lgkmcnt(1)
	v_fma_f64 v[4:5], v[100:101], v[118:119], 0
	s_waitcnt vmcnt(4)
	s_delay_alu instid0(VALU_DEP_1) | instskip(SKIP_4) | instid1(VALU_DEP_1)
	v_fma_f64 v[4:5], v[102:103], v[120:121], v[4:5]
	scratch_load_b128 v[100:103], off, off offset:304
	s_waitcnt lgkmcnt(0)
	v_fma_f64 v[4:5], v[104:105], v[122:123], v[4:5]
	s_waitcnt vmcnt(4)
	v_fma_f64 v[4:5], v[106:107], v[124:125], v[4:5]
	ds_load_2addr_b64 v[104:107], v1 offset0:77 offset1:78
	ds_load_2addr_b64 v[118:121], v1 offset0:79 offset1:80
	scratch_load_b128 v[122:125], off, off offset:320
	s_waitcnt lgkmcnt(1)
	v_fma_f64 v[4:5], v[108:109], v[104:105], v[4:5]
	s_waitcnt vmcnt(4)
	s_delay_alu instid0(VALU_DEP_1) | instskip(SKIP_4) | instid1(VALU_DEP_1)
	v_fma_f64 v[4:5], v[110:111], v[106:107], v[4:5]
	scratch_load_b128 v[104:107], off, off offset:336
	s_waitcnt lgkmcnt(0)
	v_fma_f64 v[4:5], v[112:113], v[118:119], v[4:5]
	s_waitcnt vmcnt(4)
	v_fma_f64 v[4:5], v[114:115], v[120:121], v[4:5]
	ds_load_2addr_b64 v[108:111], v1 offset0:81 offset1:82
	ds_load_2addr_b64 v[112:115], v1 offset0:83 offset1:84
	s_waitcnt lgkmcnt(1)
	v_fma_f64 v[4:5], v[116:117], v[108:109], v[4:5]
	scratch_load_b128 v[116:119], off, off offset:352
	s_waitcnt vmcnt(4)
	v_fma_f64 v[4:5], v[126:127], v[110:111], v[4:5]
	s_waitcnt lgkmcnt(0)
	s_delay_alu instid0(VALU_DEP_1) | instskip(SKIP_1) | instid1(VALU_DEP_1)
	v_fma_f64 v[4:5], v[128:129], v[112:113], v[4:5]
	s_waitcnt vmcnt(3)
	v_fma_f64 v[4:5], v[100:101], v[114:115], v[4:5]
	ds_load_2addr_b64 v[108:111], v1 offset0:85 offset1:86
	ds_load_2addr_b64 v[112:115], v1 offset0:87 offset1:88
	s_waitcnt lgkmcnt(1)
	v_fma_f64 v[4:5], v[102:103], v[108:109], v[4:5]
	s_waitcnt vmcnt(2)
	s_delay_alu instid0(VALU_DEP_1) | instskip(SKIP_1) | instid1(VALU_DEP_1)
	v_fma_f64 v[4:5], v[122:123], v[110:111], v[4:5]
	s_waitcnt lgkmcnt(0)
	v_fma_f64 v[4:5], v[124:125], v[112:113], v[4:5]
	s_waitcnt vmcnt(1)
	s_delay_alu instid0(VALU_DEP_1)
	v_fma_f64 v[4:5], v[104:105], v[114:115], v[4:5]
	ds_load_2addr_b64 v[100:103], v1 offset0:89 offset1:90
	ds_load_b64 v[104:105], v1 offset:728
	s_waitcnt lgkmcnt(1)
	v_fma_f64 v[4:5], v[106:107], v[100:101], v[4:5]
	s_waitcnt vmcnt(0)
	s_delay_alu instid0(VALU_DEP_1) | instskip(SKIP_1) | instid1(VALU_DEP_1)
	v_fma_f64 v[4:5], v[116:117], v[102:103], v[4:5]
	s_waitcnt lgkmcnt(0)
	v_fma_f64 v[4:5], v[118:119], v[104:105], v[4:5]
	s_delay_alu instid0(VALU_DEP_1)
	v_add_f64 v[4:5], v[98:99], -v[4:5]
	scratch_store_b64 off, v[4:5], off offset:208
	v_cmpx_lt_u32_e32 25, v0
	s_cbranch_execz .LBB45_235
; %bb.234:
	scratch_load_b64 v[4:5], off, off offset:200
	v_mov_b32_e32 v2, v1
	scratch_store_b64 off, v[1:2], off offset:200
	s_waitcnt vmcnt(0)
	ds_store_b64 v3, v[4:5]
.LBB45_235:
	s_or_b32 exec_lo, exec_lo, s0
	s_waitcnt lgkmcnt(0)
	s_waitcnt_vscnt null, 0x0
	s_barrier
	buffer_gl0_inv
	s_clause 0x4
	scratch_load_b128 v[98:101], off, off offset:200
	scratch_load_b128 v[102:105], off, off offset:216
	;; [unrolled: 1-line block ×5, first 2 shown]
	ds_load_b128 v[118:121], v1 offset:576
	ds_load_b128 v[122:125], v1 offset:592
	scratch_load_b128 v[126:129], off, off offset:280
	s_mov_b32 s0, exec_lo
	s_waitcnt vmcnt(5) lgkmcnt(1)
	v_fma_f64 v[4:5], v[100:101], v[118:119], 0
	s_waitcnt vmcnt(4)
	s_delay_alu instid0(VALU_DEP_1) | instskip(SKIP_4) | instid1(VALU_DEP_1)
	v_fma_f64 v[4:5], v[102:103], v[120:121], v[4:5]
	scratch_load_b128 v[100:103], off, off offset:296
	s_waitcnt lgkmcnt(0)
	v_fma_f64 v[4:5], v[104:105], v[122:123], v[4:5]
	s_waitcnt vmcnt(4)
	v_fma_f64 v[4:5], v[106:107], v[124:125], v[4:5]
	ds_load_b128 v[104:107], v1 offset:608
	ds_load_b128 v[118:121], v1 offset:624
	scratch_load_b128 v[122:125], off, off offset:312
	s_waitcnt lgkmcnt(1)
	v_fma_f64 v[4:5], v[108:109], v[104:105], v[4:5]
	s_waitcnt vmcnt(4)
	s_delay_alu instid0(VALU_DEP_1) | instskip(SKIP_4) | instid1(VALU_DEP_1)
	v_fma_f64 v[4:5], v[110:111], v[106:107], v[4:5]
	scratch_load_b128 v[104:107], off, off offset:328
	s_waitcnt lgkmcnt(0)
	v_fma_f64 v[4:5], v[112:113], v[118:119], v[4:5]
	s_waitcnt vmcnt(4)
	v_fma_f64 v[4:5], v[114:115], v[120:121], v[4:5]
	ds_load_b128 v[108:111], v1 offset:640
	ds_load_b128 v[112:115], v1 offset:656
	scratch_load_b64 v[120:121], off, off offset:360
	s_waitcnt lgkmcnt(1)
	v_fma_f64 v[4:5], v[116:117], v[108:109], v[4:5]
	scratch_load_b128 v[116:119], off, off offset:344
	s_waitcnt vmcnt(5)
	v_fma_f64 v[4:5], v[126:127], v[110:111], v[4:5]
	s_waitcnt lgkmcnt(0)
	s_delay_alu instid0(VALU_DEP_1) | instskip(SKIP_1) | instid1(VALU_DEP_1)
	v_fma_f64 v[4:5], v[128:129], v[112:113], v[4:5]
	s_waitcnt vmcnt(4)
	v_fma_f64 v[4:5], v[100:101], v[114:115], v[4:5]
	ds_load_b128 v[108:111], v1 offset:672
	ds_load_b128 v[112:115], v1 offset:688
	s_waitcnt lgkmcnt(1)
	v_fma_f64 v[4:5], v[102:103], v[108:109], v[4:5]
	s_waitcnt vmcnt(3)
	s_delay_alu instid0(VALU_DEP_1)
	v_fma_f64 v[4:5], v[122:123], v[110:111], v[4:5]
	ds_load_b128 v[100:103], v1 offset:704
	ds_load_b128 v[108:111], v1 offset:720
	s_waitcnt lgkmcnt(2)
	v_fma_f64 v[4:5], v[124:125], v[112:113], v[4:5]
	s_waitcnt vmcnt(2)
	s_delay_alu instid0(VALU_DEP_1) | instskip(SKIP_1) | instid1(VALU_DEP_1)
	v_fma_f64 v[4:5], v[104:105], v[114:115], v[4:5]
	s_waitcnt lgkmcnt(1)
	v_fma_f64 v[1:2], v[106:107], v[100:101], v[4:5]
	s_waitcnt vmcnt(0)
	s_delay_alu instid0(VALU_DEP_1) | instskip(SKIP_1) | instid1(VALU_DEP_1)
	v_fma_f64 v[1:2], v[116:117], v[102:103], v[1:2]
	s_waitcnt lgkmcnt(0)
	v_fma_f64 v[1:2], v[118:119], v[108:109], v[1:2]
	s_delay_alu instid0(VALU_DEP_1) | instskip(NEXT) | instid1(VALU_DEP_1)
	v_fma_f64 v[1:2], v[120:121], v[110:111], v[1:2]
	v_add_f64 v[1:2], v[98:99], -v[1:2]
	scratch_store_b64 off, v[1:2], off offset:200
	v_cmpx_lt_u32_e32 24, v0
	s_cbranch_execz .LBB45_237
; %bb.236:
	scratch_load_b64 v[1:2], off, off offset:192
	v_mov_b32_e32 v4, 0
	s_delay_alu instid0(VALU_DEP_1)
	v_mov_b32_e32 v5, v4
	scratch_store_b64 off, v[4:5], off offset:192
	s_waitcnt vmcnt(0)
	ds_store_b64 v3, v[1:2]
.LBB45_237:
	s_or_b32 exec_lo, exec_lo, s0
	s_waitcnt lgkmcnt(0)
	s_waitcnt_vscnt null, 0x0
	s_barrier
	buffer_gl0_inv
	s_clause 0x4
	scratch_load_b128 v[98:101], off, off offset:192
	scratch_load_b128 v[102:105], off, off offset:208
	;; [unrolled: 1-line block ×5, first 2 shown]
	v_mov_b32_e32 v1, 0
	ds_load_2addr_b64 v[118:121], v1 offset0:71 offset1:72
	ds_load_2addr_b64 v[122:125], v1 offset0:73 offset1:74
	scratch_load_b128 v[126:129], off, off offset:272
	s_mov_b32 s0, exec_lo
	s_waitcnt vmcnt(5) lgkmcnt(1)
	v_fma_f64 v[4:5], v[100:101], v[118:119], 0
	s_waitcnt vmcnt(4)
	s_delay_alu instid0(VALU_DEP_1) | instskip(SKIP_4) | instid1(VALU_DEP_1)
	v_fma_f64 v[4:5], v[102:103], v[120:121], v[4:5]
	scratch_load_b128 v[100:103], off, off offset:288
	s_waitcnt lgkmcnt(0)
	v_fma_f64 v[4:5], v[104:105], v[122:123], v[4:5]
	s_waitcnt vmcnt(4)
	v_fma_f64 v[4:5], v[106:107], v[124:125], v[4:5]
	ds_load_2addr_b64 v[104:107], v1 offset0:75 offset1:76
	ds_load_2addr_b64 v[118:121], v1 offset0:77 offset1:78
	scratch_load_b128 v[122:125], off, off offset:304
	s_waitcnt lgkmcnt(1)
	v_fma_f64 v[4:5], v[108:109], v[104:105], v[4:5]
	s_waitcnt vmcnt(4)
	s_delay_alu instid0(VALU_DEP_1) | instskip(SKIP_4) | instid1(VALU_DEP_1)
	v_fma_f64 v[4:5], v[110:111], v[106:107], v[4:5]
	scratch_load_b128 v[104:107], off, off offset:320
	s_waitcnt lgkmcnt(0)
	v_fma_f64 v[4:5], v[112:113], v[118:119], v[4:5]
	s_waitcnt vmcnt(4)
	v_fma_f64 v[4:5], v[114:115], v[120:121], v[4:5]
	ds_load_2addr_b64 v[108:111], v1 offset0:79 offset1:80
	ds_load_2addr_b64 v[112:115], v1 offset0:81 offset1:82
	s_waitcnt lgkmcnt(1)
	v_fma_f64 v[4:5], v[116:117], v[108:109], v[4:5]
	scratch_load_b128 v[116:119], off, off offset:336
	s_waitcnt vmcnt(4)
	v_fma_f64 v[4:5], v[126:127], v[110:111], v[4:5]
	scratch_load_b128 v[108:111], off, off offset:352
	s_waitcnt lgkmcnt(0)
	v_fma_f64 v[4:5], v[128:129], v[112:113], v[4:5]
	s_waitcnt vmcnt(4)
	s_delay_alu instid0(VALU_DEP_1)
	v_fma_f64 v[4:5], v[100:101], v[114:115], v[4:5]
	ds_load_2addr_b64 v[112:115], v1 offset0:83 offset1:84
	ds_load_2addr_b64 v[126:129], v1 offset0:85 offset1:86
	s_waitcnt lgkmcnt(1)
	v_fma_f64 v[4:5], v[102:103], v[112:113], v[4:5]
	s_waitcnt vmcnt(3)
	s_delay_alu instid0(VALU_DEP_1)
	v_fma_f64 v[4:5], v[122:123], v[114:115], v[4:5]
	ds_load_2addr_b64 v[100:103], v1 offset0:87 offset1:88
	ds_load_2addr_b64 v[112:115], v1 offset0:89 offset1:90
	s_waitcnt lgkmcnt(2)
	v_fma_f64 v[4:5], v[124:125], v[126:127], v[4:5]
	s_waitcnt vmcnt(2)
	s_delay_alu instid0(VALU_DEP_1) | instskip(SKIP_1) | instid1(VALU_DEP_1)
	v_fma_f64 v[4:5], v[104:105], v[128:129], v[4:5]
	s_waitcnt lgkmcnt(1)
	v_fma_f64 v[4:5], v[106:107], v[100:101], v[4:5]
	ds_load_b64 v[100:101], v1 offset:728
	s_waitcnt vmcnt(1)
	v_fma_f64 v[4:5], v[116:117], v[102:103], v[4:5]
	s_waitcnt lgkmcnt(1)
	s_delay_alu instid0(VALU_DEP_1) | instskip(SKIP_1) | instid1(VALU_DEP_1)
	v_fma_f64 v[4:5], v[118:119], v[112:113], v[4:5]
	s_waitcnt vmcnt(0)
	v_fma_f64 v[4:5], v[108:109], v[114:115], v[4:5]
	s_waitcnt lgkmcnt(0)
	s_delay_alu instid0(VALU_DEP_1) | instskip(NEXT) | instid1(VALU_DEP_1)
	v_fma_f64 v[4:5], v[110:111], v[100:101], v[4:5]
	v_add_f64 v[4:5], v[98:99], -v[4:5]
	scratch_store_b64 off, v[4:5], off offset:192
	v_cmpx_lt_u32_e32 23, v0
	s_cbranch_execz .LBB45_239
; %bb.238:
	scratch_load_b64 v[4:5], off, off offset:184
	v_mov_b32_e32 v2, v1
	scratch_store_b64 off, v[1:2], off offset:184
	s_waitcnt vmcnt(0)
	ds_store_b64 v3, v[4:5]
.LBB45_239:
	s_or_b32 exec_lo, exec_lo, s0
	s_waitcnt lgkmcnt(0)
	s_waitcnt_vscnt null, 0x0
	s_barrier
	buffer_gl0_inv
	s_clause 0x4
	scratch_load_b128 v[98:101], off, off offset:184
	scratch_load_b128 v[102:105], off, off offset:200
	;; [unrolled: 1-line block ×5, first 2 shown]
	ds_load_b128 v[118:121], v1 offset:560
	ds_load_b128 v[122:125], v1 offset:576
	scratch_load_b128 v[126:129], off, off offset:264
	s_mov_b32 s0, exec_lo
	s_waitcnt vmcnt(5) lgkmcnt(1)
	v_fma_f64 v[4:5], v[100:101], v[118:119], 0
	s_waitcnt vmcnt(4)
	s_delay_alu instid0(VALU_DEP_1) | instskip(SKIP_4) | instid1(VALU_DEP_1)
	v_fma_f64 v[4:5], v[102:103], v[120:121], v[4:5]
	scratch_load_b128 v[100:103], off, off offset:280
	s_waitcnt lgkmcnt(0)
	v_fma_f64 v[4:5], v[104:105], v[122:123], v[4:5]
	s_waitcnt vmcnt(4)
	v_fma_f64 v[4:5], v[106:107], v[124:125], v[4:5]
	ds_load_b128 v[104:107], v1 offset:592
	ds_load_b128 v[118:121], v1 offset:608
	scratch_load_b128 v[122:125], off, off offset:296
	s_waitcnt lgkmcnt(1)
	v_fma_f64 v[4:5], v[108:109], v[104:105], v[4:5]
	s_waitcnt vmcnt(4)
	s_delay_alu instid0(VALU_DEP_1) | instskip(SKIP_4) | instid1(VALU_DEP_1)
	v_fma_f64 v[4:5], v[110:111], v[106:107], v[4:5]
	scratch_load_b128 v[104:107], off, off offset:312
	s_waitcnt lgkmcnt(0)
	v_fma_f64 v[4:5], v[112:113], v[118:119], v[4:5]
	s_waitcnt vmcnt(4)
	v_fma_f64 v[4:5], v[114:115], v[120:121], v[4:5]
	ds_load_b128 v[108:111], v1 offset:624
	ds_load_b128 v[112:115], v1 offset:640
	s_waitcnt lgkmcnt(1)
	v_fma_f64 v[4:5], v[116:117], v[108:109], v[4:5]
	scratch_load_b128 v[116:119], off, off offset:328
	s_waitcnt vmcnt(4)
	v_fma_f64 v[4:5], v[126:127], v[110:111], v[4:5]
	scratch_load_b128 v[108:111], off, off offset:344
	s_waitcnt lgkmcnt(0)
	v_fma_f64 v[4:5], v[128:129], v[112:113], v[4:5]
	s_waitcnt vmcnt(4)
	s_delay_alu instid0(VALU_DEP_1)
	v_fma_f64 v[4:5], v[100:101], v[114:115], v[4:5]
	ds_load_b128 v[112:115], v1 offset:656
	ds_load_b128 v[126:129], v1 offset:672
	scratch_load_b64 v[120:121], off, off offset:360
	s_waitcnt lgkmcnt(1)
	v_fma_f64 v[4:5], v[102:103], v[112:113], v[4:5]
	s_waitcnt vmcnt(4)
	s_delay_alu instid0(VALU_DEP_1)
	v_fma_f64 v[4:5], v[122:123], v[114:115], v[4:5]
	ds_load_b128 v[100:103], v1 offset:688
	ds_load_b128 v[112:115], v1 offset:704
	s_waitcnt lgkmcnt(2)
	v_fma_f64 v[4:5], v[124:125], v[126:127], v[4:5]
	s_waitcnt vmcnt(3)
	s_delay_alu instid0(VALU_DEP_1) | instskip(SKIP_1) | instid1(VALU_DEP_1)
	v_fma_f64 v[4:5], v[104:105], v[128:129], v[4:5]
	s_waitcnt lgkmcnt(1)
	v_fma_f64 v[4:5], v[106:107], v[100:101], v[4:5]
	s_waitcnt vmcnt(2)
	s_delay_alu instid0(VALU_DEP_1) | instskip(SKIP_4) | instid1(VALU_DEP_1)
	v_fma_f64 v[4:5], v[116:117], v[102:103], v[4:5]
	ds_load_b128 v[100:103], v1 offset:720
	s_waitcnt lgkmcnt(1)
	v_fma_f64 v[4:5], v[118:119], v[112:113], v[4:5]
	s_waitcnt vmcnt(1)
	v_fma_f64 v[4:5], v[108:109], v[114:115], v[4:5]
	s_waitcnt lgkmcnt(0)
	s_delay_alu instid0(VALU_DEP_1) | instskip(SKIP_1) | instid1(VALU_DEP_1)
	v_fma_f64 v[1:2], v[110:111], v[100:101], v[4:5]
	s_waitcnt vmcnt(0)
	v_fma_f64 v[1:2], v[120:121], v[102:103], v[1:2]
	s_delay_alu instid0(VALU_DEP_1)
	v_add_f64 v[1:2], v[98:99], -v[1:2]
	scratch_store_b64 off, v[1:2], off offset:184
	v_cmpx_lt_u32_e32 22, v0
	s_cbranch_execz .LBB45_241
; %bb.240:
	scratch_load_b64 v[1:2], off, off offset:176
	v_mov_b32_e32 v4, 0
	s_delay_alu instid0(VALU_DEP_1)
	v_mov_b32_e32 v5, v4
	scratch_store_b64 off, v[4:5], off offset:176
	s_waitcnt vmcnt(0)
	ds_store_b64 v3, v[1:2]
.LBB45_241:
	s_or_b32 exec_lo, exec_lo, s0
	s_waitcnt lgkmcnt(0)
	s_waitcnt_vscnt null, 0x0
	s_barrier
	buffer_gl0_inv
	s_clause 0x4
	scratch_load_b128 v[98:101], off, off offset:176
	scratch_load_b128 v[102:105], off, off offset:192
	;; [unrolled: 1-line block ×5, first 2 shown]
	v_mov_b32_e32 v1, 0
	ds_load_2addr_b64 v[118:121], v1 offset0:69 offset1:70
	ds_load_2addr_b64 v[122:125], v1 offset0:71 offset1:72
	scratch_load_b128 v[126:129], off, off offset:256
	s_mov_b32 s0, exec_lo
	s_waitcnt vmcnt(5) lgkmcnt(1)
	v_fma_f64 v[4:5], v[100:101], v[118:119], 0
	s_waitcnt vmcnt(4)
	s_delay_alu instid0(VALU_DEP_1) | instskip(SKIP_4) | instid1(VALU_DEP_1)
	v_fma_f64 v[4:5], v[102:103], v[120:121], v[4:5]
	scratch_load_b128 v[100:103], off, off offset:272
	s_waitcnt lgkmcnt(0)
	v_fma_f64 v[4:5], v[104:105], v[122:123], v[4:5]
	s_waitcnt vmcnt(4)
	v_fma_f64 v[4:5], v[106:107], v[124:125], v[4:5]
	ds_load_2addr_b64 v[104:107], v1 offset0:73 offset1:74
	ds_load_2addr_b64 v[118:121], v1 offset0:75 offset1:76
	scratch_load_b128 v[122:125], off, off offset:288
	s_waitcnt lgkmcnt(1)
	v_fma_f64 v[4:5], v[108:109], v[104:105], v[4:5]
	s_waitcnt vmcnt(4)
	s_delay_alu instid0(VALU_DEP_1) | instskip(SKIP_4) | instid1(VALU_DEP_1)
	v_fma_f64 v[4:5], v[110:111], v[106:107], v[4:5]
	scratch_load_b128 v[104:107], off, off offset:304
	s_waitcnt lgkmcnt(0)
	v_fma_f64 v[4:5], v[112:113], v[118:119], v[4:5]
	s_waitcnt vmcnt(4)
	v_fma_f64 v[4:5], v[114:115], v[120:121], v[4:5]
	ds_load_2addr_b64 v[108:111], v1 offset0:77 offset1:78
	ds_load_2addr_b64 v[112:115], v1 offset0:79 offset1:80
	s_waitcnt lgkmcnt(1)
	v_fma_f64 v[4:5], v[116:117], v[108:109], v[4:5]
	scratch_load_b128 v[116:119], off, off offset:320
	s_waitcnt vmcnt(4)
	v_fma_f64 v[4:5], v[126:127], v[110:111], v[4:5]
	scratch_load_b128 v[108:111], off, off offset:336
	s_waitcnt lgkmcnt(0)
	v_fma_f64 v[4:5], v[128:129], v[112:113], v[4:5]
	s_waitcnt vmcnt(4)
	s_delay_alu instid0(VALU_DEP_1)
	v_fma_f64 v[4:5], v[100:101], v[114:115], v[4:5]
	ds_load_2addr_b64 v[112:115], v1 offset0:81 offset1:82
	ds_load_2addr_b64 v[126:129], v1 offset0:83 offset1:84
	s_waitcnt lgkmcnt(1)
	v_fma_f64 v[4:5], v[102:103], v[112:113], v[4:5]
	scratch_load_b128 v[100:103], off, off offset:352
	s_waitcnt vmcnt(4)
	v_fma_f64 v[4:5], v[122:123], v[114:115], v[4:5]
	ds_load_2addr_b64 v[112:115], v1 offset0:85 offset1:86
	ds_load_2addr_b64 v[120:123], v1 offset0:87 offset1:88
	s_waitcnt lgkmcnt(2)
	v_fma_f64 v[4:5], v[124:125], v[126:127], v[4:5]
	s_waitcnt vmcnt(3)
	s_delay_alu instid0(VALU_DEP_1) | instskip(SKIP_1) | instid1(VALU_DEP_1)
	v_fma_f64 v[4:5], v[104:105], v[128:129], v[4:5]
	s_waitcnt lgkmcnt(1)
	v_fma_f64 v[4:5], v[106:107], v[112:113], v[4:5]
	s_waitcnt vmcnt(2)
	s_delay_alu instid0(VALU_DEP_1) | instskip(SKIP_1) | instid1(VALU_DEP_1)
	v_fma_f64 v[4:5], v[116:117], v[114:115], v[4:5]
	s_waitcnt lgkmcnt(0)
	v_fma_f64 v[4:5], v[118:119], v[120:121], v[4:5]
	s_waitcnt vmcnt(1)
	s_delay_alu instid0(VALU_DEP_1)
	v_fma_f64 v[4:5], v[108:109], v[122:123], v[4:5]
	ds_load_2addr_b64 v[104:107], v1 offset0:89 offset1:90
	ds_load_b64 v[108:109], v1 offset:728
	s_waitcnt lgkmcnt(1)
	v_fma_f64 v[4:5], v[110:111], v[104:105], v[4:5]
	s_waitcnt vmcnt(0)
	s_delay_alu instid0(VALU_DEP_1) | instskip(SKIP_1) | instid1(VALU_DEP_1)
	v_fma_f64 v[4:5], v[100:101], v[106:107], v[4:5]
	s_waitcnt lgkmcnt(0)
	v_fma_f64 v[4:5], v[102:103], v[108:109], v[4:5]
	s_delay_alu instid0(VALU_DEP_1)
	v_add_f64 v[4:5], v[98:99], -v[4:5]
	scratch_store_b64 off, v[4:5], off offset:176
	v_cmpx_lt_u32_e32 21, v0
	s_cbranch_execz .LBB45_243
; %bb.242:
	scratch_load_b64 v[4:5], off, off offset:168
	v_mov_b32_e32 v2, v1
	scratch_store_b64 off, v[1:2], off offset:168
	s_waitcnt vmcnt(0)
	ds_store_b64 v3, v[4:5]
.LBB45_243:
	s_or_b32 exec_lo, exec_lo, s0
	s_waitcnt lgkmcnt(0)
	s_waitcnt_vscnt null, 0x0
	s_barrier
	buffer_gl0_inv
	s_clause 0x4
	scratch_load_b128 v[98:101], off, off offset:168
	scratch_load_b128 v[102:105], off, off offset:184
	scratch_load_b128 v[106:109], off, off offset:200
	scratch_load_b128 v[110:113], off, off offset:216
	scratch_load_b128 v[114:117], off, off offset:232
	ds_load_b128 v[118:121], v1 offset:544
	ds_load_b128 v[122:125], v1 offset:560
	scratch_load_b128 v[126:129], off, off offset:248
	s_mov_b32 s0, exec_lo
	s_waitcnt vmcnt(5) lgkmcnt(1)
	v_fma_f64 v[4:5], v[100:101], v[118:119], 0
	s_waitcnt vmcnt(4)
	s_delay_alu instid0(VALU_DEP_1) | instskip(SKIP_4) | instid1(VALU_DEP_1)
	v_fma_f64 v[4:5], v[102:103], v[120:121], v[4:5]
	scratch_load_b128 v[100:103], off, off offset:264
	s_waitcnt lgkmcnt(0)
	v_fma_f64 v[4:5], v[104:105], v[122:123], v[4:5]
	s_waitcnt vmcnt(4)
	v_fma_f64 v[4:5], v[106:107], v[124:125], v[4:5]
	ds_load_b128 v[104:107], v1 offset:576
	ds_load_b128 v[118:121], v1 offset:592
	scratch_load_b128 v[122:125], off, off offset:280
	s_waitcnt lgkmcnt(1)
	v_fma_f64 v[4:5], v[108:109], v[104:105], v[4:5]
	s_waitcnt vmcnt(4)
	s_delay_alu instid0(VALU_DEP_1) | instskip(SKIP_4) | instid1(VALU_DEP_1)
	v_fma_f64 v[4:5], v[110:111], v[106:107], v[4:5]
	scratch_load_b128 v[104:107], off, off offset:296
	s_waitcnt lgkmcnt(0)
	v_fma_f64 v[4:5], v[112:113], v[118:119], v[4:5]
	s_waitcnt vmcnt(4)
	v_fma_f64 v[4:5], v[114:115], v[120:121], v[4:5]
	ds_load_b128 v[108:111], v1 offset:608
	ds_load_b128 v[112:115], v1 offset:624
	s_waitcnt lgkmcnt(1)
	v_fma_f64 v[4:5], v[116:117], v[108:109], v[4:5]
	scratch_load_b128 v[116:119], off, off offset:312
	s_waitcnt vmcnt(4)
	v_fma_f64 v[4:5], v[126:127], v[110:111], v[4:5]
	scratch_load_b128 v[108:111], off, off offset:328
	s_waitcnt lgkmcnt(0)
	v_fma_f64 v[4:5], v[128:129], v[112:113], v[4:5]
	s_waitcnt vmcnt(4)
	s_delay_alu instid0(VALU_DEP_1)
	v_fma_f64 v[4:5], v[100:101], v[114:115], v[4:5]
	ds_load_b128 v[112:115], v1 offset:640
	ds_load_b128 v[126:129], v1 offset:656
	s_waitcnt lgkmcnt(1)
	v_fma_f64 v[4:5], v[102:103], v[112:113], v[4:5]
	scratch_load_b128 v[100:103], off, off offset:344
	s_waitcnt vmcnt(4)
	v_fma_f64 v[4:5], v[122:123], v[114:115], v[4:5]
	s_waitcnt lgkmcnt(0)
	s_delay_alu instid0(VALU_DEP_1)
	v_fma_f64 v[4:5], v[124:125], v[126:127], v[4:5]
	scratch_load_b64 v[124:125], off, off offset:360
	ds_load_b128 v[112:115], v1 offset:672
	ds_load_b128 v[120:123], v1 offset:688
	s_waitcnt vmcnt(4)
	v_fma_f64 v[4:5], v[104:105], v[128:129], v[4:5]
	s_waitcnt lgkmcnt(1)
	s_delay_alu instid0(VALU_DEP_1) | instskip(SKIP_1) | instid1(VALU_DEP_1)
	v_fma_f64 v[4:5], v[106:107], v[112:113], v[4:5]
	s_waitcnt vmcnt(3)
	v_fma_f64 v[4:5], v[116:117], v[114:115], v[4:5]
	ds_load_b128 v[104:107], v1 offset:704
	ds_load_b128 v[112:115], v1 offset:720
	s_waitcnt lgkmcnt(2)
	v_fma_f64 v[4:5], v[118:119], v[120:121], v[4:5]
	s_waitcnt vmcnt(2)
	s_delay_alu instid0(VALU_DEP_1) | instskip(SKIP_1) | instid1(VALU_DEP_1)
	v_fma_f64 v[4:5], v[108:109], v[122:123], v[4:5]
	s_waitcnt lgkmcnt(1)
	v_fma_f64 v[1:2], v[110:111], v[104:105], v[4:5]
	s_waitcnt vmcnt(1)
	s_delay_alu instid0(VALU_DEP_1) | instskip(SKIP_1) | instid1(VALU_DEP_1)
	v_fma_f64 v[1:2], v[100:101], v[106:107], v[1:2]
	s_waitcnt lgkmcnt(0)
	v_fma_f64 v[1:2], v[102:103], v[112:113], v[1:2]
	s_waitcnt vmcnt(0)
	s_delay_alu instid0(VALU_DEP_1) | instskip(NEXT) | instid1(VALU_DEP_1)
	v_fma_f64 v[1:2], v[124:125], v[114:115], v[1:2]
	v_add_f64 v[1:2], v[98:99], -v[1:2]
	scratch_store_b64 off, v[1:2], off offset:168
	v_cmpx_lt_u32_e32 20, v0
	s_cbranch_execz .LBB45_245
; %bb.244:
	scratch_load_b64 v[1:2], off, off offset:160
	v_mov_b32_e32 v4, 0
	s_delay_alu instid0(VALU_DEP_1)
	v_mov_b32_e32 v5, v4
	scratch_store_b64 off, v[4:5], off offset:160
	s_waitcnt vmcnt(0)
	ds_store_b64 v3, v[1:2]
.LBB45_245:
	s_or_b32 exec_lo, exec_lo, s0
	s_waitcnt lgkmcnt(0)
	s_waitcnt_vscnt null, 0x0
	s_barrier
	buffer_gl0_inv
	s_clause 0x4
	scratch_load_b128 v[98:101], off, off offset:160
	scratch_load_b128 v[102:105], off, off offset:176
	;; [unrolled: 1-line block ×5, first 2 shown]
	v_mov_b32_e32 v1, 0
	ds_load_2addr_b64 v[118:121], v1 offset0:67 offset1:68
	ds_load_2addr_b64 v[122:125], v1 offset0:69 offset1:70
	scratch_load_b128 v[126:129], off, off offset:240
	s_mov_b32 s0, exec_lo
	s_waitcnt vmcnt(5) lgkmcnt(1)
	v_fma_f64 v[4:5], v[100:101], v[118:119], 0
	s_waitcnt vmcnt(4)
	s_delay_alu instid0(VALU_DEP_1) | instskip(SKIP_4) | instid1(VALU_DEP_1)
	v_fma_f64 v[4:5], v[102:103], v[120:121], v[4:5]
	scratch_load_b128 v[100:103], off, off offset:256
	s_waitcnt lgkmcnt(0)
	v_fma_f64 v[4:5], v[104:105], v[122:123], v[4:5]
	s_waitcnt vmcnt(4)
	v_fma_f64 v[4:5], v[106:107], v[124:125], v[4:5]
	ds_load_2addr_b64 v[104:107], v1 offset0:71 offset1:72
	ds_load_2addr_b64 v[118:121], v1 offset0:73 offset1:74
	scratch_load_b128 v[122:125], off, off offset:272
	s_waitcnt lgkmcnt(1)
	v_fma_f64 v[4:5], v[108:109], v[104:105], v[4:5]
	s_waitcnt vmcnt(4)
	s_delay_alu instid0(VALU_DEP_1) | instskip(SKIP_4) | instid1(VALU_DEP_1)
	v_fma_f64 v[4:5], v[110:111], v[106:107], v[4:5]
	scratch_load_b128 v[104:107], off, off offset:288
	s_waitcnt lgkmcnt(0)
	v_fma_f64 v[4:5], v[112:113], v[118:119], v[4:5]
	s_waitcnt vmcnt(4)
	v_fma_f64 v[4:5], v[114:115], v[120:121], v[4:5]
	ds_load_2addr_b64 v[108:111], v1 offset0:75 offset1:76
	ds_load_2addr_b64 v[112:115], v1 offset0:77 offset1:78
	s_waitcnt lgkmcnt(1)
	v_fma_f64 v[4:5], v[116:117], v[108:109], v[4:5]
	scratch_load_b128 v[116:119], off, off offset:304
	s_waitcnt vmcnt(4)
	v_fma_f64 v[4:5], v[126:127], v[110:111], v[4:5]
	scratch_load_b128 v[108:111], off, off offset:320
	s_waitcnt lgkmcnt(0)
	v_fma_f64 v[4:5], v[128:129], v[112:113], v[4:5]
	s_waitcnt vmcnt(4)
	s_delay_alu instid0(VALU_DEP_1)
	v_fma_f64 v[4:5], v[100:101], v[114:115], v[4:5]
	ds_load_2addr_b64 v[112:115], v1 offset0:79 offset1:80
	ds_load_2addr_b64 v[126:129], v1 offset0:81 offset1:82
	s_waitcnt lgkmcnt(1)
	v_fma_f64 v[4:5], v[102:103], v[112:113], v[4:5]
	scratch_load_b128 v[100:103], off, off offset:336
	s_waitcnt vmcnt(4)
	v_fma_f64 v[4:5], v[122:123], v[114:115], v[4:5]
	scratch_load_b128 v[112:115], off, off offset:352
	s_waitcnt lgkmcnt(0)
	v_fma_f64 v[4:5], v[124:125], v[126:127], v[4:5]
	ds_load_2addr_b64 v[120:123], v1 offset0:83 offset1:84
	ds_load_2addr_b64 v[124:127], v1 offset0:85 offset1:86
	s_waitcnt vmcnt(4)
	v_fma_f64 v[4:5], v[104:105], v[128:129], v[4:5]
	s_waitcnt lgkmcnt(1)
	s_delay_alu instid0(VALU_DEP_1) | instskip(SKIP_1) | instid1(VALU_DEP_1)
	v_fma_f64 v[4:5], v[106:107], v[120:121], v[4:5]
	s_waitcnt vmcnt(3)
	v_fma_f64 v[4:5], v[116:117], v[122:123], v[4:5]
	s_waitcnt lgkmcnt(0)
	s_delay_alu instid0(VALU_DEP_1)
	v_fma_f64 v[4:5], v[118:119], v[124:125], v[4:5]
	ds_load_2addr_b64 v[104:107], v1 offset0:87 offset1:88
	ds_load_2addr_b64 v[116:119], v1 offset0:89 offset1:90
	s_waitcnt vmcnt(2)
	v_fma_f64 v[4:5], v[108:109], v[126:127], v[4:5]
	s_waitcnt lgkmcnt(1)
	s_delay_alu instid0(VALU_DEP_1) | instskip(SKIP_1) | instid1(VALU_DEP_1)
	v_fma_f64 v[4:5], v[110:111], v[104:105], v[4:5]
	s_waitcnt vmcnt(1)
	v_fma_f64 v[4:5], v[100:101], v[106:107], v[4:5]
	ds_load_b64 v[100:101], v1 offset:728
	s_waitcnt lgkmcnt(1)
	v_fma_f64 v[4:5], v[102:103], v[116:117], v[4:5]
	s_waitcnt vmcnt(0)
	s_delay_alu instid0(VALU_DEP_1) | instskip(SKIP_1) | instid1(VALU_DEP_1)
	v_fma_f64 v[4:5], v[112:113], v[118:119], v[4:5]
	s_waitcnt lgkmcnt(0)
	v_fma_f64 v[4:5], v[114:115], v[100:101], v[4:5]
	s_delay_alu instid0(VALU_DEP_1)
	v_add_f64 v[4:5], v[98:99], -v[4:5]
	scratch_store_b64 off, v[4:5], off offset:160
	v_cmpx_lt_u32_e32 19, v0
	s_cbranch_execz .LBB45_247
; %bb.246:
	scratch_load_b64 v[4:5], off, off offset:152
	v_mov_b32_e32 v2, v1
	scratch_store_b64 off, v[1:2], off offset:152
	s_waitcnt vmcnt(0)
	ds_store_b64 v3, v[4:5]
.LBB45_247:
	s_or_b32 exec_lo, exec_lo, s0
	s_waitcnt lgkmcnt(0)
	s_waitcnt_vscnt null, 0x0
	s_barrier
	buffer_gl0_inv
	s_clause 0x4
	scratch_load_b128 v[98:101], off, off offset:152
	scratch_load_b128 v[102:105], off, off offset:168
	scratch_load_b128 v[106:109], off, off offset:184
	scratch_load_b128 v[110:113], off, off offset:200
	scratch_load_b128 v[114:117], off, off offset:216
	ds_load_b128 v[118:121], v1 offset:528
	ds_load_b128 v[122:125], v1 offset:544
	scratch_load_b128 v[126:129], off, off offset:232
	s_mov_b32 s0, exec_lo
	s_waitcnt vmcnt(5) lgkmcnt(1)
	v_fma_f64 v[4:5], v[100:101], v[118:119], 0
	s_waitcnt vmcnt(4)
	s_delay_alu instid0(VALU_DEP_1) | instskip(SKIP_4) | instid1(VALU_DEP_1)
	v_fma_f64 v[4:5], v[102:103], v[120:121], v[4:5]
	scratch_load_b128 v[100:103], off, off offset:248
	s_waitcnt lgkmcnt(0)
	v_fma_f64 v[4:5], v[104:105], v[122:123], v[4:5]
	s_waitcnt vmcnt(4)
	v_fma_f64 v[4:5], v[106:107], v[124:125], v[4:5]
	ds_load_b128 v[104:107], v1 offset:560
	ds_load_b128 v[118:121], v1 offset:576
	scratch_load_b128 v[122:125], off, off offset:264
	s_waitcnt lgkmcnt(1)
	v_fma_f64 v[4:5], v[108:109], v[104:105], v[4:5]
	s_waitcnt vmcnt(4)
	s_delay_alu instid0(VALU_DEP_1) | instskip(SKIP_4) | instid1(VALU_DEP_1)
	v_fma_f64 v[4:5], v[110:111], v[106:107], v[4:5]
	scratch_load_b128 v[104:107], off, off offset:280
	s_waitcnt lgkmcnt(0)
	v_fma_f64 v[4:5], v[112:113], v[118:119], v[4:5]
	s_waitcnt vmcnt(4)
	v_fma_f64 v[4:5], v[114:115], v[120:121], v[4:5]
	ds_load_b128 v[108:111], v1 offset:592
	ds_load_b128 v[112:115], v1 offset:608
	s_waitcnt lgkmcnt(1)
	v_fma_f64 v[4:5], v[116:117], v[108:109], v[4:5]
	scratch_load_b128 v[116:119], off, off offset:296
	s_waitcnt vmcnt(4)
	v_fma_f64 v[4:5], v[126:127], v[110:111], v[4:5]
	scratch_load_b128 v[108:111], off, off offset:312
	s_waitcnt lgkmcnt(0)
	v_fma_f64 v[4:5], v[128:129], v[112:113], v[4:5]
	s_waitcnt vmcnt(4)
	s_delay_alu instid0(VALU_DEP_1)
	v_fma_f64 v[4:5], v[100:101], v[114:115], v[4:5]
	ds_load_b128 v[112:115], v1 offset:624
	ds_load_b128 v[126:129], v1 offset:640
	s_waitcnt lgkmcnt(1)
	v_fma_f64 v[4:5], v[102:103], v[112:113], v[4:5]
	scratch_load_b128 v[100:103], off, off offset:328
	s_waitcnt vmcnt(4)
	v_fma_f64 v[4:5], v[122:123], v[114:115], v[4:5]
	scratch_load_b128 v[112:115], off, off offset:344
	s_waitcnt lgkmcnt(0)
	v_fma_f64 v[4:5], v[124:125], v[126:127], v[4:5]
	ds_load_b128 v[120:123], v1 offset:656
	ds_load_b128 v[124:127], v1 offset:672
	s_waitcnt vmcnt(4)
	v_fma_f64 v[4:5], v[104:105], v[128:129], v[4:5]
	s_waitcnt lgkmcnt(1)
	s_delay_alu instid0(VALU_DEP_1) | instskip(SKIP_4) | instid1(VALU_DEP_1)
	v_fma_f64 v[4:5], v[106:107], v[120:121], v[4:5]
	scratch_load_b64 v[120:121], off, off offset:360
	s_waitcnt vmcnt(4)
	v_fma_f64 v[4:5], v[116:117], v[122:123], v[4:5]
	s_waitcnt lgkmcnt(0)
	v_fma_f64 v[4:5], v[118:119], v[124:125], v[4:5]
	ds_load_b128 v[104:107], v1 offset:688
	ds_load_b128 v[116:119], v1 offset:704
	s_waitcnt vmcnt(3)
	v_fma_f64 v[4:5], v[108:109], v[126:127], v[4:5]
	s_waitcnt lgkmcnt(1)
	s_delay_alu instid0(VALU_DEP_1) | instskip(SKIP_1) | instid1(VALU_DEP_1)
	v_fma_f64 v[4:5], v[110:111], v[104:105], v[4:5]
	s_waitcnt vmcnt(2)
	v_fma_f64 v[4:5], v[100:101], v[106:107], v[4:5]
	s_waitcnt lgkmcnt(0)
	s_delay_alu instid0(VALU_DEP_1) | instskip(SKIP_4) | instid1(VALU_DEP_1)
	v_fma_f64 v[4:5], v[102:103], v[116:117], v[4:5]
	ds_load_b128 v[100:103], v1 offset:720
	s_waitcnt vmcnt(1)
	v_fma_f64 v[4:5], v[112:113], v[118:119], v[4:5]
	s_waitcnt lgkmcnt(0)
	v_fma_f64 v[1:2], v[114:115], v[100:101], v[4:5]
	s_waitcnt vmcnt(0)
	s_delay_alu instid0(VALU_DEP_1) | instskip(NEXT) | instid1(VALU_DEP_1)
	v_fma_f64 v[1:2], v[120:121], v[102:103], v[1:2]
	v_add_f64 v[1:2], v[98:99], -v[1:2]
	scratch_store_b64 off, v[1:2], off offset:152
	v_cmpx_lt_u32_e32 18, v0
	s_cbranch_execz .LBB45_249
; %bb.248:
	scratch_load_b64 v[1:2], off, off offset:144
	v_mov_b32_e32 v4, 0
	s_delay_alu instid0(VALU_DEP_1)
	v_mov_b32_e32 v5, v4
	scratch_store_b64 off, v[4:5], off offset:144
	s_waitcnt vmcnt(0)
	ds_store_b64 v3, v[1:2]
.LBB45_249:
	s_or_b32 exec_lo, exec_lo, s0
	s_waitcnt lgkmcnt(0)
	s_waitcnt_vscnt null, 0x0
	s_barrier
	buffer_gl0_inv
	s_clause 0x4
	scratch_load_b128 v[98:101], off, off offset:144
	scratch_load_b128 v[102:105], off, off offset:160
	;; [unrolled: 1-line block ×5, first 2 shown]
	v_mov_b32_e32 v1, 0
	ds_load_2addr_b64 v[118:121], v1 offset0:65 offset1:66
	ds_load_2addr_b64 v[122:125], v1 offset0:67 offset1:68
	scratch_load_b128 v[126:129], off, off offset:224
	s_mov_b32 s0, exec_lo
	s_waitcnt vmcnt(5) lgkmcnt(1)
	v_fma_f64 v[4:5], v[100:101], v[118:119], 0
	s_waitcnt vmcnt(4)
	s_delay_alu instid0(VALU_DEP_1) | instskip(SKIP_4) | instid1(VALU_DEP_1)
	v_fma_f64 v[4:5], v[102:103], v[120:121], v[4:5]
	scratch_load_b128 v[100:103], off, off offset:240
	s_waitcnt lgkmcnt(0)
	v_fma_f64 v[4:5], v[104:105], v[122:123], v[4:5]
	s_waitcnt vmcnt(4)
	v_fma_f64 v[4:5], v[106:107], v[124:125], v[4:5]
	ds_load_2addr_b64 v[104:107], v1 offset0:69 offset1:70
	ds_load_2addr_b64 v[118:121], v1 offset0:71 offset1:72
	scratch_load_b128 v[122:125], off, off offset:256
	s_waitcnt lgkmcnt(1)
	v_fma_f64 v[4:5], v[108:109], v[104:105], v[4:5]
	s_waitcnt vmcnt(4)
	s_delay_alu instid0(VALU_DEP_1) | instskip(SKIP_4) | instid1(VALU_DEP_1)
	v_fma_f64 v[4:5], v[110:111], v[106:107], v[4:5]
	scratch_load_b128 v[104:107], off, off offset:272
	s_waitcnt lgkmcnt(0)
	v_fma_f64 v[4:5], v[112:113], v[118:119], v[4:5]
	s_waitcnt vmcnt(4)
	v_fma_f64 v[4:5], v[114:115], v[120:121], v[4:5]
	ds_load_2addr_b64 v[108:111], v1 offset0:73 offset1:74
	ds_load_2addr_b64 v[112:115], v1 offset0:75 offset1:76
	s_waitcnt lgkmcnt(1)
	v_fma_f64 v[4:5], v[116:117], v[108:109], v[4:5]
	scratch_load_b128 v[116:119], off, off offset:288
	s_waitcnt vmcnt(4)
	v_fma_f64 v[4:5], v[126:127], v[110:111], v[4:5]
	scratch_load_b128 v[108:111], off, off offset:304
	s_waitcnt lgkmcnt(0)
	v_fma_f64 v[4:5], v[128:129], v[112:113], v[4:5]
	s_waitcnt vmcnt(4)
	s_delay_alu instid0(VALU_DEP_1)
	v_fma_f64 v[4:5], v[100:101], v[114:115], v[4:5]
	ds_load_2addr_b64 v[112:115], v1 offset0:77 offset1:78
	ds_load_2addr_b64 v[126:129], v1 offset0:79 offset1:80
	s_waitcnt lgkmcnt(1)
	v_fma_f64 v[4:5], v[102:103], v[112:113], v[4:5]
	scratch_load_b128 v[100:103], off, off offset:320
	s_waitcnt vmcnt(4)
	v_fma_f64 v[4:5], v[122:123], v[114:115], v[4:5]
	scratch_load_b128 v[112:115], off, off offset:336
	s_waitcnt lgkmcnt(0)
	v_fma_f64 v[4:5], v[124:125], v[126:127], v[4:5]
	ds_load_2addr_b64 v[120:123], v1 offset0:81 offset1:82
	ds_load_2addr_b64 v[124:127], v1 offset0:83 offset1:84
	s_waitcnt vmcnt(4)
	v_fma_f64 v[4:5], v[104:105], v[128:129], v[4:5]
	s_waitcnt lgkmcnt(1)
	s_delay_alu instid0(VALU_DEP_1) | instskip(SKIP_4) | instid1(VALU_DEP_1)
	v_fma_f64 v[4:5], v[106:107], v[120:121], v[4:5]
	scratch_load_b128 v[104:107], off, off offset:352
	s_waitcnt vmcnt(4)
	v_fma_f64 v[4:5], v[116:117], v[122:123], v[4:5]
	s_waitcnt lgkmcnt(0)
	v_fma_f64 v[4:5], v[118:119], v[124:125], v[4:5]
	ds_load_2addr_b64 v[116:119], v1 offset0:85 offset1:86
	ds_load_2addr_b64 v[120:123], v1 offset0:87 offset1:88
	s_waitcnt vmcnt(3)
	v_fma_f64 v[4:5], v[108:109], v[126:127], v[4:5]
	s_waitcnt lgkmcnt(1)
	s_delay_alu instid0(VALU_DEP_1) | instskip(SKIP_1) | instid1(VALU_DEP_1)
	v_fma_f64 v[4:5], v[110:111], v[116:117], v[4:5]
	s_waitcnt vmcnt(2)
	v_fma_f64 v[4:5], v[100:101], v[118:119], v[4:5]
	s_waitcnt lgkmcnt(0)
	s_delay_alu instid0(VALU_DEP_1)
	v_fma_f64 v[4:5], v[102:103], v[120:121], v[4:5]
	ds_load_2addr_b64 v[100:103], v1 offset0:89 offset1:90
	ds_load_b64 v[108:109], v1 offset:728
	s_waitcnt vmcnt(1)
	v_fma_f64 v[4:5], v[112:113], v[122:123], v[4:5]
	s_waitcnt lgkmcnt(1)
	s_delay_alu instid0(VALU_DEP_1) | instskip(SKIP_1) | instid1(VALU_DEP_1)
	v_fma_f64 v[4:5], v[114:115], v[100:101], v[4:5]
	s_waitcnt vmcnt(0)
	v_fma_f64 v[4:5], v[104:105], v[102:103], v[4:5]
	s_waitcnt lgkmcnt(0)
	s_delay_alu instid0(VALU_DEP_1) | instskip(NEXT) | instid1(VALU_DEP_1)
	v_fma_f64 v[4:5], v[106:107], v[108:109], v[4:5]
	v_add_f64 v[4:5], v[98:99], -v[4:5]
	scratch_store_b64 off, v[4:5], off offset:144
	v_cmpx_lt_u32_e32 17, v0
	s_cbranch_execz .LBB45_251
; %bb.250:
	scratch_load_b64 v[4:5], off, off offset:136
	v_mov_b32_e32 v2, v1
	scratch_store_b64 off, v[1:2], off offset:136
	s_waitcnt vmcnt(0)
	ds_store_b64 v3, v[4:5]
.LBB45_251:
	s_or_b32 exec_lo, exec_lo, s0
	s_waitcnt lgkmcnt(0)
	s_waitcnt_vscnt null, 0x0
	s_barrier
	buffer_gl0_inv
	s_clause 0x4
	scratch_load_b128 v[98:101], off, off offset:136
	scratch_load_b128 v[102:105], off, off offset:152
	;; [unrolled: 1-line block ×5, first 2 shown]
	ds_load_b128 v[118:121], v1 offset:512
	ds_load_b128 v[122:125], v1 offset:528
	scratch_load_b128 v[126:129], off, off offset:216
	s_mov_b32 s0, exec_lo
	s_waitcnt vmcnt(5) lgkmcnt(1)
	v_fma_f64 v[4:5], v[100:101], v[118:119], 0
	s_waitcnt vmcnt(4)
	s_delay_alu instid0(VALU_DEP_1) | instskip(SKIP_4) | instid1(VALU_DEP_1)
	v_fma_f64 v[4:5], v[102:103], v[120:121], v[4:5]
	scratch_load_b128 v[100:103], off, off offset:232
	s_waitcnt lgkmcnt(0)
	v_fma_f64 v[4:5], v[104:105], v[122:123], v[4:5]
	s_waitcnt vmcnt(4)
	v_fma_f64 v[4:5], v[106:107], v[124:125], v[4:5]
	ds_load_b128 v[104:107], v1 offset:544
	ds_load_b128 v[118:121], v1 offset:560
	scratch_load_b128 v[122:125], off, off offset:248
	s_waitcnt lgkmcnt(1)
	v_fma_f64 v[4:5], v[108:109], v[104:105], v[4:5]
	s_waitcnt vmcnt(4)
	s_delay_alu instid0(VALU_DEP_1) | instskip(SKIP_4) | instid1(VALU_DEP_1)
	v_fma_f64 v[4:5], v[110:111], v[106:107], v[4:5]
	scratch_load_b128 v[104:107], off, off offset:264
	s_waitcnt lgkmcnt(0)
	v_fma_f64 v[4:5], v[112:113], v[118:119], v[4:5]
	s_waitcnt vmcnt(4)
	v_fma_f64 v[4:5], v[114:115], v[120:121], v[4:5]
	ds_load_b128 v[108:111], v1 offset:576
	ds_load_b128 v[112:115], v1 offset:592
	s_waitcnt lgkmcnt(1)
	v_fma_f64 v[4:5], v[116:117], v[108:109], v[4:5]
	scratch_load_b128 v[116:119], off, off offset:280
	s_waitcnt vmcnt(4)
	v_fma_f64 v[4:5], v[126:127], v[110:111], v[4:5]
	scratch_load_b128 v[108:111], off, off offset:296
	s_waitcnt lgkmcnt(0)
	v_fma_f64 v[4:5], v[128:129], v[112:113], v[4:5]
	s_waitcnt vmcnt(4)
	s_delay_alu instid0(VALU_DEP_1)
	v_fma_f64 v[4:5], v[100:101], v[114:115], v[4:5]
	ds_load_b128 v[112:115], v1 offset:608
	ds_load_b128 v[126:129], v1 offset:624
	s_waitcnt lgkmcnt(1)
	v_fma_f64 v[4:5], v[102:103], v[112:113], v[4:5]
	scratch_load_b128 v[100:103], off, off offset:312
	s_waitcnt vmcnt(4)
	v_fma_f64 v[4:5], v[122:123], v[114:115], v[4:5]
	scratch_load_b128 v[112:115], off, off offset:328
	s_waitcnt lgkmcnt(0)
	v_fma_f64 v[4:5], v[124:125], v[126:127], v[4:5]
	ds_load_b128 v[120:123], v1 offset:640
	ds_load_b128 v[124:127], v1 offset:656
	s_waitcnt vmcnt(4)
	v_fma_f64 v[4:5], v[104:105], v[128:129], v[4:5]
	s_waitcnt lgkmcnt(1)
	s_delay_alu instid0(VALU_DEP_1) | instskip(SKIP_4) | instid1(VALU_DEP_1)
	v_fma_f64 v[4:5], v[106:107], v[120:121], v[4:5]
	scratch_load_b128 v[104:107], off, off offset:344
	s_waitcnt vmcnt(4)
	v_fma_f64 v[4:5], v[116:117], v[122:123], v[4:5]
	s_waitcnt lgkmcnt(0)
	v_fma_f64 v[4:5], v[118:119], v[124:125], v[4:5]
	scratch_load_b64 v[124:125], off, off offset:360
	ds_load_b128 v[116:119], v1 offset:672
	ds_load_b128 v[120:123], v1 offset:688
	s_waitcnt vmcnt(4)
	v_fma_f64 v[4:5], v[108:109], v[126:127], v[4:5]
	s_waitcnt lgkmcnt(1)
	s_delay_alu instid0(VALU_DEP_1) | instskip(SKIP_1) | instid1(VALU_DEP_1)
	v_fma_f64 v[4:5], v[110:111], v[116:117], v[4:5]
	s_waitcnt vmcnt(3)
	v_fma_f64 v[4:5], v[100:101], v[118:119], v[4:5]
	s_waitcnt lgkmcnt(0)
	s_delay_alu instid0(VALU_DEP_1)
	v_fma_f64 v[4:5], v[102:103], v[120:121], v[4:5]
	ds_load_b128 v[100:103], v1 offset:704
	ds_load_b128 v[108:111], v1 offset:720
	s_waitcnt vmcnt(2)
	v_fma_f64 v[4:5], v[112:113], v[122:123], v[4:5]
	s_waitcnt lgkmcnt(1)
	s_delay_alu instid0(VALU_DEP_1) | instskip(SKIP_1) | instid1(VALU_DEP_1)
	v_fma_f64 v[1:2], v[114:115], v[100:101], v[4:5]
	s_waitcnt vmcnt(1)
	v_fma_f64 v[1:2], v[104:105], v[102:103], v[1:2]
	s_waitcnt lgkmcnt(0)
	s_delay_alu instid0(VALU_DEP_1) | instskip(SKIP_1) | instid1(VALU_DEP_1)
	v_fma_f64 v[1:2], v[106:107], v[108:109], v[1:2]
	s_waitcnt vmcnt(0)
	v_fma_f64 v[1:2], v[124:125], v[110:111], v[1:2]
	s_delay_alu instid0(VALU_DEP_1)
	v_add_f64 v[1:2], v[98:99], -v[1:2]
	scratch_store_b64 off, v[1:2], off offset:136
	v_cmpx_lt_u32_e32 16, v0
	s_cbranch_execz .LBB45_253
; %bb.252:
	scratch_load_b64 v[1:2], off, off offset:128
	v_mov_b32_e32 v4, 0
	s_delay_alu instid0(VALU_DEP_1)
	v_mov_b32_e32 v5, v4
	scratch_store_b64 off, v[4:5], off offset:128
	s_waitcnt vmcnt(0)
	ds_store_b64 v3, v[1:2]
.LBB45_253:
	s_or_b32 exec_lo, exec_lo, s0
	s_waitcnt lgkmcnt(0)
	s_waitcnt_vscnt null, 0x0
	s_barrier
	buffer_gl0_inv
	s_clause 0x4
	scratch_load_b128 v[98:101], off, off offset:128
	scratch_load_b128 v[102:105], off, off offset:144
	;; [unrolled: 1-line block ×5, first 2 shown]
	v_mov_b32_e32 v1, 0
	ds_load_2addr_b64 v[118:121], v1 offset0:63 offset1:64
	ds_load_2addr_b64 v[122:125], v1 offset0:65 offset1:66
	scratch_load_b128 v[126:129], off, off offset:208
	s_mov_b32 s0, exec_lo
	s_waitcnt vmcnt(5) lgkmcnt(1)
	v_fma_f64 v[4:5], v[100:101], v[118:119], 0
	s_waitcnt vmcnt(4)
	s_delay_alu instid0(VALU_DEP_1) | instskip(SKIP_4) | instid1(VALU_DEP_1)
	v_fma_f64 v[4:5], v[102:103], v[120:121], v[4:5]
	scratch_load_b128 v[100:103], off, off offset:224
	s_waitcnt lgkmcnt(0)
	v_fma_f64 v[4:5], v[104:105], v[122:123], v[4:5]
	s_waitcnt vmcnt(4)
	v_fma_f64 v[4:5], v[106:107], v[124:125], v[4:5]
	ds_load_2addr_b64 v[104:107], v1 offset0:67 offset1:68
	ds_load_2addr_b64 v[118:121], v1 offset0:69 offset1:70
	scratch_load_b128 v[122:125], off, off offset:240
	s_waitcnt lgkmcnt(1)
	v_fma_f64 v[4:5], v[108:109], v[104:105], v[4:5]
	s_waitcnt vmcnt(4)
	s_delay_alu instid0(VALU_DEP_1) | instskip(SKIP_4) | instid1(VALU_DEP_1)
	v_fma_f64 v[4:5], v[110:111], v[106:107], v[4:5]
	scratch_load_b128 v[104:107], off, off offset:256
	s_waitcnt lgkmcnt(0)
	v_fma_f64 v[4:5], v[112:113], v[118:119], v[4:5]
	s_waitcnt vmcnt(4)
	v_fma_f64 v[4:5], v[114:115], v[120:121], v[4:5]
	ds_load_2addr_b64 v[108:111], v1 offset0:71 offset1:72
	ds_load_2addr_b64 v[112:115], v1 offset0:73 offset1:74
	s_waitcnt lgkmcnt(1)
	v_fma_f64 v[4:5], v[116:117], v[108:109], v[4:5]
	scratch_load_b128 v[116:119], off, off offset:272
	s_waitcnt vmcnt(4)
	v_fma_f64 v[4:5], v[126:127], v[110:111], v[4:5]
	scratch_load_b128 v[108:111], off, off offset:288
	s_waitcnt lgkmcnt(0)
	v_fma_f64 v[4:5], v[128:129], v[112:113], v[4:5]
	s_waitcnt vmcnt(4)
	s_delay_alu instid0(VALU_DEP_1)
	v_fma_f64 v[4:5], v[100:101], v[114:115], v[4:5]
	ds_load_2addr_b64 v[112:115], v1 offset0:75 offset1:76
	ds_load_2addr_b64 v[126:129], v1 offset0:77 offset1:78
	s_waitcnt lgkmcnt(1)
	v_fma_f64 v[4:5], v[102:103], v[112:113], v[4:5]
	scratch_load_b128 v[100:103], off, off offset:304
	s_waitcnt vmcnt(4)
	v_fma_f64 v[4:5], v[122:123], v[114:115], v[4:5]
	scratch_load_b128 v[112:115], off, off offset:320
	s_waitcnt lgkmcnt(0)
	v_fma_f64 v[4:5], v[124:125], v[126:127], v[4:5]
	ds_load_2addr_b64 v[120:123], v1 offset0:79 offset1:80
	ds_load_2addr_b64 v[124:127], v1 offset0:81 offset1:82
	s_waitcnt vmcnt(4)
	v_fma_f64 v[4:5], v[104:105], v[128:129], v[4:5]
	s_waitcnt lgkmcnt(1)
	s_delay_alu instid0(VALU_DEP_1) | instskip(SKIP_4) | instid1(VALU_DEP_1)
	v_fma_f64 v[4:5], v[106:107], v[120:121], v[4:5]
	scratch_load_b128 v[104:107], off, off offset:336
	s_waitcnt vmcnt(4)
	v_fma_f64 v[4:5], v[116:117], v[122:123], v[4:5]
	s_waitcnt lgkmcnt(0)
	v_fma_f64 v[4:5], v[118:119], v[124:125], v[4:5]
	scratch_load_b128 v[116:119], off, off offset:352
	s_waitcnt vmcnt(4)
	v_fma_f64 v[4:5], v[108:109], v[126:127], v[4:5]
	ds_load_2addr_b64 v[120:123], v1 offset0:83 offset1:84
	ds_load_2addr_b64 v[124:127], v1 offset0:85 offset1:86
	s_waitcnt lgkmcnt(1)
	v_fma_f64 v[4:5], v[110:111], v[120:121], v[4:5]
	s_waitcnt vmcnt(3)
	s_delay_alu instid0(VALU_DEP_1) | instskip(SKIP_1) | instid1(VALU_DEP_1)
	v_fma_f64 v[4:5], v[100:101], v[122:123], v[4:5]
	s_waitcnt lgkmcnt(0)
	v_fma_f64 v[4:5], v[102:103], v[124:125], v[4:5]
	ds_load_2addr_b64 v[100:103], v1 offset0:87 offset1:88
	ds_load_2addr_b64 v[108:111], v1 offset0:89 offset1:90
	s_waitcnt vmcnt(2)
	v_fma_f64 v[4:5], v[112:113], v[126:127], v[4:5]
	s_waitcnt lgkmcnt(1)
	s_delay_alu instid0(VALU_DEP_1) | instskip(SKIP_4) | instid1(VALU_DEP_1)
	v_fma_f64 v[4:5], v[114:115], v[100:101], v[4:5]
	ds_load_b64 v[100:101], v1 offset:728
	s_waitcnt vmcnt(1)
	v_fma_f64 v[4:5], v[104:105], v[102:103], v[4:5]
	s_waitcnt lgkmcnt(1)
	v_fma_f64 v[4:5], v[106:107], v[108:109], v[4:5]
	s_waitcnt vmcnt(0)
	s_delay_alu instid0(VALU_DEP_1) | instskip(SKIP_1) | instid1(VALU_DEP_1)
	v_fma_f64 v[4:5], v[116:117], v[110:111], v[4:5]
	s_waitcnt lgkmcnt(0)
	v_fma_f64 v[4:5], v[118:119], v[100:101], v[4:5]
	s_delay_alu instid0(VALU_DEP_1)
	v_add_f64 v[4:5], v[98:99], -v[4:5]
	scratch_store_b64 off, v[4:5], off offset:128
	v_cmpx_lt_u32_e32 15, v0
	s_cbranch_execz .LBB45_255
; %bb.254:
	scratch_load_b64 v[4:5], off, off offset:120
	v_mov_b32_e32 v2, v1
	scratch_store_b64 off, v[1:2], off offset:120
	s_waitcnt vmcnt(0)
	ds_store_b64 v3, v[4:5]
.LBB45_255:
	s_or_b32 exec_lo, exec_lo, s0
	s_waitcnt lgkmcnt(0)
	s_waitcnt_vscnt null, 0x0
	s_barrier
	buffer_gl0_inv
	s_clause 0x4
	scratch_load_b128 v[98:101], off, off offset:120
	scratch_load_b128 v[102:105], off, off offset:136
	;; [unrolled: 1-line block ×5, first 2 shown]
	ds_load_b128 v[118:121], v1 offset:496
	ds_load_b128 v[122:125], v1 offset:512
	scratch_load_b128 v[126:129], off, off offset:200
	s_mov_b32 s0, exec_lo
	s_waitcnt vmcnt(5) lgkmcnt(1)
	v_fma_f64 v[4:5], v[100:101], v[118:119], 0
	s_waitcnt vmcnt(4)
	s_delay_alu instid0(VALU_DEP_1) | instskip(SKIP_4) | instid1(VALU_DEP_1)
	v_fma_f64 v[4:5], v[102:103], v[120:121], v[4:5]
	scratch_load_b128 v[100:103], off, off offset:216
	s_waitcnt lgkmcnt(0)
	v_fma_f64 v[4:5], v[104:105], v[122:123], v[4:5]
	s_waitcnt vmcnt(4)
	v_fma_f64 v[4:5], v[106:107], v[124:125], v[4:5]
	ds_load_b128 v[104:107], v1 offset:528
	ds_load_b128 v[118:121], v1 offset:544
	scratch_load_b128 v[122:125], off, off offset:232
	s_waitcnt lgkmcnt(1)
	v_fma_f64 v[4:5], v[108:109], v[104:105], v[4:5]
	s_waitcnt vmcnt(4)
	s_delay_alu instid0(VALU_DEP_1) | instskip(SKIP_4) | instid1(VALU_DEP_1)
	v_fma_f64 v[4:5], v[110:111], v[106:107], v[4:5]
	scratch_load_b128 v[104:107], off, off offset:248
	s_waitcnt lgkmcnt(0)
	v_fma_f64 v[4:5], v[112:113], v[118:119], v[4:5]
	s_waitcnt vmcnt(4)
	v_fma_f64 v[4:5], v[114:115], v[120:121], v[4:5]
	ds_load_b128 v[108:111], v1 offset:560
	ds_load_b128 v[112:115], v1 offset:576
	s_waitcnt lgkmcnt(1)
	v_fma_f64 v[4:5], v[116:117], v[108:109], v[4:5]
	scratch_load_b128 v[116:119], off, off offset:264
	s_waitcnt vmcnt(4)
	v_fma_f64 v[4:5], v[126:127], v[110:111], v[4:5]
	scratch_load_b128 v[108:111], off, off offset:280
	s_waitcnt lgkmcnt(0)
	v_fma_f64 v[4:5], v[128:129], v[112:113], v[4:5]
	s_waitcnt vmcnt(4)
	s_delay_alu instid0(VALU_DEP_1)
	v_fma_f64 v[4:5], v[100:101], v[114:115], v[4:5]
	ds_load_b128 v[112:115], v1 offset:592
	ds_load_b128 v[126:129], v1 offset:608
	s_waitcnt lgkmcnt(1)
	v_fma_f64 v[4:5], v[102:103], v[112:113], v[4:5]
	scratch_load_b128 v[100:103], off, off offset:296
	s_waitcnt vmcnt(4)
	v_fma_f64 v[4:5], v[122:123], v[114:115], v[4:5]
	scratch_load_b128 v[112:115], off, off offset:312
	s_waitcnt lgkmcnt(0)
	v_fma_f64 v[4:5], v[124:125], v[126:127], v[4:5]
	ds_load_b128 v[120:123], v1 offset:624
	ds_load_b128 v[124:127], v1 offset:640
	s_waitcnt vmcnt(4)
	v_fma_f64 v[4:5], v[104:105], v[128:129], v[4:5]
	s_waitcnt lgkmcnt(1)
	s_delay_alu instid0(VALU_DEP_1) | instskip(SKIP_4) | instid1(VALU_DEP_1)
	v_fma_f64 v[4:5], v[106:107], v[120:121], v[4:5]
	scratch_load_b128 v[104:107], off, off offset:328
	s_waitcnt vmcnt(4)
	v_fma_f64 v[4:5], v[116:117], v[122:123], v[4:5]
	s_waitcnt lgkmcnt(0)
	v_fma_f64 v[4:5], v[118:119], v[124:125], v[4:5]
	scratch_load_b128 v[116:119], off, off offset:344
	s_waitcnt vmcnt(4)
	v_fma_f64 v[4:5], v[108:109], v[126:127], v[4:5]
	ds_load_b128 v[120:123], v1 offset:656
	ds_load_b128 v[124:127], v1 offset:672
	s_waitcnt lgkmcnt(1)
	v_fma_f64 v[4:5], v[110:111], v[120:121], v[4:5]
	scratch_load_b64 v[120:121], off, off offset:360
	s_waitcnt vmcnt(4)
	v_fma_f64 v[4:5], v[100:101], v[122:123], v[4:5]
	s_waitcnt lgkmcnt(0)
	s_delay_alu instid0(VALU_DEP_1)
	v_fma_f64 v[4:5], v[102:103], v[124:125], v[4:5]
	ds_load_b128 v[100:103], v1 offset:688
	ds_load_b128 v[108:111], v1 offset:704
	s_waitcnt vmcnt(3)
	v_fma_f64 v[4:5], v[112:113], v[126:127], v[4:5]
	s_waitcnt lgkmcnt(1)
	s_delay_alu instid0(VALU_DEP_1) | instskip(SKIP_1) | instid1(VALU_DEP_1)
	v_fma_f64 v[4:5], v[114:115], v[100:101], v[4:5]
	s_waitcnt vmcnt(2)
	v_fma_f64 v[4:5], v[104:105], v[102:103], v[4:5]
	ds_load_b128 v[100:103], v1 offset:720
	s_waitcnt lgkmcnt(1)
	v_fma_f64 v[4:5], v[106:107], v[108:109], v[4:5]
	s_waitcnt vmcnt(1)
	s_delay_alu instid0(VALU_DEP_1) | instskip(SKIP_1) | instid1(VALU_DEP_1)
	v_fma_f64 v[4:5], v[116:117], v[110:111], v[4:5]
	s_waitcnt lgkmcnt(0)
	v_fma_f64 v[1:2], v[118:119], v[100:101], v[4:5]
	s_waitcnt vmcnt(0)
	s_delay_alu instid0(VALU_DEP_1) | instskip(NEXT) | instid1(VALU_DEP_1)
	v_fma_f64 v[1:2], v[120:121], v[102:103], v[1:2]
	v_add_f64 v[1:2], v[98:99], -v[1:2]
	scratch_store_b64 off, v[1:2], off offset:120
	v_cmpx_lt_u32_e32 14, v0
	s_cbranch_execz .LBB45_257
; %bb.256:
	scratch_load_b64 v[1:2], off, off offset:112
	v_mov_b32_e32 v4, 0
	s_delay_alu instid0(VALU_DEP_1)
	v_mov_b32_e32 v5, v4
	scratch_store_b64 off, v[4:5], off offset:112
	s_waitcnt vmcnt(0)
	ds_store_b64 v3, v[1:2]
.LBB45_257:
	s_or_b32 exec_lo, exec_lo, s0
	s_waitcnt lgkmcnt(0)
	s_waitcnt_vscnt null, 0x0
	s_barrier
	buffer_gl0_inv
	s_clause 0x4
	scratch_load_b128 v[98:101], off, off offset:112
	scratch_load_b128 v[102:105], off, off offset:128
	;; [unrolled: 1-line block ×5, first 2 shown]
	v_mov_b32_e32 v1, 0
	ds_load_2addr_b64 v[118:121], v1 offset0:61 offset1:62
	ds_load_2addr_b64 v[122:125], v1 offset0:63 offset1:64
	scratch_load_b128 v[126:129], off, off offset:192
	s_mov_b32 s0, exec_lo
	s_waitcnt vmcnt(5) lgkmcnt(1)
	v_fma_f64 v[4:5], v[100:101], v[118:119], 0
	s_waitcnt vmcnt(4)
	s_delay_alu instid0(VALU_DEP_1) | instskip(SKIP_4) | instid1(VALU_DEP_1)
	v_fma_f64 v[4:5], v[102:103], v[120:121], v[4:5]
	scratch_load_b128 v[100:103], off, off offset:208
	s_waitcnt lgkmcnt(0)
	v_fma_f64 v[4:5], v[104:105], v[122:123], v[4:5]
	s_waitcnt vmcnt(4)
	v_fma_f64 v[4:5], v[106:107], v[124:125], v[4:5]
	ds_load_2addr_b64 v[104:107], v1 offset0:65 offset1:66
	ds_load_2addr_b64 v[118:121], v1 offset0:67 offset1:68
	scratch_load_b128 v[122:125], off, off offset:224
	s_waitcnt lgkmcnt(1)
	v_fma_f64 v[4:5], v[108:109], v[104:105], v[4:5]
	s_waitcnt vmcnt(4)
	s_delay_alu instid0(VALU_DEP_1) | instskip(SKIP_4) | instid1(VALU_DEP_1)
	v_fma_f64 v[4:5], v[110:111], v[106:107], v[4:5]
	scratch_load_b128 v[104:107], off, off offset:240
	s_waitcnt lgkmcnt(0)
	v_fma_f64 v[4:5], v[112:113], v[118:119], v[4:5]
	s_waitcnt vmcnt(4)
	v_fma_f64 v[4:5], v[114:115], v[120:121], v[4:5]
	ds_load_2addr_b64 v[108:111], v1 offset0:69 offset1:70
	ds_load_2addr_b64 v[112:115], v1 offset0:71 offset1:72
	s_waitcnt lgkmcnt(1)
	v_fma_f64 v[4:5], v[116:117], v[108:109], v[4:5]
	scratch_load_b128 v[116:119], off, off offset:256
	s_waitcnt vmcnt(4)
	v_fma_f64 v[4:5], v[126:127], v[110:111], v[4:5]
	scratch_load_b128 v[108:111], off, off offset:272
	s_waitcnt lgkmcnt(0)
	v_fma_f64 v[4:5], v[128:129], v[112:113], v[4:5]
	s_waitcnt vmcnt(4)
	s_delay_alu instid0(VALU_DEP_1)
	v_fma_f64 v[4:5], v[100:101], v[114:115], v[4:5]
	ds_load_2addr_b64 v[112:115], v1 offset0:73 offset1:74
	ds_load_2addr_b64 v[126:129], v1 offset0:75 offset1:76
	s_waitcnt lgkmcnt(1)
	v_fma_f64 v[4:5], v[102:103], v[112:113], v[4:5]
	scratch_load_b128 v[100:103], off, off offset:288
	s_waitcnt vmcnt(4)
	v_fma_f64 v[4:5], v[122:123], v[114:115], v[4:5]
	scratch_load_b128 v[112:115], off, off offset:304
	s_waitcnt lgkmcnt(0)
	v_fma_f64 v[4:5], v[124:125], v[126:127], v[4:5]
	ds_load_2addr_b64 v[120:123], v1 offset0:77 offset1:78
	ds_load_2addr_b64 v[124:127], v1 offset0:79 offset1:80
	s_waitcnt vmcnt(4)
	v_fma_f64 v[4:5], v[104:105], v[128:129], v[4:5]
	s_waitcnt lgkmcnt(1)
	s_delay_alu instid0(VALU_DEP_1) | instskip(SKIP_4) | instid1(VALU_DEP_1)
	v_fma_f64 v[4:5], v[106:107], v[120:121], v[4:5]
	scratch_load_b128 v[104:107], off, off offset:320
	s_waitcnt vmcnt(4)
	v_fma_f64 v[4:5], v[116:117], v[122:123], v[4:5]
	s_waitcnt lgkmcnt(0)
	v_fma_f64 v[4:5], v[118:119], v[124:125], v[4:5]
	scratch_load_b128 v[116:119], off, off offset:336
	s_waitcnt vmcnt(4)
	v_fma_f64 v[4:5], v[108:109], v[126:127], v[4:5]
	ds_load_2addr_b64 v[120:123], v1 offset0:81 offset1:82
	ds_load_2addr_b64 v[124:127], v1 offset0:83 offset1:84
	s_waitcnt lgkmcnt(1)
	v_fma_f64 v[4:5], v[110:111], v[120:121], v[4:5]
	scratch_load_b128 v[108:111], off, off offset:352
	s_waitcnt vmcnt(4)
	v_fma_f64 v[4:5], v[100:101], v[122:123], v[4:5]
	s_waitcnt lgkmcnt(0)
	s_delay_alu instid0(VALU_DEP_1)
	v_fma_f64 v[4:5], v[102:103], v[124:125], v[4:5]
	ds_load_2addr_b64 v[100:103], v1 offset0:85 offset1:86
	ds_load_2addr_b64 v[120:123], v1 offset0:87 offset1:88
	s_waitcnt vmcnt(3)
	v_fma_f64 v[4:5], v[112:113], v[126:127], v[4:5]
	s_waitcnt lgkmcnt(1)
	s_delay_alu instid0(VALU_DEP_1) | instskip(SKIP_1) | instid1(VALU_DEP_1)
	v_fma_f64 v[4:5], v[114:115], v[100:101], v[4:5]
	s_waitcnt vmcnt(2)
	v_fma_f64 v[4:5], v[104:105], v[102:103], v[4:5]
	ds_load_2addr_b64 v[100:103], v1 offset0:89 offset1:90
	ds_load_b64 v[104:105], v1 offset:728
	s_waitcnt lgkmcnt(2)
	v_fma_f64 v[4:5], v[106:107], v[120:121], v[4:5]
	s_waitcnt vmcnt(1)
	s_delay_alu instid0(VALU_DEP_1) | instskip(SKIP_1) | instid1(VALU_DEP_1)
	v_fma_f64 v[4:5], v[116:117], v[122:123], v[4:5]
	s_waitcnt lgkmcnt(1)
	v_fma_f64 v[4:5], v[118:119], v[100:101], v[4:5]
	s_waitcnt vmcnt(0)
	s_delay_alu instid0(VALU_DEP_1) | instskip(SKIP_1) | instid1(VALU_DEP_1)
	v_fma_f64 v[4:5], v[108:109], v[102:103], v[4:5]
	s_waitcnt lgkmcnt(0)
	v_fma_f64 v[4:5], v[110:111], v[104:105], v[4:5]
	s_delay_alu instid0(VALU_DEP_1)
	v_add_f64 v[4:5], v[98:99], -v[4:5]
	scratch_store_b64 off, v[4:5], off offset:112
	v_cmpx_lt_u32_e32 13, v0
	s_cbranch_execz .LBB45_259
; %bb.258:
	scratch_load_b64 v[4:5], off, off offset:104
	v_mov_b32_e32 v2, v1
	scratch_store_b64 off, v[1:2], off offset:104
	s_waitcnt vmcnt(0)
	ds_store_b64 v3, v[4:5]
.LBB45_259:
	s_or_b32 exec_lo, exec_lo, s0
	s_waitcnt lgkmcnt(0)
	s_waitcnt_vscnt null, 0x0
	s_barrier
	buffer_gl0_inv
	s_clause 0x4
	scratch_load_b128 v[98:101], off, off offset:104
	scratch_load_b128 v[102:105], off, off offset:120
	;; [unrolled: 1-line block ×5, first 2 shown]
	ds_load_b128 v[118:121], v1 offset:480
	ds_load_b128 v[122:125], v1 offset:496
	scratch_load_b128 v[126:129], off, off offset:184
	s_mov_b32 s0, exec_lo
	s_waitcnt vmcnt(5) lgkmcnt(1)
	v_fma_f64 v[4:5], v[100:101], v[118:119], 0
	s_waitcnt vmcnt(4)
	s_delay_alu instid0(VALU_DEP_1) | instskip(SKIP_4) | instid1(VALU_DEP_1)
	v_fma_f64 v[4:5], v[102:103], v[120:121], v[4:5]
	scratch_load_b128 v[100:103], off, off offset:200
	s_waitcnt lgkmcnt(0)
	v_fma_f64 v[4:5], v[104:105], v[122:123], v[4:5]
	s_waitcnt vmcnt(4)
	v_fma_f64 v[4:5], v[106:107], v[124:125], v[4:5]
	ds_load_b128 v[104:107], v1 offset:512
	ds_load_b128 v[118:121], v1 offset:528
	scratch_load_b128 v[122:125], off, off offset:216
	s_waitcnt lgkmcnt(1)
	v_fma_f64 v[4:5], v[108:109], v[104:105], v[4:5]
	s_waitcnt vmcnt(4)
	s_delay_alu instid0(VALU_DEP_1) | instskip(SKIP_4) | instid1(VALU_DEP_1)
	v_fma_f64 v[4:5], v[110:111], v[106:107], v[4:5]
	scratch_load_b128 v[104:107], off, off offset:232
	s_waitcnt lgkmcnt(0)
	v_fma_f64 v[4:5], v[112:113], v[118:119], v[4:5]
	s_waitcnt vmcnt(4)
	v_fma_f64 v[4:5], v[114:115], v[120:121], v[4:5]
	ds_load_b128 v[108:111], v1 offset:544
	ds_load_b128 v[112:115], v1 offset:560
	s_waitcnt lgkmcnt(1)
	v_fma_f64 v[4:5], v[116:117], v[108:109], v[4:5]
	scratch_load_b128 v[116:119], off, off offset:248
	s_waitcnt vmcnt(4)
	v_fma_f64 v[4:5], v[126:127], v[110:111], v[4:5]
	scratch_load_b128 v[108:111], off, off offset:264
	s_waitcnt lgkmcnt(0)
	v_fma_f64 v[4:5], v[128:129], v[112:113], v[4:5]
	s_waitcnt vmcnt(4)
	s_delay_alu instid0(VALU_DEP_1)
	v_fma_f64 v[4:5], v[100:101], v[114:115], v[4:5]
	ds_load_b128 v[112:115], v1 offset:576
	ds_load_b128 v[126:129], v1 offset:592
	s_waitcnt lgkmcnt(1)
	v_fma_f64 v[4:5], v[102:103], v[112:113], v[4:5]
	scratch_load_b128 v[100:103], off, off offset:280
	s_waitcnt vmcnt(4)
	v_fma_f64 v[4:5], v[122:123], v[114:115], v[4:5]
	scratch_load_b128 v[112:115], off, off offset:296
	s_waitcnt lgkmcnt(0)
	v_fma_f64 v[4:5], v[124:125], v[126:127], v[4:5]
	ds_load_b128 v[120:123], v1 offset:608
	ds_load_b128 v[124:127], v1 offset:624
	s_waitcnt vmcnt(4)
	v_fma_f64 v[4:5], v[104:105], v[128:129], v[4:5]
	s_waitcnt lgkmcnt(1)
	s_delay_alu instid0(VALU_DEP_1) | instskip(SKIP_4) | instid1(VALU_DEP_1)
	v_fma_f64 v[4:5], v[106:107], v[120:121], v[4:5]
	scratch_load_b128 v[104:107], off, off offset:312
	s_waitcnt vmcnt(4)
	v_fma_f64 v[4:5], v[116:117], v[122:123], v[4:5]
	s_waitcnt lgkmcnt(0)
	v_fma_f64 v[4:5], v[118:119], v[124:125], v[4:5]
	scratch_load_b128 v[116:119], off, off offset:328
	s_waitcnt vmcnt(4)
	v_fma_f64 v[4:5], v[108:109], v[126:127], v[4:5]
	ds_load_b128 v[120:123], v1 offset:640
	ds_load_b128 v[124:127], v1 offset:656
	s_waitcnt lgkmcnt(1)
	v_fma_f64 v[4:5], v[110:111], v[120:121], v[4:5]
	scratch_load_b128 v[108:111], off, off offset:344
	s_waitcnt vmcnt(4)
	v_fma_f64 v[4:5], v[100:101], v[122:123], v[4:5]
	s_waitcnt lgkmcnt(0)
	s_delay_alu instid0(VALU_DEP_1)
	v_fma_f64 v[4:5], v[102:103], v[124:125], v[4:5]
	scratch_load_b64 v[124:125], off, off offset:360
	ds_load_b128 v[100:103], v1 offset:672
	ds_load_b128 v[120:123], v1 offset:688
	s_waitcnt vmcnt(4)
	v_fma_f64 v[4:5], v[112:113], v[126:127], v[4:5]
	s_waitcnt lgkmcnt(1)
	s_delay_alu instid0(VALU_DEP_1) | instskip(SKIP_1) | instid1(VALU_DEP_1)
	v_fma_f64 v[4:5], v[114:115], v[100:101], v[4:5]
	s_waitcnt vmcnt(3)
	v_fma_f64 v[4:5], v[104:105], v[102:103], v[4:5]
	s_waitcnt lgkmcnt(0)
	s_delay_alu instid0(VALU_DEP_1)
	v_fma_f64 v[4:5], v[106:107], v[120:121], v[4:5]
	ds_load_b128 v[100:103], v1 offset:704
	ds_load_b128 v[104:107], v1 offset:720
	s_waitcnt vmcnt(2)
	v_fma_f64 v[4:5], v[116:117], v[122:123], v[4:5]
	s_waitcnt lgkmcnt(1)
	s_delay_alu instid0(VALU_DEP_1) | instskip(SKIP_1) | instid1(VALU_DEP_1)
	v_fma_f64 v[1:2], v[118:119], v[100:101], v[4:5]
	s_waitcnt vmcnt(1)
	v_fma_f64 v[1:2], v[108:109], v[102:103], v[1:2]
	s_waitcnt lgkmcnt(0)
	s_delay_alu instid0(VALU_DEP_1) | instskip(SKIP_1) | instid1(VALU_DEP_1)
	v_fma_f64 v[1:2], v[110:111], v[104:105], v[1:2]
	s_waitcnt vmcnt(0)
	v_fma_f64 v[1:2], v[124:125], v[106:107], v[1:2]
	s_delay_alu instid0(VALU_DEP_1)
	v_add_f64 v[1:2], v[98:99], -v[1:2]
	scratch_store_b64 off, v[1:2], off offset:104
	v_cmpx_lt_u32_e32 12, v0
	s_cbranch_execz .LBB45_261
; %bb.260:
	scratch_load_b64 v[1:2], off, off offset:96
	v_mov_b32_e32 v4, 0
	s_delay_alu instid0(VALU_DEP_1)
	v_mov_b32_e32 v5, v4
	scratch_store_b64 off, v[4:5], off offset:96
	s_waitcnt vmcnt(0)
	ds_store_b64 v3, v[1:2]
.LBB45_261:
	s_or_b32 exec_lo, exec_lo, s0
	s_waitcnt lgkmcnt(0)
	s_waitcnt_vscnt null, 0x0
	s_barrier
	buffer_gl0_inv
	s_clause 0x4
	scratch_load_b128 v[98:101], off, off offset:96
	scratch_load_b128 v[102:105], off, off offset:112
	;; [unrolled: 1-line block ×5, first 2 shown]
	v_mov_b32_e32 v1, 0
	ds_load_2addr_b64 v[118:121], v1 offset0:59 offset1:60
	ds_load_2addr_b64 v[122:125], v1 offset0:61 offset1:62
	scratch_load_b128 v[126:129], off, off offset:176
	s_mov_b32 s0, exec_lo
	s_waitcnt vmcnt(5) lgkmcnt(1)
	v_fma_f64 v[4:5], v[100:101], v[118:119], 0
	s_waitcnt vmcnt(4)
	s_delay_alu instid0(VALU_DEP_1) | instskip(SKIP_4) | instid1(VALU_DEP_1)
	v_fma_f64 v[4:5], v[102:103], v[120:121], v[4:5]
	scratch_load_b128 v[100:103], off, off offset:192
	s_waitcnt lgkmcnt(0)
	v_fma_f64 v[4:5], v[104:105], v[122:123], v[4:5]
	s_waitcnt vmcnt(4)
	v_fma_f64 v[4:5], v[106:107], v[124:125], v[4:5]
	ds_load_2addr_b64 v[104:107], v1 offset0:63 offset1:64
	ds_load_2addr_b64 v[118:121], v1 offset0:65 offset1:66
	scratch_load_b128 v[122:125], off, off offset:208
	s_waitcnt lgkmcnt(1)
	v_fma_f64 v[4:5], v[108:109], v[104:105], v[4:5]
	s_waitcnt vmcnt(4)
	s_delay_alu instid0(VALU_DEP_1) | instskip(SKIP_4) | instid1(VALU_DEP_1)
	v_fma_f64 v[4:5], v[110:111], v[106:107], v[4:5]
	scratch_load_b128 v[104:107], off, off offset:224
	s_waitcnt lgkmcnt(0)
	v_fma_f64 v[4:5], v[112:113], v[118:119], v[4:5]
	s_waitcnt vmcnt(4)
	v_fma_f64 v[4:5], v[114:115], v[120:121], v[4:5]
	ds_load_2addr_b64 v[108:111], v1 offset0:67 offset1:68
	ds_load_2addr_b64 v[112:115], v1 offset0:69 offset1:70
	s_waitcnt lgkmcnt(1)
	v_fma_f64 v[4:5], v[116:117], v[108:109], v[4:5]
	scratch_load_b128 v[116:119], off, off offset:240
	s_waitcnt vmcnt(4)
	v_fma_f64 v[4:5], v[126:127], v[110:111], v[4:5]
	scratch_load_b128 v[108:111], off, off offset:256
	s_waitcnt lgkmcnt(0)
	v_fma_f64 v[4:5], v[128:129], v[112:113], v[4:5]
	s_waitcnt vmcnt(4)
	s_delay_alu instid0(VALU_DEP_1)
	v_fma_f64 v[4:5], v[100:101], v[114:115], v[4:5]
	ds_load_2addr_b64 v[112:115], v1 offset0:71 offset1:72
	ds_load_2addr_b64 v[126:129], v1 offset0:73 offset1:74
	s_waitcnt lgkmcnt(1)
	v_fma_f64 v[4:5], v[102:103], v[112:113], v[4:5]
	scratch_load_b128 v[100:103], off, off offset:272
	s_waitcnt vmcnt(4)
	v_fma_f64 v[4:5], v[122:123], v[114:115], v[4:5]
	scratch_load_b128 v[112:115], off, off offset:288
	s_waitcnt lgkmcnt(0)
	v_fma_f64 v[4:5], v[124:125], v[126:127], v[4:5]
	ds_load_2addr_b64 v[120:123], v1 offset0:75 offset1:76
	ds_load_2addr_b64 v[124:127], v1 offset0:77 offset1:78
	s_waitcnt vmcnt(4)
	v_fma_f64 v[4:5], v[104:105], v[128:129], v[4:5]
	s_waitcnt lgkmcnt(1)
	s_delay_alu instid0(VALU_DEP_1) | instskip(SKIP_4) | instid1(VALU_DEP_1)
	v_fma_f64 v[4:5], v[106:107], v[120:121], v[4:5]
	scratch_load_b128 v[104:107], off, off offset:304
	s_waitcnt vmcnt(4)
	v_fma_f64 v[4:5], v[116:117], v[122:123], v[4:5]
	s_waitcnt lgkmcnt(0)
	v_fma_f64 v[4:5], v[118:119], v[124:125], v[4:5]
	scratch_load_b128 v[116:119], off, off offset:320
	s_waitcnt vmcnt(4)
	v_fma_f64 v[4:5], v[108:109], v[126:127], v[4:5]
	ds_load_2addr_b64 v[120:123], v1 offset0:79 offset1:80
	ds_load_2addr_b64 v[124:127], v1 offset0:81 offset1:82
	s_waitcnt lgkmcnt(1)
	v_fma_f64 v[4:5], v[110:111], v[120:121], v[4:5]
	scratch_load_b128 v[108:111], off, off offset:336
	s_waitcnt vmcnt(4)
	v_fma_f64 v[4:5], v[100:101], v[122:123], v[4:5]
	s_waitcnt lgkmcnt(0)
	s_delay_alu instid0(VALU_DEP_1)
	v_fma_f64 v[4:5], v[102:103], v[124:125], v[4:5]
	scratch_load_b128 v[100:103], off, off offset:352
	s_waitcnt vmcnt(4)
	v_fma_f64 v[4:5], v[112:113], v[126:127], v[4:5]
	ds_load_2addr_b64 v[120:123], v1 offset0:83 offset1:84
	ds_load_2addr_b64 v[124:127], v1 offset0:85 offset1:86
	s_waitcnt lgkmcnt(1)
	v_fma_f64 v[4:5], v[114:115], v[120:121], v[4:5]
	s_waitcnt vmcnt(3)
	s_delay_alu instid0(VALU_DEP_1) | instskip(SKIP_1) | instid1(VALU_DEP_1)
	v_fma_f64 v[4:5], v[104:105], v[122:123], v[4:5]
	s_waitcnt lgkmcnt(0)
	v_fma_f64 v[4:5], v[106:107], v[124:125], v[4:5]
	ds_load_2addr_b64 v[104:107], v1 offset0:87 offset1:88
	ds_load_2addr_b64 v[112:115], v1 offset0:89 offset1:90
	s_waitcnt vmcnt(2)
	v_fma_f64 v[4:5], v[116:117], v[126:127], v[4:5]
	s_waitcnt lgkmcnt(1)
	s_delay_alu instid0(VALU_DEP_1) | instskip(SKIP_1) | instid1(VALU_DEP_1)
	v_fma_f64 v[4:5], v[118:119], v[104:105], v[4:5]
	s_waitcnt vmcnt(1)
	v_fma_f64 v[4:5], v[108:109], v[106:107], v[4:5]
	s_waitcnt lgkmcnt(0)
	s_delay_alu instid0(VALU_DEP_1) | instskip(SKIP_1) | instid1(VALU_DEP_1)
	v_fma_f64 v[4:5], v[110:111], v[112:113], v[4:5]
	s_waitcnt vmcnt(0)
	v_fma_f64 v[4:5], v[100:101], v[114:115], v[4:5]
	ds_load_b64 v[100:101], v1 offset:728
	s_waitcnt lgkmcnt(0)
	v_fma_f64 v[4:5], v[102:103], v[100:101], v[4:5]
	s_delay_alu instid0(VALU_DEP_1)
	v_add_f64 v[4:5], v[98:99], -v[4:5]
	scratch_store_b64 off, v[4:5], off offset:96
	v_cmpx_lt_u32_e32 11, v0
	s_cbranch_execz .LBB45_263
; %bb.262:
	scratch_load_b64 v[4:5], off, off offset:88
	v_mov_b32_e32 v2, v1
	scratch_store_b64 off, v[1:2], off offset:88
	s_waitcnt vmcnt(0)
	ds_store_b64 v3, v[4:5]
.LBB45_263:
	s_or_b32 exec_lo, exec_lo, s0
	s_waitcnt lgkmcnt(0)
	s_waitcnt_vscnt null, 0x0
	s_barrier
	buffer_gl0_inv
	s_clause 0x4
	scratch_load_b128 v[98:101], off, off offset:88
	scratch_load_b128 v[102:105], off, off offset:104
	;; [unrolled: 1-line block ×5, first 2 shown]
	ds_load_b128 v[118:121], v1 offset:464
	ds_load_b128 v[122:125], v1 offset:480
	scratch_load_b128 v[126:129], off, off offset:168
	s_mov_b32 s0, exec_lo
	s_waitcnt vmcnt(5) lgkmcnt(1)
	v_fma_f64 v[4:5], v[100:101], v[118:119], 0
	s_waitcnt vmcnt(4)
	s_delay_alu instid0(VALU_DEP_1) | instskip(SKIP_4) | instid1(VALU_DEP_1)
	v_fma_f64 v[4:5], v[102:103], v[120:121], v[4:5]
	scratch_load_b128 v[100:103], off, off offset:184
	s_waitcnt lgkmcnt(0)
	v_fma_f64 v[4:5], v[104:105], v[122:123], v[4:5]
	s_waitcnt vmcnt(4)
	v_fma_f64 v[4:5], v[106:107], v[124:125], v[4:5]
	ds_load_b128 v[104:107], v1 offset:496
	ds_load_b128 v[118:121], v1 offset:512
	scratch_load_b128 v[122:125], off, off offset:200
	s_waitcnt lgkmcnt(1)
	v_fma_f64 v[4:5], v[108:109], v[104:105], v[4:5]
	s_waitcnt vmcnt(4)
	s_delay_alu instid0(VALU_DEP_1) | instskip(SKIP_4) | instid1(VALU_DEP_1)
	v_fma_f64 v[4:5], v[110:111], v[106:107], v[4:5]
	scratch_load_b128 v[104:107], off, off offset:216
	s_waitcnt lgkmcnt(0)
	v_fma_f64 v[4:5], v[112:113], v[118:119], v[4:5]
	s_waitcnt vmcnt(4)
	v_fma_f64 v[4:5], v[114:115], v[120:121], v[4:5]
	ds_load_b128 v[108:111], v1 offset:528
	ds_load_b128 v[112:115], v1 offset:544
	s_waitcnt lgkmcnt(1)
	v_fma_f64 v[4:5], v[116:117], v[108:109], v[4:5]
	scratch_load_b128 v[116:119], off, off offset:232
	s_waitcnt vmcnt(4)
	v_fma_f64 v[4:5], v[126:127], v[110:111], v[4:5]
	scratch_load_b128 v[108:111], off, off offset:248
	s_waitcnt lgkmcnt(0)
	v_fma_f64 v[4:5], v[128:129], v[112:113], v[4:5]
	s_waitcnt vmcnt(4)
	s_delay_alu instid0(VALU_DEP_1)
	v_fma_f64 v[4:5], v[100:101], v[114:115], v[4:5]
	ds_load_b128 v[112:115], v1 offset:560
	ds_load_b128 v[126:129], v1 offset:576
	s_waitcnt lgkmcnt(1)
	v_fma_f64 v[4:5], v[102:103], v[112:113], v[4:5]
	scratch_load_b128 v[100:103], off, off offset:264
	s_waitcnt vmcnt(4)
	v_fma_f64 v[4:5], v[122:123], v[114:115], v[4:5]
	scratch_load_b128 v[112:115], off, off offset:280
	s_waitcnt lgkmcnt(0)
	v_fma_f64 v[4:5], v[124:125], v[126:127], v[4:5]
	ds_load_b128 v[120:123], v1 offset:592
	ds_load_b128 v[124:127], v1 offset:608
	s_waitcnt vmcnt(4)
	v_fma_f64 v[4:5], v[104:105], v[128:129], v[4:5]
	s_waitcnt lgkmcnt(1)
	s_delay_alu instid0(VALU_DEP_1) | instskip(SKIP_4) | instid1(VALU_DEP_1)
	v_fma_f64 v[4:5], v[106:107], v[120:121], v[4:5]
	scratch_load_b128 v[104:107], off, off offset:296
	s_waitcnt vmcnt(4)
	v_fma_f64 v[4:5], v[116:117], v[122:123], v[4:5]
	s_waitcnt lgkmcnt(0)
	v_fma_f64 v[4:5], v[118:119], v[124:125], v[4:5]
	scratch_load_b128 v[116:119], off, off offset:312
	s_waitcnt vmcnt(4)
	v_fma_f64 v[4:5], v[108:109], v[126:127], v[4:5]
	ds_load_b128 v[120:123], v1 offset:624
	ds_load_b128 v[124:127], v1 offset:640
	s_waitcnt lgkmcnt(1)
	v_fma_f64 v[4:5], v[110:111], v[120:121], v[4:5]
	scratch_load_b128 v[108:111], off, off offset:328
	s_waitcnt vmcnt(4)
	v_fma_f64 v[4:5], v[100:101], v[122:123], v[4:5]
	s_waitcnt lgkmcnt(0)
	s_delay_alu instid0(VALU_DEP_1)
	v_fma_f64 v[4:5], v[102:103], v[124:125], v[4:5]
	scratch_load_b128 v[100:103], off, off offset:344
	s_waitcnt vmcnt(4)
	v_fma_f64 v[4:5], v[112:113], v[126:127], v[4:5]
	ds_load_b128 v[120:123], v1 offset:656
	ds_load_b128 v[124:127], v1 offset:672
	s_waitcnt lgkmcnt(1)
	v_fma_f64 v[4:5], v[114:115], v[120:121], v[4:5]
	scratch_load_b64 v[120:121], off, off offset:360
	s_waitcnt vmcnt(4)
	v_fma_f64 v[4:5], v[104:105], v[122:123], v[4:5]
	s_waitcnt lgkmcnt(0)
	s_delay_alu instid0(VALU_DEP_1)
	v_fma_f64 v[4:5], v[106:107], v[124:125], v[4:5]
	ds_load_b128 v[104:107], v1 offset:688
	ds_load_b128 v[112:115], v1 offset:704
	s_waitcnt vmcnt(3)
	v_fma_f64 v[4:5], v[116:117], v[126:127], v[4:5]
	s_waitcnt lgkmcnt(1)
	s_delay_alu instid0(VALU_DEP_1) | instskip(SKIP_1) | instid1(VALU_DEP_1)
	v_fma_f64 v[4:5], v[118:119], v[104:105], v[4:5]
	s_waitcnt vmcnt(2)
	v_fma_f64 v[4:5], v[108:109], v[106:107], v[4:5]
	ds_load_b128 v[104:107], v1 offset:720
	s_waitcnt lgkmcnt(1)
	v_fma_f64 v[4:5], v[110:111], v[112:113], v[4:5]
	s_waitcnt vmcnt(1)
	s_delay_alu instid0(VALU_DEP_1) | instskip(SKIP_1) | instid1(VALU_DEP_1)
	v_fma_f64 v[4:5], v[100:101], v[114:115], v[4:5]
	s_waitcnt lgkmcnt(0)
	v_fma_f64 v[1:2], v[102:103], v[104:105], v[4:5]
	s_waitcnt vmcnt(0)
	s_delay_alu instid0(VALU_DEP_1) | instskip(NEXT) | instid1(VALU_DEP_1)
	v_fma_f64 v[1:2], v[120:121], v[106:107], v[1:2]
	v_add_f64 v[1:2], v[98:99], -v[1:2]
	scratch_store_b64 off, v[1:2], off offset:88
	v_cmpx_lt_u32_e32 10, v0
	s_cbranch_execz .LBB45_265
; %bb.264:
	scratch_load_b64 v[1:2], off, off offset:80
	v_mov_b32_e32 v4, 0
	s_delay_alu instid0(VALU_DEP_1)
	v_mov_b32_e32 v5, v4
	scratch_store_b64 off, v[4:5], off offset:80
	s_waitcnt vmcnt(0)
	ds_store_b64 v3, v[1:2]
.LBB45_265:
	s_or_b32 exec_lo, exec_lo, s0
	s_waitcnt lgkmcnt(0)
	s_waitcnt_vscnt null, 0x0
	s_barrier
	buffer_gl0_inv
	s_clause 0x4
	scratch_load_b128 v[98:101], off, off offset:80
	scratch_load_b128 v[102:105], off, off offset:96
	scratch_load_b128 v[106:109], off, off offset:112
	scratch_load_b128 v[110:113], off, off offset:128
	scratch_load_b128 v[114:117], off, off offset:144
	v_mov_b32_e32 v1, 0
	ds_load_2addr_b64 v[118:121], v1 offset0:57 offset1:58
	ds_load_2addr_b64 v[122:125], v1 offset0:59 offset1:60
	scratch_load_b128 v[126:129], off, off offset:160
	s_mov_b32 s0, exec_lo
	s_waitcnt vmcnt(5) lgkmcnt(1)
	v_fma_f64 v[4:5], v[100:101], v[118:119], 0
	s_waitcnt vmcnt(4)
	s_delay_alu instid0(VALU_DEP_1) | instskip(SKIP_4) | instid1(VALU_DEP_1)
	v_fma_f64 v[4:5], v[102:103], v[120:121], v[4:5]
	scratch_load_b128 v[100:103], off, off offset:176
	s_waitcnt lgkmcnt(0)
	v_fma_f64 v[4:5], v[104:105], v[122:123], v[4:5]
	s_waitcnt vmcnt(4)
	v_fma_f64 v[4:5], v[106:107], v[124:125], v[4:5]
	ds_load_2addr_b64 v[104:107], v1 offset0:61 offset1:62
	ds_load_2addr_b64 v[118:121], v1 offset0:63 offset1:64
	scratch_load_b128 v[122:125], off, off offset:192
	s_waitcnt lgkmcnt(1)
	v_fma_f64 v[4:5], v[108:109], v[104:105], v[4:5]
	s_waitcnt vmcnt(4)
	s_delay_alu instid0(VALU_DEP_1) | instskip(SKIP_4) | instid1(VALU_DEP_1)
	v_fma_f64 v[4:5], v[110:111], v[106:107], v[4:5]
	scratch_load_b128 v[104:107], off, off offset:208
	s_waitcnt lgkmcnt(0)
	v_fma_f64 v[4:5], v[112:113], v[118:119], v[4:5]
	s_waitcnt vmcnt(4)
	v_fma_f64 v[4:5], v[114:115], v[120:121], v[4:5]
	ds_load_2addr_b64 v[108:111], v1 offset0:65 offset1:66
	ds_load_2addr_b64 v[112:115], v1 offset0:67 offset1:68
	s_waitcnt lgkmcnt(1)
	v_fma_f64 v[4:5], v[116:117], v[108:109], v[4:5]
	scratch_load_b128 v[116:119], off, off offset:224
	s_waitcnt vmcnt(4)
	v_fma_f64 v[4:5], v[126:127], v[110:111], v[4:5]
	scratch_load_b128 v[108:111], off, off offset:240
	s_waitcnt lgkmcnt(0)
	v_fma_f64 v[4:5], v[128:129], v[112:113], v[4:5]
	s_waitcnt vmcnt(4)
	s_delay_alu instid0(VALU_DEP_1)
	v_fma_f64 v[4:5], v[100:101], v[114:115], v[4:5]
	ds_load_2addr_b64 v[112:115], v1 offset0:69 offset1:70
	ds_load_2addr_b64 v[126:129], v1 offset0:71 offset1:72
	s_waitcnt lgkmcnt(1)
	v_fma_f64 v[4:5], v[102:103], v[112:113], v[4:5]
	scratch_load_b128 v[100:103], off, off offset:256
	s_waitcnt vmcnt(4)
	v_fma_f64 v[4:5], v[122:123], v[114:115], v[4:5]
	scratch_load_b128 v[112:115], off, off offset:272
	s_waitcnt lgkmcnt(0)
	v_fma_f64 v[4:5], v[124:125], v[126:127], v[4:5]
	ds_load_2addr_b64 v[120:123], v1 offset0:73 offset1:74
	ds_load_2addr_b64 v[124:127], v1 offset0:75 offset1:76
	s_waitcnt vmcnt(4)
	v_fma_f64 v[4:5], v[104:105], v[128:129], v[4:5]
	s_waitcnt lgkmcnt(1)
	s_delay_alu instid0(VALU_DEP_1) | instskip(SKIP_4) | instid1(VALU_DEP_1)
	v_fma_f64 v[4:5], v[106:107], v[120:121], v[4:5]
	scratch_load_b128 v[104:107], off, off offset:288
	s_waitcnt vmcnt(4)
	v_fma_f64 v[4:5], v[116:117], v[122:123], v[4:5]
	s_waitcnt lgkmcnt(0)
	v_fma_f64 v[4:5], v[118:119], v[124:125], v[4:5]
	scratch_load_b128 v[116:119], off, off offset:304
	s_waitcnt vmcnt(4)
	v_fma_f64 v[4:5], v[108:109], v[126:127], v[4:5]
	ds_load_2addr_b64 v[120:123], v1 offset0:77 offset1:78
	ds_load_2addr_b64 v[124:127], v1 offset0:79 offset1:80
	s_waitcnt lgkmcnt(1)
	v_fma_f64 v[4:5], v[110:111], v[120:121], v[4:5]
	scratch_load_b128 v[108:111], off, off offset:320
	s_waitcnt vmcnt(4)
	v_fma_f64 v[4:5], v[100:101], v[122:123], v[4:5]
	s_waitcnt lgkmcnt(0)
	s_delay_alu instid0(VALU_DEP_1)
	v_fma_f64 v[4:5], v[102:103], v[124:125], v[4:5]
	scratch_load_b128 v[100:103], off, off offset:336
	s_waitcnt vmcnt(4)
	v_fma_f64 v[4:5], v[112:113], v[126:127], v[4:5]
	ds_load_2addr_b64 v[120:123], v1 offset0:81 offset1:82
	ds_load_2addr_b64 v[124:127], v1 offset0:83 offset1:84
	s_waitcnt lgkmcnt(1)
	v_fma_f64 v[4:5], v[114:115], v[120:121], v[4:5]
	scratch_load_b128 v[112:115], off, off offset:352
	s_waitcnt vmcnt(4)
	v_fma_f64 v[4:5], v[104:105], v[122:123], v[4:5]
	s_waitcnt lgkmcnt(0)
	s_delay_alu instid0(VALU_DEP_1)
	v_fma_f64 v[4:5], v[106:107], v[124:125], v[4:5]
	ds_load_2addr_b64 v[104:107], v1 offset0:85 offset1:86
	ds_load_2addr_b64 v[120:123], v1 offset0:87 offset1:88
	s_waitcnt vmcnt(3)
	v_fma_f64 v[4:5], v[116:117], v[126:127], v[4:5]
	s_waitcnt lgkmcnt(1)
	s_delay_alu instid0(VALU_DEP_1) | instskip(SKIP_1) | instid1(VALU_DEP_1)
	v_fma_f64 v[4:5], v[118:119], v[104:105], v[4:5]
	s_waitcnt vmcnt(2)
	v_fma_f64 v[4:5], v[108:109], v[106:107], v[4:5]
	s_waitcnt lgkmcnt(0)
	s_delay_alu instid0(VALU_DEP_1) | instskip(SKIP_1) | instid1(VALU_DEP_1)
	v_fma_f64 v[4:5], v[110:111], v[120:121], v[4:5]
	s_waitcnt vmcnt(1)
	v_fma_f64 v[4:5], v[100:101], v[122:123], v[4:5]
	ds_load_2addr_b64 v[104:107], v1 offset0:89 offset1:90
	ds_load_b64 v[100:101], v1 offset:728
	s_waitcnt lgkmcnt(1)
	v_fma_f64 v[4:5], v[102:103], v[104:105], v[4:5]
	s_waitcnt vmcnt(0)
	s_delay_alu instid0(VALU_DEP_1) | instskip(SKIP_1) | instid1(VALU_DEP_1)
	v_fma_f64 v[4:5], v[112:113], v[106:107], v[4:5]
	s_waitcnt lgkmcnt(0)
	v_fma_f64 v[4:5], v[114:115], v[100:101], v[4:5]
	s_delay_alu instid0(VALU_DEP_1)
	v_add_f64 v[4:5], v[98:99], -v[4:5]
	scratch_store_b64 off, v[4:5], off offset:80
	v_cmpx_lt_u32_e32 9, v0
	s_cbranch_execz .LBB45_267
; %bb.266:
	scratch_load_b64 v[4:5], off, off offset:72
	v_mov_b32_e32 v2, v1
	scratch_store_b64 off, v[1:2], off offset:72
	s_waitcnt vmcnt(0)
	ds_store_b64 v3, v[4:5]
.LBB45_267:
	s_or_b32 exec_lo, exec_lo, s0
	s_waitcnt lgkmcnt(0)
	s_waitcnt_vscnt null, 0x0
	s_barrier
	buffer_gl0_inv
	s_clause 0x4
	scratch_load_b128 v[98:101], off, off offset:72
	scratch_load_b128 v[102:105], off, off offset:88
	;; [unrolled: 1-line block ×5, first 2 shown]
	ds_load_b128 v[118:121], v1 offset:448
	ds_load_b128 v[122:125], v1 offset:464
	scratch_load_b128 v[126:129], off, off offset:152
	s_mov_b32 s0, exec_lo
	s_waitcnt vmcnt(5) lgkmcnt(1)
	v_fma_f64 v[4:5], v[100:101], v[118:119], 0
	s_waitcnt vmcnt(4)
	s_delay_alu instid0(VALU_DEP_1) | instskip(SKIP_4) | instid1(VALU_DEP_1)
	v_fma_f64 v[4:5], v[102:103], v[120:121], v[4:5]
	scratch_load_b128 v[100:103], off, off offset:168
	s_waitcnt lgkmcnt(0)
	v_fma_f64 v[4:5], v[104:105], v[122:123], v[4:5]
	s_waitcnt vmcnt(4)
	v_fma_f64 v[4:5], v[106:107], v[124:125], v[4:5]
	ds_load_b128 v[104:107], v1 offset:480
	ds_load_b128 v[118:121], v1 offset:496
	scratch_load_b128 v[122:125], off, off offset:184
	s_waitcnt lgkmcnt(1)
	v_fma_f64 v[4:5], v[108:109], v[104:105], v[4:5]
	s_waitcnt vmcnt(4)
	s_delay_alu instid0(VALU_DEP_1) | instskip(SKIP_4) | instid1(VALU_DEP_1)
	v_fma_f64 v[4:5], v[110:111], v[106:107], v[4:5]
	scratch_load_b128 v[104:107], off, off offset:200
	s_waitcnt lgkmcnt(0)
	v_fma_f64 v[4:5], v[112:113], v[118:119], v[4:5]
	s_waitcnt vmcnt(4)
	v_fma_f64 v[4:5], v[114:115], v[120:121], v[4:5]
	ds_load_b128 v[108:111], v1 offset:512
	ds_load_b128 v[112:115], v1 offset:528
	s_waitcnt lgkmcnt(1)
	v_fma_f64 v[4:5], v[116:117], v[108:109], v[4:5]
	scratch_load_b128 v[116:119], off, off offset:216
	s_waitcnt vmcnt(4)
	v_fma_f64 v[4:5], v[126:127], v[110:111], v[4:5]
	scratch_load_b128 v[108:111], off, off offset:232
	s_waitcnt lgkmcnt(0)
	v_fma_f64 v[4:5], v[128:129], v[112:113], v[4:5]
	s_waitcnt vmcnt(4)
	s_delay_alu instid0(VALU_DEP_1)
	v_fma_f64 v[4:5], v[100:101], v[114:115], v[4:5]
	ds_load_b128 v[112:115], v1 offset:544
	ds_load_b128 v[126:129], v1 offset:560
	s_waitcnt lgkmcnt(1)
	v_fma_f64 v[4:5], v[102:103], v[112:113], v[4:5]
	scratch_load_b128 v[100:103], off, off offset:248
	s_waitcnt vmcnt(4)
	v_fma_f64 v[4:5], v[122:123], v[114:115], v[4:5]
	scratch_load_b128 v[112:115], off, off offset:264
	s_waitcnt lgkmcnt(0)
	v_fma_f64 v[4:5], v[124:125], v[126:127], v[4:5]
	ds_load_b128 v[120:123], v1 offset:576
	ds_load_b128 v[124:127], v1 offset:592
	s_waitcnt vmcnt(4)
	v_fma_f64 v[4:5], v[104:105], v[128:129], v[4:5]
	s_waitcnt lgkmcnt(1)
	s_delay_alu instid0(VALU_DEP_1) | instskip(SKIP_4) | instid1(VALU_DEP_1)
	v_fma_f64 v[4:5], v[106:107], v[120:121], v[4:5]
	scratch_load_b128 v[104:107], off, off offset:280
	s_waitcnt vmcnt(4)
	v_fma_f64 v[4:5], v[116:117], v[122:123], v[4:5]
	s_waitcnt lgkmcnt(0)
	v_fma_f64 v[4:5], v[118:119], v[124:125], v[4:5]
	scratch_load_b128 v[116:119], off, off offset:296
	s_waitcnt vmcnt(4)
	v_fma_f64 v[4:5], v[108:109], v[126:127], v[4:5]
	ds_load_b128 v[120:123], v1 offset:608
	ds_load_b128 v[124:127], v1 offset:624
	s_waitcnt lgkmcnt(1)
	v_fma_f64 v[4:5], v[110:111], v[120:121], v[4:5]
	scratch_load_b128 v[108:111], off, off offset:312
	s_waitcnt vmcnt(4)
	v_fma_f64 v[4:5], v[100:101], v[122:123], v[4:5]
	s_waitcnt lgkmcnt(0)
	s_delay_alu instid0(VALU_DEP_1)
	v_fma_f64 v[4:5], v[102:103], v[124:125], v[4:5]
	scratch_load_b128 v[100:103], off, off offset:328
	s_waitcnt vmcnt(4)
	v_fma_f64 v[4:5], v[112:113], v[126:127], v[4:5]
	ds_load_b128 v[120:123], v1 offset:640
	ds_load_b128 v[124:127], v1 offset:656
	s_waitcnt lgkmcnt(1)
	v_fma_f64 v[4:5], v[114:115], v[120:121], v[4:5]
	scratch_load_b128 v[112:115], off, off offset:344
	s_waitcnt vmcnt(4)
	v_fma_f64 v[4:5], v[104:105], v[122:123], v[4:5]
	s_waitcnt lgkmcnt(0)
	s_delay_alu instid0(VALU_DEP_1)
	v_fma_f64 v[4:5], v[106:107], v[124:125], v[4:5]
	scratch_load_b64 v[124:125], off, off offset:360
	ds_load_b128 v[104:107], v1 offset:672
	ds_load_b128 v[120:123], v1 offset:688
	s_waitcnt vmcnt(4)
	v_fma_f64 v[4:5], v[116:117], v[126:127], v[4:5]
	s_waitcnt lgkmcnt(1)
	s_delay_alu instid0(VALU_DEP_1) | instskip(SKIP_1) | instid1(VALU_DEP_1)
	v_fma_f64 v[4:5], v[118:119], v[104:105], v[4:5]
	s_waitcnt vmcnt(3)
	v_fma_f64 v[4:5], v[108:109], v[106:107], v[4:5]
	s_waitcnt lgkmcnt(0)
	s_delay_alu instid0(VALU_DEP_1)
	v_fma_f64 v[4:5], v[110:111], v[120:121], v[4:5]
	ds_load_b128 v[104:107], v1 offset:704
	ds_load_b128 v[108:111], v1 offset:720
	s_waitcnt vmcnt(2)
	v_fma_f64 v[4:5], v[100:101], v[122:123], v[4:5]
	s_waitcnt lgkmcnt(1)
	s_delay_alu instid0(VALU_DEP_1) | instskip(SKIP_1) | instid1(VALU_DEP_1)
	v_fma_f64 v[1:2], v[102:103], v[104:105], v[4:5]
	s_waitcnt vmcnt(1)
	v_fma_f64 v[1:2], v[112:113], v[106:107], v[1:2]
	s_waitcnt lgkmcnt(0)
	s_delay_alu instid0(VALU_DEP_1) | instskip(SKIP_1) | instid1(VALU_DEP_1)
	v_fma_f64 v[1:2], v[114:115], v[108:109], v[1:2]
	s_waitcnt vmcnt(0)
	v_fma_f64 v[1:2], v[124:125], v[110:111], v[1:2]
	s_delay_alu instid0(VALU_DEP_1)
	v_add_f64 v[1:2], v[98:99], -v[1:2]
	scratch_store_b64 off, v[1:2], off offset:72
	v_cmpx_lt_u32_e32 8, v0
	s_cbranch_execz .LBB45_269
; %bb.268:
	scratch_load_b64 v[1:2], off, off offset:64
	v_mov_b32_e32 v4, 0
	s_delay_alu instid0(VALU_DEP_1)
	v_mov_b32_e32 v5, v4
	scratch_store_b64 off, v[4:5], off offset:64
	s_waitcnt vmcnt(0)
	ds_store_b64 v3, v[1:2]
.LBB45_269:
	s_or_b32 exec_lo, exec_lo, s0
	s_waitcnt lgkmcnt(0)
	s_waitcnt_vscnt null, 0x0
	s_barrier
	buffer_gl0_inv
	s_clause 0x4
	scratch_load_b128 v[98:101], off, off offset:64
	scratch_load_b128 v[102:105], off, off offset:80
	;; [unrolled: 1-line block ×5, first 2 shown]
	v_mov_b32_e32 v1, 0
	ds_load_2addr_b64 v[118:121], v1 offset0:55 offset1:56
	ds_load_2addr_b64 v[122:125], v1 offset0:57 offset1:58
	scratch_load_b128 v[126:129], off, off offset:144
	s_mov_b32 s0, exec_lo
	s_waitcnt vmcnt(5) lgkmcnt(1)
	v_fma_f64 v[4:5], v[100:101], v[118:119], 0
	s_waitcnt vmcnt(4)
	s_delay_alu instid0(VALU_DEP_1) | instskip(SKIP_4) | instid1(VALU_DEP_1)
	v_fma_f64 v[4:5], v[102:103], v[120:121], v[4:5]
	scratch_load_b128 v[100:103], off, off offset:160
	s_waitcnt lgkmcnt(0)
	v_fma_f64 v[4:5], v[104:105], v[122:123], v[4:5]
	s_waitcnt vmcnt(4)
	v_fma_f64 v[4:5], v[106:107], v[124:125], v[4:5]
	ds_load_2addr_b64 v[104:107], v1 offset0:59 offset1:60
	ds_load_2addr_b64 v[118:121], v1 offset0:61 offset1:62
	scratch_load_b128 v[122:125], off, off offset:176
	s_waitcnt lgkmcnt(1)
	v_fma_f64 v[4:5], v[108:109], v[104:105], v[4:5]
	s_waitcnt vmcnt(4)
	s_delay_alu instid0(VALU_DEP_1) | instskip(SKIP_4) | instid1(VALU_DEP_1)
	v_fma_f64 v[4:5], v[110:111], v[106:107], v[4:5]
	scratch_load_b128 v[104:107], off, off offset:192
	s_waitcnt lgkmcnt(0)
	v_fma_f64 v[4:5], v[112:113], v[118:119], v[4:5]
	s_waitcnt vmcnt(4)
	v_fma_f64 v[4:5], v[114:115], v[120:121], v[4:5]
	ds_load_2addr_b64 v[108:111], v1 offset0:63 offset1:64
	ds_load_2addr_b64 v[112:115], v1 offset0:65 offset1:66
	s_waitcnt lgkmcnt(1)
	v_fma_f64 v[4:5], v[116:117], v[108:109], v[4:5]
	scratch_load_b128 v[116:119], off, off offset:208
	s_waitcnt vmcnt(4)
	v_fma_f64 v[4:5], v[126:127], v[110:111], v[4:5]
	scratch_load_b128 v[108:111], off, off offset:224
	s_waitcnt lgkmcnt(0)
	v_fma_f64 v[4:5], v[128:129], v[112:113], v[4:5]
	s_waitcnt vmcnt(4)
	s_delay_alu instid0(VALU_DEP_1)
	v_fma_f64 v[4:5], v[100:101], v[114:115], v[4:5]
	ds_load_2addr_b64 v[112:115], v1 offset0:67 offset1:68
	ds_load_2addr_b64 v[126:129], v1 offset0:69 offset1:70
	s_waitcnt lgkmcnt(1)
	v_fma_f64 v[4:5], v[102:103], v[112:113], v[4:5]
	scratch_load_b128 v[100:103], off, off offset:240
	s_waitcnt vmcnt(4)
	v_fma_f64 v[4:5], v[122:123], v[114:115], v[4:5]
	scratch_load_b128 v[112:115], off, off offset:256
	s_waitcnt lgkmcnt(0)
	v_fma_f64 v[4:5], v[124:125], v[126:127], v[4:5]
	ds_load_2addr_b64 v[120:123], v1 offset0:71 offset1:72
	ds_load_2addr_b64 v[124:127], v1 offset0:73 offset1:74
	s_waitcnt vmcnt(4)
	v_fma_f64 v[4:5], v[104:105], v[128:129], v[4:5]
	s_waitcnt lgkmcnt(1)
	s_delay_alu instid0(VALU_DEP_1) | instskip(SKIP_4) | instid1(VALU_DEP_1)
	v_fma_f64 v[4:5], v[106:107], v[120:121], v[4:5]
	scratch_load_b128 v[104:107], off, off offset:272
	s_waitcnt vmcnt(4)
	v_fma_f64 v[4:5], v[116:117], v[122:123], v[4:5]
	s_waitcnt lgkmcnt(0)
	v_fma_f64 v[4:5], v[118:119], v[124:125], v[4:5]
	scratch_load_b128 v[116:119], off, off offset:288
	s_waitcnt vmcnt(4)
	v_fma_f64 v[4:5], v[108:109], v[126:127], v[4:5]
	ds_load_2addr_b64 v[120:123], v1 offset0:75 offset1:76
	ds_load_2addr_b64 v[124:127], v1 offset0:77 offset1:78
	s_waitcnt lgkmcnt(1)
	v_fma_f64 v[4:5], v[110:111], v[120:121], v[4:5]
	scratch_load_b128 v[108:111], off, off offset:304
	s_waitcnt vmcnt(4)
	v_fma_f64 v[4:5], v[100:101], v[122:123], v[4:5]
	s_waitcnt lgkmcnt(0)
	s_delay_alu instid0(VALU_DEP_1)
	v_fma_f64 v[4:5], v[102:103], v[124:125], v[4:5]
	scratch_load_b128 v[100:103], off, off offset:320
	s_waitcnt vmcnt(4)
	v_fma_f64 v[4:5], v[112:113], v[126:127], v[4:5]
	ds_load_2addr_b64 v[120:123], v1 offset0:79 offset1:80
	ds_load_2addr_b64 v[124:127], v1 offset0:81 offset1:82
	s_waitcnt lgkmcnt(1)
	v_fma_f64 v[4:5], v[114:115], v[120:121], v[4:5]
	scratch_load_b128 v[112:115], off, off offset:336
	s_waitcnt vmcnt(4)
	v_fma_f64 v[4:5], v[104:105], v[122:123], v[4:5]
	s_waitcnt lgkmcnt(0)
	s_delay_alu instid0(VALU_DEP_1)
	v_fma_f64 v[4:5], v[106:107], v[124:125], v[4:5]
	scratch_load_b128 v[104:107], off, off offset:352
	s_waitcnt vmcnt(4)
	v_fma_f64 v[4:5], v[116:117], v[126:127], v[4:5]
	ds_load_2addr_b64 v[120:123], v1 offset0:83 offset1:84
	ds_load_2addr_b64 v[124:127], v1 offset0:85 offset1:86
	s_waitcnt lgkmcnt(1)
	v_fma_f64 v[4:5], v[118:119], v[120:121], v[4:5]
	s_waitcnt vmcnt(3)
	s_delay_alu instid0(VALU_DEP_1) | instskip(SKIP_1) | instid1(VALU_DEP_1)
	v_fma_f64 v[4:5], v[108:109], v[122:123], v[4:5]
	s_waitcnt lgkmcnt(0)
	v_fma_f64 v[4:5], v[110:111], v[124:125], v[4:5]
	ds_load_2addr_b64 v[108:111], v1 offset0:87 offset1:88
	ds_load_2addr_b64 v[116:119], v1 offset0:89 offset1:90
	s_waitcnt vmcnt(2)
	v_fma_f64 v[4:5], v[100:101], v[126:127], v[4:5]
	ds_load_b64 v[100:101], v1 offset:728
	s_waitcnt lgkmcnt(2)
	v_fma_f64 v[4:5], v[102:103], v[108:109], v[4:5]
	s_waitcnt vmcnt(1)
	s_delay_alu instid0(VALU_DEP_1) | instskip(SKIP_1) | instid1(VALU_DEP_1)
	v_fma_f64 v[4:5], v[112:113], v[110:111], v[4:5]
	s_waitcnt lgkmcnt(1)
	v_fma_f64 v[4:5], v[114:115], v[116:117], v[4:5]
	s_waitcnt vmcnt(0)
	s_delay_alu instid0(VALU_DEP_1) | instskip(SKIP_1) | instid1(VALU_DEP_1)
	v_fma_f64 v[4:5], v[104:105], v[118:119], v[4:5]
	s_waitcnt lgkmcnt(0)
	v_fma_f64 v[4:5], v[106:107], v[100:101], v[4:5]
	s_delay_alu instid0(VALU_DEP_1)
	v_add_f64 v[4:5], v[98:99], -v[4:5]
	scratch_store_b64 off, v[4:5], off offset:64
	v_cmpx_lt_u32_e32 7, v0
	s_cbranch_execz .LBB45_271
; %bb.270:
	scratch_load_b64 v[4:5], off, off offset:56
	v_mov_b32_e32 v2, v1
	scratch_store_b64 off, v[1:2], off offset:56
	s_waitcnt vmcnt(0)
	ds_store_b64 v3, v[4:5]
.LBB45_271:
	s_or_b32 exec_lo, exec_lo, s0
	s_waitcnt lgkmcnt(0)
	s_waitcnt_vscnt null, 0x0
	s_barrier
	buffer_gl0_inv
	s_clause 0x4
	scratch_load_b128 v[98:101], off, off offset:56
	scratch_load_b128 v[102:105], off, off offset:72
	;; [unrolled: 1-line block ×5, first 2 shown]
	ds_load_b128 v[118:121], v1 offset:432
	ds_load_b128 v[122:125], v1 offset:448
	scratch_load_b128 v[126:129], off, off offset:136
	s_mov_b32 s0, exec_lo
	s_waitcnt vmcnt(5) lgkmcnt(1)
	v_fma_f64 v[4:5], v[100:101], v[118:119], 0
	s_waitcnt vmcnt(4)
	s_delay_alu instid0(VALU_DEP_1) | instskip(SKIP_4) | instid1(VALU_DEP_1)
	v_fma_f64 v[4:5], v[102:103], v[120:121], v[4:5]
	scratch_load_b128 v[100:103], off, off offset:152
	s_waitcnt lgkmcnt(0)
	v_fma_f64 v[4:5], v[104:105], v[122:123], v[4:5]
	s_waitcnt vmcnt(4)
	v_fma_f64 v[4:5], v[106:107], v[124:125], v[4:5]
	ds_load_b128 v[104:107], v1 offset:464
	ds_load_b128 v[118:121], v1 offset:480
	scratch_load_b128 v[122:125], off, off offset:168
	s_waitcnt lgkmcnt(1)
	v_fma_f64 v[4:5], v[108:109], v[104:105], v[4:5]
	s_waitcnt vmcnt(4)
	s_delay_alu instid0(VALU_DEP_1) | instskip(SKIP_4) | instid1(VALU_DEP_1)
	v_fma_f64 v[4:5], v[110:111], v[106:107], v[4:5]
	scratch_load_b128 v[104:107], off, off offset:184
	s_waitcnt lgkmcnt(0)
	v_fma_f64 v[4:5], v[112:113], v[118:119], v[4:5]
	s_waitcnt vmcnt(4)
	v_fma_f64 v[4:5], v[114:115], v[120:121], v[4:5]
	ds_load_b128 v[108:111], v1 offset:496
	ds_load_b128 v[112:115], v1 offset:512
	s_waitcnt lgkmcnt(1)
	v_fma_f64 v[4:5], v[116:117], v[108:109], v[4:5]
	scratch_load_b128 v[116:119], off, off offset:200
	s_waitcnt vmcnt(4)
	v_fma_f64 v[4:5], v[126:127], v[110:111], v[4:5]
	scratch_load_b128 v[108:111], off, off offset:216
	s_waitcnt lgkmcnt(0)
	v_fma_f64 v[4:5], v[128:129], v[112:113], v[4:5]
	s_waitcnt vmcnt(4)
	s_delay_alu instid0(VALU_DEP_1)
	v_fma_f64 v[4:5], v[100:101], v[114:115], v[4:5]
	ds_load_b128 v[112:115], v1 offset:528
	ds_load_b128 v[126:129], v1 offset:544
	s_waitcnt lgkmcnt(1)
	v_fma_f64 v[4:5], v[102:103], v[112:113], v[4:5]
	scratch_load_b128 v[100:103], off, off offset:232
	s_waitcnt vmcnt(4)
	v_fma_f64 v[4:5], v[122:123], v[114:115], v[4:5]
	scratch_load_b128 v[112:115], off, off offset:248
	s_waitcnt lgkmcnt(0)
	v_fma_f64 v[4:5], v[124:125], v[126:127], v[4:5]
	ds_load_b128 v[120:123], v1 offset:560
	ds_load_b128 v[124:127], v1 offset:576
	s_waitcnt vmcnt(4)
	v_fma_f64 v[4:5], v[104:105], v[128:129], v[4:5]
	s_waitcnt lgkmcnt(1)
	s_delay_alu instid0(VALU_DEP_1) | instskip(SKIP_4) | instid1(VALU_DEP_1)
	v_fma_f64 v[4:5], v[106:107], v[120:121], v[4:5]
	scratch_load_b128 v[104:107], off, off offset:264
	s_waitcnt vmcnt(4)
	v_fma_f64 v[4:5], v[116:117], v[122:123], v[4:5]
	s_waitcnt lgkmcnt(0)
	v_fma_f64 v[4:5], v[118:119], v[124:125], v[4:5]
	scratch_load_b128 v[116:119], off, off offset:280
	s_waitcnt vmcnt(4)
	v_fma_f64 v[4:5], v[108:109], v[126:127], v[4:5]
	ds_load_b128 v[120:123], v1 offset:592
	ds_load_b128 v[124:127], v1 offset:608
	s_waitcnt lgkmcnt(1)
	v_fma_f64 v[4:5], v[110:111], v[120:121], v[4:5]
	scratch_load_b128 v[108:111], off, off offset:296
	s_waitcnt vmcnt(4)
	v_fma_f64 v[4:5], v[100:101], v[122:123], v[4:5]
	s_waitcnt lgkmcnt(0)
	s_delay_alu instid0(VALU_DEP_1)
	v_fma_f64 v[4:5], v[102:103], v[124:125], v[4:5]
	scratch_load_b128 v[100:103], off, off offset:312
	s_waitcnt vmcnt(4)
	v_fma_f64 v[4:5], v[112:113], v[126:127], v[4:5]
	ds_load_b128 v[120:123], v1 offset:624
	ds_load_b128 v[124:127], v1 offset:640
	s_waitcnt lgkmcnt(1)
	v_fma_f64 v[4:5], v[114:115], v[120:121], v[4:5]
	scratch_load_b128 v[112:115], off, off offset:328
	s_waitcnt vmcnt(4)
	v_fma_f64 v[4:5], v[104:105], v[122:123], v[4:5]
	s_waitcnt lgkmcnt(0)
	s_delay_alu instid0(VALU_DEP_1)
	v_fma_f64 v[4:5], v[106:107], v[124:125], v[4:5]
	scratch_load_b128 v[104:107], off, off offset:344
	s_waitcnt vmcnt(4)
	v_fma_f64 v[4:5], v[116:117], v[126:127], v[4:5]
	ds_load_b128 v[120:123], v1 offset:656
	ds_load_b128 v[124:127], v1 offset:672
	s_waitcnt lgkmcnt(1)
	v_fma_f64 v[4:5], v[118:119], v[120:121], v[4:5]
	scratch_load_b64 v[120:121], off, off offset:360
	s_waitcnt vmcnt(4)
	v_fma_f64 v[4:5], v[108:109], v[122:123], v[4:5]
	s_waitcnt lgkmcnt(0)
	s_delay_alu instid0(VALU_DEP_1)
	v_fma_f64 v[4:5], v[110:111], v[124:125], v[4:5]
	ds_load_b128 v[108:111], v1 offset:688
	ds_load_b128 v[116:119], v1 offset:704
	s_waitcnt vmcnt(3)
	v_fma_f64 v[4:5], v[100:101], v[126:127], v[4:5]
	s_waitcnt lgkmcnt(1)
	s_delay_alu instid0(VALU_DEP_1) | instskip(SKIP_4) | instid1(VALU_DEP_1)
	v_fma_f64 v[4:5], v[102:103], v[108:109], v[4:5]
	ds_load_b128 v[100:103], v1 offset:720
	s_waitcnt vmcnt(2)
	v_fma_f64 v[4:5], v[112:113], v[110:111], v[4:5]
	s_waitcnt lgkmcnt(1)
	v_fma_f64 v[4:5], v[114:115], v[116:117], v[4:5]
	s_waitcnt vmcnt(1)
	s_delay_alu instid0(VALU_DEP_1) | instskip(SKIP_1) | instid1(VALU_DEP_1)
	v_fma_f64 v[4:5], v[104:105], v[118:119], v[4:5]
	s_waitcnt lgkmcnt(0)
	v_fma_f64 v[1:2], v[106:107], v[100:101], v[4:5]
	s_waitcnt vmcnt(0)
	s_delay_alu instid0(VALU_DEP_1) | instskip(NEXT) | instid1(VALU_DEP_1)
	v_fma_f64 v[1:2], v[120:121], v[102:103], v[1:2]
	v_add_f64 v[1:2], v[98:99], -v[1:2]
	scratch_store_b64 off, v[1:2], off offset:56
	v_cmpx_lt_u32_e32 6, v0
	s_cbranch_execz .LBB45_273
; %bb.272:
	scratch_load_b64 v[1:2], off, off offset:48
	v_mov_b32_e32 v4, 0
	s_delay_alu instid0(VALU_DEP_1)
	v_mov_b32_e32 v5, v4
	scratch_store_b64 off, v[4:5], off offset:48
	s_waitcnt vmcnt(0)
	ds_store_b64 v3, v[1:2]
.LBB45_273:
	s_or_b32 exec_lo, exec_lo, s0
	s_waitcnt lgkmcnt(0)
	s_waitcnt_vscnt null, 0x0
	s_barrier
	buffer_gl0_inv
	s_clause 0x4
	scratch_load_b128 v[98:101], off, off offset:48
	scratch_load_b128 v[102:105], off, off offset:64
	;; [unrolled: 1-line block ×5, first 2 shown]
	v_mov_b32_e32 v1, 0
	ds_load_2addr_b64 v[118:121], v1 offset0:53 offset1:54
	ds_load_2addr_b64 v[122:125], v1 offset0:55 offset1:56
	scratch_load_b128 v[126:129], off, off offset:128
	s_mov_b32 s0, exec_lo
	s_waitcnt vmcnt(5) lgkmcnt(1)
	v_fma_f64 v[4:5], v[100:101], v[118:119], 0
	s_waitcnt vmcnt(4)
	s_delay_alu instid0(VALU_DEP_1) | instskip(SKIP_4) | instid1(VALU_DEP_1)
	v_fma_f64 v[4:5], v[102:103], v[120:121], v[4:5]
	scratch_load_b128 v[100:103], off, off offset:144
	s_waitcnt lgkmcnt(0)
	v_fma_f64 v[4:5], v[104:105], v[122:123], v[4:5]
	s_waitcnt vmcnt(4)
	v_fma_f64 v[4:5], v[106:107], v[124:125], v[4:5]
	ds_load_2addr_b64 v[104:107], v1 offset0:57 offset1:58
	ds_load_2addr_b64 v[118:121], v1 offset0:59 offset1:60
	scratch_load_b128 v[122:125], off, off offset:160
	s_waitcnt lgkmcnt(1)
	v_fma_f64 v[4:5], v[108:109], v[104:105], v[4:5]
	s_waitcnt vmcnt(4)
	s_delay_alu instid0(VALU_DEP_1) | instskip(SKIP_4) | instid1(VALU_DEP_1)
	v_fma_f64 v[4:5], v[110:111], v[106:107], v[4:5]
	scratch_load_b128 v[104:107], off, off offset:176
	s_waitcnt lgkmcnt(0)
	v_fma_f64 v[4:5], v[112:113], v[118:119], v[4:5]
	s_waitcnt vmcnt(4)
	v_fma_f64 v[4:5], v[114:115], v[120:121], v[4:5]
	ds_load_2addr_b64 v[108:111], v1 offset0:61 offset1:62
	ds_load_2addr_b64 v[112:115], v1 offset0:63 offset1:64
	s_waitcnt lgkmcnt(1)
	v_fma_f64 v[4:5], v[116:117], v[108:109], v[4:5]
	scratch_load_b128 v[116:119], off, off offset:192
	s_waitcnt vmcnt(4)
	v_fma_f64 v[4:5], v[126:127], v[110:111], v[4:5]
	scratch_load_b128 v[108:111], off, off offset:208
	s_waitcnt lgkmcnt(0)
	v_fma_f64 v[4:5], v[128:129], v[112:113], v[4:5]
	s_waitcnt vmcnt(4)
	s_delay_alu instid0(VALU_DEP_1)
	v_fma_f64 v[4:5], v[100:101], v[114:115], v[4:5]
	ds_load_2addr_b64 v[112:115], v1 offset0:65 offset1:66
	ds_load_2addr_b64 v[126:129], v1 offset0:67 offset1:68
	s_waitcnt lgkmcnt(1)
	v_fma_f64 v[4:5], v[102:103], v[112:113], v[4:5]
	scratch_load_b128 v[100:103], off, off offset:224
	s_waitcnt vmcnt(4)
	v_fma_f64 v[4:5], v[122:123], v[114:115], v[4:5]
	scratch_load_b128 v[112:115], off, off offset:240
	s_waitcnt lgkmcnt(0)
	v_fma_f64 v[4:5], v[124:125], v[126:127], v[4:5]
	ds_load_2addr_b64 v[120:123], v1 offset0:69 offset1:70
	ds_load_2addr_b64 v[124:127], v1 offset0:71 offset1:72
	s_waitcnt vmcnt(4)
	v_fma_f64 v[4:5], v[104:105], v[128:129], v[4:5]
	s_waitcnt lgkmcnt(1)
	s_delay_alu instid0(VALU_DEP_1) | instskip(SKIP_4) | instid1(VALU_DEP_1)
	v_fma_f64 v[4:5], v[106:107], v[120:121], v[4:5]
	scratch_load_b128 v[104:107], off, off offset:256
	s_waitcnt vmcnt(4)
	v_fma_f64 v[4:5], v[116:117], v[122:123], v[4:5]
	s_waitcnt lgkmcnt(0)
	v_fma_f64 v[4:5], v[118:119], v[124:125], v[4:5]
	scratch_load_b128 v[116:119], off, off offset:272
	s_waitcnt vmcnt(4)
	v_fma_f64 v[4:5], v[108:109], v[126:127], v[4:5]
	ds_load_2addr_b64 v[120:123], v1 offset0:73 offset1:74
	ds_load_2addr_b64 v[124:127], v1 offset0:75 offset1:76
	s_waitcnt lgkmcnt(1)
	v_fma_f64 v[4:5], v[110:111], v[120:121], v[4:5]
	scratch_load_b128 v[108:111], off, off offset:288
	s_waitcnt vmcnt(4)
	v_fma_f64 v[4:5], v[100:101], v[122:123], v[4:5]
	s_waitcnt lgkmcnt(0)
	s_delay_alu instid0(VALU_DEP_1)
	v_fma_f64 v[4:5], v[102:103], v[124:125], v[4:5]
	scratch_load_b128 v[100:103], off, off offset:304
	s_waitcnt vmcnt(4)
	v_fma_f64 v[4:5], v[112:113], v[126:127], v[4:5]
	ds_load_2addr_b64 v[120:123], v1 offset0:77 offset1:78
	ds_load_2addr_b64 v[124:127], v1 offset0:79 offset1:80
	s_waitcnt lgkmcnt(1)
	v_fma_f64 v[4:5], v[114:115], v[120:121], v[4:5]
	scratch_load_b128 v[112:115], off, off offset:320
	s_waitcnt vmcnt(4)
	v_fma_f64 v[4:5], v[104:105], v[122:123], v[4:5]
	s_waitcnt lgkmcnt(0)
	s_delay_alu instid0(VALU_DEP_1)
	;; [unrolled: 13-line block ×3, first 2 shown]
	v_fma_f64 v[4:5], v[110:111], v[124:125], v[4:5]
	ds_load_2addr_b64 v[108:111], v1 offset0:85 offset1:86
	ds_load_2addr_b64 v[120:123], v1 offset0:87 offset1:88
	s_waitcnt vmcnt(3)
	v_fma_f64 v[4:5], v[100:101], v[126:127], v[4:5]
	s_waitcnt lgkmcnt(1)
	s_delay_alu instid0(VALU_DEP_1) | instskip(SKIP_1) | instid1(VALU_DEP_1)
	v_fma_f64 v[4:5], v[102:103], v[108:109], v[4:5]
	s_waitcnt vmcnt(2)
	v_fma_f64 v[4:5], v[112:113], v[110:111], v[4:5]
	s_waitcnt lgkmcnt(0)
	s_delay_alu instid0(VALU_DEP_1) | instskip(SKIP_1) | instid1(VALU_DEP_1)
	v_fma_f64 v[4:5], v[114:115], v[120:121], v[4:5]
	s_waitcnt vmcnt(1)
	v_fma_f64 v[4:5], v[104:105], v[122:123], v[4:5]
	ds_load_2addr_b64 v[100:103], v1 offset0:89 offset1:90
	ds_load_b64 v[104:105], v1 offset:728
	s_waitcnt lgkmcnt(1)
	v_fma_f64 v[4:5], v[106:107], v[100:101], v[4:5]
	s_waitcnt vmcnt(0)
	s_delay_alu instid0(VALU_DEP_1) | instskip(SKIP_1) | instid1(VALU_DEP_1)
	v_fma_f64 v[4:5], v[116:117], v[102:103], v[4:5]
	s_waitcnt lgkmcnt(0)
	v_fma_f64 v[4:5], v[118:119], v[104:105], v[4:5]
	s_delay_alu instid0(VALU_DEP_1)
	v_add_f64 v[4:5], v[98:99], -v[4:5]
	scratch_store_b64 off, v[4:5], off offset:48
	v_cmpx_lt_u32_e32 5, v0
	s_cbranch_execz .LBB45_275
; %bb.274:
	scratch_load_b64 v[4:5], off, off offset:40
	v_mov_b32_e32 v2, v1
	scratch_store_b64 off, v[1:2], off offset:40
	s_waitcnt vmcnt(0)
	ds_store_b64 v3, v[4:5]
.LBB45_275:
	s_or_b32 exec_lo, exec_lo, s0
	s_waitcnt lgkmcnt(0)
	s_waitcnt_vscnt null, 0x0
	s_barrier
	buffer_gl0_inv
	s_clause 0x4
	scratch_load_b128 v[98:101], off, off offset:40
	scratch_load_b128 v[102:105], off, off offset:56
	;; [unrolled: 1-line block ×5, first 2 shown]
	ds_load_b128 v[118:121], v1 offset:416
	ds_load_b128 v[122:125], v1 offset:432
	scratch_load_b128 v[126:129], off, off offset:120
	s_mov_b32 s0, exec_lo
	s_waitcnt vmcnt(5) lgkmcnt(1)
	v_fma_f64 v[4:5], v[100:101], v[118:119], 0
	s_waitcnt vmcnt(4)
	s_delay_alu instid0(VALU_DEP_1) | instskip(SKIP_4) | instid1(VALU_DEP_1)
	v_fma_f64 v[4:5], v[102:103], v[120:121], v[4:5]
	scratch_load_b128 v[100:103], off, off offset:136
	s_waitcnt lgkmcnt(0)
	v_fma_f64 v[4:5], v[104:105], v[122:123], v[4:5]
	s_waitcnt vmcnt(4)
	v_fma_f64 v[4:5], v[106:107], v[124:125], v[4:5]
	ds_load_b128 v[104:107], v1 offset:448
	ds_load_b128 v[118:121], v1 offset:464
	scratch_load_b128 v[122:125], off, off offset:152
	s_waitcnt lgkmcnt(1)
	v_fma_f64 v[4:5], v[108:109], v[104:105], v[4:5]
	s_waitcnt vmcnt(4)
	s_delay_alu instid0(VALU_DEP_1) | instskip(SKIP_4) | instid1(VALU_DEP_1)
	v_fma_f64 v[4:5], v[110:111], v[106:107], v[4:5]
	scratch_load_b128 v[104:107], off, off offset:168
	s_waitcnt lgkmcnt(0)
	v_fma_f64 v[4:5], v[112:113], v[118:119], v[4:5]
	s_waitcnt vmcnt(4)
	v_fma_f64 v[4:5], v[114:115], v[120:121], v[4:5]
	ds_load_b128 v[108:111], v1 offset:480
	ds_load_b128 v[112:115], v1 offset:496
	s_waitcnt lgkmcnt(1)
	v_fma_f64 v[4:5], v[116:117], v[108:109], v[4:5]
	scratch_load_b128 v[116:119], off, off offset:184
	s_waitcnt vmcnt(4)
	v_fma_f64 v[4:5], v[126:127], v[110:111], v[4:5]
	scratch_load_b128 v[108:111], off, off offset:200
	s_waitcnt lgkmcnt(0)
	v_fma_f64 v[4:5], v[128:129], v[112:113], v[4:5]
	s_waitcnt vmcnt(4)
	s_delay_alu instid0(VALU_DEP_1)
	v_fma_f64 v[4:5], v[100:101], v[114:115], v[4:5]
	ds_load_b128 v[112:115], v1 offset:512
	ds_load_b128 v[126:129], v1 offset:528
	s_waitcnt lgkmcnt(1)
	v_fma_f64 v[4:5], v[102:103], v[112:113], v[4:5]
	scratch_load_b128 v[100:103], off, off offset:216
	s_waitcnt vmcnt(4)
	v_fma_f64 v[4:5], v[122:123], v[114:115], v[4:5]
	scratch_load_b128 v[112:115], off, off offset:232
	s_waitcnt lgkmcnt(0)
	v_fma_f64 v[4:5], v[124:125], v[126:127], v[4:5]
	ds_load_b128 v[120:123], v1 offset:544
	ds_load_b128 v[124:127], v1 offset:560
	s_waitcnt vmcnt(4)
	v_fma_f64 v[4:5], v[104:105], v[128:129], v[4:5]
	s_waitcnt lgkmcnt(1)
	s_delay_alu instid0(VALU_DEP_1) | instskip(SKIP_4) | instid1(VALU_DEP_1)
	v_fma_f64 v[4:5], v[106:107], v[120:121], v[4:5]
	scratch_load_b128 v[104:107], off, off offset:248
	s_waitcnt vmcnt(4)
	v_fma_f64 v[4:5], v[116:117], v[122:123], v[4:5]
	s_waitcnt lgkmcnt(0)
	v_fma_f64 v[4:5], v[118:119], v[124:125], v[4:5]
	scratch_load_b128 v[116:119], off, off offset:264
	s_waitcnt vmcnt(4)
	v_fma_f64 v[4:5], v[108:109], v[126:127], v[4:5]
	ds_load_b128 v[120:123], v1 offset:576
	ds_load_b128 v[124:127], v1 offset:592
	s_waitcnt lgkmcnt(1)
	v_fma_f64 v[4:5], v[110:111], v[120:121], v[4:5]
	scratch_load_b128 v[108:111], off, off offset:280
	s_waitcnt vmcnt(4)
	v_fma_f64 v[4:5], v[100:101], v[122:123], v[4:5]
	s_waitcnt lgkmcnt(0)
	s_delay_alu instid0(VALU_DEP_1)
	v_fma_f64 v[4:5], v[102:103], v[124:125], v[4:5]
	scratch_load_b128 v[100:103], off, off offset:296
	s_waitcnt vmcnt(4)
	v_fma_f64 v[4:5], v[112:113], v[126:127], v[4:5]
	ds_load_b128 v[120:123], v1 offset:608
	ds_load_b128 v[124:127], v1 offset:624
	s_waitcnt lgkmcnt(1)
	v_fma_f64 v[4:5], v[114:115], v[120:121], v[4:5]
	scratch_load_b128 v[112:115], off, off offset:312
	s_waitcnt vmcnt(4)
	v_fma_f64 v[4:5], v[104:105], v[122:123], v[4:5]
	s_waitcnt lgkmcnt(0)
	s_delay_alu instid0(VALU_DEP_1)
	;; [unrolled: 13-line block ×3, first 2 shown]
	v_fma_f64 v[4:5], v[110:111], v[124:125], v[4:5]
	scratch_load_b64 v[124:125], off, off offset:360
	ds_load_b128 v[108:111], v1 offset:672
	ds_load_b128 v[120:123], v1 offset:688
	s_waitcnt vmcnt(4)
	v_fma_f64 v[4:5], v[100:101], v[126:127], v[4:5]
	s_waitcnt lgkmcnt(1)
	s_delay_alu instid0(VALU_DEP_1) | instskip(SKIP_1) | instid1(VALU_DEP_1)
	v_fma_f64 v[4:5], v[102:103], v[108:109], v[4:5]
	s_waitcnt vmcnt(3)
	v_fma_f64 v[4:5], v[112:113], v[110:111], v[4:5]
	ds_load_b128 v[100:103], v1 offset:704
	ds_load_b128 v[108:111], v1 offset:720
	s_waitcnt lgkmcnt(2)
	v_fma_f64 v[4:5], v[114:115], v[120:121], v[4:5]
	s_waitcnt vmcnt(2)
	s_delay_alu instid0(VALU_DEP_1) | instskip(SKIP_1) | instid1(VALU_DEP_1)
	v_fma_f64 v[4:5], v[104:105], v[122:123], v[4:5]
	s_waitcnt lgkmcnt(1)
	v_fma_f64 v[1:2], v[106:107], v[100:101], v[4:5]
	s_waitcnt vmcnt(1)
	s_delay_alu instid0(VALU_DEP_1) | instskip(SKIP_1) | instid1(VALU_DEP_1)
	v_fma_f64 v[1:2], v[116:117], v[102:103], v[1:2]
	s_waitcnt lgkmcnt(0)
	v_fma_f64 v[1:2], v[118:119], v[108:109], v[1:2]
	s_waitcnt vmcnt(0)
	s_delay_alu instid0(VALU_DEP_1) | instskip(NEXT) | instid1(VALU_DEP_1)
	v_fma_f64 v[1:2], v[124:125], v[110:111], v[1:2]
	v_add_f64 v[1:2], v[98:99], -v[1:2]
	scratch_store_b64 off, v[1:2], off offset:40
	v_cmpx_lt_u32_e32 4, v0
	s_cbranch_execz .LBB45_277
; %bb.276:
	scratch_load_b64 v[1:2], off, off offset:32
	v_mov_b32_e32 v4, 0
	s_delay_alu instid0(VALU_DEP_1)
	v_mov_b32_e32 v5, v4
	scratch_store_b64 off, v[4:5], off offset:32
	s_waitcnt vmcnt(0)
	ds_store_b64 v3, v[1:2]
.LBB45_277:
	s_or_b32 exec_lo, exec_lo, s0
	s_waitcnt lgkmcnt(0)
	s_waitcnt_vscnt null, 0x0
	s_barrier
	buffer_gl0_inv
	s_clause 0x4
	scratch_load_b128 v[98:101], off, off offset:32
	scratch_load_b128 v[102:105], off, off offset:48
	;; [unrolled: 1-line block ×5, first 2 shown]
	v_mov_b32_e32 v1, 0
	ds_load_2addr_b64 v[118:121], v1 offset0:51 offset1:52
	ds_load_2addr_b64 v[122:125], v1 offset0:53 offset1:54
	scratch_load_b128 v[126:129], off, off offset:112
	s_mov_b32 s0, exec_lo
	s_waitcnt vmcnt(5) lgkmcnt(1)
	v_fma_f64 v[4:5], v[100:101], v[118:119], 0
	s_waitcnt vmcnt(4)
	s_delay_alu instid0(VALU_DEP_1) | instskip(SKIP_4) | instid1(VALU_DEP_1)
	v_fma_f64 v[4:5], v[102:103], v[120:121], v[4:5]
	scratch_load_b128 v[100:103], off, off offset:128
	s_waitcnt lgkmcnt(0)
	v_fma_f64 v[4:5], v[104:105], v[122:123], v[4:5]
	s_waitcnt vmcnt(4)
	v_fma_f64 v[4:5], v[106:107], v[124:125], v[4:5]
	ds_load_2addr_b64 v[104:107], v1 offset0:55 offset1:56
	ds_load_2addr_b64 v[118:121], v1 offset0:57 offset1:58
	scratch_load_b128 v[122:125], off, off offset:144
	s_waitcnt lgkmcnt(1)
	v_fma_f64 v[4:5], v[108:109], v[104:105], v[4:5]
	s_waitcnt vmcnt(4)
	s_delay_alu instid0(VALU_DEP_1) | instskip(SKIP_4) | instid1(VALU_DEP_1)
	v_fma_f64 v[4:5], v[110:111], v[106:107], v[4:5]
	scratch_load_b128 v[104:107], off, off offset:160
	s_waitcnt lgkmcnt(0)
	v_fma_f64 v[4:5], v[112:113], v[118:119], v[4:5]
	s_waitcnt vmcnt(4)
	v_fma_f64 v[4:5], v[114:115], v[120:121], v[4:5]
	ds_load_2addr_b64 v[108:111], v1 offset0:59 offset1:60
	ds_load_2addr_b64 v[112:115], v1 offset0:61 offset1:62
	s_waitcnt lgkmcnt(1)
	v_fma_f64 v[4:5], v[116:117], v[108:109], v[4:5]
	scratch_load_b128 v[116:119], off, off offset:176
	s_waitcnt vmcnt(4)
	v_fma_f64 v[4:5], v[126:127], v[110:111], v[4:5]
	scratch_load_b128 v[108:111], off, off offset:192
	s_waitcnt lgkmcnt(0)
	v_fma_f64 v[4:5], v[128:129], v[112:113], v[4:5]
	s_waitcnt vmcnt(4)
	s_delay_alu instid0(VALU_DEP_1)
	v_fma_f64 v[4:5], v[100:101], v[114:115], v[4:5]
	ds_load_2addr_b64 v[112:115], v1 offset0:63 offset1:64
	ds_load_2addr_b64 v[126:129], v1 offset0:65 offset1:66
	s_waitcnt lgkmcnt(1)
	v_fma_f64 v[4:5], v[102:103], v[112:113], v[4:5]
	scratch_load_b128 v[100:103], off, off offset:208
	s_waitcnt vmcnt(4)
	v_fma_f64 v[4:5], v[122:123], v[114:115], v[4:5]
	scratch_load_b128 v[112:115], off, off offset:224
	s_waitcnt lgkmcnt(0)
	v_fma_f64 v[4:5], v[124:125], v[126:127], v[4:5]
	ds_load_2addr_b64 v[120:123], v1 offset0:67 offset1:68
	ds_load_2addr_b64 v[124:127], v1 offset0:69 offset1:70
	s_waitcnt vmcnt(4)
	v_fma_f64 v[4:5], v[104:105], v[128:129], v[4:5]
	s_waitcnt lgkmcnt(1)
	s_delay_alu instid0(VALU_DEP_1) | instskip(SKIP_4) | instid1(VALU_DEP_1)
	v_fma_f64 v[4:5], v[106:107], v[120:121], v[4:5]
	scratch_load_b128 v[104:107], off, off offset:240
	s_waitcnt vmcnt(4)
	v_fma_f64 v[4:5], v[116:117], v[122:123], v[4:5]
	s_waitcnt lgkmcnt(0)
	v_fma_f64 v[4:5], v[118:119], v[124:125], v[4:5]
	scratch_load_b128 v[116:119], off, off offset:256
	s_waitcnt vmcnt(4)
	v_fma_f64 v[4:5], v[108:109], v[126:127], v[4:5]
	ds_load_2addr_b64 v[120:123], v1 offset0:71 offset1:72
	ds_load_2addr_b64 v[124:127], v1 offset0:73 offset1:74
	s_waitcnt lgkmcnt(1)
	v_fma_f64 v[4:5], v[110:111], v[120:121], v[4:5]
	scratch_load_b128 v[108:111], off, off offset:272
	s_waitcnt vmcnt(4)
	v_fma_f64 v[4:5], v[100:101], v[122:123], v[4:5]
	s_waitcnt lgkmcnt(0)
	s_delay_alu instid0(VALU_DEP_1)
	v_fma_f64 v[4:5], v[102:103], v[124:125], v[4:5]
	scratch_load_b128 v[100:103], off, off offset:288
	s_waitcnt vmcnt(4)
	v_fma_f64 v[4:5], v[112:113], v[126:127], v[4:5]
	ds_load_2addr_b64 v[120:123], v1 offset0:75 offset1:76
	ds_load_2addr_b64 v[124:127], v1 offset0:77 offset1:78
	s_waitcnt lgkmcnt(1)
	v_fma_f64 v[4:5], v[114:115], v[120:121], v[4:5]
	scratch_load_b128 v[112:115], off, off offset:304
	s_waitcnt vmcnt(4)
	v_fma_f64 v[4:5], v[104:105], v[122:123], v[4:5]
	s_waitcnt lgkmcnt(0)
	s_delay_alu instid0(VALU_DEP_1)
	;; [unrolled: 13-line block ×3, first 2 shown]
	v_fma_f64 v[4:5], v[110:111], v[124:125], v[4:5]
	scratch_load_b128 v[108:111], off, off offset:352
	s_waitcnt vmcnt(4)
	v_fma_f64 v[4:5], v[100:101], v[126:127], v[4:5]
	ds_load_2addr_b64 v[120:123], v1 offset0:83 offset1:84
	ds_load_2addr_b64 v[124:127], v1 offset0:85 offset1:86
	s_waitcnt lgkmcnt(1)
	v_fma_f64 v[4:5], v[102:103], v[120:121], v[4:5]
	s_waitcnt vmcnt(3)
	s_delay_alu instid0(VALU_DEP_1) | instskip(SKIP_1) | instid1(VALU_DEP_1)
	v_fma_f64 v[4:5], v[112:113], v[122:123], v[4:5]
	s_waitcnt lgkmcnt(0)
	v_fma_f64 v[4:5], v[114:115], v[124:125], v[4:5]
	ds_load_2addr_b64 v[100:103], v1 offset0:87 offset1:88
	ds_load_2addr_b64 v[112:115], v1 offset0:89 offset1:90
	s_waitcnt vmcnt(2)
	v_fma_f64 v[4:5], v[104:105], v[126:127], v[4:5]
	s_waitcnt lgkmcnt(1)
	s_delay_alu instid0(VALU_DEP_1) | instskip(SKIP_4) | instid1(VALU_DEP_1)
	v_fma_f64 v[4:5], v[106:107], v[100:101], v[4:5]
	ds_load_b64 v[100:101], v1 offset:728
	s_waitcnt vmcnt(1)
	v_fma_f64 v[4:5], v[116:117], v[102:103], v[4:5]
	s_waitcnt lgkmcnt(1)
	v_fma_f64 v[4:5], v[118:119], v[112:113], v[4:5]
	s_waitcnt vmcnt(0)
	s_delay_alu instid0(VALU_DEP_1) | instskip(SKIP_1) | instid1(VALU_DEP_1)
	v_fma_f64 v[4:5], v[108:109], v[114:115], v[4:5]
	s_waitcnt lgkmcnt(0)
	v_fma_f64 v[4:5], v[110:111], v[100:101], v[4:5]
	s_delay_alu instid0(VALU_DEP_1)
	v_add_f64 v[4:5], v[98:99], -v[4:5]
	scratch_store_b64 off, v[4:5], off offset:32
	v_cmpx_lt_u32_e32 3, v0
	s_cbranch_execz .LBB45_279
; %bb.278:
	scratch_load_b64 v[4:5], off, off offset:24
	v_mov_b32_e32 v2, v1
	scratch_store_b64 off, v[1:2], off offset:24
	s_waitcnt vmcnt(0)
	ds_store_b64 v3, v[4:5]
.LBB45_279:
	s_or_b32 exec_lo, exec_lo, s0
	s_waitcnt lgkmcnt(0)
	s_waitcnt_vscnt null, 0x0
	s_barrier
	buffer_gl0_inv
	s_clause 0x4
	scratch_load_b128 v[98:101], off, off offset:24
	scratch_load_b128 v[102:105], off, off offset:40
	;; [unrolled: 1-line block ×5, first 2 shown]
	ds_load_b128 v[118:121], v1 offset:400
	ds_load_b128 v[122:125], v1 offset:416
	scratch_load_b128 v[126:129], off, off offset:104
	s_mov_b32 s0, exec_lo
	s_waitcnt vmcnt(5) lgkmcnt(1)
	v_fma_f64 v[4:5], v[100:101], v[118:119], 0
	s_waitcnt vmcnt(4)
	s_delay_alu instid0(VALU_DEP_1) | instskip(SKIP_4) | instid1(VALU_DEP_1)
	v_fma_f64 v[4:5], v[102:103], v[120:121], v[4:5]
	scratch_load_b128 v[100:103], off, off offset:120
	s_waitcnt lgkmcnt(0)
	v_fma_f64 v[4:5], v[104:105], v[122:123], v[4:5]
	s_waitcnt vmcnt(4)
	v_fma_f64 v[4:5], v[106:107], v[124:125], v[4:5]
	ds_load_b128 v[104:107], v1 offset:432
	ds_load_b128 v[118:121], v1 offset:448
	scratch_load_b128 v[122:125], off, off offset:136
	s_waitcnt lgkmcnt(1)
	v_fma_f64 v[4:5], v[108:109], v[104:105], v[4:5]
	s_waitcnt vmcnt(4)
	s_delay_alu instid0(VALU_DEP_1) | instskip(SKIP_4) | instid1(VALU_DEP_1)
	v_fma_f64 v[4:5], v[110:111], v[106:107], v[4:5]
	scratch_load_b128 v[104:107], off, off offset:152
	s_waitcnt lgkmcnt(0)
	v_fma_f64 v[4:5], v[112:113], v[118:119], v[4:5]
	s_waitcnt vmcnt(4)
	v_fma_f64 v[4:5], v[114:115], v[120:121], v[4:5]
	ds_load_b128 v[108:111], v1 offset:464
	ds_load_b128 v[112:115], v1 offset:480
	s_waitcnt lgkmcnt(1)
	v_fma_f64 v[4:5], v[116:117], v[108:109], v[4:5]
	scratch_load_b128 v[116:119], off, off offset:168
	s_waitcnt vmcnt(4)
	v_fma_f64 v[4:5], v[126:127], v[110:111], v[4:5]
	scratch_load_b128 v[108:111], off, off offset:184
	s_waitcnt lgkmcnt(0)
	v_fma_f64 v[4:5], v[128:129], v[112:113], v[4:5]
	s_waitcnt vmcnt(4)
	s_delay_alu instid0(VALU_DEP_1)
	v_fma_f64 v[4:5], v[100:101], v[114:115], v[4:5]
	ds_load_b128 v[112:115], v1 offset:496
	ds_load_b128 v[126:129], v1 offset:512
	s_waitcnt lgkmcnt(1)
	v_fma_f64 v[4:5], v[102:103], v[112:113], v[4:5]
	scratch_load_b128 v[100:103], off, off offset:200
	s_waitcnt vmcnt(4)
	v_fma_f64 v[4:5], v[122:123], v[114:115], v[4:5]
	scratch_load_b128 v[112:115], off, off offset:216
	s_waitcnt lgkmcnt(0)
	v_fma_f64 v[4:5], v[124:125], v[126:127], v[4:5]
	ds_load_b128 v[120:123], v1 offset:528
	ds_load_b128 v[124:127], v1 offset:544
	s_waitcnt vmcnt(4)
	v_fma_f64 v[4:5], v[104:105], v[128:129], v[4:5]
	s_waitcnt lgkmcnt(1)
	s_delay_alu instid0(VALU_DEP_1) | instskip(SKIP_4) | instid1(VALU_DEP_1)
	v_fma_f64 v[4:5], v[106:107], v[120:121], v[4:5]
	scratch_load_b128 v[104:107], off, off offset:232
	s_waitcnt vmcnt(4)
	v_fma_f64 v[4:5], v[116:117], v[122:123], v[4:5]
	s_waitcnt lgkmcnt(0)
	v_fma_f64 v[4:5], v[118:119], v[124:125], v[4:5]
	scratch_load_b128 v[116:119], off, off offset:248
	s_waitcnt vmcnt(4)
	v_fma_f64 v[4:5], v[108:109], v[126:127], v[4:5]
	ds_load_b128 v[120:123], v1 offset:560
	ds_load_b128 v[124:127], v1 offset:576
	s_waitcnt lgkmcnt(1)
	v_fma_f64 v[4:5], v[110:111], v[120:121], v[4:5]
	scratch_load_b128 v[108:111], off, off offset:264
	s_waitcnt vmcnt(4)
	v_fma_f64 v[4:5], v[100:101], v[122:123], v[4:5]
	s_waitcnt lgkmcnt(0)
	s_delay_alu instid0(VALU_DEP_1)
	v_fma_f64 v[4:5], v[102:103], v[124:125], v[4:5]
	scratch_load_b128 v[100:103], off, off offset:280
	s_waitcnt vmcnt(4)
	v_fma_f64 v[4:5], v[112:113], v[126:127], v[4:5]
	ds_load_b128 v[120:123], v1 offset:592
	ds_load_b128 v[124:127], v1 offset:608
	s_waitcnt lgkmcnt(1)
	v_fma_f64 v[4:5], v[114:115], v[120:121], v[4:5]
	scratch_load_b128 v[112:115], off, off offset:296
	s_waitcnt vmcnt(4)
	v_fma_f64 v[4:5], v[104:105], v[122:123], v[4:5]
	s_waitcnt lgkmcnt(0)
	s_delay_alu instid0(VALU_DEP_1)
	;; [unrolled: 13-line block ×3, first 2 shown]
	v_fma_f64 v[4:5], v[110:111], v[124:125], v[4:5]
	scratch_load_b128 v[108:111], off, off offset:344
	s_waitcnt vmcnt(4)
	v_fma_f64 v[4:5], v[100:101], v[126:127], v[4:5]
	ds_load_b128 v[120:123], v1 offset:656
	ds_load_b128 v[124:127], v1 offset:672
	s_waitcnt lgkmcnt(1)
	v_fma_f64 v[4:5], v[102:103], v[120:121], v[4:5]
	scratch_load_b64 v[120:121], off, off offset:360
	s_waitcnt vmcnt(4)
	v_fma_f64 v[4:5], v[112:113], v[122:123], v[4:5]
	s_waitcnt lgkmcnt(0)
	s_delay_alu instid0(VALU_DEP_1)
	v_fma_f64 v[4:5], v[114:115], v[124:125], v[4:5]
	ds_load_b128 v[100:103], v1 offset:688
	ds_load_b128 v[112:115], v1 offset:704
	s_waitcnt vmcnt(3)
	v_fma_f64 v[4:5], v[104:105], v[126:127], v[4:5]
	s_waitcnt lgkmcnt(1)
	s_delay_alu instid0(VALU_DEP_1) | instskip(SKIP_1) | instid1(VALU_DEP_1)
	v_fma_f64 v[4:5], v[106:107], v[100:101], v[4:5]
	s_waitcnt vmcnt(2)
	v_fma_f64 v[4:5], v[116:117], v[102:103], v[4:5]
	ds_load_b128 v[100:103], v1 offset:720
	s_waitcnt lgkmcnt(1)
	v_fma_f64 v[4:5], v[118:119], v[112:113], v[4:5]
	s_waitcnt vmcnt(1)
	s_delay_alu instid0(VALU_DEP_1) | instskip(SKIP_1) | instid1(VALU_DEP_1)
	v_fma_f64 v[4:5], v[108:109], v[114:115], v[4:5]
	s_waitcnt lgkmcnt(0)
	v_fma_f64 v[1:2], v[110:111], v[100:101], v[4:5]
	s_waitcnt vmcnt(0)
	s_delay_alu instid0(VALU_DEP_1) | instskip(NEXT) | instid1(VALU_DEP_1)
	v_fma_f64 v[1:2], v[120:121], v[102:103], v[1:2]
	v_add_f64 v[1:2], v[98:99], -v[1:2]
	scratch_store_b64 off, v[1:2], off offset:24
	v_cmpx_lt_u32_e32 2, v0
	s_cbranch_execz .LBB45_281
; %bb.280:
	scratch_load_b64 v[1:2], off, off offset:16
	v_mov_b32_e32 v4, 0
	s_delay_alu instid0(VALU_DEP_1)
	v_mov_b32_e32 v5, v4
	scratch_store_b64 off, v[4:5], off offset:16
	s_waitcnt vmcnt(0)
	ds_store_b64 v3, v[1:2]
.LBB45_281:
	s_or_b32 exec_lo, exec_lo, s0
	s_waitcnt lgkmcnt(0)
	s_waitcnt_vscnt null, 0x0
	s_barrier
	buffer_gl0_inv
	s_clause 0x4
	scratch_load_b128 v[98:101], off, off offset:16
	scratch_load_b128 v[102:105], off, off offset:32
	;; [unrolled: 1-line block ×5, first 2 shown]
	v_mov_b32_e32 v1, 0
	ds_load_2addr_b64 v[118:121], v1 offset0:49 offset1:50
	ds_load_2addr_b64 v[122:125], v1 offset0:51 offset1:52
	scratch_load_b128 v[126:129], off, off offset:96
	s_mov_b32 s0, exec_lo
	s_waitcnt vmcnt(5) lgkmcnt(1)
	v_fma_f64 v[4:5], v[100:101], v[118:119], 0
	s_waitcnt vmcnt(4)
	s_delay_alu instid0(VALU_DEP_1) | instskip(SKIP_4) | instid1(VALU_DEP_1)
	v_fma_f64 v[4:5], v[102:103], v[120:121], v[4:5]
	scratch_load_b128 v[100:103], off, off offset:112
	s_waitcnt lgkmcnt(0)
	v_fma_f64 v[4:5], v[104:105], v[122:123], v[4:5]
	s_waitcnt vmcnt(4)
	v_fma_f64 v[4:5], v[106:107], v[124:125], v[4:5]
	ds_load_2addr_b64 v[104:107], v1 offset0:53 offset1:54
	ds_load_2addr_b64 v[118:121], v1 offset0:55 offset1:56
	scratch_load_b128 v[122:125], off, off offset:128
	s_waitcnt lgkmcnt(1)
	v_fma_f64 v[4:5], v[108:109], v[104:105], v[4:5]
	s_waitcnt vmcnt(4)
	s_delay_alu instid0(VALU_DEP_1) | instskip(SKIP_4) | instid1(VALU_DEP_1)
	v_fma_f64 v[4:5], v[110:111], v[106:107], v[4:5]
	scratch_load_b128 v[104:107], off, off offset:144
	s_waitcnt lgkmcnt(0)
	v_fma_f64 v[4:5], v[112:113], v[118:119], v[4:5]
	s_waitcnt vmcnt(4)
	v_fma_f64 v[4:5], v[114:115], v[120:121], v[4:5]
	ds_load_2addr_b64 v[108:111], v1 offset0:57 offset1:58
	ds_load_2addr_b64 v[112:115], v1 offset0:59 offset1:60
	s_waitcnt lgkmcnt(1)
	v_fma_f64 v[4:5], v[116:117], v[108:109], v[4:5]
	scratch_load_b128 v[116:119], off, off offset:160
	s_waitcnt vmcnt(4)
	v_fma_f64 v[4:5], v[126:127], v[110:111], v[4:5]
	scratch_load_b128 v[108:111], off, off offset:176
	s_waitcnt lgkmcnt(0)
	v_fma_f64 v[4:5], v[128:129], v[112:113], v[4:5]
	s_waitcnt vmcnt(4)
	s_delay_alu instid0(VALU_DEP_1)
	v_fma_f64 v[4:5], v[100:101], v[114:115], v[4:5]
	ds_load_2addr_b64 v[112:115], v1 offset0:61 offset1:62
	ds_load_2addr_b64 v[126:129], v1 offset0:63 offset1:64
	s_waitcnt lgkmcnt(1)
	v_fma_f64 v[4:5], v[102:103], v[112:113], v[4:5]
	scratch_load_b128 v[100:103], off, off offset:192
	s_waitcnt vmcnt(4)
	v_fma_f64 v[4:5], v[122:123], v[114:115], v[4:5]
	scratch_load_b128 v[112:115], off, off offset:208
	s_waitcnt lgkmcnt(0)
	v_fma_f64 v[4:5], v[124:125], v[126:127], v[4:5]
	ds_load_2addr_b64 v[120:123], v1 offset0:65 offset1:66
	ds_load_2addr_b64 v[124:127], v1 offset0:67 offset1:68
	s_waitcnt vmcnt(4)
	v_fma_f64 v[4:5], v[104:105], v[128:129], v[4:5]
	s_waitcnt lgkmcnt(1)
	s_delay_alu instid0(VALU_DEP_1) | instskip(SKIP_4) | instid1(VALU_DEP_1)
	v_fma_f64 v[4:5], v[106:107], v[120:121], v[4:5]
	scratch_load_b128 v[104:107], off, off offset:224
	s_waitcnt vmcnt(4)
	v_fma_f64 v[4:5], v[116:117], v[122:123], v[4:5]
	s_waitcnt lgkmcnt(0)
	v_fma_f64 v[4:5], v[118:119], v[124:125], v[4:5]
	scratch_load_b128 v[116:119], off, off offset:240
	s_waitcnt vmcnt(4)
	v_fma_f64 v[4:5], v[108:109], v[126:127], v[4:5]
	ds_load_2addr_b64 v[120:123], v1 offset0:69 offset1:70
	ds_load_2addr_b64 v[124:127], v1 offset0:71 offset1:72
	s_waitcnt lgkmcnt(1)
	v_fma_f64 v[4:5], v[110:111], v[120:121], v[4:5]
	scratch_load_b128 v[108:111], off, off offset:256
	s_waitcnt vmcnt(4)
	v_fma_f64 v[4:5], v[100:101], v[122:123], v[4:5]
	s_waitcnt lgkmcnt(0)
	s_delay_alu instid0(VALU_DEP_1)
	v_fma_f64 v[4:5], v[102:103], v[124:125], v[4:5]
	scratch_load_b128 v[100:103], off, off offset:272
	s_waitcnt vmcnt(4)
	v_fma_f64 v[4:5], v[112:113], v[126:127], v[4:5]
	ds_load_2addr_b64 v[120:123], v1 offset0:73 offset1:74
	ds_load_2addr_b64 v[124:127], v1 offset0:75 offset1:76
	s_waitcnt lgkmcnt(1)
	v_fma_f64 v[4:5], v[114:115], v[120:121], v[4:5]
	scratch_load_b128 v[112:115], off, off offset:288
	s_waitcnt vmcnt(4)
	v_fma_f64 v[4:5], v[104:105], v[122:123], v[4:5]
	s_waitcnt lgkmcnt(0)
	s_delay_alu instid0(VALU_DEP_1)
	;; [unrolled: 13-line block ×4, first 2 shown]
	v_fma_f64 v[4:5], v[114:115], v[124:125], v[4:5]
	ds_load_2addr_b64 v[112:115], v1 offset0:85 offset1:86
	ds_load_2addr_b64 v[120:123], v1 offset0:87 offset1:88
	s_waitcnt vmcnt(3)
	v_fma_f64 v[4:5], v[104:105], v[126:127], v[4:5]
	s_waitcnt lgkmcnt(1)
	s_delay_alu instid0(VALU_DEP_1) | instskip(SKIP_1) | instid1(VALU_DEP_1)
	v_fma_f64 v[4:5], v[106:107], v[112:113], v[4:5]
	s_waitcnt vmcnt(2)
	v_fma_f64 v[4:5], v[116:117], v[114:115], v[4:5]
	s_waitcnt lgkmcnt(0)
	s_delay_alu instid0(VALU_DEP_1) | instskip(SKIP_1) | instid1(VALU_DEP_1)
	v_fma_f64 v[4:5], v[118:119], v[120:121], v[4:5]
	s_waitcnt vmcnt(1)
	v_fma_f64 v[4:5], v[108:109], v[122:123], v[4:5]
	ds_load_2addr_b64 v[104:107], v1 offset0:89 offset1:90
	ds_load_b64 v[108:109], v1 offset:728
	s_waitcnt lgkmcnt(1)
	v_fma_f64 v[4:5], v[110:111], v[104:105], v[4:5]
	s_waitcnt vmcnt(0)
	s_delay_alu instid0(VALU_DEP_1) | instskip(SKIP_1) | instid1(VALU_DEP_1)
	v_fma_f64 v[4:5], v[100:101], v[106:107], v[4:5]
	s_waitcnt lgkmcnt(0)
	v_fma_f64 v[4:5], v[102:103], v[108:109], v[4:5]
	s_delay_alu instid0(VALU_DEP_1)
	v_add_f64 v[4:5], v[98:99], -v[4:5]
	scratch_store_b64 off, v[4:5], off offset:16
	v_cmpx_lt_u32_e32 1, v0
	s_cbranch_execz .LBB45_283
; %bb.282:
	scratch_load_b64 v[4:5], off, off offset:8
	v_mov_b32_e32 v2, v1
	scratch_store_b64 off, v[1:2], off offset:8
	s_waitcnt vmcnt(0)
	ds_store_b64 v3, v[4:5]
.LBB45_283:
	s_or_b32 exec_lo, exec_lo, s0
	s_waitcnt lgkmcnt(0)
	s_waitcnt_vscnt null, 0x0
	s_barrier
	buffer_gl0_inv
	s_clause 0x4
	scratch_load_b128 v[98:101], off, off offset:8
	scratch_load_b128 v[102:105], off, off offset:24
	;; [unrolled: 1-line block ×5, first 2 shown]
	ds_load_b128 v[118:121], v1 offset:384
	ds_load_b128 v[122:125], v1 offset:400
	scratch_load_b128 v[126:129], off, off offset:88
	s_mov_b32 s0, exec_lo
	s_waitcnt vmcnt(5) lgkmcnt(1)
	v_fma_f64 v[4:5], v[100:101], v[118:119], 0
	s_waitcnt vmcnt(4)
	s_delay_alu instid0(VALU_DEP_1) | instskip(SKIP_4) | instid1(VALU_DEP_1)
	v_fma_f64 v[4:5], v[102:103], v[120:121], v[4:5]
	scratch_load_b128 v[100:103], off, off offset:104
	s_waitcnt lgkmcnt(0)
	v_fma_f64 v[4:5], v[104:105], v[122:123], v[4:5]
	s_waitcnt vmcnt(4)
	v_fma_f64 v[4:5], v[106:107], v[124:125], v[4:5]
	ds_load_b128 v[104:107], v1 offset:416
	ds_load_b128 v[118:121], v1 offset:432
	scratch_load_b128 v[122:125], off, off offset:120
	s_waitcnt lgkmcnt(1)
	v_fma_f64 v[4:5], v[108:109], v[104:105], v[4:5]
	s_waitcnt vmcnt(4)
	s_delay_alu instid0(VALU_DEP_1) | instskip(SKIP_4) | instid1(VALU_DEP_1)
	v_fma_f64 v[4:5], v[110:111], v[106:107], v[4:5]
	scratch_load_b128 v[104:107], off, off offset:136
	s_waitcnt lgkmcnt(0)
	v_fma_f64 v[4:5], v[112:113], v[118:119], v[4:5]
	s_waitcnt vmcnt(4)
	v_fma_f64 v[4:5], v[114:115], v[120:121], v[4:5]
	ds_load_b128 v[108:111], v1 offset:448
	ds_load_b128 v[112:115], v1 offset:464
	s_waitcnt lgkmcnt(1)
	v_fma_f64 v[4:5], v[116:117], v[108:109], v[4:5]
	scratch_load_b128 v[116:119], off, off offset:152
	s_waitcnt vmcnt(4)
	v_fma_f64 v[4:5], v[126:127], v[110:111], v[4:5]
	scratch_load_b128 v[108:111], off, off offset:168
	s_waitcnt lgkmcnt(0)
	v_fma_f64 v[4:5], v[128:129], v[112:113], v[4:5]
	s_waitcnt vmcnt(4)
	s_delay_alu instid0(VALU_DEP_1)
	v_fma_f64 v[4:5], v[100:101], v[114:115], v[4:5]
	ds_load_b128 v[112:115], v1 offset:480
	ds_load_b128 v[126:129], v1 offset:496
	s_waitcnt lgkmcnt(1)
	v_fma_f64 v[4:5], v[102:103], v[112:113], v[4:5]
	scratch_load_b128 v[100:103], off, off offset:184
	s_waitcnt vmcnt(4)
	v_fma_f64 v[4:5], v[122:123], v[114:115], v[4:5]
	scratch_load_b128 v[112:115], off, off offset:200
	s_waitcnt lgkmcnt(0)
	v_fma_f64 v[4:5], v[124:125], v[126:127], v[4:5]
	ds_load_b128 v[120:123], v1 offset:512
	ds_load_b128 v[124:127], v1 offset:528
	s_waitcnt vmcnt(4)
	v_fma_f64 v[4:5], v[104:105], v[128:129], v[4:5]
	s_waitcnt lgkmcnt(1)
	s_delay_alu instid0(VALU_DEP_1) | instskip(SKIP_4) | instid1(VALU_DEP_1)
	v_fma_f64 v[4:5], v[106:107], v[120:121], v[4:5]
	scratch_load_b128 v[104:107], off, off offset:216
	s_waitcnt vmcnt(4)
	v_fma_f64 v[4:5], v[116:117], v[122:123], v[4:5]
	s_waitcnt lgkmcnt(0)
	v_fma_f64 v[4:5], v[118:119], v[124:125], v[4:5]
	scratch_load_b128 v[116:119], off, off offset:232
	s_waitcnt vmcnt(4)
	v_fma_f64 v[4:5], v[108:109], v[126:127], v[4:5]
	ds_load_b128 v[120:123], v1 offset:544
	ds_load_b128 v[124:127], v1 offset:560
	s_waitcnt lgkmcnt(1)
	v_fma_f64 v[4:5], v[110:111], v[120:121], v[4:5]
	scratch_load_b128 v[108:111], off, off offset:248
	s_waitcnt vmcnt(4)
	v_fma_f64 v[4:5], v[100:101], v[122:123], v[4:5]
	s_waitcnt lgkmcnt(0)
	s_delay_alu instid0(VALU_DEP_1)
	v_fma_f64 v[4:5], v[102:103], v[124:125], v[4:5]
	scratch_load_b128 v[100:103], off, off offset:264
	s_waitcnt vmcnt(4)
	v_fma_f64 v[4:5], v[112:113], v[126:127], v[4:5]
	ds_load_b128 v[120:123], v1 offset:576
	ds_load_b128 v[124:127], v1 offset:592
	s_waitcnt lgkmcnt(1)
	v_fma_f64 v[4:5], v[114:115], v[120:121], v[4:5]
	scratch_load_b128 v[112:115], off, off offset:280
	s_waitcnt vmcnt(4)
	v_fma_f64 v[4:5], v[104:105], v[122:123], v[4:5]
	s_waitcnt lgkmcnt(0)
	s_delay_alu instid0(VALU_DEP_1)
	;; [unrolled: 13-line block ×4, first 2 shown]
	v_fma_f64 v[4:5], v[114:115], v[124:125], v[4:5]
	scratch_load_b64 v[124:125], off, off offset:360
	ds_load_b128 v[112:115], v1 offset:672
	ds_load_b128 v[120:123], v1 offset:688
	s_waitcnt vmcnt(4)
	v_fma_f64 v[4:5], v[104:105], v[126:127], v[4:5]
	s_waitcnt lgkmcnt(1)
	s_delay_alu instid0(VALU_DEP_1) | instskip(SKIP_1) | instid1(VALU_DEP_1)
	v_fma_f64 v[4:5], v[106:107], v[112:113], v[4:5]
	s_waitcnt vmcnt(3)
	v_fma_f64 v[4:5], v[116:117], v[114:115], v[4:5]
	ds_load_b128 v[104:107], v1 offset:704
	ds_load_b128 v[112:115], v1 offset:720
	s_waitcnt lgkmcnt(2)
	v_fma_f64 v[4:5], v[118:119], v[120:121], v[4:5]
	s_waitcnt vmcnt(2)
	s_delay_alu instid0(VALU_DEP_1) | instskip(SKIP_1) | instid1(VALU_DEP_1)
	v_fma_f64 v[4:5], v[108:109], v[122:123], v[4:5]
	s_waitcnt lgkmcnt(1)
	v_fma_f64 v[1:2], v[110:111], v[104:105], v[4:5]
	s_waitcnt vmcnt(1)
	s_delay_alu instid0(VALU_DEP_1) | instskip(SKIP_1) | instid1(VALU_DEP_1)
	v_fma_f64 v[1:2], v[100:101], v[106:107], v[1:2]
	s_waitcnt lgkmcnt(0)
	v_fma_f64 v[1:2], v[102:103], v[112:113], v[1:2]
	s_waitcnt vmcnt(0)
	s_delay_alu instid0(VALU_DEP_1) | instskip(NEXT) | instid1(VALU_DEP_1)
	v_fma_f64 v[1:2], v[124:125], v[114:115], v[1:2]
	v_add_f64 v[1:2], v[98:99], -v[1:2]
	scratch_store_b64 off, v[1:2], off offset:8
	v_cmpx_ne_u32_e32 0, v0
	s_cbranch_execz .LBB45_285
; %bb.284:
	scratch_load_b64 v[0:1], off, off
	v_mov_b32_e32 v4, 0
	s_delay_alu instid0(VALU_DEP_1)
	v_mov_b32_e32 v5, v4
	scratch_store_b64 off, v[4:5], off
	s_waitcnt vmcnt(0)
	ds_store_b64 v3, v[0:1]
.LBB45_285:
	s_or_b32 exec_lo, exec_lo, s0
	s_waitcnt lgkmcnt(0)
	s_waitcnt_vscnt null, 0x0
	s_barrier
	buffer_gl0_inv
	s_clause 0x4
	scratch_load_b128 v[0:3], off, off
	scratch_load_b128 v[98:101], off, off offset:16
	scratch_load_b128 v[102:105], off, off offset:32
	;; [unrolled: 1-line block ×4, first 2 shown]
	v_mov_b32_e32 v122, 0
	ds_load_2addr_b64 v[114:117], v122 offset0:47 offset1:48
	ds_load_2addr_b64 v[118:121], v122 offset0:49 offset1:50
	s_and_b32 vcc_lo, exec_lo, s16
	s_waitcnt vmcnt(4) lgkmcnt(1)
	v_fma_f64 v[114:115], v[2:3], v[114:115], 0
	scratch_load_b128 v[2:5], off, off offset:80
	s_waitcnt vmcnt(4)
	v_fma_f64 v[98:99], v[98:99], v[116:117], v[114:115]
	s_waitcnt lgkmcnt(0)
	s_delay_alu instid0(VALU_DEP_1)
	v_fma_f64 v[114:115], v[100:101], v[118:119], v[98:99]
	scratch_load_b128 v[98:101], off, off offset:96
	s_waitcnt vmcnt(4)
	v_fma_f64 v[102:103], v[102:103], v[120:121], v[114:115]
	ds_load_2addr_b64 v[114:117], v122 offset0:51 offset1:52
	ds_load_2addr_b64 v[118:121], v122 offset0:53 offset1:54
	s_waitcnt lgkmcnt(1)
	v_fma_f64 v[114:115], v[104:105], v[114:115], v[102:103]
	scratch_load_b128 v[102:105], off, off offset:112
	s_waitcnt vmcnt(4)
	v_fma_f64 v[106:107], v[106:107], v[116:117], v[114:115]
	s_waitcnt lgkmcnt(0)
	s_delay_alu instid0(VALU_DEP_1)
	v_fma_f64 v[114:115], v[108:109], v[118:119], v[106:107]
	scratch_load_b128 v[106:109], off, off offset:128
	s_waitcnt vmcnt(4)
	v_fma_f64 v[110:111], v[110:111], v[120:121], v[114:115]
	ds_load_2addr_b64 v[114:117], v122 offset0:55 offset1:56
	ds_load_2addr_b64 v[118:121], v122 offset0:57 offset1:58
	s_waitcnt lgkmcnt(1)
	;; [unrolled: 13-line block ×7, first 2 shown]
	v_fma_f64 v[114:115], v[112:113], v[114:115], v[110:111]
	scratch_load_b128 v[110:113], off, off offset:304
	s_waitcnt vmcnt(4)
	v_fma_f64 v[2:3], v[2:3], v[116:117], v[114:115]
	scratch_load_b128 v[114:117], off, off offset:320
	s_waitcnt lgkmcnt(0)
	v_fma_f64 v[2:3], v[4:5], v[118:119], v[2:3]
	s_waitcnt vmcnt(4)
	s_delay_alu instid0(VALU_DEP_1)
	v_fma_f64 v[98:99], v[98:99], v[120:121], v[2:3]
	ds_load_2addr_b64 v[2:5], v122 offset0:79 offset1:80
	ds_load_2addr_b64 v[118:121], v122 offset0:81 offset1:82
	s_waitcnt lgkmcnt(1)
	v_fma_f64 v[2:3], v[100:101], v[2:3], v[98:99]
	scratch_load_b128 v[98:101], off, off offset:336
	s_waitcnt vmcnt(4)
	v_fma_f64 v[2:3], v[102:103], v[4:5], v[2:3]
	s_waitcnt lgkmcnt(0)
	s_delay_alu instid0(VALU_DEP_1)
	v_fma_f64 v[102:103], v[104:105], v[118:119], v[2:3]
	scratch_load_b128 v[2:5], off, off offset:352
	s_waitcnt vmcnt(4)
	v_fma_f64 v[106:107], v[106:107], v[120:121], v[102:103]
	ds_load_2addr_b64 v[102:105], v122 offset0:83 offset1:84
	ds_load_2addr_b64 v[118:121], v122 offset0:85 offset1:86
	s_waitcnt lgkmcnt(1)
	v_fma_f64 v[102:103], v[108:109], v[102:103], v[106:107]
	s_waitcnt vmcnt(3)
	s_delay_alu instid0(VALU_DEP_1) | instskip(SKIP_1) | instid1(VALU_DEP_1)
	v_fma_f64 v[102:103], v[110:111], v[104:105], v[102:103]
	s_waitcnt lgkmcnt(0)
	v_fma_f64 v[102:103], v[112:113], v[118:119], v[102:103]
	s_waitcnt vmcnt(2)
	s_delay_alu instid0(VALU_DEP_1)
	v_fma_f64 v[110:111], v[114:115], v[120:121], v[102:103]
	ds_load_2addr_b64 v[102:105], v122 offset0:87 offset1:88
	ds_load_2addr_b64 v[106:109], v122 offset0:89 offset1:90
	s_waitcnt lgkmcnt(1)
	v_fma_f64 v[102:103], v[116:117], v[102:103], v[110:111]
	s_waitcnt vmcnt(1)
	s_delay_alu instid0(VALU_DEP_1) | instskip(SKIP_1) | instid1(VALU_DEP_1)
	v_fma_f64 v[98:99], v[98:99], v[104:105], v[102:103]
	s_waitcnt lgkmcnt(0)
	v_fma_f64 v[98:99], v[100:101], v[106:107], v[98:99]
	ds_load_b64 v[100:101], v122 offset:728
	s_waitcnt vmcnt(0)
	v_fma_f64 v[98:99], v[2:3], v[108:109], v[98:99]
	s_waitcnt lgkmcnt(0)
	s_delay_alu instid0(VALU_DEP_1) | instskip(NEXT) | instid1(VALU_DEP_1)
	v_fma_f64 v[4:5], v[4:5], v[100:101], v[98:99]
	v_add_f64 v[0:1], v[0:1], -v[4:5]
	scratch_store_b64 off, v[0:1], off
	s_cbranch_vccz .LBB45_377
; %bb.286:
	v_dual_mov_b32 v0, s12 :: v_dual_mov_b32 v1, s13
	s_mov_b32 s0, exec_lo
	flat_load_b32 v0, v[0:1] offset:176
	s_waitcnt vmcnt(0) lgkmcnt(0)
	v_cmpx_ne_u32_e32 45, v0
	s_cbranch_execz .LBB45_288
; %bb.287:
	v_lshl_add_u32 v4, v0, 3, 0
	scratch_load_b64 v[0:1], v4, off offset:-8
	s_waitcnt vmcnt(0)
	scratch_store_b64 off, v[0:1], off offset:352
	scratch_store_b64 v4, v[2:3], off offset:-8
.LBB45_288:
	s_or_b32 exec_lo, exec_lo, s0
	v_dual_mov_b32 v0, s12 :: v_dual_mov_b32 v1, s13
	s_mov_b32 s0, exec_lo
	flat_load_b32 v0, v[0:1] offset:172
	s_waitcnt vmcnt(0) lgkmcnt(0)
	v_cmpx_ne_u32_e32 44, v0
	s_cbranch_execz .LBB45_290
; %bb.289:
	v_lshl_add_u32 v4, v0, 3, 0
	scratch_load_b64 v[0:1], v4, off offset:-8
	scratch_load_b64 v[2:3], off, off offset:344
	s_waitcnt vmcnt(1)
	scratch_store_b64 off, v[0:1], off offset:344
	s_waitcnt vmcnt(0)
	scratch_store_b64 v4, v[2:3], off offset:-8
.LBB45_290:
	s_or_b32 exec_lo, exec_lo, s0
	v_dual_mov_b32 v0, s12 :: v_dual_mov_b32 v1, s13
	s_mov_b32 s0, exec_lo
	flat_load_b32 v0, v[0:1] offset:168
	s_waitcnt vmcnt(0) lgkmcnt(0)
	v_cmpx_ne_u32_e32 43, v0
	s_cbranch_execz .LBB45_292
; %bb.291:
	v_lshl_add_u32 v4, v0, 3, 0
	scratch_load_b64 v[0:1], v4, off offset:-8
	scratch_load_b64 v[2:3], off, off offset:336
	s_waitcnt vmcnt(1)
	scratch_store_b64 off, v[0:1], off offset:336
	s_waitcnt vmcnt(0)
	scratch_store_b64 v4, v[2:3], off offset:-8
.LBB45_292:
	;; [unrolled: 16-line block ×43, first 2 shown]
	s_or_b32 exec_lo, exec_lo, s0
	v_dual_mov_b32 v0, s12 :: v_dual_mov_b32 v1, s13
	s_mov_b32 s0, exec_lo
	flat_load_b32 v2, v[0:1]
	scratch_load_b64 v[0:1], off, off
	s_waitcnt vmcnt(1) lgkmcnt(0)
	v_cmpx_ne_u32_e32 1, v2
	s_cbranch_execz .LBB45_376
; %bb.375:
	v_lshl_add_u32 v4, v2, 3, 0
	scratch_load_b64 v[2:3], v4, off offset:-8
	s_waitcnt vmcnt(0)
	scratch_store_b64 off, v[2:3], off
	scratch_store_b64 v4, v[0:1], off offset:-8
	scratch_load_b64 v[0:1], off, off
.LBB45_376:
	s_or_b32 exec_lo, exec_lo, s0
.LBB45_377:
	s_clause 0xa
	scratch_load_b128 v[2:5], off, off offset:8
	scratch_load_b128 v[98:101], off, off offset:24
	;; [unrolled: 1-line block ×11, first 2 shown]
	s_waitcnt vmcnt(11)
	global_store_b64 v[24:25], v[0:1], off
	s_clause 0x1
	scratch_load_b128 v[138:141], off, off offset:184
	scratch_load_b128 v[142:145], off, off offset:216
	s_waitcnt vmcnt(12)
	s_clause 0x1
	global_store_b64 v[14:15], v[2:3], off
	global_store_b64 v[10:11], v[4:5], off
	s_waitcnt vmcnt(11)
	global_store_b64 v[6:7], v[98:99], off
	scratch_load_b128 v[4:7], off, off offset:232
	global_store_b64 v[34:35], v[100:101], off
	s_waitcnt vmcnt(11)
	s_clause 0x1
	global_store_b64 v[32:33], v[102:103], off
	global_store_b64 v[26:27], v[104:105], off
	s_waitcnt vmcnt(10)
	s_clause 0x1
	global_store_b64 v[28:29], v[106:107], off
	;; [unrolled: 4-line block ×3, first 2 shown]
	global_store_b64 v[16:17], v[112:113], off
	s_clause 0x8
	scratch_load_b128 v[0:3], off, off offset:200
	scratch_load_b128 v[98:101], off, off offset:248
	;; [unrolled: 1-line block ×8, first 2 shown]
	scratch_load_b64 v[10:11], off, off offset:360
	s_waitcnt vmcnt(17)
	s_clause 0x1
	global_store_b64 v[8:9], v[114:115], off
	global_store_b64 v[12:13], v[116:117], off
	s_waitcnt vmcnt(16)
	s_clause 0x1
	global_store_b64 v[22:23], v[118:119], off
	global_store_b64 v[30:31], v[120:121], off
	s_waitcnt vmcnt(15)
	s_clause 0x1
	global_store_b64 v[36:37], v[122:123], off
	global_store_b64 v[38:39], v[124:125], off
	s_waitcnt vmcnt(14)
	s_clause 0x1
	global_store_b64 v[40:41], v[126:127], off
	global_store_b64 v[44:45], v[128:129], off
	s_waitcnt vmcnt(13)
	s_clause 0x1
	global_store_b64 v[46:47], v[130:131], off
	global_store_b64 v[48:49], v[132:133], off
	s_waitcnt vmcnt(12)
	s_clause 0x1
	global_store_b64 v[50:51], v[134:135], off
	global_store_b64 v[52:53], v[136:137], off
	s_waitcnt vmcnt(11)
	s_clause 0x1
	global_store_b64 v[54:55], v[138:139], off
	global_store_b64 v[56:57], v[140:141], off
	s_waitcnt vmcnt(8)
	s_clause 0x5
	global_store_b64 v[58:59], v[0:1], off
	global_store_b64 v[60:61], v[2:3], off
	global_store_b64 v[62:63], v[142:143], off
	global_store_b64 v[64:65], v[144:145], off
	;; [unrolled: 1-line block ×4, first 2 shown]
	s_waitcnt vmcnt(7)
	s_clause 0x1
	global_store_b64 v[70:71], v[98:99], off
	global_store_b64 v[72:73], v[100:101], off
	s_waitcnt vmcnt(6)
	s_clause 0x1
	global_store_b64 v[74:75], v[32:33], off
	global_store_b64 v[76:77], v[34:35], off
	;; [unrolled: 4-line block ×7, first 2 shown]
	s_waitcnt vmcnt(0)
	global_store_b64 v[42:43], v[10:11], off
	s_endpgm
	.section	.rodata,"a",@progbits
	.p2align	6, 0x0
	.amdhsa_kernel _ZN9rocsolver6v33100L18getri_kernel_smallILi46EdPdEEvT1_iilPiilS4_bb
		.amdhsa_group_segment_fixed_size 744
		.amdhsa_private_segment_fixed_size 384
		.amdhsa_kernarg_size 60
		.amdhsa_user_sgpr_count 15
		.amdhsa_user_sgpr_dispatch_ptr 0
		.amdhsa_user_sgpr_queue_ptr 0
		.amdhsa_user_sgpr_kernarg_segment_ptr 1
		.amdhsa_user_sgpr_dispatch_id 0
		.amdhsa_user_sgpr_private_segment_size 0
		.amdhsa_wavefront_size32 1
		.amdhsa_uses_dynamic_stack 0
		.amdhsa_enable_private_segment 1
		.amdhsa_system_sgpr_workgroup_id_x 1
		.amdhsa_system_sgpr_workgroup_id_y 0
		.amdhsa_system_sgpr_workgroup_id_z 0
		.amdhsa_system_sgpr_workgroup_info 0
		.amdhsa_system_vgpr_workitem_id 0
		.amdhsa_next_free_vgpr 146
		.amdhsa_next_free_sgpr 18
		.amdhsa_reserve_vcc 1
		.amdhsa_float_round_mode_32 0
		.amdhsa_float_round_mode_16_64 0
		.amdhsa_float_denorm_mode_32 3
		.amdhsa_float_denorm_mode_16_64 3
		.amdhsa_dx10_clamp 1
		.amdhsa_ieee_mode 1
		.amdhsa_fp16_overflow 0
		.amdhsa_workgroup_processor_mode 1
		.amdhsa_memory_ordered 1
		.amdhsa_forward_progress 0
		.amdhsa_shared_vgpr_count 0
		.amdhsa_exception_fp_ieee_invalid_op 0
		.amdhsa_exception_fp_denorm_src 0
		.amdhsa_exception_fp_ieee_div_zero 0
		.amdhsa_exception_fp_ieee_overflow 0
		.amdhsa_exception_fp_ieee_underflow 0
		.amdhsa_exception_fp_ieee_inexact 0
		.amdhsa_exception_int_div_zero 0
	.end_amdhsa_kernel
	.section	.text._ZN9rocsolver6v33100L18getri_kernel_smallILi46EdPdEEvT1_iilPiilS4_bb,"axG",@progbits,_ZN9rocsolver6v33100L18getri_kernel_smallILi46EdPdEEvT1_iilPiilS4_bb,comdat
.Lfunc_end45:
	.size	_ZN9rocsolver6v33100L18getri_kernel_smallILi46EdPdEEvT1_iilPiilS4_bb, .Lfunc_end45-_ZN9rocsolver6v33100L18getri_kernel_smallILi46EdPdEEvT1_iilPiilS4_bb
                                        ; -- End function
	.section	.AMDGPU.csdata,"",@progbits
; Kernel info:
; codeLenInByte = 42460
; NumSgprs: 20
; NumVgprs: 146
; ScratchSize: 384
; MemoryBound: 0
; FloatMode: 240
; IeeeMode: 1
; LDSByteSize: 744 bytes/workgroup (compile time only)
; SGPRBlocks: 2
; VGPRBlocks: 18
; NumSGPRsForWavesPerEU: 20
; NumVGPRsForWavesPerEU: 146
; Occupancy: 9
; WaveLimiterHint : 1
; COMPUTE_PGM_RSRC2:SCRATCH_EN: 1
; COMPUTE_PGM_RSRC2:USER_SGPR: 15
; COMPUTE_PGM_RSRC2:TRAP_HANDLER: 0
; COMPUTE_PGM_RSRC2:TGID_X_EN: 1
; COMPUTE_PGM_RSRC2:TGID_Y_EN: 0
; COMPUTE_PGM_RSRC2:TGID_Z_EN: 0
; COMPUTE_PGM_RSRC2:TIDIG_COMP_CNT: 0
	.section	.text._ZN9rocsolver6v33100L18getri_kernel_smallILi47EdPdEEvT1_iilPiilS4_bb,"axG",@progbits,_ZN9rocsolver6v33100L18getri_kernel_smallILi47EdPdEEvT1_iilPiilS4_bb,comdat
	.globl	_ZN9rocsolver6v33100L18getri_kernel_smallILi47EdPdEEvT1_iilPiilS4_bb ; -- Begin function _ZN9rocsolver6v33100L18getri_kernel_smallILi47EdPdEEvT1_iilPiilS4_bb
	.p2align	8
	.type	_ZN9rocsolver6v33100L18getri_kernel_smallILi47EdPdEEvT1_iilPiilS4_bb,@function
_ZN9rocsolver6v33100L18getri_kernel_smallILi47EdPdEEvT1_iilPiilS4_bb: ; @_ZN9rocsolver6v33100L18getri_kernel_smallILi47EdPdEEvT1_iilPiilS4_bb
; %bb.0:
	s_mov_b32 s2, exec_lo
	v_cmpx_gt_u32_e32 47, v0
	s_cbranch_execz .LBB46_198
; %bb.1:
	s_clause 0x2
	s_load_b32 s17, s[0:1], 0x38
	s_load_b128 s[8:11], s[0:1], 0x10
	s_load_b128 s[4:7], s[0:1], 0x28
	s_mov_b32 s14, s15
                                        ; implicit-def: $sgpr12_sgpr13
	s_waitcnt lgkmcnt(0)
	s_bitcmp1_b32 s17, 8
	s_cselect_b32 s16, -1, 0
	s_bfe_u32 s2, s17, 0x10008
	s_ashr_i32 s15, s15, 31
	s_cmp_eq_u32 s2, 0
	s_cbranch_scc1 .LBB46_3
; %bb.2:
	s_load_b32 s2, s[0:1], 0x20
	s_mul_i32 s3, s14, s5
	s_mul_hi_u32 s5, s14, s4
	s_mul_i32 s12, s15, s4
	s_add_i32 s3, s5, s3
	s_mul_i32 s4, s14, s4
	s_add_i32 s5, s3, s12
	s_delay_alu instid0(SALU_CYCLE_1)
	s_lshl_b64 s[4:5], s[4:5], 2
	s_waitcnt lgkmcnt(0)
	s_ashr_i32 s3, s2, 31
	s_add_u32 s4, s10, s4
	s_addc_u32 s5, s11, s5
	s_lshl_b64 s[2:3], s[2:3], 2
	s_delay_alu instid0(SALU_CYCLE_1)
	s_add_u32 s12, s4, s2
	s_addc_u32 s13, s5, s3
.LBB46_3:
	s_load_b128 s[0:3], s[0:1], 0x0
	s_mul_i32 s4, s14, s9
	s_mul_hi_u32 s5, s14, s8
	s_mul_i32 s9, s15, s8
	s_add_i32 s5, s5, s4
	s_mul_i32 s4, s14, s8
	s_add_i32 s5, s5, s9
	v_lshlrev_b32_e32 v3, 3, v0
	s_lshl_b64 s[4:5], s[4:5], 3
	s_waitcnt lgkmcnt(0)
	s_ashr_i32 s9, s2, 31
	s_mov_b32 s8, s2
	v_add3_u32 v1, s3, s3, v0
	s_add_u32 s2, s0, s4
	s_addc_u32 s5, s1, s5
	s_lshl_b64 s[0:1], s[8:9], 3
	s_mov_b32 s4, s3
	s_add_u32 s0, s2, s0
	v_add_nc_u32_e32 v4, s3, v1
	s_addc_u32 s1, s5, s1
	v_add_co_u32 v30, s2, s0, v3
	s_ashr_i32 s5, s3, 31
	v_add_co_ci_u32_e64 v31, null, s1, 0, s2
	s_lshl_b64 s[4:5], s[4:5], 3
	v_ashrrev_i32_e32 v2, 31, v1
	v_add_co_u32 v10, vcc_lo, v30, s4
	v_add_nc_u32_e32 v6, s3, v4
	v_add_co_ci_u32_e32 v11, vcc_lo, s5, v31, vcc_lo
	v_ashrrev_i32_e32 v5, 31, v4
	v_lshlrev_b64 v[1:2], 3, v[1:2]
	s_delay_alu instid0(VALU_DEP_4)
	v_add_nc_u32_e32 v14, s3, v6
	s_clause 0x1
	global_load_b64 v[52:53], v3, s[0:1]
	global_load_b64 v[54:55], v[10:11], off
	v_lshlrev_b64 v[4:5], 3, v[4:5]
	v_ashrrev_i32_e32 v7, 31, v6
	v_add_co_u32 v18, vcc_lo, s0, v1
	v_ashrrev_i32_e32 v15, 31, v14
	v_add_co_ci_u32_e32 v19, vcc_lo, s1, v2, vcc_lo
	s_delay_alu instid0(VALU_DEP_4) | instskip(SKIP_3) | instid1(VALU_DEP_4)
	v_lshlrev_b64 v[1:2], 3, v[6:7]
	v_add_co_u32 v8, vcc_lo, s0, v4
	v_add_co_ci_u32_e32 v9, vcc_lo, s1, v5, vcc_lo
	v_lshlrev_b64 v[4:5], 3, v[14:15]
	v_add_co_u32 v12, vcc_lo, s0, v1
	v_add_co_ci_u32_e32 v13, vcc_lo, s1, v2, vcc_lo
	v_add_nc_u32_e32 v1, s3, v14
	s_delay_alu instid0(VALU_DEP_4)
	v_add_co_u32 v6, vcc_lo, s0, v4
	v_add_co_ci_u32_e32 v7, vcc_lo, s1, v5, vcc_lo
	s_clause 0x3
	global_load_b64 v[60:61], v[18:19], off
	global_load_b64 v[62:63], v[8:9], off
	;; [unrolled: 1-line block ×4, first 2 shown]
	v_add_nc_u32_e32 v4, s3, v1
	v_ashrrev_i32_e32 v2, 31, v1
	s_bitcmp0_b32 s17, 0
	s_delay_alu instid0(VALU_DEP_2) | instskip(SKIP_1) | instid1(VALU_DEP_3)
	v_add_nc_u32_e32 v14, s3, v4
	v_ashrrev_i32_e32 v5, 31, v4
	v_lshlrev_b64 v[1:2], 3, v[1:2]
	s_delay_alu instid0(VALU_DEP_3) | instskip(NEXT) | instid1(VALU_DEP_3)
	v_add_nc_u32_e32 v16, s3, v14
	v_lshlrev_b64 v[4:5], 3, v[4:5]
	v_ashrrev_i32_e32 v15, 31, v14
	s_delay_alu instid0(VALU_DEP_4) | instskip(NEXT) | instid1(VALU_DEP_4)
	v_add_co_u32 v34, vcc_lo, s0, v1
	v_add_nc_u32_e32 v20, s3, v16
	v_ashrrev_i32_e32 v17, 31, v16
	v_add_co_ci_u32_e32 v35, vcc_lo, s1, v2, vcc_lo
	v_lshlrev_b64 v[1:2], 3, v[14:15]
	s_delay_alu instid0(VALU_DEP_4) | instskip(SKIP_2) | instid1(VALU_DEP_3)
	v_add_nc_u32_e32 v22, s3, v20
	v_add_co_u32 v24, vcc_lo, s0, v4
	v_add_co_ci_u32_e32 v25, vcc_lo, s1, v5, vcc_lo
	v_add_nc_u32_e32 v28, s3, v22
	v_lshlrev_b64 v[4:5], 3, v[16:17]
	v_ashrrev_i32_e32 v21, 31, v20
	v_add_co_u32 v32, vcc_lo, s0, v1
	s_delay_alu instid0(VALU_DEP_4) | instskip(SKIP_3) | instid1(VALU_DEP_4)
	v_add_nc_u32_e32 v36, s3, v28
	v_ashrrev_i32_e32 v23, 31, v22
	v_add_co_ci_u32_e32 v33, vcc_lo, s1, v2, vcc_lo
	v_lshlrev_b64 v[1:2], 3, v[20:21]
	v_add_nc_u32_e32 v38, s3, v36
	v_add_co_u32 v16, vcc_lo, s0, v4
	v_add_co_ci_u32_e32 v17, vcc_lo, s1, v5, vcc_lo
	s_delay_alu instid0(VALU_DEP_3) | instskip(SKIP_3) | instid1(VALU_DEP_4)
	v_add_nc_u32_e32 v40, s3, v38
	v_lshlrev_b64 v[4:5], 3, v[22:23]
	v_ashrrev_i32_e32 v29, 31, v28
	v_add_co_u32 v26, vcc_lo, s0, v1
	v_add_nc_u32_e32 v42, s3, v40
	v_ashrrev_i32_e32 v37, 31, v36
	v_add_co_ci_u32_e32 v27, vcc_lo, s1, v2, vcc_lo
	v_lshlrev_b64 v[1:2], 3, v[28:29]
	s_delay_alu instid0(VALU_DEP_4) | instskip(SKIP_2) | instid1(VALU_DEP_3)
	v_add_nc_u32_e32 v44, s3, v42
	v_add_co_u32 v14, vcc_lo, s0, v4
	v_add_co_ci_u32_e32 v15, vcc_lo, s1, v5, vcc_lo
	v_add_nc_u32_e32 v46, s3, v44
	v_lshlrev_b64 v[4:5], 3, v[36:37]
	v_ashrrev_i32_e32 v39, 31, v38
	v_add_co_u32 v22, vcc_lo, s0, v1
	s_delay_alu instid0(VALU_DEP_4) | instskip(SKIP_3) | instid1(VALU_DEP_4)
	v_add_nc_u32_e32 v48, s3, v46
	v_ashrrev_i32_e32 v41, 31, v40
	v_add_co_ci_u32_e32 v23, vcc_lo, s1, v2, vcc_lo
	v_lshlrev_b64 v[1:2], 3, v[38:39]
	v_add_nc_u32_e32 v50, s3, v48
	v_add_co_u32 v20, vcc_lo, s0, v4
	v_add_co_ci_u32_e32 v21, vcc_lo, s1, v5, vcc_lo
	s_delay_alu instid0(VALU_DEP_3) | instskip(SKIP_3) | instid1(VALU_DEP_4)
	v_add_nc_u32_e32 v56, s3, v50
	v_lshlrev_b64 v[4:5], 3, v[40:41]
	v_ashrrev_i32_e32 v43, 31, v42
	v_add_co_u32 v28, vcc_lo, s0, v1
	v_add_nc_u32_e32 v58, s3, v56
	v_ashrrev_i32_e32 v45, 31, v44
	v_add_co_ci_u32_e32 v29, vcc_lo, s1, v2, vcc_lo
	v_lshlrev_b64 v[1:2], 3, v[42:43]
	s_delay_alu instid0(VALU_DEP_4)
	v_add_nc_u32_e32 v100, s3, v58
	s_clause 0x2
	global_load_b64 v[68:69], v[34:35], off
	global_load_b64 v[70:71], v[24:25], off
	;; [unrolled: 1-line block ×3, first 2 shown]
	v_add_co_u32 v36, vcc_lo, s0, v4
	global_load_b64 v[74:75], v[16:17], off
	v_add_nc_u32_e32 v102, s3, v100
	v_add_co_ci_u32_e32 v37, vcc_lo, s1, v5, vcc_lo
	v_lshlrev_b64 v[4:5], 3, v[44:45]
	v_add_co_u32 v38, vcc_lo, s0, v1
	s_delay_alu instid0(VALU_DEP_4) | instskip(SKIP_3) | instid1(VALU_DEP_4)
	v_add_nc_u32_e32 v104, s3, v102
	v_ashrrev_i32_e32 v47, 31, v46
	v_add_co_ci_u32_e32 v39, vcc_lo, s1, v2, vcc_lo
	v_ashrrev_i32_e32 v49, 31, v48
	v_add_nc_u32_e32 v108, s3, v104
	v_add_co_u32 v40, vcc_lo, s0, v4
	s_clause 0x2
	global_load_b64 v[76:77], v[26:27], off
	global_load_b64 v[78:79], v[14:15], off
	;; [unrolled: 1-line block ×3, first 2 shown]
	v_lshlrev_b64 v[1:2], 3, v[46:47]
	v_add_nc_u32_e32 v110, s3, v108
	global_load_b64 v[82:83], v[20:21], off
	v_lshlrev_b64 v[42:43], 3, v[48:49]
	v_ashrrev_i32_e32 v51, 31, v50
	v_add_co_ci_u32_e32 v41, vcc_lo, s1, v5, vcc_lo
	v_add_nc_u32_e32 v112, s3, v110
	v_add_co_u32 v44, vcc_lo, s0, v1
	v_add_co_ci_u32_e32 v45, vcc_lo, s1, v2, vcc_lo
	s_delay_alu instid0(VALU_DEP_3) | instskip(SKIP_3) | instid1(VALU_DEP_4)
	v_add_nc_u32_e32 v114, s3, v112
	v_lshlrev_b64 v[1:2], 3, v[50:51]
	v_ashrrev_i32_e32 v57, 31, v56
	v_add_co_u32 v46, vcc_lo, s0, v42
	v_add_nc_u32_e32 v116, s3, v114
	v_add_co_ci_u32_e32 v47, vcc_lo, s1, v43, vcc_lo
	s_clause 0x3
	global_load_b64 v[84:85], v[28:29], off
	global_load_b64 v[86:87], v[36:37], off
	global_load_b64 v[88:89], v[38:39], off
	global_load_b64 v[90:91], v[40:41], off
	v_add_nc_u32_e32 v118, s3, v116
	v_lshlrev_b64 v[50:51], 3, v[56:57]
	v_ashrrev_i32_e32 v59, 31, v58
	v_ashrrev_i32_e32 v101, 31, v100
	;; [unrolled: 1-line block ×3, first 2 shown]
	v_add_nc_u32_e32 v120, s3, v118
	v_ashrrev_i32_e32 v105, 31, v104
	v_ashrrev_i32_e32 v109, 31, v108
	;; [unrolled: 1-line block ×3, first 2 shown]
	v_lshlrev_b64 v[56:57], 3, v[102:103]
	v_add_nc_u32_e32 v122, s3, v120
	v_ashrrev_i32_e32 v113, 31, v112
	v_ashrrev_i32_e32 v115, 31, v114
	;; [unrolled: 1-line block ×4, first 2 shown]
	v_add_nc_u32_e32 v124, s3, v122
	v_ashrrev_i32_e32 v121, 31, v120
	v_ashrrev_i32_e32 v123, 31, v122
	s_delay_alu instid0(VALU_DEP_3) | instskip(SKIP_1) | instid1(VALU_DEP_2)
	v_add_nc_u32_e32 v126, s3, v124
	v_ashrrev_i32_e32 v125, 31, v124
	v_add_nc_u32_e32 v128, s3, v126
	v_ashrrev_i32_e32 v127, 31, v126
	s_delay_alu instid0(VALU_DEP_2) | instskip(SKIP_1) | instid1(VALU_DEP_2)
	v_add_nc_u32_e32 v130, s3, v128
	v_ashrrev_i32_e32 v129, 31, v128
	v_add_nc_u32_e32 v132, s3, v130
	v_ashrrev_i32_e32 v131, 31, v130
	s_delay_alu instid0(VALU_DEP_2) | instskip(SKIP_1) | instid1(VALU_DEP_2)
	;; [unrolled: 5-line block ×5, first 2 shown]
	v_add_nc_u32_e32 v4, s3, v144
	v_ashrrev_i32_e32 v145, 31, v144
	v_add_nc_u32_e32 v48, s3, v4
	v_ashrrev_i32_e32 v5, 31, v4
	s_delay_alu instid0(VALU_DEP_2) | instskip(NEXT) | instid1(VALU_DEP_2)
	v_ashrrev_i32_e32 v49, 31, v48
	v_lshlrev_b64 v[4:5], 3, v[4:5]
	s_delay_alu instid0(VALU_DEP_2) | instskip(SKIP_2) | instid1(VALU_DEP_3)
	v_lshlrev_b64 v[42:43], 3, v[48:49]
	v_add_co_u32 v48, vcc_lo, s0, v1
	v_add_co_ci_u32_e32 v49, vcc_lo, s1, v2, vcc_lo
	v_add_co_u32 v42, vcc_lo, s0, v42
	s_delay_alu instid0(VALU_DEP_4)
	v_add_co_ci_u32_e32 v43, vcc_lo, s1, v43, vcc_lo
	v_add_co_u32 v50, vcc_lo, s0, v50
	v_add_co_ci_u32_e32 v51, vcc_lo, s1, v51, vcc_lo
	global_load_b64 v[1:2], v[42:43], off
	s_waitcnt vmcnt(17)
	scratch_store_b128 off, v[52:55], off
	v_lshlrev_b64 v[52:53], 3, v[58:59]
	v_lshlrev_b64 v[54:55], 3, v[100:101]
	s_clause 0x3
	global_load_b64 v[92:93], v[44:45], off
	global_load_b64 v[94:95], v[46:47], off
	;; [unrolled: 1-line block ×4, first 2 shown]
	v_lshlrev_b64 v[58:59], 3, v[104:105]
	s_waitcnt vmcnt(19)
	scratch_store_b128 off, v[60:63], off offset:16
	s_waitcnt vmcnt(17)
	scratch_store_b128 off, v[64:67], off offset:32
	v_add_co_u32 v52, vcc_lo, s0, v52
	v_add_co_ci_u32_e32 v53, vcc_lo, s1, v53, vcc_lo
	v_add_co_u32 v54, vcc_lo, s0, v54
	v_add_co_ci_u32_e32 v55, vcc_lo, s1, v55, vcc_lo
	;; [unrolled: 2-line block ×4, first 2 shown]
	s_clause 0x3
	global_load_b64 v[100:101], v[52:53], off
	global_load_b64 v[102:103], v[54:55], off
	;; [unrolled: 1-line block ×4, first 2 shown]
	v_lshlrev_b64 v[60:61], 3, v[108:109]
	v_lshlrev_b64 v[62:63], 3, v[110:111]
	;; [unrolled: 1-line block ×5, first 2 shown]
	s_waitcnt vmcnt(19)
	scratch_store_b128 off, v[68:71], off offset:48
	s_waitcnt vmcnt(17)
	scratch_store_b128 off, v[72:75], off offset:64
	v_add_co_u32 v60, vcc_lo, s0, v60
	v_add_co_ci_u32_e32 v61, vcc_lo, s1, v61, vcc_lo
	v_add_co_u32 v62, vcc_lo, s0, v62
	v_add_co_ci_u32_e32 v63, vcc_lo, s1, v63, vcc_lo
	;; [unrolled: 2-line block ×3, first 2 shown]
	v_add_co_u32 v66, vcc_lo, s0, v66
	v_lshlrev_b64 v[70:71], 3, v[118:119]
	v_add_co_ci_u32_e32 v67, vcc_lo, s1, v67, vcc_lo
	v_add_co_u32 v68, vcc_lo, s0, v114
	v_lshlrev_b64 v[72:73], 3, v[120:121]
	v_add_co_ci_u32_e32 v69, vcc_lo, s1, v115, vcc_lo
	;; [unrolled: 3-line block ×4, first 2 shown]
	s_clause 0x2
	global_load_b64 v[108:109], v[60:61], off
	global_load_b64 v[110:111], v[62:63], off
	;; [unrolled: 1-line block ×3, first 2 shown]
	s_waitcnt vmcnt(18)
	scratch_store_b128 off, v[76:79], off offset:80
	s_waitcnt vmcnt(16)
	scratch_store_b128 off, v[80:83], off offset:96
	v_add_co_u32 v74, vcc_lo, s0, v74
	v_lshlrev_b64 v[78:79], 3, v[126:127]
	v_add_co_ci_u32_e32 v75, vcc_lo, s1, v75, vcc_lo
	v_add_co_u32 v76, vcc_lo, s0, v122
	v_lshlrev_b64 v[80:81], 3, v[128:129]
	v_add_co_ci_u32_e32 v77, vcc_lo, s1, v123, vcc_lo
	;; [unrolled: 3-line block ×4, first 2 shown]
	s_clause 0x3
	global_load_b64 v[114:115], v[66:67], off
	global_load_b64 v[116:117], v[68:69], off
	;; [unrolled: 1-line block ×4, first 2 shown]
	s_waitcnt vmcnt(18)
	scratch_store_b128 off, v[84:87], off offset:112
	s_waitcnt vmcnt(16)
	scratch_store_b128 off, v[88:91], off offset:128
	v_add_co_u32 v82, vcc_lo, s0, v82
	v_lshlrev_b64 v[86:87], 3, v[134:135]
	v_add_co_ci_u32_e32 v83, vcc_lo, s1, v83, vcc_lo
	v_add_co_u32 v84, vcc_lo, s0, v130
	v_lshlrev_b64 v[88:89], 3, v[136:137]
	v_add_co_ci_u32_e32 v85, vcc_lo, s1, v131, vcc_lo
	;; [unrolled: 3-line block ×4, first 2 shown]
	s_clause 0x3
	global_load_b64 v[122:123], v[74:75], off
	global_load_b64 v[124:125], v[76:77], off
	;; [unrolled: 1-line block ×4, first 2 shown]
	v_add_co_u32 v90, vcc_lo, s0, v90
	v_add_co_ci_u32_e32 v91, vcc_lo, s1, v91, vcc_lo
	s_waitcnt vmcnt(17)
	scratch_store_b128 off, v[92:95], off offset:144
	s_waitcnt vmcnt(15)
	scratch_store_b128 off, v[96:99], off offset:160
	v_lshlrev_b64 v[94:95], 3, v[142:143]
	v_add_co_u32 v92, vcc_lo, s0, v138
	v_lshlrev_b64 v[98:99], 3, v[144:145]
	v_add_co_ci_u32_e32 v93, vcc_lo, s1, v139, vcc_lo
	s_delay_alu instid0(VALU_DEP_4) | instskip(SKIP_1) | instid1(VALU_DEP_4)
	v_add_co_u32 v96, vcc_lo, s0, v94
	v_add_co_ci_u32_e32 v97, vcc_lo, s1, v95, vcc_lo
	v_add_co_u32 v98, vcc_lo, s0, v98
	v_add_co_ci_u32_e32 v99, vcc_lo, s1, v99, vcc_lo
	v_add_co_u32 v94, vcc_lo, s0, v4
	s_clause 0x3
	global_load_b64 v[130:131], v[82:83], off
	global_load_b64 v[132:133], v[84:85], off
	;; [unrolled: 1-line block ×4, first 2 shown]
	v_add_co_ci_u32_e32 v95, vcc_lo, s1, v5, vcc_lo
	s_waitcnt vmcnt(17)
	scratch_store_b128 off, v[100:103], off offset:176
	s_waitcnt vmcnt(15)
	scratch_store_b128 off, v[104:107], off offset:192
	s_clause 0x4
	global_load_b64 v[138:139], v[90:91], off
	global_load_b64 v[100:101], v[92:93], off
	;; [unrolled: 1-line block ×5, first 2 shown]
	s_mov_b32 s1, -1
	s_waitcnt vmcnt(18)
	scratch_store_b128 off, v[108:111], off offset:208
	s_waitcnt vmcnt(16)
	scratch_store_b128 off, v[112:115], off offset:224
	;; [unrolled: 2-line block ×9, first 2 shown]
	s_waitcnt vmcnt(0)
	s_clause 0x1
	scratch_store_b128 off, v[104:107], off offset:352
	scratch_store_b64 off, v[1:2], off offset:368
	s_cbranch_scc1 .LBB46_196
; %bb.4:
	v_cmp_eq_u32_e64 s0, 0, v0
	s_delay_alu instid0(VALU_DEP_1)
	s_and_saveexec_b32 s1, s0
	s_cbranch_execz .LBB46_6
; %bb.5:
	v_mov_b32_e32 v1, 0
	ds_store_b32 v1, v1 offset:376
.LBB46_6:
	s_or_b32 exec_lo, exec_lo, s1
	s_waitcnt lgkmcnt(0)
	s_waitcnt_vscnt null, 0x0
	s_barrier
	buffer_gl0_inv
	scratch_load_b64 v[1:2], v3, off
	s_mov_b32 s2, exec_lo
	s_waitcnt vmcnt(0)
	v_cmpx_eq_f64_e32 0, v[1:2]
	s_cbranch_execz .LBB46_10
; %bb.7:
	v_mov_b32_e32 v1, 0
	s_mov_b32 s3, 0
	ds_load_b32 v2, v1 offset:376
	s_waitcnt lgkmcnt(0)
	v_readfirstlane_b32 s1, v2
	v_add_nc_u32_e32 v2, 1, v0
	s_delay_alu instid0(VALU_DEP_2) | instskip(NEXT) | instid1(VALU_DEP_1)
	s_cmp_eq_u32 s1, 0
	v_cmp_gt_i32_e32 vcc_lo, s1, v2
	s_cselect_b32 s4, -1, 0
	s_delay_alu instid0(SALU_CYCLE_1) | instskip(NEXT) | instid1(SALU_CYCLE_1)
	s_or_b32 s4, s4, vcc_lo
	s_and_b32 exec_lo, exec_lo, s4
	s_cbranch_execz .LBB46_10
; %bb.8:
	v_mov_b32_e32 v4, s1
.LBB46_9:                               ; =>This Inner Loop Header: Depth=1
	ds_cmpstore_rtn_b32 v4, v1, v2, v4 offset:376
	s_waitcnt lgkmcnt(0)
	v_cmp_ne_u32_e32 vcc_lo, 0, v4
	v_cmp_le_i32_e64 s1, v4, v2
	s_delay_alu instid0(VALU_DEP_1) | instskip(NEXT) | instid1(SALU_CYCLE_1)
	s_and_b32 s1, vcc_lo, s1
	s_and_b32 s1, exec_lo, s1
	s_delay_alu instid0(SALU_CYCLE_1) | instskip(NEXT) | instid1(SALU_CYCLE_1)
	s_or_b32 s3, s1, s3
	s_and_not1_b32 exec_lo, exec_lo, s3
	s_cbranch_execnz .LBB46_9
.LBB46_10:
	s_or_b32 exec_lo, exec_lo, s2
	v_mov_b32_e32 v1, 0
	s_barrier
	buffer_gl0_inv
	ds_load_b32 v2, v1 offset:376
	s_and_saveexec_b32 s1, s0
	s_cbranch_execz .LBB46_12
; %bb.11:
	s_lshl_b64 s[2:3], s[14:15], 2
	s_delay_alu instid0(SALU_CYCLE_1)
	s_add_u32 s2, s6, s2
	s_addc_u32 s3, s7, s3
	s_waitcnt lgkmcnt(0)
	global_store_b32 v1, v2, s[2:3]
.LBB46_12:
	s_or_b32 exec_lo, exec_lo, s1
	s_waitcnt lgkmcnt(0)
	v_cmp_ne_u32_e32 vcc_lo, 0, v2
	s_mov_b32 s1, 0
	s_cbranch_vccnz .LBB46_196
; %bb.13:
	v_add_nc_u32_e32 v4, 0, v3
	v_add_nc_u32_e32 v5, 0x180, v3
	scratch_load_b64 v[1:2], v4, off
	s_waitcnt vmcnt(0)
	v_div_scale_f64 v[100:101], null, v[1:2], v[1:2], 1.0
	v_div_scale_f64 v[106:107], vcc_lo, 1.0, v[1:2], 1.0
	s_delay_alu instid0(VALU_DEP_2) | instskip(SKIP_2) | instid1(VALU_DEP_1)
	v_rcp_f64_e32 v[102:103], v[100:101]
	s_waitcnt_depctr 0xfff
	v_fma_f64 v[104:105], -v[100:101], v[102:103], 1.0
	v_fma_f64 v[102:103], v[102:103], v[104:105], v[102:103]
	s_delay_alu instid0(VALU_DEP_1) | instskip(NEXT) | instid1(VALU_DEP_1)
	v_fma_f64 v[104:105], -v[100:101], v[102:103], 1.0
	v_fma_f64 v[102:103], v[102:103], v[104:105], v[102:103]
	s_delay_alu instid0(VALU_DEP_1) | instskip(NEXT) | instid1(VALU_DEP_1)
	v_mul_f64 v[104:105], v[106:107], v[102:103]
	v_fma_f64 v[100:101], -v[100:101], v[104:105], v[106:107]
	s_delay_alu instid0(VALU_DEP_1) | instskip(NEXT) | instid1(VALU_DEP_1)
	v_div_fmas_f64 v[100:101], v[100:101], v[102:103], v[104:105]
	v_div_fixup_f64 v[1:2], v[100:101], v[1:2], 1.0
	scratch_store_b64 v4, v[1:2], off
	scratch_load_b64 v[100:101], off, off offset:8
	v_xor_b32_e32 v2, 0x80000000, v2
	s_waitcnt vmcnt(0)
	ds_store_2addr_b64 v3, v[1:2], v[100:101] offset1:48
	s_waitcnt lgkmcnt(0)
	s_waitcnt_vscnt null, 0x0
	s_barrier
	buffer_gl0_inv
	s_and_saveexec_b32 s1, s0
	s_cbranch_execz .LBB46_15
; %bb.14:
	scratch_load_b64 v[1:2], v4, off
	ds_load_b64 v[100:101], v5
	s_waitcnt vmcnt(0) lgkmcnt(0)
	v_fma_f64 v[1:2], v[1:2], v[100:101], 0
	v_mov_b32_e32 v100, 0
	ds_load_b64 v[100:101], v100 offset:8
	s_waitcnt lgkmcnt(0)
	v_mul_f64 v[1:2], v[1:2], v[100:101]
	scratch_store_b64 off, v[1:2], off offset:8
.LBB46_15:
	s_or_b32 exec_lo, exec_lo, s1
	s_waitcnt_vscnt null, 0x0
	s_barrier
	buffer_gl0_inv
	scratch_load_b64 v[1:2], off, off offset:16
	s_mov_b32 s1, exec_lo
	s_waitcnt vmcnt(0)
	ds_store_b64 v5, v[1:2]
	s_waitcnt lgkmcnt(0)
	s_barrier
	buffer_gl0_inv
	v_cmpx_gt_u32_e32 2, v0
	s_cbranch_execz .LBB46_19
; %bb.16:
	scratch_load_b64 v[1:2], v4, off
	ds_load_b64 v[100:101], v5
	s_waitcnt vmcnt(0) lgkmcnt(0)
	v_fma_f64 v[1:2], v[1:2], v[100:101], 0
	s_and_saveexec_b32 s2, s0
	s_cbranch_execz .LBB46_18
; %bb.17:
	scratch_load_b64 v[100:101], off, off offset:8
	v_mov_b32_e32 v102, 0
	ds_load_b64 v[102:103], v102 offset:392
	s_waitcnt vmcnt(0) lgkmcnt(0)
	v_fma_f64 v[1:2], v[100:101], v[102:103], v[1:2]
.LBB46_18:
	s_or_b32 exec_lo, exec_lo, s2
	v_mov_b32_e32 v100, 0
	ds_load_b64 v[100:101], v100 offset:16
	s_waitcnt lgkmcnt(0)
	v_mul_f64 v[1:2], v[1:2], v[100:101]
	scratch_store_b64 off, v[1:2], off offset:16
.LBB46_19:
	s_or_b32 exec_lo, exec_lo, s1
	s_waitcnt_vscnt null, 0x0
	s_barrier
	buffer_gl0_inv
	scratch_load_b64 v[1:2], off, off offset:24
	v_add_nc_u32_e32 v100, -1, v0
	s_mov_b32 s0, exec_lo
	s_waitcnt vmcnt(0)
	ds_store_b64 v5, v[1:2]
	s_waitcnt lgkmcnt(0)
	s_barrier
	buffer_gl0_inv
	v_cmpx_gt_u32_e32 3, v0
	s_cbranch_execz .LBB46_23
; %bb.20:
	v_dual_mov_b32 v1, 0 :: v_dual_add_nc_u32 v102, 0x180, v3
	v_dual_mov_b32 v2, 0 :: v_dual_add_nc_u32 v101, -1, v0
	v_add_nc_u32_e32 v103, 0, v3
	s_mov_b32 s1, 0
.LBB46_21:                              ; =>This Inner Loop Header: Depth=1
	scratch_load_b64 v[104:105], v103, off
	ds_load_b64 v[106:107], v102
	v_add_nc_u32_e32 v101, 1, v101
	v_add_nc_u32_e32 v102, 8, v102
	v_add_nc_u32_e32 v103, 8, v103
	s_delay_alu instid0(VALU_DEP_3)
	v_cmp_lt_u32_e32 vcc_lo, 1, v101
	s_or_b32 s1, vcc_lo, s1
	s_waitcnt vmcnt(0) lgkmcnt(0)
	v_fma_f64 v[1:2], v[104:105], v[106:107], v[1:2]
	s_and_not1_b32 exec_lo, exec_lo, s1
	s_cbranch_execnz .LBB46_21
; %bb.22:
	s_or_b32 exec_lo, exec_lo, s1
	v_mov_b32_e32 v101, 0
	ds_load_b64 v[101:102], v101 offset:24
	s_waitcnt lgkmcnt(0)
	v_mul_f64 v[1:2], v[1:2], v[101:102]
	scratch_store_b64 off, v[1:2], off offset:24
.LBB46_23:
	s_or_b32 exec_lo, exec_lo, s0
	s_waitcnt_vscnt null, 0x0
	s_barrier
	buffer_gl0_inv
	scratch_load_b64 v[1:2], off, off offset:32
	s_mov_b32 s0, exec_lo
	s_waitcnt vmcnt(0)
	ds_store_b64 v5, v[1:2]
	s_waitcnt lgkmcnt(0)
	s_barrier
	buffer_gl0_inv
	v_cmpx_gt_u32_e32 4, v0
	s_cbranch_execz .LBB46_27
; %bb.24:
	v_dual_mov_b32 v1, 0 :: v_dual_add_nc_u32 v102, 0x180, v3
	v_dual_mov_b32 v2, 0 :: v_dual_add_nc_u32 v101, -1, v0
	v_add_nc_u32_e32 v103, 0, v3
	s_mov_b32 s1, 0
.LBB46_25:                              ; =>This Inner Loop Header: Depth=1
	scratch_load_b64 v[104:105], v103, off
	ds_load_b64 v[106:107], v102
	v_add_nc_u32_e32 v101, 1, v101
	v_add_nc_u32_e32 v102, 8, v102
	v_add_nc_u32_e32 v103, 8, v103
	s_delay_alu instid0(VALU_DEP_3)
	v_cmp_lt_u32_e32 vcc_lo, 2, v101
	s_or_b32 s1, vcc_lo, s1
	s_waitcnt vmcnt(0) lgkmcnt(0)
	v_fma_f64 v[1:2], v[104:105], v[106:107], v[1:2]
	s_and_not1_b32 exec_lo, exec_lo, s1
	s_cbranch_execnz .LBB46_25
; %bb.26:
	s_or_b32 exec_lo, exec_lo, s1
	v_mov_b32_e32 v101, 0
	ds_load_b64 v[101:102], v101 offset:32
	s_waitcnt lgkmcnt(0)
	v_mul_f64 v[1:2], v[1:2], v[101:102]
	scratch_store_b64 off, v[1:2], off offset:32
.LBB46_27:
	s_or_b32 exec_lo, exec_lo, s0
	s_waitcnt_vscnt null, 0x0
	s_barrier
	buffer_gl0_inv
	scratch_load_b64 v[1:2], off, off offset:40
	;; [unrolled: 39-line block ×20, first 2 shown]
	s_mov_b32 s0, exec_lo
	s_waitcnt vmcnt(0)
	ds_store_b64 v5, v[1:2]
	s_waitcnt lgkmcnt(0)
	s_barrier
	buffer_gl0_inv
	v_cmpx_gt_u32_e32 23, v0
	s_cbranch_execz .LBB46_103
; %bb.100:
	v_dual_mov_b32 v1, 0 :: v_dual_add_nc_u32 v102, 0x180, v3
	v_dual_mov_b32 v2, 0 :: v_dual_add_nc_u32 v101, -1, v0
	v_add_nc_u32_e32 v103, 0, v3
	s_mov_b32 s1, 0
.LBB46_101:                             ; =>This Inner Loop Header: Depth=1
	scratch_load_b64 v[104:105], v103, off
	ds_load_b64 v[106:107], v102
	v_add_nc_u32_e32 v101, 1, v101
	v_add_nc_u32_e32 v102, 8, v102
	v_add_nc_u32_e32 v103, 8, v103
	s_delay_alu instid0(VALU_DEP_3)
	v_cmp_lt_u32_e32 vcc_lo, 21, v101
	s_or_b32 s1, vcc_lo, s1
	s_waitcnt vmcnt(0) lgkmcnt(0)
	v_fma_f64 v[1:2], v[104:105], v[106:107], v[1:2]
	s_and_not1_b32 exec_lo, exec_lo, s1
	s_cbranch_execnz .LBB46_101
; %bb.102:
	s_or_b32 exec_lo, exec_lo, s1
	v_mov_b32_e32 v101, 0
	ds_load_b64 v[101:102], v101 offset:184
	s_waitcnt lgkmcnt(0)
	v_mul_f64 v[1:2], v[1:2], v[101:102]
	scratch_store_b64 off, v[1:2], off offset:184
.LBB46_103:
	s_or_b32 exec_lo, exec_lo, s0
	s_waitcnt_vscnt null, 0x0
	s_barrier
	buffer_gl0_inv
	scratch_load_b64 v[1:2], off, off offset:192
	s_mov_b32 s0, exec_lo
	s_waitcnt vmcnt(0)
	ds_store_b64 v5, v[1:2]
	s_waitcnt lgkmcnt(0)
	s_barrier
	buffer_gl0_inv
	v_cmpx_gt_u32_e32 24, v0
	s_cbranch_execz .LBB46_107
; %bb.104:
	v_dual_mov_b32 v1, 0 :: v_dual_add_nc_u32 v102, 0x180, v3
	v_dual_mov_b32 v2, 0 :: v_dual_add_nc_u32 v101, -1, v0
	v_add_nc_u32_e32 v103, 0, v3
	s_mov_b32 s1, 0
.LBB46_105:                             ; =>This Inner Loop Header: Depth=1
	scratch_load_b64 v[104:105], v103, off
	ds_load_b64 v[106:107], v102
	v_add_nc_u32_e32 v101, 1, v101
	v_add_nc_u32_e32 v102, 8, v102
	v_add_nc_u32_e32 v103, 8, v103
	s_delay_alu instid0(VALU_DEP_3)
	v_cmp_lt_u32_e32 vcc_lo, 22, v101
	s_or_b32 s1, vcc_lo, s1
	s_waitcnt vmcnt(0) lgkmcnt(0)
	v_fma_f64 v[1:2], v[104:105], v[106:107], v[1:2]
	s_and_not1_b32 exec_lo, exec_lo, s1
	s_cbranch_execnz .LBB46_105
; %bb.106:
	s_or_b32 exec_lo, exec_lo, s1
	v_mov_b32_e32 v101, 0
	ds_load_b64 v[101:102], v101 offset:192
	s_waitcnt lgkmcnt(0)
	v_mul_f64 v[1:2], v[1:2], v[101:102]
	scratch_store_b64 off, v[1:2], off offset:192
.LBB46_107:
	s_or_b32 exec_lo, exec_lo, s0
	s_waitcnt_vscnt null, 0x0
	s_barrier
	buffer_gl0_inv
	scratch_load_b64 v[1:2], off, off offset:200
	;; [unrolled: 39-line block ×23, first 2 shown]
	s_mov_b32 s0, exec_lo
	s_waitcnt vmcnt(0)
	ds_store_b64 v5, v[1:2]
	s_waitcnt lgkmcnt(0)
	s_barrier
	buffer_gl0_inv
	v_cmpx_ne_u32_e32 46, v0
	s_cbranch_execz .LBB46_195
; %bb.192:
	v_mov_b32_e32 v1, 0
	v_mov_b32_e32 v2, 0
	s_mov_b32 s1, 0
.LBB46_193:                             ; =>This Inner Loop Header: Depth=1
	scratch_load_b64 v[101:102], v4, off
	ds_load_b64 v[103:104], v5
	v_add_nc_u32_e32 v100, 1, v100
	v_add_nc_u32_e32 v5, 8, v5
	;; [unrolled: 1-line block ×3, first 2 shown]
	s_delay_alu instid0(VALU_DEP_3)
	v_cmp_lt_u32_e32 vcc_lo, 44, v100
	s_or_b32 s1, vcc_lo, s1
	s_waitcnt vmcnt(0) lgkmcnt(0)
	v_fma_f64 v[1:2], v[101:102], v[103:104], v[1:2]
	s_and_not1_b32 exec_lo, exec_lo, s1
	s_cbranch_execnz .LBB46_193
; %bb.194:
	s_or_b32 exec_lo, exec_lo, s1
	v_mov_b32_e32 v3, 0
	ds_load_b64 v[3:4], v3 offset:368
	s_waitcnt lgkmcnt(0)
	v_mul_f64 v[1:2], v[1:2], v[3:4]
	scratch_store_b64 off, v[1:2], off offset:368
.LBB46_195:
	s_or_b32 exec_lo, exec_lo, s0
	s_mov_b32 s1, -1
	s_waitcnt_vscnt null, 0x0
	s_barrier
	buffer_gl0_inv
.LBB46_196:
	s_and_b32 vcc_lo, exec_lo, s1
	s_cbranch_vccz .LBB46_198
; %bb.197:
	s_lshl_b64 s[0:1], s[14:15], 2
	v_mov_b32_e32 v1, 0
	s_add_u32 s0, s6, s0
	s_addc_u32 s1, s7, s1
	global_load_b32 v1, v1, s[0:1]
	s_waitcnt vmcnt(0)
	v_cmp_ne_u32_e32 vcc_lo, 0, v1
	s_cbranch_vccz .LBB46_199
.LBB46_198:
	s_endpgm
.LBB46_199:
	v_lshl_add_u32 v5, v0, 3, 0x180
	s_mov_b32 s0, exec_lo
	v_cmpx_eq_u32_e32 46, v0
	s_cbranch_execz .LBB46_201
; %bb.200:
	scratch_load_b64 v[1:2], off, off offset:360
	v_mov_b32_e32 v3, 0
	s_delay_alu instid0(VALU_DEP_1)
	v_mov_b32_e32 v4, v3
	scratch_store_b64 off, v[3:4], off offset:360
	s_waitcnt vmcnt(0)
	ds_store_b64 v5, v[1:2]
.LBB46_201:
	s_or_b32 exec_lo, exec_lo, s0
	s_waitcnt lgkmcnt(0)
	s_waitcnt_vscnt null, 0x0
	s_barrier
	buffer_gl0_inv
	scratch_load_b128 v[100:103], off, off offset:360
	v_mov_b32_e32 v1, 0
	s_mov_b32 s0, exec_lo
	ds_load_b64 v[2:3], v1 offset:752
	s_waitcnt vmcnt(0) lgkmcnt(0)
	v_fma_f64 v[2:3], v[102:103], v[2:3], 0
	s_delay_alu instid0(VALU_DEP_1)
	v_add_f64 v[2:3], v[100:101], -v[2:3]
	scratch_store_b64 off, v[2:3], off offset:360
	v_cmpx_lt_u32_e32 44, v0
	s_cbranch_execz .LBB46_203
; %bb.202:
	scratch_load_b64 v[3:4], off, off offset:352
	v_mov_b32_e32 v2, v1
	scratch_store_b64 off, v[1:2], off offset:352
	s_waitcnt vmcnt(0)
	ds_store_b64 v5, v[3:4]
.LBB46_203:
	s_or_b32 exec_lo, exec_lo, s0
	s_waitcnt lgkmcnt(0)
	s_waitcnt_vscnt null, 0x0
	s_barrier
	buffer_gl0_inv
	s_clause 0x1
	scratch_load_b128 v[100:103], off, off offset:352
	scratch_load_b64 v[104:105], off, off offset:368
	ds_load_2addr_b64 v[1:4], v1 offset0:93 offset1:94
	s_mov_b32 s0, exec_lo
	s_waitcnt vmcnt(1) lgkmcnt(0)
	v_fma_f64 v[1:2], v[102:103], v[1:2], 0
	s_waitcnt vmcnt(0)
	s_delay_alu instid0(VALU_DEP_1) | instskip(NEXT) | instid1(VALU_DEP_1)
	v_fma_f64 v[1:2], v[104:105], v[3:4], v[1:2]
	v_add_f64 v[1:2], v[100:101], -v[1:2]
	scratch_store_b64 off, v[1:2], off offset:352
	v_cmpx_lt_u32_e32 43, v0
	s_cbranch_execz .LBB46_205
; %bb.204:
	scratch_load_b64 v[1:2], off, off offset:344
	v_mov_b32_e32 v3, 0
	s_delay_alu instid0(VALU_DEP_1)
	v_mov_b32_e32 v4, v3
	scratch_store_b64 off, v[3:4], off offset:344
	s_waitcnt vmcnt(0)
	ds_store_b64 v5, v[1:2]
.LBB46_205:
	s_or_b32 exec_lo, exec_lo, s0
	s_waitcnt lgkmcnt(0)
	s_waitcnt_vscnt null, 0x0
	s_barrier
	buffer_gl0_inv
	s_clause 0x1
	scratch_load_b128 v[100:103], off, off offset:344
	scratch_load_b128 v[104:107], off, off offset:360
	v_mov_b32_e32 v1, 0
	ds_load_b128 v[108:111], v1 offset:736
	ds_load_b64 v[2:3], v1 offset:752
	s_mov_b32 s0, exec_lo
	s_waitcnt vmcnt(1) lgkmcnt(1)
	v_fma_f64 v[102:103], v[102:103], v[108:109], 0
	s_waitcnt vmcnt(0)
	s_delay_alu instid0(VALU_DEP_1) | instskip(SKIP_1) | instid1(VALU_DEP_1)
	v_fma_f64 v[102:103], v[104:105], v[110:111], v[102:103]
	s_waitcnt lgkmcnt(0)
	v_fma_f64 v[2:3], v[106:107], v[2:3], v[102:103]
	s_delay_alu instid0(VALU_DEP_1)
	v_add_f64 v[2:3], v[100:101], -v[2:3]
	scratch_store_b64 off, v[2:3], off offset:344
	v_cmpx_lt_u32_e32 42, v0
	s_cbranch_execz .LBB46_207
; %bb.206:
	scratch_load_b64 v[3:4], off, off offset:336
	v_mov_b32_e32 v2, v1
	scratch_store_b64 off, v[1:2], off offset:336
	s_waitcnt vmcnt(0)
	ds_store_b64 v5, v[3:4]
.LBB46_207:
	s_or_b32 exec_lo, exec_lo, s0
	s_waitcnt lgkmcnt(0)
	s_waitcnt_vscnt null, 0x0
	s_barrier
	buffer_gl0_inv
	s_clause 0x2
	scratch_load_b128 v[100:103], off, off offset:336
	scratch_load_b128 v[104:107], off, off offset:352
	scratch_load_b64 v[112:113], off, off offset:368
	ds_load_2addr_b64 v[108:111], v1 offset0:91 offset1:92
	ds_load_2addr_b64 v[1:4], v1 offset0:93 offset1:94
	s_mov_b32 s0, exec_lo
	s_waitcnt vmcnt(2) lgkmcnt(1)
	v_fma_f64 v[102:103], v[102:103], v[108:109], 0
	s_waitcnt vmcnt(1)
	s_delay_alu instid0(VALU_DEP_1) | instskip(SKIP_1) | instid1(VALU_DEP_1)
	v_fma_f64 v[102:103], v[104:105], v[110:111], v[102:103]
	s_waitcnt lgkmcnt(0)
	v_fma_f64 v[1:2], v[106:107], v[1:2], v[102:103]
	s_waitcnt vmcnt(0)
	s_delay_alu instid0(VALU_DEP_1) | instskip(NEXT) | instid1(VALU_DEP_1)
	v_fma_f64 v[1:2], v[112:113], v[3:4], v[1:2]
	v_add_f64 v[1:2], v[100:101], -v[1:2]
	scratch_store_b64 off, v[1:2], off offset:336
	v_cmpx_lt_u32_e32 41, v0
	s_cbranch_execz .LBB46_209
; %bb.208:
	scratch_load_b64 v[1:2], off, off offset:328
	v_mov_b32_e32 v3, 0
	s_delay_alu instid0(VALU_DEP_1)
	v_mov_b32_e32 v4, v3
	scratch_store_b64 off, v[3:4], off offset:328
	s_waitcnt vmcnt(0)
	ds_store_b64 v5, v[1:2]
.LBB46_209:
	s_or_b32 exec_lo, exec_lo, s0
	s_waitcnt lgkmcnt(0)
	s_waitcnt_vscnt null, 0x0
	s_barrier
	buffer_gl0_inv
	s_clause 0x2
	scratch_load_b128 v[100:103], off, off offset:328
	scratch_load_b128 v[104:107], off, off offset:344
	;; [unrolled: 1-line block ×3, first 2 shown]
	v_mov_b32_e32 v1, 0
	ds_load_b128 v[112:115], v1 offset:720
	ds_load_b128 v[116:119], v1 offset:736
	s_mov_b32 s0, exec_lo
	s_waitcnt vmcnt(2) lgkmcnt(1)
	v_fma_f64 v[2:3], v[102:103], v[112:113], 0
	ds_load_b64 v[102:103], v1 offset:752
	s_waitcnt vmcnt(1)
	v_fma_f64 v[2:3], v[104:105], v[114:115], v[2:3]
	s_waitcnt lgkmcnt(1)
	s_delay_alu instid0(VALU_DEP_1) | instskip(SKIP_1) | instid1(VALU_DEP_1)
	v_fma_f64 v[2:3], v[106:107], v[116:117], v[2:3]
	s_waitcnt vmcnt(0)
	v_fma_f64 v[2:3], v[108:109], v[118:119], v[2:3]
	s_waitcnt lgkmcnt(0)
	s_delay_alu instid0(VALU_DEP_1) | instskip(NEXT) | instid1(VALU_DEP_1)
	v_fma_f64 v[2:3], v[110:111], v[102:103], v[2:3]
	v_add_f64 v[2:3], v[100:101], -v[2:3]
	scratch_store_b64 off, v[2:3], off offset:328
	v_cmpx_lt_u32_e32 40, v0
	s_cbranch_execz .LBB46_211
; %bb.210:
	scratch_load_b64 v[3:4], off, off offset:320
	v_mov_b32_e32 v2, v1
	scratch_store_b64 off, v[1:2], off offset:320
	s_waitcnt vmcnt(0)
	ds_store_b64 v5, v[3:4]
.LBB46_211:
	s_or_b32 exec_lo, exec_lo, s0
	s_waitcnt lgkmcnt(0)
	s_waitcnt_vscnt null, 0x0
	s_barrier
	buffer_gl0_inv
	s_clause 0x3
	scratch_load_b128 v[100:103], off, off offset:320
	scratch_load_b128 v[104:107], off, off offset:336
	;; [unrolled: 1-line block ×3, first 2 shown]
	scratch_load_b64 v[116:117], off, off offset:368
	ds_load_2addr_b64 v[112:115], v1 offset0:89 offset1:90
	s_mov_b32 s0, exec_lo
	s_waitcnt vmcnt(3) lgkmcnt(0)
	v_fma_f64 v[2:3], v[102:103], v[112:113], 0
	s_waitcnt vmcnt(2)
	s_delay_alu instid0(VALU_DEP_1) | instskip(SKIP_4) | instid1(VALU_DEP_1)
	v_fma_f64 v[2:3], v[104:105], v[114:115], v[2:3]
	ds_load_2addr_b64 v[102:105], v1 offset0:91 offset1:92
	s_waitcnt lgkmcnt(0)
	v_fma_f64 v[2:3], v[106:107], v[102:103], v[2:3]
	s_waitcnt vmcnt(1)
	v_fma_f64 v[102:103], v[108:109], v[104:105], v[2:3]
	ds_load_2addr_b64 v[1:4], v1 offset0:93 offset1:94
	s_waitcnt lgkmcnt(0)
	v_fma_f64 v[1:2], v[110:111], v[1:2], v[102:103]
	s_waitcnt vmcnt(0)
	s_delay_alu instid0(VALU_DEP_1) | instskip(NEXT) | instid1(VALU_DEP_1)
	v_fma_f64 v[1:2], v[116:117], v[3:4], v[1:2]
	v_add_f64 v[1:2], v[100:101], -v[1:2]
	scratch_store_b64 off, v[1:2], off offset:320
	v_cmpx_lt_u32_e32 39, v0
	s_cbranch_execz .LBB46_213
; %bb.212:
	scratch_load_b64 v[1:2], off, off offset:312
	v_mov_b32_e32 v3, 0
	s_delay_alu instid0(VALU_DEP_1)
	v_mov_b32_e32 v4, v3
	scratch_store_b64 off, v[3:4], off offset:312
	s_waitcnt vmcnt(0)
	ds_store_b64 v5, v[1:2]
.LBB46_213:
	s_or_b32 exec_lo, exec_lo, s0
	s_waitcnt lgkmcnt(0)
	s_waitcnt_vscnt null, 0x0
	s_barrier
	buffer_gl0_inv
	s_clause 0x3
	scratch_load_b128 v[100:103], off, off offset:312
	scratch_load_b128 v[104:107], off, off offset:328
	;; [unrolled: 1-line block ×4, first 2 shown]
	v_mov_b32_e32 v1, 0
	s_mov_b32 s0, exec_lo
	ds_load_b128 v[116:119], v1 offset:704
	s_waitcnt vmcnt(3) lgkmcnt(0)
	v_fma_f64 v[2:3], v[102:103], v[116:117], 0
	s_waitcnt vmcnt(2)
	s_delay_alu instid0(VALU_DEP_1) | instskip(SKIP_4) | instid1(VALU_DEP_1)
	v_fma_f64 v[2:3], v[104:105], v[118:119], v[2:3]
	ds_load_b128 v[102:105], v1 offset:720
	s_waitcnt lgkmcnt(0)
	v_fma_f64 v[2:3], v[106:107], v[102:103], v[2:3]
	s_waitcnt vmcnt(1)
	v_fma_f64 v[2:3], v[108:109], v[104:105], v[2:3]
	ds_load_b128 v[102:105], v1 offset:736
	s_waitcnt lgkmcnt(0)
	v_fma_f64 v[2:3], v[110:111], v[102:103], v[2:3]
	ds_load_b64 v[102:103], v1 offset:752
	s_waitcnt vmcnt(0)
	v_fma_f64 v[2:3], v[112:113], v[104:105], v[2:3]
	s_waitcnt lgkmcnt(0)
	s_delay_alu instid0(VALU_DEP_1) | instskip(NEXT) | instid1(VALU_DEP_1)
	v_fma_f64 v[2:3], v[114:115], v[102:103], v[2:3]
	v_add_f64 v[2:3], v[100:101], -v[2:3]
	scratch_store_b64 off, v[2:3], off offset:312
	v_cmpx_lt_u32_e32 38, v0
	s_cbranch_execz .LBB46_215
; %bb.214:
	scratch_load_b64 v[3:4], off, off offset:304
	v_mov_b32_e32 v2, v1
	scratch_store_b64 off, v[1:2], off offset:304
	s_waitcnt vmcnt(0)
	ds_store_b64 v5, v[3:4]
.LBB46_215:
	s_or_b32 exec_lo, exec_lo, s0
	s_waitcnt lgkmcnt(0)
	s_waitcnt_vscnt null, 0x0
	s_barrier
	buffer_gl0_inv
	s_clause 0x4
	scratch_load_b128 v[100:103], off, off offset:304
	scratch_load_b128 v[104:107], off, off offset:320
	;; [unrolled: 1-line block ×4, first 2 shown]
	scratch_load_b64 v[120:121], off, off offset:368
	ds_load_2addr_b64 v[116:119], v1 offset0:87 offset1:88
	s_mov_b32 s0, exec_lo
	s_waitcnt vmcnt(4) lgkmcnt(0)
	v_fma_f64 v[2:3], v[102:103], v[116:117], 0
	s_waitcnt vmcnt(3)
	s_delay_alu instid0(VALU_DEP_1) | instskip(SKIP_4) | instid1(VALU_DEP_1)
	v_fma_f64 v[2:3], v[104:105], v[118:119], v[2:3]
	ds_load_2addr_b64 v[102:105], v1 offset0:89 offset1:90
	s_waitcnt lgkmcnt(0)
	v_fma_f64 v[2:3], v[106:107], v[102:103], v[2:3]
	s_waitcnt vmcnt(2)
	v_fma_f64 v[2:3], v[108:109], v[104:105], v[2:3]
	ds_load_2addr_b64 v[102:105], v1 offset0:91 offset1:92
	s_waitcnt lgkmcnt(0)
	v_fma_f64 v[2:3], v[110:111], v[102:103], v[2:3]
	s_waitcnt vmcnt(1)
	s_delay_alu instid0(VALU_DEP_1) | instskip(SKIP_4) | instid1(VALU_DEP_1)
	v_fma_f64 v[102:103], v[112:113], v[104:105], v[2:3]
	ds_load_2addr_b64 v[1:4], v1 offset0:93 offset1:94
	s_waitcnt lgkmcnt(0)
	v_fma_f64 v[1:2], v[114:115], v[1:2], v[102:103]
	s_waitcnt vmcnt(0)
	v_fma_f64 v[1:2], v[120:121], v[3:4], v[1:2]
	s_delay_alu instid0(VALU_DEP_1)
	v_add_f64 v[1:2], v[100:101], -v[1:2]
	scratch_store_b64 off, v[1:2], off offset:304
	v_cmpx_lt_u32_e32 37, v0
	s_cbranch_execz .LBB46_217
; %bb.216:
	scratch_load_b64 v[1:2], off, off offset:296
	v_mov_b32_e32 v3, 0
	s_delay_alu instid0(VALU_DEP_1)
	v_mov_b32_e32 v4, v3
	scratch_store_b64 off, v[3:4], off offset:296
	s_waitcnt vmcnt(0)
	ds_store_b64 v5, v[1:2]
.LBB46_217:
	s_or_b32 exec_lo, exec_lo, s0
	s_waitcnt lgkmcnt(0)
	s_waitcnt_vscnt null, 0x0
	s_barrier
	buffer_gl0_inv
	s_clause 0x4
	scratch_load_b128 v[100:103], off, off offset:296
	scratch_load_b128 v[104:107], off, off offset:312
	;; [unrolled: 1-line block ×5, first 2 shown]
	v_mov_b32_e32 v1, 0
	ds_load_b128 v[120:123], v1 offset:688
	ds_load_b128 v[124:127], v1 offset:704
	s_mov_b32 s0, exec_lo
	s_waitcnt vmcnt(4) lgkmcnt(1)
	v_fma_f64 v[2:3], v[102:103], v[120:121], 0
	s_waitcnt vmcnt(3)
	s_delay_alu instid0(VALU_DEP_1) | instskip(SKIP_1) | instid1(VALU_DEP_1)
	v_fma_f64 v[2:3], v[104:105], v[122:123], v[2:3]
	s_waitcnt lgkmcnt(0)
	v_fma_f64 v[2:3], v[106:107], v[124:125], v[2:3]
	s_waitcnt vmcnt(2)
	s_delay_alu instid0(VALU_DEP_1)
	v_fma_f64 v[2:3], v[108:109], v[126:127], v[2:3]
	ds_load_b128 v[102:105], v1 offset:720
	ds_load_b128 v[106:109], v1 offset:736
	s_waitcnt lgkmcnt(1)
	v_fma_f64 v[2:3], v[110:111], v[102:103], v[2:3]
	ds_load_b64 v[102:103], v1 offset:752
	s_waitcnt vmcnt(1)
	v_fma_f64 v[2:3], v[112:113], v[104:105], v[2:3]
	s_waitcnt lgkmcnt(1)
	s_delay_alu instid0(VALU_DEP_1) | instskip(SKIP_1) | instid1(VALU_DEP_1)
	v_fma_f64 v[2:3], v[114:115], v[106:107], v[2:3]
	s_waitcnt vmcnt(0)
	v_fma_f64 v[2:3], v[116:117], v[108:109], v[2:3]
	s_waitcnt lgkmcnt(0)
	s_delay_alu instid0(VALU_DEP_1) | instskip(NEXT) | instid1(VALU_DEP_1)
	v_fma_f64 v[2:3], v[118:119], v[102:103], v[2:3]
	v_add_f64 v[2:3], v[100:101], -v[2:3]
	scratch_store_b64 off, v[2:3], off offset:296
	v_cmpx_lt_u32_e32 36, v0
	s_cbranch_execz .LBB46_219
; %bb.218:
	scratch_load_b64 v[3:4], off, off offset:288
	v_mov_b32_e32 v2, v1
	scratch_store_b64 off, v[1:2], off offset:288
	s_waitcnt vmcnt(0)
	ds_store_b64 v5, v[3:4]
.LBB46_219:
	s_or_b32 exec_lo, exec_lo, s0
	s_waitcnt lgkmcnt(0)
	s_waitcnt_vscnt null, 0x0
	s_barrier
	buffer_gl0_inv
	s_clause 0x4
	scratch_load_b128 v[100:103], off, off offset:288
	scratch_load_b128 v[104:107], off, off offset:304
	scratch_load_b128 v[108:111], off, off offset:320
	scratch_load_b128 v[112:115], off, off offset:336
	scratch_load_b128 v[116:119], off, off offset:352
	ds_load_2addr_b64 v[120:123], v1 offset0:85 offset1:86
	ds_load_2addr_b64 v[124:127], v1 offset0:87 offset1:88
	s_mov_b32 s0, exec_lo
	s_waitcnt vmcnt(4) lgkmcnt(1)
	v_fma_f64 v[2:3], v[102:103], v[120:121], 0
	scratch_load_b64 v[120:121], off, off offset:368
	s_waitcnt vmcnt(4)
	v_fma_f64 v[2:3], v[104:105], v[122:123], v[2:3]
	s_waitcnt lgkmcnt(0)
	s_delay_alu instid0(VALU_DEP_1) | instskip(SKIP_1) | instid1(VALU_DEP_1)
	v_fma_f64 v[2:3], v[106:107], v[124:125], v[2:3]
	s_waitcnt vmcnt(3)
	v_fma_f64 v[2:3], v[108:109], v[126:127], v[2:3]
	ds_load_2addr_b64 v[102:105], v1 offset0:89 offset1:90
	ds_load_2addr_b64 v[106:109], v1 offset0:91 offset1:92
	s_waitcnt lgkmcnt(1)
	v_fma_f64 v[2:3], v[110:111], v[102:103], v[2:3]
	s_waitcnt vmcnt(2)
	s_delay_alu instid0(VALU_DEP_1) | instskip(SKIP_1) | instid1(VALU_DEP_1)
	v_fma_f64 v[2:3], v[112:113], v[104:105], v[2:3]
	s_waitcnt lgkmcnt(0)
	v_fma_f64 v[2:3], v[114:115], v[106:107], v[2:3]
	s_waitcnt vmcnt(1)
	s_delay_alu instid0(VALU_DEP_1) | instskip(SKIP_4) | instid1(VALU_DEP_1)
	v_fma_f64 v[102:103], v[116:117], v[108:109], v[2:3]
	ds_load_2addr_b64 v[1:4], v1 offset0:93 offset1:94
	s_waitcnt lgkmcnt(0)
	v_fma_f64 v[1:2], v[118:119], v[1:2], v[102:103]
	s_waitcnt vmcnt(0)
	v_fma_f64 v[1:2], v[120:121], v[3:4], v[1:2]
	s_delay_alu instid0(VALU_DEP_1)
	v_add_f64 v[1:2], v[100:101], -v[1:2]
	scratch_store_b64 off, v[1:2], off offset:288
	v_cmpx_lt_u32_e32 35, v0
	s_cbranch_execz .LBB46_221
; %bb.220:
	scratch_load_b64 v[1:2], off, off offset:280
	v_mov_b32_e32 v3, 0
	s_delay_alu instid0(VALU_DEP_1)
	v_mov_b32_e32 v4, v3
	scratch_store_b64 off, v[3:4], off offset:280
	s_waitcnt vmcnt(0)
	ds_store_b64 v5, v[1:2]
.LBB46_221:
	s_or_b32 exec_lo, exec_lo, s0
	s_waitcnt lgkmcnt(0)
	s_waitcnt_vscnt null, 0x0
	s_barrier
	buffer_gl0_inv
	s_clause 0x4
	scratch_load_b128 v[100:103], off, off offset:280
	scratch_load_b128 v[104:107], off, off offset:296
	;; [unrolled: 1-line block ×5, first 2 shown]
	v_mov_b32_e32 v1, 0
	ds_load_b128 v[120:123], v1 offset:672
	ds_load_b128 v[124:127], v1 offset:688
	scratch_load_b128 v[128:131], off, off offset:360
	s_mov_b32 s0, exec_lo
	s_waitcnt vmcnt(5) lgkmcnt(1)
	v_fma_f64 v[2:3], v[102:103], v[120:121], 0
	s_waitcnt vmcnt(4)
	s_delay_alu instid0(VALU_DEP_1) | instskip(SKIP_1) | instid1(VALU_DEP_1)
	v_fma_f64 v[2:3], v[104:105], v[122:123], v[2:3]
	s_waitcnt lgkmcnt(0)
	v_fma_f64 v[2:3], v[106:107], v[124:125], v[2:3]
	s_waitcnt vmcnt(3)
	s_delay_alu instid0(VALU_DEP_1)
	v_fma_f64 v[2:3], v[108:109], v[126:127], v[2:3]
	ds_load_b128 v[102:105], v1 offset:704
	ds_load_b128 v[106:109], v1 offset:720
	s_waitcnt lgkmcnt(1)
	v_fma_f64 v[2:3], v[110:111], v[102:103], v[2:3]
	s_waitcnt vmcnt(2)
	s_delay_alu instid0(VALU_DEP_1) | instskip(SKIP_1) | instid1(VALU_DEP_1)
	v_fma_f64 v[2:3], v[112:113], v[104:105], v[2:3]
	s_waitcnt lgkmcnt(0)
	v_fma_f64 v[2:3], v[114:115], v[106:107], v[2:3]
	ds_load_b128 v[102:105], v1 offset:736
	ds_load_b64 v[106:107], v1 offset:752
	s_waitcnt vmcnt(1)
	v_fma_f64 v[2:3], v[116:117], v[108:109], v[2:3]
	s_waitcnt lgkmcnt(1)
	s_delay_alu instid0(VALU_DEP_1) | instskip(SKIP_1) | instid1(VALU_DEP_1)
	v_fma_f64 v[2:3], v[118:119], v[102:103], v[2:3]
	s_waitcnt vmcnt(0)
	v_fma_f64 v[2:3], v[128:129], v[104:105], v[2:3]
	s_waitcnt lgkmcnt(0)
	s_delay_alu instid0(VALU_DEP_1) | instskip(NEXT) | instid1(VALU_DEP_1)
	v_fma_f64 v[2:3], v[130:131], v[106:107], v[2:3]
	v_add_f64 v[2:3], v[100:101], -v[2:3]
	scratch_store_b64 off, v[2:3], off offset:280
	v_cmpx_lt_u32_e32 34, v0
	s_cbranch_execz .LBB46_223
; %bb.222:
	scratch_load_b64 v[3:4], off, off offset:272
	v_mov_b32_e32 v2, v1
	scratch_store_b64 off, v[1:2], off offset:272
	s_waitcnt vmcnt(0)
	ds_store_b64 v5, v[3:4]
.LBB46_223:
	s_or_b32 exec_lo, exec_lo, s0
	s_waitcnt lgkmcnt(0)
	s_waitcnt_vscnt null, 0x0
	s_barrier
	buffer_gl0_inv
	s_clause 0x4
	scratch_load_b128 v[100:103], off, off offset:272
	scratch_load_b128 v[104:107], off, off offset:288
	;; [unrolled: 1-line block ×5, first 2 shown]
	ds_load_2addr_b64 v[120:123], v1 offset0:83 offset1:84
	ds_load_2addr_b64 v[124:127], v1 offset0:85 offset1:86
	scratch_load_b128 v[128:131], off, off offset:352
	s_mov_b32 s0, exec_lo
	s_waitcnt vmcnt(5) lgkmcnt(1)
	v_fma_f64 v[2:3], v[102:103], v[120:121], 0
	scratch_load_b64 v[120:121], off, off offset:368
	s_waitcnt vmcnt(5)
	v_fma_f64 v[2:3], v[104:105], v[122:123], v[2:3]
	s_waitcnt lgkmcnt(0)
	s_delay_alu instid0(VALU_DEP_1) | instskip(SKIP_1) | instid1(VALU_DEP_1)
	v_fma_f64 v[2:3], v[106:107], v[124:125], v[2:3]
	s_waitcnt vmcnt(4)
	v_fma_f64 v[2:3], v[108:109], v[126:127], v[2:3]
	ds_load_2addr_b64 v[102:105], v1 offset0:87 offset1:88
	ds_load_2addr_b64 v[106:109], v1 offset0:89 offset1:90
	s_waitcnt lgkmcnt(1)
	v_fma_f64 v[2:3], v[110:111], v[102:103], v[2:3]
	s_waitcnt vmcnt(3)
	s_delay_alu instid0(VALU_DEP_1) | instskip(SKIP_1) | instid1(VALU_DEP_1)
	v_fma_f64 v[2:3], v[112:113], v[104:105], v[2:3]
	s_waitcnt lgkmcnt(0)
	v_fma_f64 v[2:3], v[114:115], v[106:107], v[2:3]
	s_waitcnt vmcnt(2)
	s_delay_alu instid0(VALU_DEP_1)
	v_fma_f64 v[106:107], v[116:117], v[108:109], v[2:3]
	ds_load_2addr_b64 v[102:105], v1 offset0:91 offset1:92
	ds_load_2addr_b64 v[1:4], v1 offset0:93 offset1:94
	s_waitcnt lgkmcnt(1)
	v_fma_f64 v[102:103], v[118:119], v[102:103], v[106:107]
	s_waitcnt vmcnt(1)
	s_delay_alu instid0(VALU_DEP_1) | instskip(SKIP_1) | instid1(VALU_DEP_1)
	v_fma_f64 v[102:103], v[128:129], v[104:105], v[102:103]
	s_waitcnt lgkmcnt(0)
	v_fma_f64 v[1:2], v[130:131], v[1:2], v[102:103]
	s_waitcnt vmcnt(0)
	s_delay_alu instid0(VALU_DEP_1) | instskip(NEXT) | instid1(VALU_DEP_1)
	v_fma_f64 v[1:2], v[120:121], v[3:4], v[1:2]
	v_add_f64 v[1:2], v[100:101], -v[1:2]
	scratch_store_b64 off, v[1:2], off offset:272
	v_cmpx_lt_u32_e32 33, v0
	s_cbranch_execz .LBB46_225
; %bb.224:
	scratch_load_b64 v[1:2], off, off offset:264
	v_mov_b32_e32 v3, 0
	s_delay_alu instid0(VALU_DEP_1)
	v_mov_b32_e32 v4, v3
	scratch_store_b64 off, v[3:4], off offset:264
	s_waitcnt vmcnt(0)
	ds_store_b64 v5, v[1:2]
.LBB46_225:
	s_or_b32 exec_lo, exec_lo, s0
	s_waitcnt lgkmcnt(0)
	s_waitcnt_vscnt null, 0x0
	s_barrier
	buffer_gl0_inv
	s_clause 0x4
	scratch_load_b128 v[100:103], off, off offset:264
	scratch_load_b128 v[104:107], off, off offset:280
	scratch_load_b128 v[108:111], off, off offset:296
	scratch_load_b128 v[112:115], off, off offset:312
	scratch_load_b128 v[116:119], off, off offset:328
	v_mov_b32_e32 v1, 0
	ds_load_b128 v[120:123], v1 offset:656
	ds_load_b128 v[124:127], v1 offset:672
	scratch_load_b128 v[128:131], off, off offset:344
	s_mov_b32 s0, exec_lo
	s_waitcnt vmcnt(5) lgkmcnt(1)
	v_fma_f64 v[2:3], v[102:103], v[120:121], 0
	s_waitcnt vmcnt(4)
	s_delay_alu instid0(VALU_DEP_1) | instskip(SKIP_4) | instid1(VALU_DEP_1)
	v_fma_f64 v[2:3], v[104:105], v[122:123], v[2:3]
	scratch_load_b128 v[102:105], off, off offset:360
	s_waitcnt lgkmcnt(0)
	v_fma_f64 v[2:3], v[106:107], v[124:125], v[2:3]
	s_waitcnt vmcnt(4)
	v_fma_f64 v[2:3], v[108:109], v[126:127], v[2:3]
	ds_load_b128 v[106:109], v1 offset:688
	ds_load_b128 v[120:123], v1 offset:704
	s_waitcnt lgkmcnt(1)
	v_fma_f64 v[2:3], v[110:111], v[106:107], v[2:3]
	s_waitcnt vmcnt(3)
	s_delay_alu instid0(VALU_DEP_1)
	v_fma_f64 v[2:3], v[112:113], v[108:109], v[2:3]
	ds_load_b128 v[106:109], v1 offset:720
	ds_load_b128 v[110:113], v1 offset:736
	s_waitcnt lgkmcnt(2)
	v_fma_f64 v[2:3], v[114:115], v[120:121], v[2:3]
	s_waitcnt vmcnt(2)
	s_delay_alu instid0(VALU_DEP_1) | instskip(SKIP_1) | instid1(VALU_DEP_1)
	v_fma_f64 v[2:3], v[116:117], v[122:123], v[2:3]
	s_waitcnt lgkmcnt(1)
	v_fma_f64 v[2:3], v[118:119], v[106:107], v[2:3]
	s_waitcnt vmcnt(1)
	s_delay_alu instid0(VALU_DEP_1) | instskip(SKIP_1) | instid1(VALU_DEP_1)
	v_fma_f64 v[2:3], v[128:129], v[108:109], v[2:3]
	s_waitcnt lgkmcnt(0)
	v_fma_f64 v[2:3], v[130:131], v[110:111], v[2:3]
	s_waitcnt vmcnt(0)
	s_delay_alu instid0(VALU_DEP_1) | instskip(SKIP_3) | instid1(VALU_DEP_1)
	v_fma_f64 v[2:3], v[102:103], v[112:113], v[2:3]
	ds_load_b64 v[102:103], v1 offset:752
	s_waitcnt lgkmcnt(0)
	v_fma_f64 v[2:3], v[104:105], v[102:103], v[2:3]
	v_add_f64 v[2:3], v[100:101], -v[2:3]
	scratch_store_b64 off, v[2:3], off offset:264
	v_cmpx_lt_u32_e32 32, v0
	s_cbranch_execz .LBB46_227
; %bb.226:
	scratch_load_b64 v[3:4], off, off offset:256
	v_mov_b32_e32 v2, v1
	scratch_store_b64 off, v[1:2], off offset:256
	s_waitcnt vmcnt(0)
	ds_store_b64 v5, v[3:4]
.LBB46_227:
	s_or_b32 exec_lo, exec_lo, s0
	s_waitcnt lgkmcnt(0)
	s_waitcnt_vscnt null, 0x0
	s_barrier
	buffer_gl0_inv
	s_clause 0x4
	scratch_load_b128 v[100:103], off, off offset:256
	scratch_load_b128 v[104:107], off, off offset:272
	;; [unrolled: 1-line block ×5, first 2 shown]
	ds_load_2addr_b64 v[120:123], v1 offset0:81 offset1:82
	ds_load_2addr_b64 v[124:127], v1 offset0:83 offset1:84
	scratch_load_b128 v[128:131], off, off offset:336
	s_mov_b32 s0, exec_lo
	s_waitcnt vmcnt(5) lgkmcnt(1)
	v_fma_f64 v[2:3], v[102:103], v[120:121], 0
	s_waitcnt vmcnt(4)
	s_delay_alu instid0(VALU_DEP_1) | instskip(SKIP_4) | instid1(VALU_DEP_1)
	v_fma_f64 v[2:3], v[104:105], v[122:123], v[2:3]
	scratch_load_b128 v[102:105], off, off offset:352
	s_waitcnt lgkmcnt(0)
	v_fma_f64 v[2:3], v[106:107], v[124:125], v[2:3]
	s_waitcnt vmcnt(4)
	v_fma_f64 v[2:3], v[108:109], v[126:127], v[2:3]
	ds_load_2addr_b64 v[106:109], v1 offset0:85 offset1:86
	ds_load_2addr_b64 v[120:123], v1 offset0:87 offset1:88
	scratch_load_b64 v[124:125], off, off offset:368
	s_waitcnt lgkmcnt(1)
	v_fma_f64 v[2:3], v[110:111], v[106:107], v[2:3]
	s_waitcnt vmcnt(4)
	s_delay_alu instid0(VALU_DEP_1)
	v_fma_f64 v[2:3], v[112:113], v[108:109], v[2:3]
	ds_load_2addr_b64 v[106:109], v1 offset0:89 offset1:90
	ds_load_2addr_b64 v[110:113], v1 offset0:91 offset1:92
	s_waitcnt lgkmcnt(2)
	v_fma_f64 v[2:3], v[114:115], v[120:121], v[2:3]
	s_waitcnt vmcnt(3)
	s_delay_alu instid0(VALU_DEP_1) | instskip(SKIP_1) | instid1(VALU_DEP_1)
	v_fma_f64 v[2:3], v[116:117], v[122:123], v[2:3]
	s_waitcnt lgkmcnt(1)
	v_fma_f64 v[2:3], v[118:119], v[106:107], v[2:3]
	s_waitcnt vmcnt(2)
	s_delay_alu instid0(VALU_DEP_1) | instskip(SKIP_1) | instid1(VALU_DEP_1)
	v_fma_f64 v[2:3], v[128:129], v[108:109], v[2:3]
	s_waitcnt lgkmcnt(0)
	v_fma_f64 v[2:3], v[130:131], v[110:111], v[2:3]
	s_waitcnt vmcnt(1)
	s_delay_alu instid0(VALU_DEP_1) | instskip(SKIP_4) | instid1(VALU_DEP_1)
	v_fma_f64 v[102:103], v[102:103], v[112:113], v[2:3]
	ds_load_2addr_b64 v[1:4], v1 offset0:93 offset1:94
	s_waitcnt lgkmcnt(0)
	v_fma_f64 v[1:2], v[104:105], v[1:2], v[102:103]
	s_waitcnt vmcnt(0)
	v_fma_f64 v[1:2], v[124:125], v[3:4], v[1:2]
	s_delay_alu instid0(VALU_DEP_1)
	v_add_f64 v[1:2], v[100:101], -v[1:2]
	scratch_store_b64 off, v[1:2], off offset:256
	v_cmpx_lt_u32_e32 31, v0
	s_cbranch_execz .LBB46_229
; %bb.228:
	scratch_load_b64 v[1:2], off, off offset:248
	v_mov_b32_e32 v3, 0
	s_delay_alu instid0(VALU_DEP_1)
	v_mov_b32_e32 v4, v3
	scratch_store_b64 off, v[3:4], off offset:248
	s_waitcnt vmcnt(0)
	ds_store_b64 v5, v[1:2]
.LBB46_229:
	s_or_b32 exec_lo, exec_lo, s0
	s_waitcnt lgkmcnt(0)
	s_waitcnt_vscnt null, 0x0
	s_barrier
	buffer_gl0_inv
	s_clause 0x4
	scratch_load_b128 v[100:103], off, off offset:248
	scratch_load_b128 v[104:107], off, off offset:264
	;; [unrolled: 1-line block ×5, first 2 shown]
	v_mov_b32_e32 v1, 0
	ds_load_b128 v[120:123], v1 offset:640
	ds_load_b128 v[124:127], v1 offset:656
	scratch_load_b128 v[128:131], off, off offset:328
	s_mov_b32 s0, exec_lo
	s_waitcnt vmcnt(5) lgkmcnt(1)
	v_fma_f64 v[2:3], v[102:103], v[120:121], 0
	s_waitcnt vmcnt(4)
	s_delay_alu instid0(VALU_DEP_1) | instskip(SKIP_4) | instid1(VALU_DEP_1)
	v_fma_f64 v[2:3], v[104:105], v[122:123], v[2:3]
	scratch_load_b128 v[102:105], off, off offset:344
	s_waitcnt lgkmcnt(0)
	v_fma_f64 v[2:3], v[106:107], v[124:125], v[2:3]
	s_waitcnt vmcnt(4)
	v_fma_f64 v[2:3], v[108:109], v[126:127], v[2:3]
	ds_load_b128 v[106:109], v1 offset:672
	ds_load_b128 v[120:123], v1 offset:688
	scratch_load_b128 v[124:127], off, off offset:360
	s_waitcnt lgkmcnt(1)
	v_fma_f64 v[2:3], v[110:111], v[106:107], v[2:3]
	s_waitcnt vmcnt(4)
	s_delay_alu instid0(VALU_DEP_1)
	v_fma_f64 v[2:3], v[112:113], v[108:109], v[2:3]
	ds_load_b128 v[106:109], v1 offset:704
	ds_load_b128 v[110:113], v1 offset:720
	s_waitcnt lgkmcnt(2)
	v_fma_f64 v[2:3], v[114:115], v[120:121], v[2:3]
	s_waitcnt vmcnt(3)
	s_delay_alu instid0(VALU_DEP_1) | instskip(SKIP_1) | instid1(VALU_DEP_1)
	v_fma_f64 v[2:3], v[116:117], v[122:123], v[2:3]
	s_waitcnt lgkmcnt(1)
	v_fma_f64 v[2:3], v[118:119], v[106:107], v[2:3]
	s_waitcnt vmcnt(2)
	s_delay_alu instid0(VALU_DEP_1) | instskip(SKIP_1) | instid1(VALU_DEP_1)
	v_fma_f64 v[2:3], v[128:129], v[108:109], v[2:3]
	s_waitcnt lgkmcnt(0)
	v_fma_f64 v[2:3], v[130:131], v[110:111], v[2:3]
	s_waitcnt vmcnt(1)
	s_delay_alu instid0(VALU_DEP_1)
	v_fma_f64 v[2:3], v[102:103], v[112:113], v[2:3]
	ds_load_b128 v[106:109], v1 offset:736
	ds_load_b64 v[102:103], v1 offset:752
	s_waitcnt lgkmcnt(1)
	v_fma_f64 v[2:3], v[104:105], v[106:107], v[2:3]
	s_waitcnt vmcnt(0)
	s_delay_alu instid0(VALU_DEP_1) | instskip(SKIP_1) | instid1(VALU_DEP_1)
	v_fma_f64 v[2:3], v[124:125], v[108:109], v[2:3]
	s_waitcnt lgkmcnt(0)
	v_fma_f64 v[2:3], v[126:127], v[102:103], v[2:3]
	s_delay_alu instid0(VALU_DEP_1)
	v_add_f64 v[2:3], v[100:101], -v[2:3]
	scratch_store_b64 off, v[2:3], off offset:248
	v_cmpx_lt_u32_e32 30, v0
	s_cbranch_execz .LBB46_231
; %bb.230:
	scratch_load_b64 v[3:4], off, off offset:240
	v_mov_b32_e32 v2, v1
	scratch_store_b64 off, v[1:2], off offset:240
	s_waitcnt vmcnt(0)
	ds_store_b64 v5, v[3:4]
.LBB46_231:
	s_or_b32 exec_lo, exec_lo, s0
	s_waitcnt lgkmcnt(0)
	s_waitcnt_vscnt null, 0x0
	s_barrier
	buffer_gl0_inv
	s_clause 0x4
	scratch_load_b128 v[100:103], off, off offset:240
	scratch_load_b128 v[104:107], off, off offset:256
	;; [unrolled: 1-line block ×5, first 2 shown]
	ds_load_2addr_b64 v[120:123], v1 offset0:79 offset1:80
	ds_load_2addr_b64 v[124:127], v1 offset0:81 offset1:82
	scratch_load_b128 v[128:131], off, off offset:320
	s_mov_b32 s0, exec_lo
	s_waitcnt vmcnt(5) lgkmcnt(1)
	v_fma_f64 v[2:3], v[102:103], v[120:121], 0
	s_waitcnt vmcnt(4)
	s_delay_alu instid0(VALU_DEP_1) | instskip(SKIP_4) | instid1(VALU_DEP_1)
	v_fma_f64 v[2:3], v[104:105], v[122:123], v[2:3]
	scratch_load_b128 v[102:105], off, off offset:336
	s_waitcnt lgkmcnt(0)
	v_fma_f64 v[2:3], v[106:107], v[124:125], v[2:3]
	s_waitcnt vmcnt(4)
	v_fma_f64 v[2:3], v[108:109], v[126:127], v[2:3]
	ds_load_2addr_b64 v[106:109], v1 offset0:83 offset1:84
	ds_load_2addr_b64 v[120:123], v1 offset0:85 offset1:86
	scratch_load_b128 v[124:127], off, off offset:352
	s_waitcnt lgkmcnt(1)
	v_fma_f64 v[2:3], v[110:111], v[106:107], v[2:3]
	s_waitcnt vmcnt(4)
	s_delay_alu instid0(VALU_DEP_1) | instskip(SKIP_1) | instid1(VALU_DEP_1)
	v_fma_f64 v[2:3], v[112:113], v[108:109], v[2:3]
	s_waitcnt lgkmcnt(0)
	v_fma_f64 v[2:3], v[114:115], v[120:121], v[2:3]
	scratch_load_b64 v[114:115], off, off offset:368
	ds_load_2addr_b64 v[106:109], v1 offset0:87 offset1:88
	ds_load_2addr_b64 v[110:113], v1 offset0:89 offset1:90
	s_waitcnt vmcnt(4)
	v_fma_f64 v[2:3], v[116:117], v[122:123], v[2:3]
	s_waitcnt lgkmcnt(1)
	s_delay_alu instid0(VALU_DEP_1) | instskip(SKIP_1) | instid1(VALU_DEP_1)
	v_fma_f64 v[2:3], v[118:119], v[106:107], v[2:3]
	s_waitcnt vmcnt(3)
	v_fma_f64 v[2:3], v[128:129], v[108:109], v[2:3]
	s_waitcnt lgkmcnt(0)
	s_delay_alu instid0(VALU_DEP_1) | instskip(SKIP_1) | instid1(VALU_DEP_1)
	v_fma_f64 v[2:3], v[130:131], v[110:111], v[2:3]
	s_waitcnt vmcnt(2)
	v_fma_f64 v[102:103], v[102:103], v[112:113], v[2:3]
	ds_load_2addr_b64 v[106:109], v1 offset0:91 offset1:92
	ds_load_2addr_b64 v[1:4], v1 offset0:93 offset1:94
	s_waitcnt lgkmcnt(1)
	v_fma_f64 v[102:103], v[104:105], v[106:107], v[102:103]
	s_waitcnt vmcnt(1)
	s_delay_alu instid0(VALU_DEP_1) | instskip(SKIP_1) | instid1(VALU_DEP_1)
	v_fma_f64 v[102:103], v[124:125], v[108:109], v[102:103]
	s_waitcnt lgkmcnt(0)
	v_fma_f64 v[1:2], v[126:127], v[1:2], v[102:103]
	s_waitcnt vmcnt(0)
	s_delay_alu instid0(VALU_DEP_1) | instskip(NEXT) | instid1(VALU_DEP_1)
	v_fma_f64 v[1:2], v[114:115], v[3:4], v[1:2]
	v_add_f64 v[1:2], v[100:101], -v[1:2]
	scratch_store_b64 off, v[1:2], off offset:240
	v_cmpx_lt_u32_e32 29, v0
	s_cbranch_execz .LBB46_233
; %bb.232:
	scratch_load_b64 v[1:2], off, off offset:232
	v_mov_b32_e32 v3, 0
	s_delay_alu instid0(VALU_DEP_1)
	v_mov_b32_e32 v4, v3
	scratch_store_b64 off, v[3:4], off offset:232
	s_waitcnt vmcnt(0)
	ds_store_b64 v5, v[1:2]
.LBB46_233:
	s_or_b32 exec_lo, exec_lo, s0
	s_waitcnt lgkmcnt(0)
	s_waitcnt_vscnt null, 0x0
	s_barrier
	buffer_gl0_inv
	s_clause 0x4
	scratch_load_b128 v[100:103], off, off offset:232
	scratch_load_b128 v[104:107], off, off offset:248
	;; [unrolled: 1-line block ×5, first 2 shown]
	v_mov_b32_e32 v1, 0
	ds_load_b128 v[120:123], v1 offset:624
	ds_load_b128 v[124:127], v1 offset:640
	scratch_load_b128 v[128:131], off, off offset:312
	s_mov_b32 s0, exec_lo
	s_waitcnt vmcnt(5) lgkmcnt(1)
	v_fma_f64 v[2:3], v[102:103], v[120:121], 0
	s_waitcnt vmcnt(4)
	s_delay_alu instid0(VALU_DEP_1) | instskip(SKIP_4) | instid1(VALU_DEP_1)
	v_fma_f64 v[2:3], v[104:105], v[122:123], v[2:3]
	scratch_load_b128 v[102:105], off, off offset:328
	s_waitcnt lgkmcnt(0)
	v_fma_f64 v[2:3], v[106:107], v[124:125], v[2:3]
	s_waitcnt vmcnt(4)
	v_fma_f64 v[2:3], v[108:109], v[126:127], v[2:3]
	ds_load_b128 v[106:109], v1 offset:656
	ds_load_b128 v[120:123], v1 offset:672
	scratch_load_b128 v[124:127], off, off offset:344
	s_waitcnt lgkmcnt(1)
	v_fma_f64 v[2:3], v[110:111], v[106:107], v[2:3]
	s_waitcnt vmcnt(4)
	s_delay_alu instid0(VALU_DEP_1) | instskip(SKIP_4) | instid1(VALU_DEP_1)
	v_fma_f64 v[2:3], v[112:113], v[108:109], v[2:3]
	scratch_load_b128 v[106:109], off, off offset:360
	s_waitcnt lgkmcnt(0)
	v_fma_f64 v[2:3], v[114:115], v[120:121], v[2:3]
	s_waitcnt vmcnt(4)
	v_fma_f64 v[2:3], v[116:117], v[122:123], v[2:3]
	ds_load_b128 v[110:113], v1 offset:688
	ds_load_b128 v[114:117], v1 offset:704
	s_waitcnt lgkmcnt(1)
	v_fma_f64 v[2:3], v[118:119], v[110:111], v[2:3]
	s_waitcnt vmcnt(3)
	s_delay_alu instid0(VALU_DEP_1) | instskip(SKIP_1) | instid1(VALU_DEP_1)
	v_fma_f64 v[2:3], v[128:129], v[112:113], v[2:3]
	s_waitcnt lgkmcnt(0)
	v_fma_f64 v[2:3], v[130:131], v[114:115], v[2:3]
	s_waitcnt vmcnt(2)
	s_delay_alu instid0(VALU_DEP_1)
	v_fma_f64 v[2:3], v[102:103], v[116:117], v[2:3]
	ds_load_b128 v[110:113], v1 offset:720
	ds_load_b128 v[114:117], v1 offset:736
	ds_load_b64 v[102:103], v1 offset:752
	s_waitcnt lgkmcnt(2)
	v_fma_f64 v[2:3], v[104:105], v[110:111], v[2:3]
	s_waitcnt vmcnt(1)
	s_delay_alu instid0(VALU_DEP_1) | instskip(SKIP_1) | instid1(VALU_DEP_1)
	v_fma_f64 v[2:3], v[124:125], v[112:113], v[2:3]
	s_waitcnt lgkmcnt(1)
	v_fma_f64 v[2:3], v[126:127], v[114:115], v[2:3]
	s_waitcnt vmcnt(0)
	s_delay_alu instid0(VALU_DEP_1) | instskip(SKIP_1) | instid1(VALU_DEP_1)
	v_fma_f64 v[2:3], v[106:107], v[116:117], v[2:3]
	s_waitcnt lgkmcnt(0)
	v_fma_f64 v[2:3], v[108:109], v[102:103], v[2:3]
	s_delay_alu instid0(VALU_DEP_1)
	v_add_f64 v[2:3], v[100:101], -v[2:3]
	scratch_store_b64 off, v[2:3], off offset:232
	v_cmpx_lt_u32_e32 28, v0
	s_cbranch_execz .LBB46_235
; %bb.234:
	scratch_load_b64 v[3:4], off, off offset:224
	v_mov_b32_e32 v2, v1
	scratch_store_b64 off, v[1:2], off offset:224
	s_waitcnt vmcnt(0)
	ds_store_b64 v5, v[3:4]
.LBB46_235:
	s_or_b32 exec_lo, exec_lo, s0
	s_waitcnt lgkmcnt(0)
	s_waitcnt_vscnt null, 0x0
	s_barrier
	buffer_gl0_inv
	s_clause 0x4
	scratch_load_b128 v[100:103], off, off offset:224
	scratch_load_b128 v[104:107], off, off offset:240
	;; [unrolled: 1-line block ×5, first 2 shown]
	ds_load_2addr_b64 v[120:123], v1 offset0:77 offset1:78
	ds_load_2addr_b64 v[124:127], v1 offset0:79 offset1:80
	scratch_load_b128 v[128:131], off, off offset:304
	s_mov_b32 s0, exec_lo
	s_waitcnt vmcnt(5) lgkmcnt(1)
	v_fma_f64 v[2:3], v[102:103], v[120:121], 0
	s_waitcnt vmcnt(4)
	s_delay_alu instid0(VALU_DEP_1) | instskip(SKIP_4) | instid1(VALU_DEP_1)
	v_fma_f64 v[2:3], v[104:105], v[122:123], v[2:3]
	scratch_load_b128 v[102:105], off, off offset:320
	s_waitcnt lgkmcnt(0)
	v_fma_f64 v[2:3], v[106:107], v[124:125], v[2:3]
	s_waitcnt vmcnt(4)
	v_fma_f64 v[2:3], v[108:109], v[126:127], v[2:3]
	ds_load_2addr_b64 v[106:109], v1 offset0:81 offset1:82
	ds_load_2addr_b64 v[120:123], v1 offset0:83 offset1:84
	scratch_load_b128 v[124:127], off, off offset:336
	s_waitcnt lgkmcnt(1)
	v_fma_f64 v[2:3], v[110:111], v[106:107], v[2:3]
	s_waitcnt vmcnt(4)
	s_delay_alu instid0(VALU_DEP_1) | instskip(SKIP_4) | instid1(VALU_DEP_1)
	v_fma_f64 v[2:3], v[112:113], v[108:109], v[2:3]
	scratch_load_b128 v[106:109], off, off offset:352
	s_waitcnt lgkmcnt(0)
	v_fma_f64 v[2:3], v[114:115], v[120:121], v[2:3]
	s_waitcnt vmcnt(4)
	v_fma_f64 v[2:3], v[116:117], v[122:123], v[2:3]
	ds_load_2addr_b64 v[110:113], v1 offset0:85 offset1:86
	ds_load_2addr_b64 v[114:117], v1 offset0:87 offset1:88
	s_waitcnt lgkmcnt(1)
	v_fma_f64 v[2:3], v[118:119], v[110:111], v[2:3]
	scratch_load_b64 v[118:119], off, off offset:368
	s_waitcnt vmcnt(4)
	v_fma_f64 v[2:3], v[128:129], v[112:113], v[2:3]
	s_waitcnt lgkmcnt(0)
	s_delay_alu instid0(VALU_DEP_1) | instskip(SKIP_1) | instid1(VALU_DEP_1)
	v_fma_f64 v[2:3], v[130:131], v[114:115], v[2:3]
	s_waitcnt vmcnt(3)
	v_fma_f64 v[2:3], v[102:103], v[116:117], v[2:3]
	ds_load_2addr_b64 v[110:113], v1 offset0:89 offset1:90
	ds_load_2addr_b64 v[114:117], v1 offset0:91 offset1:92
	s_waitcnt lgkmcnt(1)
	v_fma_f64 v[2:3], v[104:105], v[110:111], v[2:3]
	s_waitcnt vmcnt(2)
	s_delay_alu instid0(VALU_DEP_1) | instskip(SKIP_1) | instid1(VALU_DEP_1)
	v_fma_f64 v[2:3], v[124:125], v[112:113], v[2:3]
	s_waitcnt lgkmcnt(0)
	v_fma_f64 v[2:3], v[126:127], v[114:115], v[2:3]
	s_waitcnt vmcnt(1)
	s_delay_alu instid0(VALU_DEP_1) | instskip(SKIP_4) | instid1(VALU_DEP_1)
	v_fma_f64 v[102:103], v[106:107], v[116:117], v[2:3]
	ds_load_2addr_b64 v[1:4], v1 offset0:93 offset1:94
	s_waitcnt lgkmcnt(0)
	v_fma_f64 v[1:2], v[108:109], v[1:2], v[102:103]
	s_waitcnt vmcnt(0)
	v_fma_f64 v[1:2], v[118:119], v[3:4], v[1:2]
	s_delay_alu instid0(VALU_DEP_1)
	v_add_f64 v[1:2], v[100:101], -v[1:2]
	scratch_store_b64 off, v[1:2], off offset:224
	v_cmpx_lt_u32_e32 27, v0
	s_cbranch_execz .LBB46_237
; %bb.236:
	scratch_load_b64 v[1:2], off, off offset:216
	v_mov_b32_e32 v3, 0
	s_delay_alu instid0(VALU_DEP_1)
	v_mov_b32_e32 v4, v3
	scratch_store_b64 off, v[3:4], off offset:216
	s_waitcnt vmcnt(0)
	ds_store_b64 v5, v[1:2]
.LBB46_237:
	s_or_b32 exec_lo, exec_lo, s0
	s_waitcnt lgkmcnt(0)
	s_waitcnt_vscnt null, 0x0
	s_barrier
	buffer_gl0_inv
	s_clause 0x4
	scratch_load_b128 v[100:103], off, off offset:216
	scratch_load_b128 v[104:107], off, off offset:232
	;; [unrolled: 1-line block ×5, first 2 shown]
	v_mov_b32_e32 v1, 0
	ds_load_b128 v[120:123], v1 offset:608
	ds_load_b128 v[124:127], v1 offset:624
	scratch_load_b128 v[128:131], off, off offset:296
	s_mov_b32 s0, exec_lo
	s_waitcnt vmcnt(5) lgkmcnt(1)
	v_fma_f64 v[2:3], v[102:103], v[120:121], 0
	s_waitcnt vmcnt(4)
	s_delay_alu instid0(VALU_DEP_1) | instskip(SKIP_4) | instid1(VALU_DEP_1)
	v_fma_f64 v[2:3], v[104:105], v[122:123], v[2:3]
	scratch_load_b128 v[102:105], off, off offset:312
	s_waitcnt lgkmcnt(0)
	v_fma_f64 v[2:3], v[106:107], v[124:125], v[2:3]
	s_waitcnt vmcnt(4)
	v_fma_f64 v[2:3], v[108:109], v[126:127], v[2:3]
	ds_load_b128 v[106:109], v1 offset:640
	ds_load_b128 v[120:123], v1 offset:656
	scratch_load_b128 v[124:127], off, off offset:328
	s_waitcnt lgkmcnt(1)
	v_fma_f64 v[2:3], v[110:111], v[106:107], v[2:3]
	s_waitcnt vmcnt(4)
	s_delay_alu instid0(VALU_DEP_1) | instskip(SKIP_4) | instid1(VALU_DEP_1)
	v_fma_f64 v[2:3], v[112:113], v[108:109], v[2:3]
	scratch_load_b128 v[106:109], off, off offset:344
	s_waitcnt lgkmcnt(0)
	v_fma_f64 v[2:3], v[114:115], v[120:121], v[2:3]
	s_waitcnt vmcnt(4)
	v_fma_f64 v[2:3], v[116:117], v[122:123], v[2:3]
	ds_load_b128 v[110:113], v1 offset:672
	ds_load_b128 v[114:117], v1 offset:688
	s_waitcnt lgkmcnt(1)
	v_fma_f64 v[2:3], v[118:119], v[110:111], v[2:3]
	scratch_load_b128 v[118:121], off, off offset:360
	s_waitcnt vmcnt(4)
	v_fma_f64 v[2:3], v[128:129], v[112:113], v[2:3]
	s_waitcnt lgkmcnt(0)
	s_delay_alu instid0(VALU_DEP_1) | instskip(SKIP_1) | instid1(VALU_DEP_1)
	v_fma_f64 v[2:3], v[130:131], v[114:115], v[2:3]
	s_waitcnt vmcnt(3)
	v_fma_f64 v[2:3], v[102:103], v[116:117], v[2:3]
	ds_load_b128 v[110:113], v1 offset:704
	ds_load_b128 v[114:117], v1 offset:720
	s_waitcnt lgkmcnt(1)
	v_fma_f64 v[2:3], v[104:105], v[110:111], v[2:3]
	s_waitcnt vmcnt(2)
	s_delay_alu instid0(VALU_DEP_1) | instskip(SKIP_1) | instid1(VALU_DEP_1)
	v_fma_f64 v[2:3], v[124:125], v[112:113], v[2:3]
	s_waitcnt lgkmcnt(0)
	v_fma_f64 v[2:3], v[126:127], v[114:115], v[2:3]
	s_waitcnt vmcnt(1)
	s_delay_alu instid0(VALU_DEP_1)
	v_fma_f64 v[2:3], v[106:107], v[116:117], v[2:3]
	ds_load_b128 v[102:105], v1 offset:736
	ds_load_b64 v[106:107], v1 offset:752
	s_waitcnt lgkmcnt(1)
	v_fma_f64 v[2:3], v[108:109], v[102:103], v[2:3]
	s_waitcnt vmcnt(0)
	s_delay_alu instid0(VALU_DEP_1) | instskip(SKIP_1) | instid1(VALU_DEP_1)
	v_fma_f64 v[2:3], v[118:119], v[104:105], v[2:3]
	s_waitcnt lgkmcnt(0)
	v_fma_f64 v[2:3], v[120:121], v[106:107], v[2:3]
	s_delay_alu instid0(VALU_DEP_1)
	v_add_f64 v[2:3], v[100:101], -v[2:3]
	scratch_store_b64 off, v[2:3], off offset:216
	v_cmpx_lt_u32_e32 26, v0
	s_cbranch_execz .LBB46_239
; %bb.238:
	scratch_load_b64 v[3:4], off, off offset:208
	v_mov_b32_e32 v2, v1
	scratch_store_b64 off, v[1:2], off offset:208
	s_waitcnt vmcnt(0)
	ds_store_b64 v5, v[3:4]
.LBB46_239:
	s_or_b32 exec_lo, exec_lo, s0
	s_waitcnt lgkmcnt(0)
	s_waitcnt_vscnt null, 0x0
	s_barrier
	buffer_gl0_inv
	s_clause 0x4
	scratch_load_b128 v[100:103], off, off offset:208
	scratch_load_b128 v[104:107], off, off offset:224
	;; [unrolled: 1-line block ×5, first 2 shown]
	ds_load_2addr_b64 v[120:123], v1 offset0:75 offset1:76
	ds_load_2addr_b64 v[124:127], v1 offset0:77 offset1:78
	scratch_load_b128 v[128:131], off, off offset:288
	s_mov_b32 s0, exec_lo
	s_waitcnt vmcnt(5) lgkmcnt(1)
	v_fma_f64 v[2:3], v[102:103], v[120:121], 0
	s_waitcnt vmcnt(4)
	s_delay_alu instid0(VALU_DEP_1) | instskip(SKIP_4) | instid1(VALU_DEP_1)
	v_fma_f64 v[2:3], v[104:105], v[122:123], v[2:3]
	scratch_load_b128 v[102:105], off, off offset:304
	s_waitcnt lgkmcnt(0)
	v_fma_f64 v[2:3], v[106:107], v[124:125], v[2:3]
	s_waitcnt vmcnt(4)
	v_fma_f64 v[2:3], v[108:109], v[126:127], v[2:3]
	ds_load_2addr_b64 v[106:109], v1 offset0:79 offset1:80
	ds_load_2addr_b64 v[120:123], v1 offset0:81 offset1:82
	scratch_load_b128 v[124:127], off, off offset:320
	s_waitcnt lgkmcnt(1)
	v_fma_f64 v[2:3], v[110:111], v[106:107], v[2:3]
	s_waitcnt vmcnt(4)
	s_delay_alu instid0(VALU_DEP_1) | instskip(SKIP_4) | instid1(VALU_DEP_1)
	v_fma_f64 v[2:3], v[112:113], v[108:109], v[2:3]
	scratch_load_b128 v[106:109], off, off offset:336
	s_waitcnt lgkmcnt(0)
	v_fma_f64 v[2:3], v[114:115], v[120:121], v[2:3]
	s_waitcnt vmcnt(4)
	v_fma_f64 v[2:3], v[116:117], v[122:123], v[2:3]
	ds_load_2addr_b64 v[110:113], v1 offset0:83 offset1:84
	ds_load_2addr_b64 v[114:117], v1 offset0:85 offset1:86
	scratch_load_b64 v[122:123], off, off offset:368
	s_waitcnt lgkmcnt(1)
	v_fma_f64 v[2:3], v[118:119], v[110:111], v[2:3]
	scratch_load_b128 v[118:121], off, off offset:352
	s_waitcnt vmcnt(5)
	v_fma_f64 v[2:3], v[128:129], v[112:113], v[2:3]
	s_waitcnt lgkmcnt(0)
	s_delay_alu instid0(VALU_DEP_1) | instskip(SKIP_1) | instid1(VALU_DEP_1)
	v_fma_f64 v[2:3], v[130:131], v[114:115], v[2:3]
	s_waitcnt vmcnt(4)
	v_fma_f64 v[2:3], v[102:103], v[116:117], v[2:3]
	ds_load_2addr_b64 v[110:113], v1 offset0:87 offset1:88
	ds_load_2addr_b64 v[114:117], v1 offset0:89 offset1:90
	s_waitcnt lgkmcnt(1)
	v_fma_f64 v[2:3], v[104:105], v[110:111], v[2:3]
	s_waitcnt vmcnt(3)
	s_delay_alu instid0(VALU_DEP_1) | instskip(SKIP_1) | instid1(VALU_DEP_1)
	v_fma_f64 v[2:3], v[124:125], v[112:113], v[2:3]
	s_waitcnt lgkmcnt(0)
	v_fma_f64 v[2:3], v[126:127], v[114:115], v[2:3]
	s_waitcnt vmcnt(2)
	s_delay_alu instid0(VALU_DEP_1)
	v_fma_f64 v[106:107], v[106:107], v[116:117], v[2:3]
	ds_load_2addr_b64 v[102:105], v1 offset0:91 offset1:92
	ds_load_2addr_b64 v[1:4], v1 offset0:93 offset1:94
	s_waitcnt lgkmcnt(1)
	v_fma_f64 v[102:103], v[108:109], v[102:103], v[106:107]
	s_waitcnt vmcnt(0)
	s_delay_alu instid0(VALU_DEP_1) | instskip(SKIP_1) | instid1(VALU_DEP_1)
	v_fma_f64 v[102:103], v[118:119], v[104:105], v[102:103]
	s_waitcnt lgkmcnt(0)
	v_fma_f64 v[1:2], v[120:121], v[1:2], v[102:103]
	s_delay_alu instid0(VALU_DEP_1) | instskip(NEXT) | instid1(VALU_DEP_1)
	v_fma_f64 v[1:2], v[122:123], v[3:4], v[1:2]
	v_add_f64 v[1:2], v[100:101], -v[1:2]
	scratch_store_b64 off, v[1:2], off offset:208
	v_cmpx_lt_u32_e32 25, v0
	s_cbranch_execz .LBB46_241
; %bb.240:
	scratch_load_b64 v[1:2], off, off offset:200
	v_mov_b32_e32 v3, 0
	s_delay_alu instid0(VALU_DEP_1)
	v_mov_b32_e32 v4, v3
	scratch_store_b64 off, v[3:4], off offset:200
	s_waitcnt vmcnt(0)
	ds_store_b64 v5, v[1:2]
.LBB46_241:
	s_or_b32 exec_lo, exec_lo, s0
	s_waitcnt lgkmcnt(0)
	s_waitcnt_vscnt null, 0x0
	s_barrier
	buffer_gl0_inv
	s_clause 0x4
	scratch_load_b128 v[100:103], off, off offset:200
	scratch_load_b128 v[104:107], off, off offset:216
	;; [unrolled: 1-line block ×5, first 2 shown]
	v_mov_b32_e32 v1, 0
	ds_load_b128 v[120:123], v1 offset:592
	ds_load_b128 v[124:127], v1 offset:608
	scratch_load_b128 v[128:131], off, off offset:280
	s_mov_b32 s0, exec_lo
	s_waitcnt vmcnt(5) lgkmcnt(1)
	v_fma_f64 v[2:3], v[102:103], v[120:121], 0
	s_waitcnt vmcnt(4)
	s_delay_alu instid0(VALU_DEP_1) | instskip(SKIP_4) | instid1(VALU_DEP_1)
	v_fma_f64 v[2:3], v[104:105], v[122:123], v[2:3]
	scratch_load_b128 v[102:105], off, off offset:296
	s_waitcnt lgkmcnt(0)
	v_fma_f64 v[2:3], v[106:107], v[124:125], v[2:3]
	s_waitcnt vmcnt(4)
	v_fma_f64 v[2:3], v[108:109], v[126:127], v[2:3]
	ds_load_b128 v[106:109], v1 offset:624
	ds_load_b128 v[120:123], v1 offset:640
	scratch_load_b128 v[124:127], off, off offset:312
	s_waitcnt lgkmcnt(1)
	v_fma_f64 v[2:3], v[110:111], v[106:107], v[2:3]
	s_waitcnt vmcnt(4)
	s_delay_alu instid0(VALU_DEP_1) | instskip(SKIP_4) | instid1(VALU_DEP_1)
	v_fma_f64 v[2:3], v[112:113], v[108:109], v[2:3]
	scratch_load_b128 v[106:109], off, off offset:328
	s_waitcnt lgkmcnt(0)
	v_fma_f64 v[2:3], v[114:115], v[120:121], v[2:3]
	s_waitcnt vmcnt(4)
	v_fma_f64 v[2:3], v[116:117], v[122:123], v[2:3]
	ds_load_b128 v[110:113], v1 offset:656
	ds_load_b128 v[114:117], v1 offset:672
	s_waitcnt lgkmcnt(1)
	v_fma_f64 v[2:3], v[118:119], v[110:111], v[2:3]
	scratch_load_b128 v[118:121], off, off offset:344
	s_waitcnt vmcnt(4)
	v_fma_f64 v[2:3], v[128:129], v[112:113], v[2:3]
	scratch_load_b128 v[110:113], off, off offset:360
	s_waitcnt lgkmcnt(0)
	v_fma_f64 v[2:3], v[130:131], v[114:115], v[2:3]
	s_waitcnt vmcnt(4)
	s_delay_alu instid0(VALU_DEP_1)
	v_fma_f64 v[2:3], v[102:103], v[116:117], v[2:3]
	ds_load_b128 v[114:117], v1 offset:688
	ds_load_b128 v[128:131], v1 offset:704
	s_waitcnt lgkmcnt(1)
	v_fma_f64 v[2:3], v[104:105], v[114:115], v[2:3]
	s_waitcnt vmcnt(3)
	s_delay_alu instid0(VALU_DEP_1)
	v_fma_f64 v[2:3], v[124:125], v[116:117], v[2:3]
	ds_load_b128 v[102:105], v1 offset:720
	ds_load_b128 v[114:117], v1 offset:736
	s_waitcnt lgkmcnt(2)
	v_fma_f64 v[2:3], v[126:127], v[128:129], v[2:3]
	s_waitcnt vmcnt(2)
	s_delay_alu instid0(VALU_DEP_1) | instskip(SKIP_1) | instid1(VALU_DEP_1)
	v_fma_f64 v[2:3], v[106:107], v[130:131], v[2:3]
	s_waitcnt lgkmcnt(1)
	v_fma_f64 v[2:3], v[108:109], v[102:103], v[2:3]
	ds_load_b64 v[102:103], v1 offset:752
	s_waitcnt vmcnt(1)
	v_fma_f64 v[2:3], v[118:119], v[104:105], v[2:3]
	s_waitcnt lgkmcnt(1)
	s_delay_alu instid0(VALU_DEP_1) | instskip(SKIP_1) | instid1(VALU_DEP_1)
	v_fma_f64 v[2:3], v[120:121], v[114:115], v[2:3]
	s_waitcnt vmcnt(0)
	v_fma_f64 v[2:3], v[110:111], v[116:117], v[2:3]
	s_waitcnt lgkmcnt(0)
	s_delay_alu instid0(VALU_DEP_1) | instskip(NEXT) | instid1(VALU_DEP_1)
	v_fma_f64 v[2:3], v[112:113], v[102:103], v[2:3]
	v_add_f64 v[2:3], v[100:101], -v[2:3]
	scratch_store_b64 off, v[2:3], off offset:200
	v_cmpx_lt_u32_e32 24, v0
	s_cbranch_execz .LBB46_243
; %bb.242:
	scratch_load_b64 v[3:4], off, off offset:192
	v_mov_b32_e32 v2, v1
	scratch_store_b64 off, v[1:2], off offset:192
	s_waitcnt vmcnt(0)
	ds_store_b64 v5, v[3:4]
.LBB46_243:
	s_or_b32 exec_lo, exec_lo, s0
	s_waitcnt lgkmcnt(0)
	s_waitcnt_vscnt null, 0x0
	s_barrier
	buffer_gl0_inv
	s_clause 0x4
	scratch_load_b128 v[100:103], off, off offset:192
	scratch_load_b128 v[104:107], off, off offset:208
	scratch_load_b128 v[108:111], off, off offset:224
	scratch_load_b128 v[112:115], off, off offset:240
	scratch_load_b128 v[116:119], off, off offset:256
	ds_load_2addr_b64 v[120:123], v1 offset0:73 offset1:74
	ds_load_2addr_b64 v[124:127], v1 offset0:75 offset1:76
	scratch_load_b128 v[128:131], off, off offset:272
	s_mov_b32 s0, exec_lo
	s_waitcnt vmcnt(5) lgkmcnt(1)
	v_fma_f64 v[2:3], v[102:103], v[120:121], 0
	s_waitcnt vmcnt(4)
	s_delay_alu instid0(VALU_DEP_1) | instskip(SKIP_4) | instid1(VALU_DEP_1)
	v_fma_f64 v[2:3], v[104:105], v[122:123], v[2:3]
	scratch_load_b128 v[102:105], off, off offset:288
	s_waitcnt lgkmcnt(0)
	v_fma_f64 v[2:3], v[106:107], v[124:125], v[2:3]
	s_waitcnt vmcnt(4)
	v_fma_f64 v[2:3], v[108:109], v[126:127], v[2:3]
	ds_load_2addr_b64 v[106:109], v1 offset0:77 offset1:78
	ds_load_2addr_b64 v[120:123], v1 offset0:79 offset1:80
	scratch_load_b128 v[124:127], off, off offset:304
	s_waitcnt lgkmcnt(1)
	v_fma_f64 v[2:3], v[110:111], v[106:107], v[2:3]
	s_waitcnt vmcnt(4)
	s_delay_alu instid0(VALU_DEP_1) | instskip(SKIP_4) | instid1(VALU_DEP_1)
	v_fma_f64 v[2:3], v[112:113], v[108:109], v[2:3]
	scratch_load_b128 v[106:109], off, off offset:320
	s_waitcnt lgkmcnt(0)
	v_fma_f64 v[2:3], v[114:115], v[120:121], v[2:3]
	s_waitcnt vmcnt(4)
	v_fma_f64 v[2:3], v[116:117], v[122:123], v[2:3]
	ds_load_2addr_b64 v[110:113], v1 offset0:81 offset1:82
	ds_load_2addr_b64 v[114:117], v1 offset0:83 offset1:84
	s_waitcnt lgkmcnt(1)
	v_fma_f64 v[2:3], v[118:119], v[110:111], v[2:3]
	scratch_load_b128 v[118:121], off, off offset:336
	s_waitcnt vmcnt(4)
	v_fma_f64 v[2:3], v[128:129], v[112:113], v[2:3]
	scratch_load_b128 v[110:113], off, off offset:352
	s_waitcnt lgkmcnt(0)
	v_fma_f64 v[2:3], v[130:131], v[114:115], v[2:3]
	s_waitcnt vmcnt(4)
	s_delay_alu instid0(VALU_DEP_1)
	v_fma_f64 v[2:3], v[102:103], v[116:117], v[2:3]
	ds_load_2addr_b64 v[114:117], v1 offset0:85 offset1:86
	ds_load_2addr_b64 v[128:131], v1 offset0:87 offset1:88
	scratch_load_b64 v[122:123], off, off offset:368
	s_waitcnt lgkmcnt(1)
	v_fma_f64 v[2:3], v[104:105], v[114:115], v[2:3]
	s_waitcnt vmcnt(4)
	s_delay_alu instid0(VALU_DEP_1)
	v_fma_f64 v[2:3], v[124:125], v[116:117], v[2:3]
	ds_load_2addr_b64 v[102:105], v1 offset0:89 offset1:90
	ds_load_2addr_b64 v[114:117], v1 offset0:91 offset1:92
	s_waitcnt lgkmcnt(2)
	v_fma_f64 v[2:3], v[126:127], v[128:129], v[2:3]
	s_waitcnt vmcnt(3)
	s_delay_alu instid0(VALU_DEP_1) | instskip(SKIP_1) | instid1(VALU_DEP_1)
	v_fma_f64 v[2:3], v[106:107], v[130:131], v[2:3]
	s_waitcnt lgkmcnt(1)
	v_fma_f64 v[2:3], v[108:109], v[102:103], v[2:3]
	s_waitcnt vmcnt(2)
	s_delay_alu instid0(VALU_DEP_1) | instskip(SKIP_1) | instid1(VALU_DEP_1)
	v_fma_f64 v[2:3], v[118:119], v[104:105], v[2:3]
	s_waitcnt lgkmcnt(0)
	v_fma_f64 v[2:3], v[120:121], v[114:115], v[2:3]
	s_waitcnt vmcnt(1)
	s_delay_alu instid0(VALU_DEP_1) | instskip(SKIP_4) | instid1(VALU_DEP_1)
	v_fma_f64 v[102:103], v[110:111], v[116:117], v[2:3]
	ds_load_2addr_b64 v[1:4], v1 offset0:93 offset1:94
	s_waitcnt lgkmcnt(0)
	v_fma_f64 v[1:2], v[112:113], v[1:2], v[102:103]
	s_waitcnt vmcnt(0)
	v_fma_f64 v[1:2], v[122:123], v[3:4], v[1:2]
	s_delay_alu instid0(VALU_DEP_1)
	v_add_f64 v[1:2], v[100:101], -v[1:2]
	scratch_store_b64 off, v[1:2], off offset:192
	v_cmpx_lt_u32_e32 23, v0
	s_cbranch_execz .LBB46_245
; %bb.244:
	scratch_load_b64 v[1:2], off, off offset:184
	v_mov_b32_e32 v3, 0
	s_delay_alu instid0(VALU_DEP_1)
	v_mov_b32_e32 v4, v3
	scratch_store_b64 off, v[3:4], off offset:184
	s_waitcnt vmcnt(0)
	ds_store_b64 v5, v[1:2]
.LBB46_245:
	s_or_b32 exec_lo, exec_lo, s0
	s_waitcnt lgkmcnt(0)
	s_waitcnt_vscnt null, 0x0
	s_barrier
	buffer_gl0_inv
	s_clause 0x4
	scratch_load_b128 v[100:103], off, off offset:184
	scratch_load_b128 v[104:107], off, off offset:200
	;; [unrolled: 1-line block ×5, first 2 shown]
	v_mov_b32_e32 v1, 0
	ds_load_b128 v[120:123], v1 offset:576
	ds_load_b128 v[124:127], v1 offset:592
	scratch_load_b128 v[128:131], off, off offset:264
	s_mov_b32 s0, exec_lo
	s_waitcnt vmcnt(5) lgkmcnt(1)
	v_fma_f64 v[2:3], v[102:103], v[120:121], 0
	s_waitcnt vmcnt(4)
	s_delay_alu instid0(VALU_DEP_1) | instskip(SKIP_4) | instid1(VALU_DEP_1)
	v_fma_f64 v[2:3], v[104:105], v[122:123], v[2:3]
	scratch_load_b128 v[102:105], off, off offset:280
	s_waitcnt lgkmcnt(0)
	v_fma_f64 v[2:3], v[106:107], v[124:125], v[2:3]
	s_waitcnt vmcnt(4)
	v_fma_f64 v[2:3], v[108:109], v[126:127], v[2:3]
	ds_load_b128 v[106:109], v1 offset:608
	ds_load_b128 v[120:123], v1 offset:624
	scratch_load_b128 v[124:127], off, off offset:296
	s_waitcnt lgkmcnt(1)
	v_fma_f64 v[2:3], v[110:111], v[106:107], v[2:3]
	s_waitcnt vmcnt(4)
	s_delay_alu instid0(VALU_DEP_1) | instskip(SKIP_4) | instid1(VALU_DEP_1)
	v_fma_f64 v[2:3], v[112:113], v[108:109], v[2:3]
	scratch_load_b128 v[106:109], off, off offset:312
	s_waitcnt lgkmcnt(0)
	v_fma_f64 v[2:3], v[114:115], v[120:121], v[2:3]
	s_waitcnt vmcnt(4)
	v_fma_f64 v[2:3], v[116:117], v[122:123], v[2:3]
	ds_load_b128 v[110:113], v1 offset:640
	ds_load_b128 v[114:117], v1 offset:656
	s_waitcnt lgkmcnt(1)
	v_fma_f64 v[2:3], v[118:119], v[110:111], v[2:3]
	scratch_load_b128 v[118:121], off, off offset:328
	s_waitcnt vmcnt(4)
	v_fma_f64 v[2:3], v[128:129], v[112:113], v[2:3]
	scratch_load_b128 v[110:113], off, off offset:344
	s_waitcnt lgkmcnt(0)
	v_fma_f64 v[2:3], v[130:131], v[114:115], v[2:3]
	s_waitcnt vmcnt(4)
	s_delay_alu instid0(VALU_DEP_1)
	v_fma_f64 v[2:3], v[102:103], v[116:117], v[2:3]
	ds_load_b128 v[114:117], v1 offset:672
	ds_load_b128 v[128:131], v1 offset:688
	s_waitcnt lgkmcnt(1)
	v_fma_f64 v[2:3], v[104:105], v[114:115], v[2:3]
	scratch_load_b128 v[102:105], off, off offset:360
	s_waitcnt vmcnt(4)
	v_fma_f64 v[2:3], v[124:125], v[116:117], v[2:3]
	ds_load_b128 v[114:117], v1 offset:704
	ds_load_b128 v[122:125], v1 offset:720
	s_waitcnt lgkmcnt(2)
	v_fma_f64 v[2:3], v[126:127], v[128:129], v[2:3]
	s_waitcnt vmcnt(3)
	s_delay_alu instid0(VALU_DEP_1) | instskip(SKIP_1) | instid1(VALU_DEP_1)
	v_fma_f64 v[2:3], v[106:107], v[130:131], v[2:3]
	s_waitcnt lgkmcnt(1)
	v_fma_f64 v[2:3], v[108:109], v[114:115], v[2:3]
	s_waitcnt vmcnt(2)
	s_delay_alu instid0(VALU_DEP_1) | instskip(SKIP_1) | instid1(VALU_DEP_1)
	v_fma_f64 v[2:3], v[118:119], v[116:117], v[2:3]
	s_waitcnt lgkmcnt(0)
	v_fma_f64 v[2:3], v[120:121], v[122:123], v[2:3]
	s_waitcnt vmcnt(1)
	s_delay_alu instid0(VALU_DEP_1)
	v_fma_f64 v[2:3], v[110:111], v[124:125], v[2:3]
	ds_load_b128 v[106:109], v1 offset:736
	ds_load_b64 v[110:111], v1 offset:752
	s_waitcnt lgkmcnt(1)
	v_fma_f64 v[2:3], v[112:113], v[106:107], v[2:3]
	s_waitcnt vmcnt(0)
	s_delay_alu instid0(VALU_DEP_1) | instskip(SKIP_1) | instid1(VALU_DEP_1)
	v_fma_f64 v[2:3], v[102:103], v[108:109], v[2:3]
	s_waitcnt lgkmcnt(0)
	v_fma_f64 v[2:3], v[104:105], v[110:111], v[2:3]
	s_delay_alu instid0(VALU_DEP_1)
	v_add_f64 v[2:3], v[100:101], -v[2:3]
	scratch_store_b64 off, v[2:3], off offset:184
	v_cmpx_lt_u32_e32 22, v0
	s_cbranch_execz .LBB46_247
; %bb.246:
	scratch_load_b64 v[3:4], off, off offset:176
	v_mov_b32_e32 v2, v1
	scratch_store_b64 off, v[1:2], off offset:176
	s_waitcnt vmcnt(0)
	ds_store_b64 v5, v[3:4]
.LBB46_247:
	s_or_b32 exec_lo, exec_lo, s0
	s_waitcnt lgkmcnt(0)
	s_waitcnt_vscnt null, 0x0
	s_barrier
	buffer_gl0_inv
	s_clause 0x4
	scratch_load_b128 v[100:103], off, off offset:176
	scratch_load_b128 v[104:107], off, off offset:192
	;; [unrolled: 1-line block ×5, first 2 shown]
	ds_load_2addr_b64 v[120:123], v1 offset0:71 offset1:72
	ds_load_2addr_b64 v[124:127], v1 offset0:73 offset1:74
	scratch_load_b128 v[128:131], off, off offset:256
	s_mov_b32 s0, exec_lo
	s_waitcnt vmcnt(5) lgkmcnt(1)
	v_fma_f64 v[2:3], v[102:103], v[120:121], 0
	s_waitcnt vmcnt(4)
	s_delay_alu instid0(VALU_DEP_1) | instskip(SKIP_4) | instid1(VALU_DEP_1)
	v_fma_f64 v[2:3], v[104:105], v[122:123], v[2:3]
	scratch_load_b128 v[102:105], off, off offset:272
	s_waitcnt lgkmcnt(0)
	v_fma_f64 v[2:3], v[106:107], v[124:125], v[2:3]
	s_waitcnt vmcnt(4)
	v_fma_f64 v[2:3], v[108:109], v[126:127], v[2:3]
	ds_load_2addr_b64 v[106:109], v1 offset0:75 offset1:76
	ds_load_2addr_b64 v[120:123], v1 offset0:77 offset1:78
	scratch_load_b128 v[124:127], off, off offset:288
	s_waitcnt lgkmcnt(1)
	v_fma_f64 v[2:3], v[110:111], v[106:107], v[2:3]
	s_waitcnt vmcnt(4)
	s_delay_alu instid0(VALU_DEP_1) | instskip(SKIP_4) | instid1(VALU_DEP_1)
	v_fma_f64 v[2:3], v[112:113], v[108:109], v[2:3]
	scratch_load_b128 v[106:109], off, off offset:304
	s_waitcnt lgkmcnt(0)
	v_fma_f64 v[2:3], v[114:115], v[120:121], v[2:3]
	s_waitcnt vmcnt(4)
	v_fma_f64 v[2:3], v[116:117], v[122:123], v[2:3]
	ds_load_2addr_b64 v[110:113], v1 offset0:79 offset1:80
	ds_load_2addr_b64 v[114:117], v1 offset0:81 offset1:82
	s_waitcnt lgkmcnt(1)
	v_fma_f64 v[2:3], v[118:119], v[110:111], v[2:3]
	scratch_load_b128 v[118:121], off, off offset:320
	s_waitcnt vmcnt(4)
	v_fma_f64 v[2:3], v[128:129], v[112:113], v[2:3]
	scratch_load_b128 v[110:113], off, off offset:336
	s_waitcnt lgkmcnt(0)
	v_fma_f64 v[2:3], v[130:131], v[114:115], v[2:3]
	s_waitcnt vmcnt(4)
	s_delay_alu instid0(VALU_DEP_1)
	v_fma_f64 v[2:3], v[102:103], v[116:117], v[2:3]
	ds_load_2addr_b64 v[114:117], v1 offset0:83 offset1:84
	ds_load_2addr_b64 v[128:131], v1 offset0:85 offset1:86
	s_waitcnt lgkmcnt(1)
	v_fma_f64 v[2:3], v[104:105], v[114:115], v[2:3]
	scratch_load_b128 v[102:105], off, off offset:352
	s_waitcnt vmcnt(4)
	v_fma_f64 v[2:3], v[124:125], v[116:117], v[2:3]
	s_waitcnt lgkmcnt(0)
	s_delay_alu instid0(VALU_DEP_1)
	v_fma_f64 v[2:3], v[126:127], v[128:129], v[2:3]
	scratch_load_b64 v[126:127], off, off offset:368
	ds_load_2addr_b64 v[114:117], v1 offset0:87 offset1:88
	ds_load_2addr_b64 v[122:125], v1 offset0:89 offset1:90
	s_waitcnt vmcnt(4)
	v_fma_f64 v[2:3], v[106:107], v[130:131], v[2:3]
	s_waitcnt lgkmcnt(1)
	s_delay_alu instid0(VALU_DEP_1) | instskip(SKIP_1) | instid1(VALU_DEP_1)
	v_fma_f64 v[2:3], v[108:109], v[114:115], v[2:3]
	s_waitcnt vmcnt(3)
	v_fma_f64 v[2:3], v[118:119], v[116:117], v[2:3]
	s_waitcnt lgkmcnt(0)
	s_delay_alu instid0(VALU_DEP_1) | instskip(SKIP_1) | instid1(VALU_DEP_1)
	v_fma_f64 v[2:3], v[120:121], v[122:123], v[2:3]
	s_waitcnt vmcnt(2)
	v_fma_f64 v[110:111], v[110:111], v[124:125], v[2:3]
	ds_load_2addr_b64 v[106:109], v1 offset0:91 offset1:92
	ds_load_2addr_b64 v[1:4], v1 offset0:93 offset1:94
	s_waitcnt lgkmcnt(1)
	v_fma_f64 v[106:107], v[112:113], v[106:107], v[110:111]
	s_waitcnt vmcnt(1)
	s_delay_alu instid0(VALU_DEP_1) | instskip(SKIP_1) | instid1(VALU_DEP_1)
	v_fma_f64 v[102:103], v[102:103], v[108:109], v[106:107]
	s_waitcnt lgkmcnt(0)
	v_fma_f64 v[1:2], v[104:105], v[1:2], v[102:103]
	s_waitcnt vmcnt(0)
	s_delay_alu instid0(VALU_DEP_1) | instskip(NEXT) | instid1(VALU_DEP_1)
	v_fma_f64 v[1:2], v[126:127], v[3:4], v[1:2]
	v_add_f64 v[1:2], v[100:101], -v[1:2]
	scratch_store_b64 off, v[1:2], off offset:176
	v_cmpx_lt_u32_e32 21, v0
	s_cbranch_execz .LBB46_249
; %bb.248:
	scratch_load_b64 v[1:2], off, off offset:168
	v_mov_b32_e32 v3, 0
	s_delay_alu instid0(VALU_DEP_1)
	v_mov_b32_e32 v4, v3
	scratch_store_b64 off, v[3:4], off offset:168
	s_waitcnt vmcnt(0)
	ds_store_b64 v5, v[1:2]
.LBB46_249:
	s_or_b32 exec_lo, exec_lo, s0
	s_waitcnt lgkmcnt(0)
	s_waitcnt_vscnt null, 0x0
	s_barrier
	buffer_gl0_inv
	s_clause 0x4
	scratch_load_b128 v[100:103], off, off offset:168
	scratch_load_b128 v[104:107], off, off offset:184
	;; [unrolled: 1-line block ×5, first 2 shown]
	v_mov_b32_e32 v1, 0
	ds_load_b128 v[120:123], v1 offset:560
	ds_load_b128 v[124:127], v1 offset:576
	scratch_load_b128 v[128:131], off, off offset:248
	s_mov_b32 s0, exec_lo
	s_waitcnt vmcnt(5) lgkmcnt(1)
	v_fma_f64 v[2:3], v[102:103], v[120:121], 0
	s_waitcnt vmcnt(4)
	s_delay_alu instid0(VALU_DEP_1) | instskip(SKIP_4) | instid1(VALU_DEP_1)
	v_fma_f64 v[2:3], v[104:105], v[122:123], v[2:3]
	scratch_load_b128 v[102:105], off, off offset:264
	s_waitcnt lgkmcnt(0)
	v_fma_f64 v[2:3], v[106:107], v[124:125], v[2:3]
	s_waitcnt vmcnt(4)
	v_fma_f64 v[2:3], v[108:109], v[126:127], v[2:3]
	ds_load_b128 v[106:109], v1 offset:592
	ds_load_b128 v[120:123], v1 offset:608
	scratch_load_b128 v[124:127], off, off offset:280
	s_waitcnt lgkmcnt(1)
	v_fma_f64 v[2:3], v[110:111], v[106:107], v[2:3]
	s_waitcnt vmcnt(4)
	s_delay_alu instid0(VALU_DEP_1) | instskip(SKIP_4) | instid1(VALU_DEP_1)
	v_fma_f64 v[2:3], v[112:113], v[108:109], v[2:3]
	scratch_load_b128 v[106:109], off, off offset:296
	s_waitcnt lgkmcnt(0)
	v_fma_f64 v[2:3], v[114:115], v[120:121], v[2:3]
	s_waitcnt vmcnt(4)
	v_fma_f64 v[2:3], v[116:117], v[122:123], v[2:3]
	ds_load_b128 v[110:113], v1 offset:624
	ds_load_b128 v[114:117], v1 offset:640
	s_waitcnt lgkmcnt(1)
	v_fma_f64 v[2:3], v[118:119], v[110:111], v[2:3]
	scratch_load_b128 v[118:121], off, off offset:312
	s_waitcnt vmcnt(4)
	v_fma_f64 v[2:3], v[128:129], v[112:113], v[2:3]
	scratch_load_b128 v[110:113], off, off offset:328
	s_waitcnt lgkmcnt(0)
	v_fma_f64 v[2:3], v[130:131], v[114:115], v[2:3]
	s_waitcnt vmcnt(4)
	s_delay_alu instid0(VALU_DEP_1)
	v_fma_f64 v[2:3], v[102:103], v[116:117], v[2:3]
	ds_load_b128 v[114:117], v1 offset:656
	ds_load_b128 v[128:131], v1 offset:672
	s_waitcnt lgkmcnt(1)
	v_fma_f64 v[2:3], v[104:105], v[114:115], v[2:3]
	scratch_load_b128 v[102:105], off, off offset:344
	s_waitcnt vmcnt(4)
	v_fma_f64 v[2:3], v[124:125], v[116:117], v[2:3]
	scratch_load_b128 v[114:117], off, off offset:360
	s_waitcnt lgkmcnt(0)
	v_fma_f64 v[2:3], v[126:127], v[128:129], v[2:3]
	ds_load_b128 v[122:125], v1 offset:688
	ds_load_b128 v[126:129], v1 offset:704
	s_waitcnt vmcnt(4)
	v_fma_f64 v[2:3], v[106:107], v[130:131], v[2:3]
	s_waitcnt lgkmcnt(1)
	s_delay_alu instid0(VALU_DEP_1) | instskip(SKIP_1) | instid1(VALU_DEP_1)
	v_fma_f64 v[2:3], v[108:109], v[122:123], v[2:3]
	s_waitcnt vmcnt(3)
	v_fma_f64 v[2:3], v[118:119], v[124:125], v[2:3]
	s_waitcnt lgkmcnt(0)
	s_delay_alu instid0(VALU_DEP_1)
	v_fma_f64 v[2:3], v[120:121], v[126:127], v[2:3]
	ds_load_b128 v[106:109], v1 offset:720
	ds_load_b128 v[118:121], v1 offset:736
	s_waitcnt vmcnt(2)
	v_fma_f64 v[2:3], v[110:111], v[128:129], v[2:3]
	s_waitcnt lgkmcnt(1)
	s_delay_alu instid0(VALU_DEP_1) | instskip(SKIP_1) | instid1(VALU_DEP_1)
	v_fma_f64 v[2:3], v[112:113], v[106:107], v[2:3]
	s_waitcnt vmcnt(1)
	v_fma_f64 v[2:3], v[102:103], v[108:109], v[2:3]
	ds_load_b64 v[102:103], v1 offset:752
	s_waitcnt lgkmcnt(1)
	v_fma_f64 v[2:3], v[104:105], v[118:119], v[2:3]
	s_waitcnt vmcnt(0)
	s_delay_alu instid0(VALU_DEP_1) | instskip(SKIP_1) | instid1(VALU_DEP_1)
	v_fma_f64 v[2:3], v[114:115], v[120:121], v[2:3]
	s_waitcnt lgkmcnt(0)
	v_fma_f64 v[2:3], v[116:117], v[102:103], v[2:3]
	s_delay_alu instid0(VALU_DEP_1)
	v_add_f64 v[2:3], v[100:101], -v[2:3]
	scratch_store_b64 off, v[2:3], off offset:168
	v_cmpx_lt_u32_e32 20, v0
	s_cbranch_execz .LBB46_251
; %bb.250:
	scratch_load_b64 v[3:4], off, off offset:160
	v_mov_b32_e32 v2, v1
	scratch_store_b64 off, v[1:2], off offset:160
	s_waitcnt vmcnt(0)
	ds_store_b64 v5, v[3:4]
.LBB46_251:
	s_or_b32 exec_lo, exec_lo, s0
	s_waitcnt lgkmcnt(0)
	s_waitcnt_vscnt null, 0x0
	s_barrier
	buffer_gl0_inv
	s_clause 0x4
	scratch_load_b128 v[100:103], off, off offset:160
	scratch_load_b128 v[104:107], off, off offset:176
	;; [unrolled: 1-line block ×5, first 2 shown]
	ds_load_2addr_b64 v[120:123], v1 offset0:69 offset1:70
	ds_load_2addr_b64 v[124:127], v1 offset0:71 offset1:72
	scratch_load_b128 v[128:131], off, off offset:240
	s_mov_b32 s0, exec_lo
	s_waitcnt vmcnt(5) lgkmcnt(1)
	v_fma_f64 v[2:3], v[102:103], v[120:121], 0
	s_waitcnt vmcnt(4)
	s_delay_alu instid0(VALU_DEP_1) | instskip(SKIP_4) | instid1(VALU_DEP_1)
	v_fma_f64 v[2:3], v[104:105], v[122:123], v[2:3]
	scratch_load_b128 v[102:105], off, off offset:256
	s_waitcnt lgkmcnt(0)
	v_fma_f64 v[2:3], v[106:107], v[124:125], v[2:3]
	s_waitcnt vmcnt(4)
	v_fma_f64 v[2:3], v[108:109], v[126:127], v[2:3]
	ds_load_2addr_b64 v[106:109], v1 offset0:73 offset1:74
	ds_load_2addr_b64 v[120:123], v1 offset0:75 offset1:76
	scratch_load_b128 v[124:127], off, off offset:272
	s_waitcnt lgkmcnt(1)
	v_fma_f64 v[2:3], v[110:111], v[106:107], v[2:3]
	s_waitcnt vmcnt(4)
	s_delay_alu instid0(VALU_DEP_1) | instskip(SKIP_4) | instid1(VALU_DEP_1)
	v_fma_f64 v[2:3], v[112:113], v[108:109], v[2:3]
	scratch_load_b128 v[106:109], off, off offset:288
	s_waitcnt lgkmcnt(0)
	v_fma_f64 v[2:3], v[114:115], v[120:121], v[2:3]
	s_waitcnt vmcnt(4)
	v_fma_f64 v[2:3], v[116:117], v[122:123], v[2:3]
	ds_load_2addr_b64 v[110:113], v1 offset0:77 offset1:78
	ds_load_2addr_b64 v[114:117], v1 offset0:79 offset1:80
	s_waitcnt lgkmcnt(1)
	v_fma_f64 v[2:3], v[118:119], v[110:111], v[2:3]
	scratch_load_b128 v[118:121], off, off offset:304
	s_waitcnt vmcnt(4)
	v_fma_f64 v[2:3], v[128:129], v[112:113], v[2:3]
	scratch_load_b128 v[110:113], off, off offset:320
	s_waitcnt lgkmcnt(0)
	v_fma_f64 v[2:3], v[130:131], v[114:115], v[2:3]
	s_waitcnt vmcnt(4)
	s_delay_alu instid0(VALU_DEP_1)
	v_fma_f64 v[2:3], v[102:103], v[116:117], v[2:3]
	ds_load_2addr_b64 v[114:117], v1 offset0:81 offset1:82
	ds_load_2addr_b64 v[128:131], v1 offset0:83 offset1:84
	s_waitcnt lgkmcnt(1)
	v_fma_f64 v[2:3], v[104:105], v[114:115], v[2:3]
	scratch_load_b128 v[102:105], off, off offset:336
	s_waitcnt vmcnt(4)
	v_fma_f64 v[2:3], v[124:125], v[116:117], v[2:3]
	scratch_load_b128 v[114:117], off, off offset:352
	s_waitcnt lgkmcnt(0)
	v_fma_f64 v[2:3], v[126:127], v[128:129], v[2:3]
	ds_load_2addr_b64 v[122:125], v1 offset0:85 offset1:86
	ds_load_2addr_b64 v[126:129], v1 offset0:87 offset1:88
	s_waitcnt vmcnt(4)
	v_fma_f64 v[2:3], v[106:107], v[130:131], v[2:3]
	s_waitcnt lgkmcnt(1)
	s_delay_alu instid0(VALU_DEP_1) | instskip(SKIP_4) | instid1(VALU_DEP_1)
	v_fma_f64 v[2:3], v[108:109], v[122:123], v[2:3]
	scratch_load_b64 v[122:123], off, off offset:368
	s_waitcnt vmcnt(4)
	v_fma_f64 v[2:3], v[118:119], v[124:125], v[2:3]
	s_waitcnt lgkmcnt(0)
	v_fma_f64 v[2:3], v[120:121], v[126:127], v[2:3]
	ds_load_2addr_b64 v[106:109], v1 offset0:89 offset1:90
	ds_load_2addr_b64 v[118:121], v1 offset0:91 offset1:92
	s_waitcnt vmcnt(3)
	v_fma_f64 v[2:3], v[110:111], v[128:129], v[2:3]
	s_waitcnt lgkmcnt(1)
	s_delay_alu instid0(VALU_DEP_1) | instskip(SKIP_1) | instid1(VALU_DEP_1)
	v_fma_f64 v[2:3], v[112:113], v[106:107], v[2:3]
	s_waitcnt vmcnt(2)
	v_fma_f64 v[2:3], v[102:103], v[108:109], v[2:3]
	s_waitcnt lgkmcnt(0)
	s_delay_alu instid0(VALU_DEP_1) | instskip(SKIP_1) | instid1(VALU_DEP_1)
	v_fma_f64 v[2:3], v[104:105], v[118:119], v[2:3]
	s_waitcnt vmcnt(1)
	v_fma_f64 v[102:103], v[114:115], v[120:121], v[2:3]
	ds_load_2addr_b64 v[1:4], v1 offset0:93 offset1:94
	s_waitcnt lgkmcnt(0)
	v_fma_f64 v[1:2], v[116:117], v[1:2], v[102:103]
	s_waitcnt vmcnt(0)
	s_delay_alu instid0(VALU_DEP_1) | instskip(NEXT) | instid1(VALU_DEP_1)
	v_fma_f64 v[1:2], v[122:123], v[3:4], v[1:2]
	v_add_f64 v[1:2], v[100:101], -v[1:2]
	scratch_store_b64 off, v[1:2], off offset:160
	v_cmpx_lt_u32_e32 19, v0
	s_cbranch_execz .LBB46_253
; %bb.252:
	scratch_load_b64 v[1:2], off, off offset:152
	v_mov_b32_e32 v3, 0
	s_delay_alu instid0(VALU_DEP_1)
	v_mov_b32_e32 v4, v3
	scratch_store_b64 off, v[3:4], off offset:152
	s_waitcnt vmcnt(0)
	ds_store_b64 v5, v[1:2]
.LBB46_253:
	s_or_b32 exec_lo, exec_lo, s0
	s_waitcnt lgkmcnt(0)
	s_waitcnt_vscnt null, 0x0
	s_barrier
	buffer_gl0_inv
	s_clause 0x4
	scratch_load_b128 v[100:103], off, off offset:152
	scratch_load_b128 v[104:107], off, off offset:168
	scratch_load_b128 v[108:111], off, off offset:184
	scratch_load_b128 v[112:115], off, off offset:200
	scratch_load_b128 v[116:119], off, off offset:216
	v_mov_b32_e32 v1, 0
	ds_load_b128 v[120:123], v1 offset:544
	ds_load_b128 v[124:127], v1 offset:560
	scratch_load_b128 v[128:131], off, off offset:232
	s_mov_b32 s0, exec_lo
	s_waitcnt vmcnt(5) lgkmcnt(1)
	v_fma_f64 v[2:3], v[102:103], v[120:121], 0
	s_waitcnt vmcnt(4)
	s_delay_alu instid0(VALU_DEP_1) | instskip(SKIP_4) | instid1(VALU_DEP_1)
	v_fma_f64 v[2:3], v[104:105], v[122:123], v[2:3]
	scratch_load_b128 v[102:105], off, off offset:248
	s_waitcnt lgkmcnt(0)
	v_fma_f64 v[2:3], v[106:107], v[124:125], v[2:3]
	s_waitcnt vmcnt(4)
	v_fma_f64 v[2:3], v[108:109], v[126:127], v[2:3]
	ds_load_b128 v[106:109], v1 offset:576
	ds_load_b128 v[120:123], v1 offset:592
	scratch_load_b128 v[124:127], off, off offset:264
	s_waitcnt lgkmcnt(1)
	v_fma_f64 v[2:3], v[110:111], v[106:107], v[2:3]
	s_waitcnt vmcnt(4)
	s_delay_alu instid0(VALU_DEP_1) | instskip(SKIP_4) | instid1(VALU_DEP_1)
	v_fma_f64 v[2:3], v[112:113], v[108:109], v[2:3]
	scratch_load_b128 v[106:109], off, off offset:280
	s_waitcnt lgkmcnt(0)
	v_fma_f64 v[2:3], v[114:115], v[120:121], v[2:3]
	s_waitcnt vmcnt(4)
	v_fma_f64 v[2:3], v[116:117], v[122:123], v[2:3]
	ds_load_b128 v[110:113], v1 offset:608
	ds_load_b128 v[114:117], v1 offset:624
	s_waitcnt lgkmcnt(1)
	v_fma_f64 v[2:3], v[118:119], v[110:111], v[2:3]
	scratch_load_b128 v[118:121], off, off offset:296
	s_waitcnt vmcnt(4)
	v_fma_f64 v[2:3], v[128:129], v[112:113], v[2:3]
	scratch_load_b128 v[110:113], off, off offset:312
	s_waitcnt lgkmcnt(0)
	v_fma_f64 v[2:3], v[130:131], v[114:115], v[2:3]
	s_waitcnt vmcnt(4)
	s_delay_alu instid0(VALU_DEP_1)
	v_fma_f64 v[2:3], v[102:103], v[116:117], v[2:3]
	ds_load_b128 v[114:117], v1 offset:640
	ds_load_b128 v[128:131], v1 offset:656
	s_waitcnt lgkmcnt(1)
	v_fma_f64 v[2:3], v[104:105], v[114:115], v[2:3]
	scratch_load_b128 v[102:105], off, off offset:328
	s_waitcnt vmcnt(4)
	v_fma_f64 v[2:3], v[124:125], v[116:117], v[2:3]
	scratch_load_b128 v[114:117], off, off offset:344
	s_waitcnt lgkmcnt(0)
	v_fma_f64 v[2:3], v[126:127], v[128:129], v[2:3]
	ds_load_b128 v[122:125], v1 offset:672
	ds_load_b128 v[126:129], v1 offset:688
	s_waitcnt vmcnt(4)
	v_fma_f64 v[2:3], v[106:107], v[130:131], v[2:3]
	s_waitcnt lgkmcnt(1)
	s_delay_alu instid0(VALU_DEP_1) | instskip(SKIP_4) | instid1(VALU_DEP_1)
	v_fma_f64 v[2:3], v[108:109], v[122:123], v[2:3]
	scratch_load_b128 v[106:109], off, off offset:360
	s_waitcnt vmcnt(4)
	v_fma_f64 v[2:3], v[118:119], v[124:125], v[2:3]
	s_waitcnt lgkmcnt(0)
	v_fma_f64 v[2:3], v[120:121], v[126:127], v[2:3]
	ds_load_b128 v[118:121], v1 offset:704
	ds_load_b128 v[122:125], v1 offset:720
	s_waitcnt vmcnt(3)
	v_fma_f64 v[2:3], v[110:111], v[128:129], v[2:3]
	s_waitcnt lgkmcnt(1)
	s_delay_alu instid0(VALU_DEP_1) | instskip(SKIP_1) | instid1(VALU_DEP_1)
	v_fma_f64 v[2:3], v[112:113], v[118:119], v[2:3]
	s_waitcnt vmcnt(2)
	v_fma_f64 v[2:3], v[102:103], v[120:121], v[2:3]
	s_waitcnt lgkmcnt(0)
	s_delay_alu instid0(VALU_DEP_1)
	v_fma_f64 v[2:3], v[104:105], v[122:123], v[2:3]
	ds_load_b128 v[102:105], v1 offset:736
	ds_load_b64 v[110:111], v1 offset:752
	s_waitcnt vmcnt(1)
	v_fma_f64 v[2:3], v[114:115], v[124:125], v[2:3]
	s_waitcnt lgkmcnt(1)
	s_delay_alu instid0(VALU_DEP_1) | instskip(SKIP_1) | instid1(VALU_DEP_1)
	v_fma_f64 v[2:3], v[116:117], v[102:103], v[2:3]
	s_waitcnt vmcnt(0)
	v_fma_f64 v[2:3], v[106:107], v[104:105], v[2:3]
	s_waitcnt lgkmcnt(0)
	s_delay_alu instid0(VALU_DEP_1) | instskip(NEXT) | instid1(VALU_DEP_1)
	v_fma_f64 v[2:3], v[108:109], v[110:111], v[2:3]
	v_add_f64 v[2:3], v[100:101], -v[2:3]
	scratch_store_b64 off, v[2:3], off offset:152
	v_cmpx_lt_u32_e32 18, v0
	s_cbranch_execz .LBB46_255
; %bb.254:
	scratch_load_b64 v[3:4], off, off offset:144
	v_mov_b32_e32 v2, v1
	scratch_store_b64 off, v[1:2], off offset:144
	s_waitcnt vmcnt(0)
	ds_store_b64 v5, v[3:4]
.LBB46_255:
	s_or_b32 exec_lo, exec_lo, s0
	s_waitcnt lgkmcnt(0)
	s_waitcnt_vscnt null, 0x0
	s_barrier
	buffer_gl0_inv
	s_clause 0x4
	scratch_load_b128 v[100:103], off, off offset:144
	scratch_load_b128 v[104:107], off, off offset:160
	;; [unrolled: 1-line block ×5, first 2 shown]
	ds_load_2addr_b64 v[120:123], v1 offset0:67 offset1:68
	ds_load_2addr_b64 v[124:127], v1 offset0:69 offset1:70
	scratch_load_b128 v[128:131], off, off offset:224
	s_mov_b32 s0, exec_lo
	s_waitcnt vmcnt(5) lgkmcnt(1)
	v_fma_f64 v[2:3], v[102:103], v[120:121], 0
	s_waitcnt vmcnt(4)
	s_delay_alu instid0(VALU_DEP_1) | instskip(SKIP_4) | instid1(VALU_DEP_1)
	v_fma_f64 v[2:3], v[104:105], v[122:123], v[2:3]
	scratch_load_b128 v[102:105], off, off offset:240
	s_waitcnt lgkmcnt(0)
	v_fma_f64 v[2:3], v[106:107], v[124:125], v[2:3]
	s_waitcnt vmcnt(4)
	v_fma_f64 v[2:3], v[108:109], v[126:127], v[2:3]
	ds_load_2addr_b64 v[106:109], v1 offset0:71 offset1:72
	ds_load_2addr_b64 v[120:123], v1 offset0:73 offset1:74
	scratch_load_b128 v[124:127], off, off offset:256
	s_waitcnt lgkmcnt(1)
	v_fma_f64 v[2:3], v[110:111], v[106:107], v[2:3]
	s_waitcnt vmcnt(4)
	s_delay_alu instid0(VALU_DEP_1) | instskip(SKIP_4) | instid1(VALU_DEP_1)
	v_fma_f64 v[2:3], v[112:113], v[108:109], v[2:3]
	scratch_load_b128 v[106:109], off, off offset:272
	s_waitcnt lgkmcnt(0)
	v_fma_f64 v[2:3], v[114:115], v[120:121], v[2:3]
	s_waitcnt vmcnt(4)
	v_fma_f64 v[2:3], v[116:117], v[122:123], v[2:3]
	ds_load_2addr_b64 v[110:113], v1 offset0:75 offset1:76
	ds_load_2addr_b64 v[114:117], v1 offset0:77 offset1:78
	s_waitcnt lgkmcnt(1)
	v_fma_f64 v[2:3], v[118:119], v[110:111], v[2:3]
	scratch_load_b128 v[118:121], off, off offset:288
	s_waitcnt vmcnt(4)
	v_fma_f64 v[2:3], v[128:129], v[112:113], v[2:3]
	scratch_load_b128 v[110:113], off, off offset:304
	s_waitcnt lgkmcnt(0)
	v_fma_f64 v[2:3], v[130:131], v[114:115], v[2:3]
	s_waitcnt vmcnt(4)
	s_delay_alu instid0(VALU_DEP_1)
	v_fma_f64 v[2:3], v[102:103], v[116:117], v[2:3]
	ds_load_2addr_b64 v[114:117], v1 offset0:79 offset1:80
	ds_load_2addr_b64 v[128:131], v1 offset0:81 offset1:82
	s_waitcnt lgkmcnt(1)
	v_fma_f64 v[2:3], v[104:105], v[114:115], v[2:3]
	scratch_load_b128 v[102:105], off, off offset:320
	s_waitcnt vmcnt(4)
	v_fma_f64 v[2:3], v[124:125], v[116:117], v[2:3]
	scratch_load_b128 v[114:117], off, off offset:336
	s_waitcnt lgkmcnt(0)
	v_fma_f64 v[2:3], v[126:127], v[128:129], v[2:3]
	ds_load_2addr_b64 v[122:125], v1 offset0:83 offset1:84
	ds_load_2addr_b64 v[126:129], v1 offset0:85 offset1:86
	s_waitcnt vmcnt(4)
	v_fma_f64 v[2:3], v[106:107], v[130:131], v[2:3]
	s_waitcnt lgkmcnt(1)
	s_delay_alu instid0(VALU_DEP_1) | instskip(SKIP_4) | instid1(VALU_DEP_1)
	v_fma_f64 v[2:3], v[108:109], v[122:123], v[2:3]
	scratch_load_b128 v[106:109], off, off offset:352
	s_waitcnt vmcnt(4)
	v_fma_f64 v[2:3], v[118:119], v[124:125], v[2:3]
	s_waitcnt lgkmcnt(0)
	v_fma_f64 v[2:3], v[120:121], v[126:127], v[2:3]
	scratch_load_b64 v[126:127], off, off offset:368
	ds_load_2addr_b64 v[118:121], v1 offset0:87 offset1:88
	ds_load_2addr_b64 v[122:125], v1 offset0:89 offset1:90
	s_waitcnt vmcnt(4)
	v_fma_f64 v[2:3], v[110:111], v[128:129], v[2:3]
	s_waitcnt lgkmcnt(1)
	s_delay_alu instid0(VALU_DEP_1) | instskip(SKIP_1) | instid1(VALU_DEP_1)
	v_fma_f64 v[2:3], v[112:113], v[118:119], v[2:3]
	s_waitcnt vmcnt(3)
	v_fma_f64 v[2:3], v[102:103], v[120:121], v[2:3]
	s_waitcnt lgkmcnt(0)
	s_delay_alu instid0(VALU_DEP_1) | instskip(SKIP_1) | instid1(VALU_DEP_1)
	v_fma_f64 v[2:3], v[104:105], v[122:123], v[2:3]
	s_waitcnt vmcnt(2)
	v_fma_f64 v[110:111], v[114:115], v[124:125], v[2:3]
	ds_load_2addr_b64 v[102:105], v1 offset0:91 offset1:92
	ds_load_2addr_b64 v[1:4], v1 offset0:93 offset1:94
	s_waitcnt lgkmcnt(1)
	v_fma_f64 v[102:103], v[116:117], v[102:103], v[110:111]
	s_waitcnt vmcnt(1)
	s_delay_alu instid0(VALU_DEP_1) | instskip(SKIP_1) | instid1(VALU_DEP_1)
	v_fma_f64 v[102:103], v[106:107], v[104:105], v[102:103]
	s_waitcnt lgkmcnt(0)
	v_fma_f64 v[1:2], v[108:109], v[1:2], v[102:103]
	s_waitcnt vmcnt(0)
	s_delay_alu instid0(VALU_DEP_1) | instskip(NEXT) | instid1(VALU_DEP_1)
	v_fma_f64 v[1:2], v[126:127], v[3:4], v[1:2]
	v_add_f64 v[1:2], v[100:101], -v[1:2]
	scratch_store_b64 off, v[1:2], off offset:144
	v_cmpx_lt_u32_e32 17, v0
	s_cbranch_execz .LBB46_257
; %bb.256:
	scratch_load_b64 v[1:2], off, off offset:136
	v_mov_b32_e32 v3, 0
	s_delay_alu instid0(VALU_DEP_1)
	v_mov_b32_e32 v4, v3
	scratch_store_b64 off, v[3:4], off offset:136
	s_waitcnt vmcnt(0)
	ds_store_b64 v5, v[1:2]
.LBB46_257:
	s_or_b32 exec_lo, exec_lo, s0
	s_waitcnt lgkmcnt(0)
	s_waitcnt_vscnt null, 0x0
	s_barrier
	buffer_gl0_inv
	s_clause 0x4
	scratch_load_b128 v[100:103], off, off offset:136
	scratch_load_b128 v[104:107], off, off offset:152
	;; [unrolled: 1-line block ×5, first 2 shown]
	v_mov_b32_e32 v1, 0
	ds_load_b128 v[120:123], v1 offset:528
	ds_load_b128 v[124:127], v1 offset:544
	scratch_load_b128 v[128:131], off, off offset:216
	s_mov_b32 s0, exec_lo
	s_waitcnt vmcnt(5) lgkmcnt(1)
	v_fma_f64 v[2:3], v[102:103], v[120:121], 0
	s_waitcnt vmcnt(4)
	s_delay_alu instid0(VALU_DEP_1) | instskip(SKIP_4) | instid1(VALU_DEP_1)
	v_fma_f64 v[2:3], v[104:105], v[122:123], v[2:3]
	scratch_load_b128 v[102:105], off, off offset:232
	s_waitcnt lgkmcnt(0)
	v_fma_f64 v[2:3], v[106:107], v[124:125], v[2:3]
	s_waitcnt vmcnt(4)
	v_fma_f64 v[2:3], v[108:109], v[126:127], v[2:3]
	ds_load_b128 v[106:109], v1 offset:560
	ds_load_b128 v[120:123], v1 offset:576
	scratch_load_b128 v[124:127], off, off offset:248
	s_waitcnt lgkmcnt(1)
	v_fma_f64 v[2:3], v[110:111], v[106:107], v[2:3]
	s_waitcnt vmcnt(4)
	s_delay_alu instid0(VALU_DEP_1) | instskip(SKIP_4) | instid1(VALU_DEP_1)
	v_fma_f64 v[2:3], v[112:113], v[108:109], v[2:3]
	scratch_load_b128 v[106:109], off, off offset:264
	s_waitcnt lgkmcnt(0)
	v_fma_f64 v[2:3], v[114:115], v[120:121], v[2:3]
	s_waitcnt vmcnt(4)
	v_fma_f64 v[2:3], v[116:117], v[122:123], v[2:3]
	ds_load_b128 v[110:113], v1 offset:592
	ds_load_b128 v[114:117], v1 offset:608
	s_waitcnt lgkmcnt(1)
	v_fma_f64 v[2:3], v[118:119], v[110:111], v[2:3]
	scratch_load_b128 v[118:121], off, off offset:280
	s_waitcnt vmcnt(4)
	v_fma_f64 v[2:3], v[128:129], v[112:113], v[2:3]
	scratch_load_b128 v[110:113], off, off offset:296
	s_waitcnt lgkmcnt(0)
	v_fma_f64 v[2:3], v[130:131], v[114:115], v[2:3]
	s_waitcnt vmcnt(4)
	s_delay_alu instid0(VALU_DEP_1)
	v_fma_f64 v[2:3], v[102:103], v[116:117], v[2:3]
	ds_load_b128 v[114:117], v1 offset:624
	ds_load_b128 v[128:131], v1 offset:640
	s_waitcnt lgkmcnt(1)
	v_fma_f64 v[2:3], v[104:105], v[114:115], v[2:3]
	scratch_load_b128 v[102:105], off, off offset:312
	s_waitcnt vmcnt(4)
	v_fma_f64 v[2:3], v[124:125], v[116:117], v[2:3]
	scratch_load_b128 v[114:117], off, off offset:328
	s_waitcnt lgkmcnt(0)
	v_fma_f64 v[2:3], v[126:127], v[128:129], v[2:3]
	ds_load_b128 v[122:125], v1 offset:656
	ds_load_b128 v[126:129], v1 offset:672
	s_waitcnt vmcnt(4)
	v_fma_f64 v[2:3], v[106:107], v[130:131], v[2:3]
	s_waitcnt lgkmcnt(1)
	s_delay_alu instid0(VALU_DEP_1) | instskip(SKIP_4) | instid1(VALU_DEP_1)
	v_fma_f64 v[2:3], v[108:109], v[122:123], v[2:3]
	scratch_load_b128 v[106:109], off, off offset:344
	s_waitcnt vmcnt(4)
	v_fma_f64 v[2:3], v[118:119], v[124:125], v[2:3]
	s_waitcnt lgkmcnt(0)
	v_fma_f64 v[2:3], v[120:121], v[126:127], v[2:3]
	scratch_load_b128 v[118:121], off, off offset:360
	s_waitcnt vmcnt(4)
	v_fma_f64 v[2:3], v[110:111], v[128:129], v[2:3]
	ds_load_b128 v[122:125], v1 offset:688
	ds_load_b128 v[126:129], v1 offset:704
	s_waitcnt lgkmcnt(1)
	v_fma_f64 v[2:3], v[112:113], v[122:123], v[2:3]
	s_waitcnt vmcnt(3)
	s_delay_alu instid0(VALU_DEP_1) | instskip(SKIP_1) | instid1(VALU_DEP_1)
	v_fma_f64 v[2:3], v[102:103], v[124:125], v[2:3]
	s_waitcnt lgkmcnt(0)
	v_fma_f64 v[2:3], v[104:105], v[126:127], v[2:3]
	ds_load_b128 v[102:105], v1 offset:720
	ds_load_b128 v[110:113], v1 offset:736
	s_waitcnt vmcnt(2)
	v_fma_f64 v[2:3], v[114:115], v[128:129], v[2:3]
	s_waitcnt lgkmcnt(1)
	s_delay_alu instid0(VALU_DEP_1) | instskip(SKIP_4) | instid1(VALU_DEP_1)
	v_fma_f64 v[2:3], v[116:117], v[102:103], v[2:3]
	ds_load_b64 v[102:103], v1 offset:752
	s_waitcnt vmcnt(1)
	v_fma_f64 v[2:3], v[106:107], v[104:105], v[2:3]
	s_waitcnt lgkmcnt(1)
	v_fma_f64 v[2:3], v[108:109], v[110:111], v[2:3]
	s_waitcnt vmcnt(0)
	s_delay_alu instid0(VALU_DEP_1) | instskip(SKIP_1) | instid1(VALU_DEP_1)
	v_fma_f64 v[2:3], v[118:119], v[112:113], v[2:3]
	s_waitcnt lgkmcnt(0)
	v_fma_f64 v[2:3], v[120:121], v[102:103], v[2:3]
	s_delay_alu instid0(VALU_DEP_1)
	v_add_f64 v[2:3], v[100:101], -v[2:3]
	scratch_store_b64 off, v[2:3], off offset:136
	v_cmpx_lt_u32_e32 16, v0
	s_cbranch_execz .LBB46_259
; %bb.258:
	scratch_load_b64 v[3:4], off, off offset:128
	v_mov_b32_e32 v2, v1
	scratch_store_b64 off, v[1:2], off offset:128
	s_waitcnt vmcnt(0)
	ds_store_b64 v5, v[3:4]
.LBB46_259:
	s_or_b32 exec_lo, exec_lo, s0
	s_waitcnt lgkmcnt(0)
	s_waitcnt_vscnt null, 0x0
	s_barrier
	buffer_gl0_inv
	s_clause 0x4
	scratch_load_b128 v[100:103], off, off offset:128
	scratch_load_b128 v[104:107], off, off offset:144
	;; [unrolled: 1-line block ×5, first 2 shown]
	ds_load_2addr_b64 v[120:123], v1 offset0:65 offset1:66
	ds_load_2addr_b64 v[124:127], v1 offset0:67 offset1:68
	scratch_load_b128 v[128:131], off, off offset:208
	s_mov_b32 s0, exec_lo
	s_waitcnt vmcnt(5) lgkmcnt(1)
	v_fma_f64 v[2:3], v[102:103], v[120:121], 0
	s_waitcnt vmcnt(4)
	s_delay_alu instid0(VALU_DEP_1) | instskip(SKIP_4) | instid1(VALU_DEP_1)
	v_fma_f64 v[2:3], v[104:105], v[122:123], v[2:3]
	scratch_load_b128 v[102:105], off, off offset:224
	s_waitcnt lgkmcnt(0)
	v_fma_f64 v[2:3], v[106:107], v[124:125], v[2:3]
	s_waitcnt vmcnt(4)
	v_fma_f64 v[2:3], v[108:109], v[126:127], v[2:3]
	ds_load_2addr_b64 v[106:109], v1 offset0:69 offset1:70
	ds_load_2addr_b64 v[120:123], v1 offset0:71 offset1:72
	scratch_load_b128 v[124:127], off, off offset:240
	s_waitcnt lgkmcnt(1)
	v_fma_f64 v[2:3], v[110:111], v[106:107], v[2:3]
	s_waitcnt vmcnt(4)
	s_delay_alu instid0(VALU_DEP_1) | instskip(SKIP_4) | instid1(VALU_DEP_1)
	v_fma_f64 v[2:3], v[112:113], v[108:109], v[2:3]
	scratch_load_b128 v[106:109], off, off offset:256
	s_waitcnt lgkmcnt(0)
	v_fma_f64 v[2:3], v[114:115], v[120:121], v[2:3]
	s_waitcnt vmcnt(4)
	v_fma_f64 v[2:3], v[116:117], v[122:123], v[2:3]
	ds_load_2addr_b64 v[110:113], v1 offset0:73 offset1:74
	ds_load_2addr_b64 v[114:117], v1 offset0:75 offset1:76
	s_waitcnt lgkmcnt(1)
	v_fma_f64 v[2:3], v[118:119], v[110:111], v[2:3]
	scratch_load_b128 v[118:121], off, off offset:272
	s_waitcnt vmcnt(4)
	v_fma_f64 v[2:3], v[128:129], v[112:113], v[2:3]
	scratch_load_b128 v[110:113], off, off offset:288
	s_waitcnt lgkmcnt(0)
	v_fma_f64 v[2:3], v[130:131], v[114:115], v[2:3]
	s_waitcnt vmcnt(4)
	s_delay_alu instid0(VALU_DEP_1)
	v_fma_f64 v[2:3], v[102:103], v[116:117], v[2:3]
	ds_load_2addr_b64 v[114:117], v1 offset0:77 offset1:78
	ds_load_2addr_b64 v[128:131], v1 offset0:79 offset1:80
	s_waitcnt lgkmcnt(1)
	v_fma_f64 v[2:3], v[104:105], v[114:115], v[2:3]
	scratch_load_b128 v[102:105], off, off offset:304
	s_waitcnt vmcnt(4)
	v_fma_f64 v[2:3], v[124:125], v[116:117], v[2:3]
	scratch_load_b128 v[114:117], off, off offset:320
	s_waitcnt lgkmcnt(0)
	v_fma_f64 v[2:3], v[126:127], v[128:129], v[2:3]
	ds_load_2addr_b64 v[122:125], v1 offset0:81 offset1:82
	ds_load_2addr_b64 v[126:129], v1 offset0:83 offset1:84
	s_waitcnt vmcnt(4)
	v_fma_f64 v[2:3], v[106:107], v[130:131], v[2:3]
	s_waitcnt lgkmcnt(1)
	s_delay_alu instid0(VALU_DEP_1) | instskip(SKIP_4) | instid1(VALU_DEP_1)
	v_fma_f64 v[2:3], v[108:109], v[122:123], v[2:3]
	scratch_load_b128 v[106:109], off, off offset:336
	s_waitcnt vmcnt(4)
	v_fma_f64 v[2:3], v[118:119], v[124:125], v[2:3]
	s_waitcnt lgkmcnt(0)
	v_fma_f64 v[2:3], v[120:121], v[126:127], v[2:3]
	scratch_load_b128 v[118:121], off, off offset:352
	s_waitcnt vmcnt(4)
	v_fma_f64 v[2:3], v[110:111], v[128:129], v[2:3]
	ds_load_2addr_b64 v[122:125], v1 offset0:85 offset1:86
	ds_load_2addr_b64 v[126:129], v1 offset0:87 offset1:88
	s_waitcnt lgkmcnt(1)
	v_fma_f64 v[2:3], v[112:113], v[122:123], v[2:3]
	scratch_load_b64 v[122:123], off, off offset:368
	s_waitcnt vmcnt(4)
	v_fma_f64 v[2:3], v[102:103], v[124:125], v[2:3]
	s_waitcnt lgkmcnt(0)
	s_delay_alu instid0(VALU_DEP_1)
	v_fma_f64 v[2:3], v[104:105], v[126:127], v[2:3]
	ds_load_2addr_b64 v[102:105], v1 offset0:89 offset1:90
	ds_load_2addr_b64 v[110:113], v1 offset0:91 offset1:92
	s_waitcnt vmcnt(3)
	v_fma_f64 v[2:3], v[114:115], v[128:129], v[2:3]
	s_waitcnt lgkmcnt(1)
	s_delay_alu instid0(VALU_DEP_1) | instskip(SKIP_1) | instid1(VALU_DEP_1)
	v_fma_f64 v[2:3], v[116:117], v[102:103], v[2:3]
	s_waitcnt vmcnt(2)
	v_fma_f64 v[2:3], v[106:107], v[104:105], v[2:3]
	s_waitcnt lgkmcnt(0)
	s_delay_alu instid0(VALU_DEP_1) | instskip(SKIP_1) | instid1(VALU_DEP_1)
	v_fma_f64 v[2:3], v[108:109], v[110:111], v[2:3]
	s_waitcnt vmcnt(1)
	v_fma_f64 v[102:103], v[118:119], v[112:113], v[2:3]
	ds_load_2addr_b64 v[1:4], v1 offset0:93 offset1:94
	s_waitcnt lgkmcnt(0)
	v_fma_f64 v[1:2], v[120:121], v[1:2], v[102:103]
	s_waitcnt vmcnt(0)
	s_delay_alu instid0(VALU_DEP_1) | instskip(NEXT) | instid1(VALU_DEP_1)
	v_fma_f64 v[1:2], v[122:123], v[3:4], v[1:2]
	v_add_f64 v[1:2], v[100:101], -v[1:2]
	scratch_store_b64 off, v[1:2], off offset:128
	v_cmpx_lt_u32_e32 15, v0
	s_cbranch_execz .LBB46_261
; %bb.260:
	scratch_load_b64 v[1:2], off, off offset:120
	v_mov_b32_e32 v3, 0
	s_delay_alu instid0(VALU_DEP_1)
	v_mov_b32_e32 v4, v3
	scratch_store_b64 off, v[3:4], off offset:120
	s_waitcnt vmcnt(0)
	ds_store_b64 v5, v[1:2]
.LBB46_261:
	s_or_b32 exec_lo, exec_lo, s0
	s_waitcnt lgkmcnt(0)
	s_waitcnt_vscnt null, 0x0
	s_barrier
	buffer_gl0_inv
	s_clause 0x4
	scratch_load_b128 v[100:103], off, off offset:120
	scratch_load_b128 v[104:107], off, off offset:136
	;; [unrolled: 1-line block ×5, first 2 shown]
	v_mov_b32_e32 v1, 0
	ds_load_b128 v[120:123], v1 offset:512
	ds_load_b128 v[124:127], v1 offset:528
	scratch_load_b128 v[128:131], off, off offset:200
	s_mov_b32 s0, exec_lo
	s_waitcnt vmcnt(5) lgkmcnt(1)
	v_fma_f64 v[2:3], v[102:103], v[120:121], 0
	s_waitcnt vmcnt(4)
	s_delay_alu instid0(VALU_DEP_1) | instskip(SKIP_4) | instid1(VALU_DEP_1)
	v_fma_f64 v[2:3], v[104:105], v[122:123], v[2:3]
	scratch_load_b128 v[102:105], off, off offset:216
	s_waitcnt lgkmcnt(0)
	v_fma_f64 v[2:3], v[106:107], v[124:125], v[2:3]
	s_waitcnt vmcnt(4)
	v_fma_f64 v[2:3], v[108:109], v[126:127], v[2:3]
	ds_load_b128 v[106:109], v1 offset:544
	ds_load_b128 v[120:123], v1 offset:560
	scratch_load_b128 v[124:127], off, off offset:232
	s_waitcnt lgkmcnt(1)
	v_fma_f64 v[2:3], v[110:111], v[106:107], v[2:3]
	s_waitcnt vmcnt(4)
	s_delay_alu instid0(VALU_DEP_1) | instskip(SKIP_4) | instid1(VALU_DEP_1)
	v_fma_f64 v[2:3], v[112:113], v[108:109], v[2:3]
	scratch_load_b128 v[106:109], off, off offset:248
	s_waitcnt lgkmcnt(0)
	v_fma_f64 v[2:3], v[114:115], v[120:121], v[2:3]
	s_waitcnt vmcnt(4)
	v_fma_f64 v[2:3], v[116:117], v[122:123], v[2:3]
	ds_load_b128 v[110:113], v1 offset:576
	ds_load_b128 v[114:117], v1 offset:592
	s_waitcnt lgkmcnt(1)
	v_fma_f64 v[2:3], v[118:119], v[110:111], v[2:3]
	scratch_load_b128 v[118:121], off, off offset:264
	s_waitcnt vmcnt(4)
	v_fma_f64 v[2:3], v[128:129], v[112:113], v[2:3]
	scratch_load_b128 v[110:113], off, off offset:280
	s_waitcnt lgkmcnt(0)
	v_fma_f64 v[2:3], v[130:131], v[114:115], v[2:3]
	s_waitcnt vmcnt(4)
	s_delay_alu instid0(VALU_DEP_1)
	v_fma_f64 v[2:3], v[102:103], v[116:117], v[2:3]
	ds_load_b128 v[114:117], v1 offset:608
	ds_load_b128 v[128:131], v1 offset:624
	s_waitcnt lgkmcnt(1)
	v_fma_f64 v[2:3], v[104:105], v[114:115], v[2:3]
	scratch_load_b128 v[102:105], off, off offset:296
	s_waitcnt vmcnt(4)
	v_fma_f64 v[2:3], v[124:125], v[116:117], v[2:3]
	scratch_load_b128 v[114:117], off, off offset:312
	s_waitcnt lgkmcnt(0)
	v_fma_f64 v[2:3], v[126:127], v[128:129], v[2:3]
	ds_load_b128 v[122:125], v1 offset:640
	ds_load_b128 v[126:129], v1 offset:656
	s_waitcnt vmcnt(4)
	v_fma_f64 v[2:3], v[106:107], v[130:131], v[2:3]
	s_waitcnt lgkmcnt(1)
	s_delay_alu instid0(VALU_DEP_1) | instskip(SKIP_4) | instid1(VALU_DEP_1)
	v_fma_f64 v[2:3], v[108:109], v[122:123], v[2:3]
	scratch_load_b128 v[106:109], off, off offset:328
	s_waitcnt vmcnt(4)
	v_fma_f64 v[2:3], v[118:119], v[124:125], v[2:3]
	s_waitcnt lgkmcnt(0)
	v_fma_f64 v[2:3], v[120:121], v[126:127], v[2:3]
	scratch_load_b128 v[118:121], off, off offset:344
	s_waitcnt vmcnt(4)
	v_fma_f64 v[2:3], v[110:111], v[128:129], v[2:3]
	ds_load_b128 v[122:125], v1 offset:672
	ds_load_b128 v[126:129], v1 offset:688
	s_waitcnt lgkmcnt(1)
	v_fma_f64 v[2:3], v[112:113], v[122:123], v[2:3]
	scratch_load_b128 v[110:113], off, off offset:360
	s_waitcnt vmcnt(4)
	v_fma_f64 v[2:3], v[102:103], v[124:125], v[2:3]
	s_waitcnt lgkmcnt(0)
	s_delay_alu instid0(VALU_DEP_1)
	v_fma_f64 v[2:3], v[104:105], v[126:127], v[2:3]
	ds_load_b128 v[102:105], v1 offset:704
	ds_load_b128 v[122:125], v1 offset:720
	s_waitcnt vmcnt(3)
	v_fma_f64 v[2:3], v[114:115], v[128:129], v[2:3]
	s_waitcnt lgkmcnt(1)
	s_delay_alu instid0(VALU_DEP_1) | instskip(SKIP_1) | instid1(VALU_DEP_1)
	v_fma_f64 v[2:3], v[116:117], v[102:103], v[2:3]
	s_waitcnt vmcnt(2)
	v_fma_f64 v[2:3], v[106:107], v[104:105], v[2:3]
	ds_load_b128 v[102:105], v1 offset:736
	ds_load_b64 v[106:107], v1 offset:752
	s_waitcnt lgkmcnt(2)
	v_fma_f64 v[2:3], v[108:109], v[122:123], v[2:3]
	s_waitcnt vmcnt(1)
	s_delay_alu instid0(VALU_DEP_1) | instskip(SKIP_1) | instid1(VALU_DEP_1)
	v_fma_f64 v[2:3], v[118:119], v[124:125], v[2:3]
	s_waitcnt lgkmcnt(1)
	v_fma_f64 v[2:3], v[120:121], v[102:103], v[2:3]
	s_waitcnt vmcnt(0)
	s_delay_alu instid0(VALU_DEP_1) | instskip(SKIP_1) | instid1(VALU_DEP_1)
	v_fma_f64 v[2:3], v[110:111], v[104:105], v[2:3]
	s_waitcnt lgkmcnt(0)
	v_fma_f64 v[2:3], v[112:113], v[106:107], v[2:3]
	s_delay_alu instid0(VALU_DEP_1)
	v_add_f64 v[2:3], v[100:101], -v[2:3]
	scratch_store_b64 off, v[2:3], off offset:120
	v_cmpx_lt_u32_e32 14, v0
	s_cbranch_execz .LBB46_263
; %bb.262:
	scratch_load_b64 v[3:4], off, off offset:112
	v_mov_b32_e32 v2, v1
	scratch_store_b64 off, v[1:2], off offset:112
	s_waitcnt vmcnt(0)
	ds_store_b64 v5, v[3:4]
.LBB46_263:
	s_or_b32 exec_lo, exec_lo, s0
	s_waitcnt lgkmcnt(0)
	s_waitcnt_vscnt null, 0x0
	s_barrier
	buffer_gl0_inv
	s_clause 0x4
	scratch_load_b128 v[100:103], off, off offset:112
	scratch_load_b128 v[104:107], off, off offset:128
	scratch_load_b128 v[108:111], off, off offset:144
	scratch_load_b128 v[112:115], off, off offset:160
	scratch_load_b128 v[116:119], off, off offset:176
	ds_load_2addr_b64 v[120:123], v1 offset0:63 offset1:64
	ds_load_2addr_b64 v[124:127], v1 offset0:65 offset1:66
	scratch_load_b128 v[128:131], off, off offset:192
	s_mov_b32 s0, exec_lo
	s_waitcnt vmcnt(5) lgkmcnt(1)
	v_fma_f64 v[2:3], v[102:103], v[120:121], 0
	s_waitcnt vmcnt(4)
	s_delay_alu instid0(VALU_DEP_1) | instskip(SKIP_4) | instid1(VALU_DEP_1)
	v_fma_f64 v[2:3], v[104:105], v[122:123], v[2:3]
	scratch_load_b128 v[102:105], off, off offset:208
	s_waitcnt lgkmcnt(0)
	v_fma_f64 v[2:3], v[106:107], v[124:125], v[2:3]
	s_waitcnt vmcnt(4)
	v_fma_f64 v[2:3], v[108:109], v[126:127], v[2:3]
	ds_load_2addr_b64 v[106:109], v1 offset0:67 offset1:68
	ds_load_2addr_b64 v[120:123], v1 offset0:69 offset1:70
	scratch_load_b128 v[124:127], off, off offset:224
	s_waitcnt lgkmcnt(1)
	v_fma_f64 v[2:3], v[110:111], v[106:107], v[2:3]
	s_waitcnt vmcnt(4)
	s_delay_alu instid0(VALU_DEP_1) | instskip(SKIP_4) | instid1(VALU_DEP_1)
	v_fma_f64 v[2:3], v[112:113], v[108:109], v[2:3]
	scratch_load_b128 v[106:109], off, off offset:240
	s_waitcnt lgkmcnt(0)
	v_fma_f64 v[2:3], v[114:115], v[120:121], v[2:3]
	s_waitcnt vmcnt(4)
	v_fma_f64 v[2:3], v[116:117], v[122:123], v[2:3]
	ds_load_2addr_b64 v[110:113], v1 offset0:71 offset1:72
	ds_load_2addr_b64 v[114:117], v1 offset0:73 offset1:74
	s_waitcnt lgkmcnt(1)
	v_fma_f64 v[2:3], v[118:119], v[110:111], v[2:3]
	scratch_load_b128 v[118:121], off, off offset:256
	s_waitcnt vmcnt(4)
	v_fma_f64 v[2:3], v[128:129], v[112:113], v[2:3]
	scratch_load_b128 v[110:113], off, off offset:272
	s_waitcnt lgkmcnt(0)
	v_fma_f64 v[2:3], v[130:131], v[114:115], v[2:3]
	s_waitcnt vmcnt(4)
	s_delay_alu instid0(VALU_DEP_1)
	v_fma_f64 v[2:3], v[102:103], v[116:117], v[2:3]
	ds_load_2addr_b64 v[114:117], v1 offset0:75 offset1:76
	ds_load_2addr_b64 v[128:131], v1 offset0:77 offset1:78
	s_waitcnt lgkmcnt(1)
	v_fma_f64 v[2:3], v[104:105], v[114:115], v[2:3]
	scratch_load_b128 v[102:105], off, off offset:288
	s_waitcnt vmcnt(4)
	v_fma_f64 v[2:3], v[124:125], v[116:117], v[2:3]
	scratch_load_b128 v[114:117], off, off offset:304
	s_waitcnt lgkmcnt(0)
	v_fma_f64 v[2:3], v[126:127], v[128:129], v[2:3]
	ds_load_2addr_b64 v[122:125], v1 offset0:79 offset1:80
	ds_load_2addr_b64 v[126:129], v1 offset0:81 offset1:82
	s_waitcnt vmcnt(4)
	v_fma_f64 v[2:3], v[106:107], v[130:131], v[2:3]
	s_waitcnt lgkmcnt(1)
	s_delay_alu instid0(VALU_DEP_1) | instskip(SKIP_4) | instid1(VALU_DEP_1)
	v_fma_f64 v[2:3], v[108:109], v[122:123], v[2:3]
	scratch_load_b128 v[106:109], off, off offset:320
	s_waitcnt vmcnt(4)
	v_fma_f64 v[2:3], v[118:119], v[124:125], v[2:3]
	s_waitcnt lgkmcnt(0)
	v_fma_f64 v[2:3], v[120:121], v[126:127], v[2:3]
	scratch_load_b128 v[118:121], off, off offset:336
	s_waitcnt vmcnt(4)
	v_fma_f64 v[2:3], v[110:111], v[128:129], v[2:3]
	ds_load_2addr_b64 v[122:125], v1 offset0:83 offset1:84
	ds_load_2addr_b64 v[126:129], v1 offset0:85 offset1:86
	s_waitcnt lgkmcnt(1)
	v_fma_f64 v[2:3], v[112:113], v[122:123], v[2:3]
	scratch_load_b128 v[110:113], off, off offset:352
	s_waitcnt vmcnt(4)
	v_fma_f64 v[2:3], v[102:103], v[124:125], v[2:3]
	s_waitcnt lgkmcnt(0)
	s_delay_alu instid0(VALU_DEP_1)
	v_fma_f64 v[2:3], v[104:105], v[126:127], v[2:3]
	scratch_load_b64 v[126:127], off, off offset:368
	ds_load_2addr_b64 v[102:105], v1 offset0:87 offset1:88
	ds_load_2addr_b64 v[122:125], v1 offset0:89 offset1:90
	s_waitcnt vmcnt(4)
	v_fma_f64 v[2:3], v[114:115], v[128:129], v[2:3]
	s_waitcnt lgkmcnt(1)
	s_delay_alu instid0(VALU_DEP_1) | instskip(SKIP_1) | instid1(VALU_DEP_1)
	v_fma_f64 v[2:3], v[116:117], v[102:103], v[2:3]
	s_waitcnt vmcnt(3)
	v_fma_f64 v[2:3], v[106:107], v[104:105], v[2:3]
	s_waitcnt lgkmcnt(0)
	s_delay_alu instid0(VALU_DEP_1) | instskip(SKIP_1) | instid1(VALU_DEP_1)
	v_fma_f64 v[2:3], v[108:109], v[122:123], v[2:3]
	s_waitcnt vmcnt(2)
	v_fma_f64 v[106:107], v[118:119], v[124:125], v[2:3]
	ds_load_2addr_b64 v[102:105], v1 offset0:91 offset1:92
	ds_load_2addr_b64 v[1:4], v1 offset0:93 offset1:94
	s_waitcnt lgkmcnt(1)
	v_fma_f64 v[102:103], v[120:121], v[102:103], v[106:107]
	s_waitcnt vmcnt(1)
	s_delay_alu instid0(VALU_DEP_1) | instskip(SKIP_1) | instid1(VALU_DEP_1)
	v_fma_f64 v[102:103], v[110:111], v[104:105], v[102:103]
	s_waitcnt lgkmcnt(0)
	v_fma_f64 v[1:2], v[112:113], v[1:2], v[102:103]
	s_waitcnt vmcnt(0)
	s_delay_alu instid0(VALU_DEP_1) | instskip(NEXT) | instid1(VALU_DEP_1)
	v_fma_f64 v[1:2], v[126:127], v[3:4], v[1:2]
	v_add_f64 v[1:2], v[100:101], -v[1:2]
	scratch_store_b64 off, v[1:2], off offset:112
	v_cmpx_lt_u32_e32 13, v0
	s_cbranch_execz .LBB46_265
; %bb.264:
	scratch_load_b64 v[1:2], off, off offset:104
	v_mov_b32_e32 v3, 0
	s_delay_alu instid0(VALU_DEP_1)
	v_mov_b32_e32 v4, v3
	scratch_store_b64 off, v[3:4], off offset:104
	s_waitcnt vmcnt(0)
	ds_store_b64 v5, v[1:2]
.LBB46_265:
	s_or_b32 exec_lo, exec_lo, s0
	s_waitcnt lgkmcnt(0)
	s_waitcnt_vscnt null, 0x0
	s_barrier
	buffer_gl0_inv
	s_clause 0x4
	scratch_load_b128 v[100:103], off, off offset:104
	scratch_load_b128 v[104:107], off, off offset:120
	;; [unrolled: 1-line block ×5, first 2 shown]
	v_mov_b32_e32 v1, 0
	ds_load_b128 v[120:123], v1 offset:496
	ds_load_b128 v[124:127], v1 offset:512
	scratch_load_b128 v[128:131], off, off offset:184
	s_mov_b32 s0, exec_lo
	s_waitcnt vmcnt(5) lgkmcnt(1)
	v_fma_f64 v[2:3], v[102:103], v[120:121], 0
	s_waitcnt vmcnt(4)
	s_delay_alu instid0(VALU_DEP_1) | instskip(SKIP_4) | instid1(VALU_DEP_1)
	v_fma_f64 v[2:3], v[104:105], v[122:123], v[2:3]
	scratch_load_b128 v[102:105], off, off offset:200
	s_waitcnt lgkmcnt(0)
	v_fma_f64 v[2:3], v[106:107], v[124:125], v[2:3]
	s_waitcnt vmcnt(4)
	v_fma_f64 v[2:3], v[108:109], v[126:127], v[2:3]
	ds_load_b128 v[106:109], v1 offset:528
	ds_load_b128 v[120:123], v1 offset:544
	scratch_load_b128 v[124:127], off, off offset:216
	s_waitcnt lgkmcnt(1)
	v_fma_f64 v[2:3], v[110:111], v[106:107], v[2:3]
	s_waitcnt vmcnt(4)
	s_delay_alu instid0(VALU_DEP_1) | instskip(SKIP_4) | instid1(VALU_DEP_1)
	v_fma_f64 v[2:3], v[112:113], v[108:109], v[2:3]
	scratch_load_b128 v[106:109], off, off offset:232
	s_waitcnt lgkmcnt(0)
	v_fma_f64 v[2:3], v[114:115], v[120:121], v[2:3]
	s_waitcnt vmcnt(4)
	v_fma_f64 v[2:3], v[116:117], v[122:123], v[2:3]
	ds_load_b128 v[110:113], v1 offset:560
	ds_load_b128 v[114:117], v1 offset:576
	s_waitcnt lgkmcnt(1)
	v_fma_f64 v[2:3], v[118:119], v[110:111], v[2:3]
	scratch_load_b128 v[118:121], off, off offset:248
	s_waitcnt vmcnt(4)
	v_fma_f64 v[2:3], v[128:129], v[112:113], v[2:3]
	scratch_load_b128 v[110:113], off, off offset:264
	s_waitcnt lgkmcnt(0)
	v_fma_f64 v[2:3], v[130:131], v[114:115], v[2:3]
	s_waitcnt vmcnt(4)
	s_delay_alu instid0(VALU_DEP_1)
	v_fma_f64 v[2:3], v[102:103], v[116:117], v[2:3]
	ds_load_b128 v[114:117], v1 offset:592
	ds_load_b128 v[128:131], v1 offset:608
	s_waitcnt lgkmcnt(1)
	v_fma_f64 v[2:3], v[104:105], v[114:115], v[2:3]
	scratch_load_b128 v[102:105], off, off offset:280
	s_waitcnt vmcnt(4)
	v_fma_f64 v[2:3], v[124:125], v[116:117], v[2:3]
	scratch_load_b128 v[114:117], off, off offset:296
	s_waitcnt lgkmcnt(0)
	v_fma_f64 v[2:3], v[126:127], v[128:129], v[2:3]
	ds_load_b128 v[122:125], v1 offset:624
	ds_load_b128 v[126:129], v1 offset:640
	s_waitcnt vmcnt(4)
	v_fma_f64 v[2:3], v[106:107], v[130:131], v[2:3]
	s_waitcnt lgkmcnt(1)
	s_delay_alu instid0(VALU_DEP_1) | instskip(SKIP_4) | instid1(VALU_DEP_1)
	v_fma_f64 v[2:3], v[108:109], v[122:123], v[2:3]
	scratch_load_b128 v[106:109], off, off offset:312
	s_waitcnt vmcnt(4)
	v_fma_f64 v[2:3], v[118:119], v[124:125], v[2:3]
	s_waitcnt lgkmcnt(0)
	v_fma_f64 v[2:3], v[120:121], v[126:127], v[2:3]
	scratch_load_b128 v[118:121], off, off offset:328
	s_waitcnt vmcnt(4)
	v_fma_f64 v[2:3], v[110:111], v[128:129], v[2:3]
	ds_load_b128 v[122:125], v1 offset:656
	ds_load_b128 v[126:129], v1 offset:672
	s_waitcnt lgkmcnt(1)
	v_fma_f64 v[2:3], v[112:113], v[122:123], v[2:3]
	scratch_load_b128 v[110:113], off, off offset:344
	s_waitcnt vmcnt(4)
	v_fma_f64 v[2:3], v[102:103], v[124:125], v[2:3]
	s_waitcnt lgkmcnt(0)
	s_delay_alu instid0(VALU_DEP_1)
	v_fma_f64 v[2:3], v[104:105], v[126:127], v[2:3]
	scratch_load_b128 v[102:105], off, off offset:360
	s_waitcnt vmcnt(4)
	v_fma_f64 v[2:3], v[114:115], v[128:129], v[2:3]
	ds_load_b128 v[122:125], v1 offset:688
	ds_load_b128 v[126:129], v1 offset:704
	s_waitcnt lgkmcnt(1)
	v_fma_f64 v[2:3], v[116:117], v[122:123], v[2:3]
	s_waitcnt vmcnt(3)
	s_delay_alu instid0(VALU_DEP_1) | instskip(SKIP_1) | instid1(VALU_DEP_1)
	v_fma_f64 v[2:3], v[106:107], v[124:125], v[2:3]
	s_waitcnt lgkmcnt(0)
	v_fma_f64 v[2:3], v[108:109], v[126:127], v[2:3]
	ds_load_b128 v[106:109], v1 offset:720
	ds_load_b128 v[114:117], v1 offset:736
	s_waitcnt vmcnt(2)
	v_fma_f64 v[2:3], v[118:119], v[128:129], v[2:3]
	s_waitcnt lgkmcnt(1)
	s_delay_alu instid0(VALU_DEP_1) | instskip(SKIP_1) | instid1(VALU_DEP_1)
	v_fma_f64 v[2:3], v[120:121], v[106:107], v[2:3]
	s_waitcnt vmcnt(1)
	v_fma_f64 v[2:3], v[110:111], v[108:109], v[2:3]
	s_waitcnt lgkmcnt(0)
	s_delay_alu instid0(VALU_DEP_1) | instskip(SKIP_1) | instid1(VALU_DEP_1)
	v_fma_f64 v[2:3], v[112:113], v[114:115], v[2:3]
	s_waitcnt vmcnt(0)
	v_fma_f64 v[2:3], v[102:103], v[116:117], v[2:3]
	ds_load_b64 v[102:103], v1 offset:752
	s_waitcnt lgkmcnt(0)
	v_fma_f64 v[2:3], v[104:105], v[102:103], v[2:3]
	s_delay_alu instid0(VALU_DEP_1)
	v_add_f64 v[2:3], v[100:101], -v[2:3]
	scratch_store_b64 off, v[2:3], off offset:104
	v_cmpx_lt_u32_e32 12, v0
	s_cbranch_execz .LBB46_267
; %bb.266:
	scratch_load_b64 v[3:4], off, off offset:96
	v_mov_b32_e32 v2, v1
	scratch_store_b64 off, v[1:2], off offset:96
	s_waitcnt vmcnt(0)
	ds_store_b64 v5, v[3:4]
.LBB46_267:
	s_or_b32 exec_lo, exec_lo, s0
	s_waitcnt lgkmcnt(0)
	s_waitcnt_vscnt null, 0x0
	s_barrier
	buffer_gl0_inv
	s_clause 0x4
	scratch_load_b128 v[100:103], off, off offset:96
	scratch_load_b128 v[104:107], off, off offset:112
	;; [unrolled: 1-line block ×5, first 2 shown]
	ds_load_2addr_b64 v[120:123], v1 offset0:61 offset1:62
	ds_load_2addr_b64 v[124:127], v1 offset0:63 offset1:64
	scratch_load_b128 v[128:131], off, off offset:176
	s_mov_b32 s0, exec_lo
	s_waitcnt vmcnt(5) lgkmcnt(1)
	v_fma_f64 v[2:3], v[102:103], v[120:121], 0
	s_waitcnt vmcnt(4)
	s_delay_alu instid0(VALU_DEP_1) | instskip(SKIP_4) | instid1(VALU_DEP_1)
	v_fma_f64 v[2:3], v[104:105], v[122:123], v[2:3]
	scratch_load_b128 v[102:105], off, off offset:192
	s_waitcnt lgkmcnt(0)
	v_fma_f64 v[2:3], v[106:107], v[124:125], v[2:3]
	s_waitcnt vmcnt(4)
	v_fma_f64 v[2:3], v[108:109], v[126:127], v[2:3]
	ds_load_2addr_b64 v[106:109], v1 offset0:65 offset1:66
	ds_load_2addr_b64 v[120:123], v1 offset0:67 offset1:68
	scratch_load_b128 v[124:127], off, off offset:208
	s_waitcnt lgkmcnt(1)
	v_fma_f64 v[2:3], v[110:111], v[106:107], v[2:3]
	s_waitcnt vmcnt(4)
	s_delay_alu instid0(VALU_DEP_1) | instskip(SKIP_4) | instid1(VALU_DEP_1)
	v_fma_f64 v[2:3], v[112:113], v[108:109], v[2:3]
	scratch_load_b128 v[106:109], off, off offset:224
	s_waitcnt lgkmcnt(0)
	v_fma_f64 v[2:3], v[114:115], v[120:121], v[2:3]
	s_waitcnt vmcnt(4)
	v_fma_f64 v[2:3], v[116:117], v[122:123], v[2:3]
	ds_load_2addr_b64 v[110:113], v1 offset0:69 offset1:70
	ds_load_2addr_b64 v[114:117], v1 offset0:71 offset1:72
	s_waitcnt lgkmcnt(1)
	v_fma_f64 v[2:3], v[118:119], v[110:111], v[2:3]
	scratch_load_b128 v[118:121], off, off offset:240
	s_waitcnt vmcnt(4)
	v_fma_f64 v[2:3], v[128:129], v[112:113], v[2:3]
	scratch_load_b128 v[110:113], off, off offset:256
	s_waitcnt lgkmcnt(0)
	v_fma_f64 v[2:3], v[130:131], v[114:115], v[2:3]
	s_waitcnt vmcnt(4)
	s_delay_alu instid0(VALU_DEP_1)
	v_fma_f64 v[2:3], v[102:103], v[116:117], v[2:3]
	ds_load_2addr_b64 v[114:117], v1 offset0:73 offset1:74
	ds_load_2addr_b64 v[128:131], v1 offset0:75 offset1:76
	s_waitcnt lgkmcnt(1)
	v_fma_f64 v[2:3], v[104:105], v[114:115], v[2:3]
	scratch_load_b128 v[102:105], off, off offset:272
	s_waitcnt vmcnt(4)
	v_fma_f64 v[2:3], v[124:125], v[116:117], v[2:3]
	scratch_load_b128 v[114:117], off, off offset:288
	s_waitcnt lgkmcnt(0)
	v_fma_f64 v[2:3], v[126:127], v[128:129], v[2:3]
	ds_load_2addr_b64 v[122:125], v1 offset0:77 offset1:78
	ds_load_2addr_b64 v[126:129], v1 offset0:79 offset1:80
	s_waitcnt vmcnt(4)
	v_fma_f64 v[2:3], v[106:107], v[130:131], v[2:3]
	s_waitcnt lgkmcnt(1)
	s_delay_alu instid0(VALU_DEP_1) | instskip(SKIP_4) | instid1(VALU_DEP_1)
	v_fma_f64 v[2:3], v[108:109], v[122:123], v[2:3]
	scratch_load_b128 v[106:109], off, off offset:304
	s_waitcnt vmcnt(4)
	v_fma_f64 v[2:3], v[118:119], v[124:125], v[2:3]
	s_waitcnt lgkmcnt(0)
	v_fma_f64 v[2:3], v[120:121], v[126:127], v[2:3]
	scratch_load_b128 v[118:121], off, off offset:320
	s_waitcnt vmcnt(4)
	v_fma_f64 v[2:3], v[110:111], v[128:129], v[2:3]
	ds_load_2addr_b64 v[122:125], v1 offset0:81 offset1:82
	ds_load_2addr_b64 v[126:129], v1 offset0:83 offset1:84
	s_waitcnt lgkmcnt(1)
	v_fma_f64 v[2:3], v[112:113], v[122:123], v[2:3]
	scratch_load_b128 v[110:113], off, off offset:336
	s_waitcnt vmcnt(4)
	v_fma_f64 v[2:3], v[102:103], v[124:125], v[2:3]
	s_waitcnt lgkmcnt(0)
	s_delay_alu instid0(VALU_DEP_1)
	v_fma_f64 v[2:3], v[104:105], v[126:127], v[2:3]
	scratch_load_b128 v[102:105], off, off offset:352
	s_waitcnt vmcnt(4)
	v_fma_f64 v[2:3], v[114:115], v[128:129], v[2:3]
	ds_load_2addr_b64 v[122:125], v1 offset0:85 offset1:86
	ds_load_2addr_b64 v[126:129], v1 offset0:87 offset1:88
	s_waitcnt lgkmcnt(1)
	v_fma_f64 v[2:3], v[116:117], v[122:123], v[2:3]
	scratch_load_b64 v[122:123], off, off offset:368
	s_waitcnt vmcnt(4)
	v_fma_f64 v[2:3], v[106:107], v[124:125], v[2:3]
	s_waitcnt lgkmcnt(0)
	s_delay_alu instid0(VALU_DEP_1)
	v_fma_f64 v[2:3], v[108:109], v[126:127], v[2:3]
	ds_load_2addr_b64 v[106:109], v1 offset0:89 offset1:90
	ds_load_2addr_b64 v[114:117], v1 offset0:91 offset1:92
	s_waitcnt vmcnt(3)
	v_fma_f64 v[2:3], v[118:119], v[128:129], v[2:3]
	s_waitcnt lgkmcnt(1)
	s_delay_alu instid0(VALU_DEP_1) | instskip(SKIP_1) | instid1(VALU_DEP_1)
	v_fma_f64 v[2:3], v[120:121], v[106:107], v[2:3]
	s_waitcnt vmcnt(2)
	v_fma_f64 v[2:3], v[110:111], v[108:109], v[2:3]
	s_waitcnt lgkmcnt(0)
	s_delay_alu instid0(VALU_DEP_1) | instskip(SKIP_1) | instid1(VALU_DEP_1)
	v_fma_f64 v[2:3], v[112:113], v[114:115], v[2:3]
	s_waitcnt vmcnt(1)
	v_fma_f64 v[102:103], v[102:103], v[116:117], v[2:3]
	ds_load_2addr_b64 v[1:4], v1 offset0:93 offset1:94
	s_waitcnt lgkmcnt(0)
	v_fma_f64 v[1:2], v[104:105], v[1:2], v[102:103]
	s_waitcnt vmcnt(0)
	s_delay_alu instid0(VALU_DEP_1) | instskip(NEXT) | instid1(VALU_DEP_1)
	v_fma_f64 v[1:2], v[122:123], v[3:4], v[1:2]
	v_add_f64 v[1:2], v[100:101], -v[1:2]
	scratch_store_b64 off, v[1:2], off offset:96
	v_cmpx_lt_u32_e32 11, v0
	s_cbranch_execz .LBB46_269
; %bb.268:
	scratch_load_b64 v[1:2], off, off offset:88
	v_mov_b32_e32 v3, 0
	s_delay_alu instid0(VALU_DEP_1)
	v_mov_b32_e32 v4, v3
	scratch_store_b64 off, v[3:4], off offset:88
	s_waitcnt vmcnt(0)
	ds_store_b64 v5, v[1:2]
.LBB46_269:
	s_or_b32 exec_lo, exec_lo, s0
	s_waitcnt lgkmcnt(0)
	s_waitcnt_vscnt null, 0x0
	s_barrier
	buffer_gl0_inv
	s_clause 0x4
	scratch_load_b128 v[100:103], off, off offset:88
	scratch_load_b128 v[104:107], off, off offset:104
	;; [unrolled: 1-line block ×5, first 2 shown]
	v_mov_b32_e32 v1, 0
	ds_load_b128 v[120:123], v1 offset:480
	ds_load_b128 v[124:127], v1 offset:496
	scratch_load_b128 v[128:131], off, off offset:168
	s_mov_b32 s0, exec_lo
	s_waitcnt vmcnt(5) lgkmcnt(1)
	v_fma_f64 v[2:3], v[102:103], v[120:121], 0
	s_waitcnt vmcnt(4)
	s_delay_alu instid0(VALU_DEP_1) | instskip(SKIP_4) | instid1(VALU_DEP_1)
	v_fma_f64 v[2:3], v[104:105], v[122:123], v[2:3]
	scratch_load_b128 v[102:105], off, off offset:184
	s_waitcnt lgkmcnt(0)
	v_fma_f64 v[2:3], v[106:107], v[124:125], v[2:3]
	s_waitcnt vmcnt(4)
	v_fma_f64 v[2:3], v[108:109], v[126:127], v[2:3]
	ds_load_b128 v[106:109], v1 offset:512
	ds_load_b128 v[120:123], v1 offset:528
	scratch_load_b128 v[124:127], off, off offset:200
	s_waitcnt lgkmcnt(1)
	v_fma_f64 v[2:3], v[110:111], v[106:107], v[2:3]
	s_waitcnt vmcnt(4)
	s_delay_alu instid0(VALU_DEP_1) | instskip(SKIP_4) | instid1(VALU_DEP_1)
	v_fma_f64 v[2:3], v[112:113], v[108:109], v[2:3]
	scratch_load_b128 v[106:109], off, off offset:216
	s_waitcnt lgkmcnt(0)
	v_fma_f64 v[2:3], v[114:115], v[120:121], v[2:3]
	s_waitcnt vmcnt(4)
	v_fma_f64 v[2:3], v[116:117], v[122:123], v[2:3]
	ds_load_b128 v[110:113], v1 offset:544
	ds_load_b128 v[114:117], v1 offset:560
	s_waitcnt lgkmcnt(1)
	v_fma_f64 v[2:3], v[118:119], v[110:111], v[2:3]
	scratch_load_b128 v[118:121], off, off offset:232
	s_waitcnt vmcnt(4)
	v_fma_f64 v[2:3], v[128:129], v[112:113], v[2:3]
	scratch_load_b128 v[110:113], off, off offset:248
	s_waitcnt lgkmcnt(0)
	v_fma_f64 v[2:3], v[130:131], v[114:115], v[2:3]
	s_waitcnt vmcnt(4)
	s_delay_alu instid0(VALU_DEP_1)
	v_fma_f64 v[2:3], v[102:103], v[116:117], v[2:3]
	ds_load_b128 v[114:117], v1 offset:576
	ds_load_b128 v[128:131], v1 offset:592
	s_waitcnt lgkmcnt(1)
	v_fma_f64 v[2:3], v[104:105], v[114:115], v[2:3]
	scratch_load_b128 v[102:105], off, off offset:264
	s_waitcnt vmcnt(4)
	v_fma_f64 v[2:3], v[124:125], v[116:117], v[2:3]
	scratch_load_b128 v[114:117], off, off offset:280
	s_waitcnt lgkmcnt(0)
	v_fma_f64 v[2:3], v[126:127], v[128:129], v[2:3]
	ds_load_b128 v[122:125], v1 offset:608
	ds_load_b128 v[126:129], v1 offset:624
	s_waitcnt vmcnt(4)
	v_fma_f64 v[2:3], v[106:107], v[130:131], v[2:3]
	s_waitcnt lgkmcnt(1)
	s_delay_alu instid0(VALU_DEP_1) | instskip(SKIP_4) | instid1(VALU_DEP_1)
	v_fma_f64 v[2:3], v[108:109], v[122:123], v[2:3]
	scratch_load_b128 v[106:109], off, off offset:296
	s_waitcnt vmcnt(4)
	v_fma_f64 v[2:3], v[118:119], v[124:125], v[2:3]
	s_waitcnt lgkmcnt(0)
	v_fma_f64 v[2:3], v[120:121], v[126:127], v[2:3]
	scratch_load_b128 v[118:121], off, off offset:312
	s_waitcnt vmcnt(4)
	v_fma_f64 v[2:3], v[110:111], v[128:129], v[2:3]
	ds_load_b128 v[122:125], v1 offset:640
	ds_load_b128 v[126:129], v1 offset:656
	s_waitcnt lgkmcnt(1)
	v_fma_f64 v[2:3], v[112:113], v[122:123], v[2:3]
	scratch_load_b128 v[110:113], off, off offset:328
	s_waitcnt vmcnt(4)
	v_fma_f64 v[2:3], v[102:103], v[124:125], v[2:3]
	s_waitcnt lgkmcnt(0)
	s_delay_alu instid0(VALU_DEP_1)
	v_fma_f64 v[2:3], v[104:105], v[126:127], v[2:3]
	scratch_load_b128 v[102:105], off, off offset:344
	s_waitcnt vmcnt(4)
	v_fma_f64 v[2:3], v[114:115], v[128:129], v[2:3]
	ds_load_b128 v[122:125], v1 offset:672
	ds_load_b128 v[126:129], v1 offset:688
	s_waitcnt lgkmcnt(1)
	v_fma_f64 v[2:3], v[116:117], v[122:123], v[2:3]
	scratch_load_b128 v[114:117], off, off offset:360
	s_waitcnt vmcnt(4)
	v_fma_f64 v[2:3], v[106:107], v[124:125], v[2:3]
	s_waitcnt lgkmcnt(0)
	s_delay_alu instid0(VALU_DEP_1)
	v_fma_f64 v[2:3], v[108:109], v[126:127], v[2:3]
	ds_load_b128 v[106:109], v1 offset:704
	ds_load_b128 v[122:125], v1 offset:720
	s_waitcnt vmcnt(3)
	v_fma_f64 v[2:3], v[118:119], v[128:129], v[2:3]
	s_waitcnt lgkmcnt(1)
	s_delay_alu instid0(VALU_DEP_1) | instskip(SKIP_1) | instid1(VALU_DEP_1)
	v_fma_f64 v[2:3], v[120:121], v[106:107], v[2:3]
	s_waitcnt vmcnt(2)
	v_fma_f64 v[2:3], v[110:111], v[108:109], v[2:3]
	s_waitcnt lgkmcnt(0)
	s_delay_alu instid0(VALU_DEP_1) | instskip(SKIP_1) | instid1(VALU_DEP_1)
	v_fma_f64 v[2:3], v[112:113], v[122:123], v[2:3]
	s_waitcnt vmcnt(1)
	v_fma_f64 v[2:3], v[102:103], v[124:125], v[2:3]
	ds_load_b128 v[106:109], v1 offset:736
	ds_load_b64 v[102:103], v1 offset:752
	s_waitcnt lgkmcnt(1)
	v_fma_f64 v[2:3], v[104:105], v[106:107], v[2:3]
	s_waitcnt vmcnt(0)
	s_delay_alu instid0(VALU_DEP_1) | instskip(SKIP_1) | instid1(VALU_DEP_1)
	v_fma_f64 v[2:3], v[114:115], v[108:109], v[2:3]
	s_waitcnt lgkmcnt(0)
	v_fma_f64 v[2:3], v[116:117], v[102:103], v[2:3]
	s_delay_alu instid0(VALU_DEP_1)
	v_add_f64 v[2:3], v[100:101], -v[2:3]
	scratch_store_b64 off, v[2:3], off offset:88
	v_cmpx_lt_u32_e32 10, v0
	s_cbranch_execz .LBB46_271
; %bb.270:
	scratch_load_b64 v[3:4], off, off offset:80
	v_mov_b32_e32 v2, v1
	scratch_store_b64 off, v[1:2], off offset:80
	s_waitcnt vmcnt(0)
	ds_store_b64 v5, v[3:4]
.LBB46_271:
	s_or_b32 exec_lo, exec_lo, s0
	s_waitcnt lgkmcnt(0)
	s_waitcnt_vscnt null, 0x0
	s_barrier
	buffer_gl0_inv
	s_clause 0x4
	scratch_load_b128 v[100:103], off, off offset:80
	scratch_load_b128 v[104:107], off, off offset:96
	;; [unrolled: 1-line block ×5, first 2 shown]
	ds_load_2addr_b64 v[120:123], v1 offset0:59 offset1:60
	ds_load_2addr_b64 v[124:127], v1 offset0:61 offset1:62
	scratch_load_b128 v[128:131], off, off offset:160
	s_mov_b32 s0, exec_lo
	s_waitcnt vmcnt(5) lgkmcnt(1)
	v_fma_f64 v[2:3], v[102:103], v[120:121], 0
	s_waitcnt vmcnt(4)
	s_delay_alu instid0(VALU_DEP_1) | instskip(SKIP_4) | instid1(VALU_DEP_1)
	v_fma_f64 v[2:3], v[104:105], v[122:123], v[2:3]
	scratch_load_b128 v[102:105], off, off offset:176
	s_waitcnt lgkmcnt(0)
	v_fma_f64 v[2:3], v[106:107], v[124:125], v[2:3]
	s_waitcnt vmcnt(4)
	v_fma_f64 v[2:3], v[108:109], v[126:127], v[2:3]
	ds_load_2addr_b64 v[106:109], v1 offset0:63 offset1:64
	ds_load_2addr_b64 v[120:123], v1 offset0:65 offset1:66
	scratch_load_b128 v[124:127], off, off offset:192
	s_waitcnt lgkmcnt(1)
	v_fma_f64 v[2:3], v[110:111], v[106:107], v[2:3]
	s_waitcnt vmcnt(4)
	s_delay_alu instid0(VALU_DEP_1) | instskip(SKIP_4) | instid1(VALU_DEP_1)
	v_fma_f64 v[2:3], v[112:113], v[108:109], v[2:3]
	scratch_load_b128 v[106:109], off, off offset:208
	s_waitcnt lgkmcnt(0)
	v_fma_f64 v[2:3], v[114:115], v[120:121], v[2:3]
	s_waitcnt vmcnt(4)
	v_fma_f64 v[2:3], v[116:117], v[122:123], v[2:3]
	ds_load_2addr_b64 v[110:113], v1 offset0:67 offset1:68
	ds_load_2addr_b64 v[114:117], v1 offset0:69 offset1:70
	s_waitcnt lgkmcnt(1)
	v_fma_f64 v[2:3], v[118:119], v[110:111], v[2:3]
	scratch_load_b128 v[118:121], off, off offset:224
	s_waitcnt vmcnt(4)
	v_fma_f64 v[2:3], v[128:129], v[112:113], v[2:3]
	scratch_load_b128 v[110:113], off, off offset:240
	s_waitcnt lgkmcnt(0)
	v_fma_f64 v[2:3], v[130:131], v[114:115], v[2:3]
	s_waitcnt vmcnt(4)
	s_delay_alu instid0(VALU_DEP_1)
	v_fma_f64 v[2:3], v[102:103], v[116:117], v[2:3]
	ds_load_2addr_b64 v[114:117], v1 offset0:71 offset1:72
	ds_load_2addr_b64 v[128:131], v1 offset0:73 offset1:74
	s_waitcnt lgkmcnt(1)
	v_fma_f64 v[2:3], v[104:105], v[114:115], v[2:3]
	scratch_load_b128 v[102:105], off, off offset:256
	s_waitcnt vmcnt(4)
	v_fma_f64 v[2:3], v[124:125], v[116:117], v[2:3]
	scratch_load_b128 v[114:117], off, off offset:272
	s_waitcnt lgkmcnt(0)
	v_fma_f64 v[2:3], v[126:127], v[128:129], v[2:3]
	ds_load_2addr_b64 v[122:125], v1 offset0:75 offset1:76
	ds_load_2addr_b64 v[126:129], v1 offset0:77 offset1:78
	s_waitcnt vmcnt(4)
	v_fma_f64 v[2:3], v[106:107], v[130:131], v[2:3]
	s_waitcnt lgkmcnt(1)
	s_delay_alu instid0(VALU_DEP_1) | instskip(SKIP_4) | instid1(VALU_DEP_1)
	v_fma_f64 v[2:3], v[108:109], v[122:123], v[2:3]
	scratch_load_b128 v[106:109], off, off offset:288
	s_waitcnt vmcnt(4)
	v_fma_f64 v[2:3], v[118:119], v[124:125], v[2:3]
	s_waitcnt lgkmcnt(0)
	v_fma_f64 v[2:3], v[120:121], v[126:127], v[2:3]
	scratch_load_b128 v[118:121], off, off offset:304
	s_waitcnt vmcnt(4)
	v_fma_f64 v[2:3], v[110:111], v[128:129], v[2:3]
	ds_load_2addr_b64 v[122:125], v1 offset0:79 offset1:80
	ds_load_2addr_b64 v[126:129], v1 offset0:81 offset1:82
	s_waitcnt lgkmcnt(1)
	v_fma_f64 v[2:3], v[112:113], v[122:123], v[2:3]
	scratch_load_b128 v[110:113], off, off offset:320
	s_waitcnt vmcnt(4)
	v_fma_f64 v[2:3], v[102:103], v[124:125], v[2:3]
	s_waitcnt lgkmcnt(0)
	s_delay_alu instid0(VALU_DEP_1)
	v_fma_f64 v[2:3], v[104:105], v[126:127], v[2:3]
	scratch_load_b128 v[102:105], off, off offset:336
	s_waitcnt vmcnt(4)
	v_fma_f64 v[2:3], v[114:115], v[128:129], v[2:3]
	ds_load_2addr_b64 v[122:125], v1 offset0:83 offset1:84
	ds_load_2addr_b64 v[126:129], v1 offset0:85 offset1:86
	s_waitcnt lgkmcnt(1)
	v_fma_f64 v[2:3], v[116:117], v[122:123], v[2:3]
	scratch_load_b128 v[114:117], off, off offset:352
	s_waitcnt vmcnt(4)
	v_fma_f64 v[2:3], v[106:107], v[124:125], v[2:3]
	s_waitcnt lgkmcnt(0)
	s_delay_alu instid0(VALU_DEP_1)
	v_fma_f64 v[2:3], v[108:109], v[126:127], v[2:3]
	scratch_load_b64 v[126:127], off, off offset:368
	ds_load_2addr_b64 v[106:109], v1 offset0:87 offset1:88
	ds_load_2addr_b64 v[122:125], v1 offset0:89 offset1:90
	s_waitcnt vmcnt(4)
	v_fma_f64 v[2:3], v[118:119], v[128:129], v[2:3]
	s_waitcnt lgkmcnt(1)
	s_delay_alu instid0(VALU_DEP_1) | instskip(SKIP_1) | instid1(VALU_DEP_1)
	v_fma_f64 v[2:3], v[120:121], v[106:107], v[2:3]
	s_waitcnt vmcnt(3)
	v_fma_f64 v[2:3], v[110:111], v[108:109], v[2:3]
	s_waitcnt lgkmcnt(0)
	s_delay_alu instid0(VALU_DEP_1) | instskip(SKIP_1) | instid1(VALU_DEP_1)
	v_fma_f64 v[2:3], v[112:113], v[122:123], v[2:3]
	s_waitcnt vmcnt(2)
	v_fma_f64 v[102:103], v[102:103], v[124:125], v[2:3]
	ds_load_2addr_b64 v[106:109], v1 offset0:91 offset1:92
	ds_load_2addr_b64 v[1:4], v1 offset0:93 offset1:94
	s_waitcnt lgkmcnt(1)
	v_fma_f64 v[102:103], v[104:105], v[106:107], v[102:103]
	s_waitcnt vmcnt(1)
	s_delay_alu instid0(VALU_DEP_1) | instskip(SKIP_1) | instid1(VALU_DEP_1)
	v_fma_f64 v[102:103], v[114:115], v[108:109], v[102:103]
	s_waitcnt lgkmcnt(0)
	v_fma_f64 v[1:2], v[116:117], v[1:2], v[102:103]
	s_waitcnt vmcnt(0)
	s_delay_alu instid0(VALU_DEP_1) | instskip(NEXT) | instid1(VALU_DEP_1)
	v_fma_f64 v[1:2], v[126:127], v[3:4], v[1:2]
	v_add_f64 v[1:2], v[100:101], -v[1:2]
	scratch_store_b64 off, v[1:2], off offset:80
	v_cmpx_lt_u32_e32 9, v0
	s_cbranch_execz .LBB46_273
; %bb.272:
	scratch_load_b64 v[1:2], off, off offset:72
	v_mov_b32_e32 v3, 0
	s_delay_alu instid0(VALU_DEP_1)
	v_mov_b32_e32 v4, v3
	scratch_store_b64 off, v[3:4], off offset:72
	s_waitcnt vmcnt(0)
	ds_store_b64 v5, v[1:2]
.LBB46_273:
	s_or_b32 exec_lo, exec_lo, s0
	s_waitcnt lgkmcnt(0)
	s_waitcnt_vscnt null, 0x0
	s_barrier
	buffer_gl0_inv
	s_clause 0x4
	scratch_load_b128 v[100:103], off, off offset:72
	scratch_load_b128 v[104:107], off, off offset:88
	;; [unrolled: 1-line block ×5, first 2 shown]
	v_mov_b32_e32 v1, 0
	ds_load_b128 v[120:123], v1 offset:464
	ds_load_b128 v[124:127], v1 offset:480
	scratch_load_b128 v[128:131], off, off offset:152
	s_mov_b32 s0, exec_lo
	s_waitcnt vmcnt(5) lgkmcnt(1)
	v_fma_f64 v[2:3], v[102:103], v[120:121], 0
	s_waitcnt vmcnt(4)
	s_delay_alu instid0(VALU_DEP_1) | instskip(SKIP_4) | instid1(VALU_DEP_1)
	v_fma_f64 v[2:3], v[104:105], v[122:123], v[2:3]
	scratch_load_b128 v[102:105], off, off offset:168
	s_waitcnt lgkmcnt(0)
	v_fma_f64 v[2:3], v[106:107], v[124:125], v[2:3]
	s_waitcnt vmcnt(4)
	v_fma_f64 v[2:3], v[108:109], v[126:127], v[2:3]
	ds_load_b128 v[106:109], v1 offset:496
	ds_load_b128 v[120:123], v1 offset:512
	scratch_load_b128 v[124:127], off, off offset:184
	s_waitcnt lgkmcnt(1)
	v_fma_f64 v[2:3], v[110:111], v[106:107], v[2:3]
	s_waitcnt vmcnt(4)
	s_delay_alu instid0(VALU_DEP_1) | instskip(SKIP_4) | instid1(VALU_DEP_1)
	v_fma_f64 v[2:3], v[112:113], v[108:109], v[2:3]
	scratch_load_b128 v[106:109], off, off offset:200
	s_waitcnt lgkmcnt(0)
	v_fma_f64 v[2:3], v[114:115], v[120:121], v[2:3]
	s_waitcnt vmcnt(4)
	v_fma_f64 v[2:3], v[116:117], v[122:123], v[2:3]
	ds_load_b128 v[110:113], v1 offset:528
	ds_load_b128 v[114:117], v1 offset:544
	s_waitcnt lgkmcnt(1)
	v_fma_f64 v[2:3], v[118:119], v[110:111], v[2:3]
	scratch_load_b128 v[118:121], off, off offset:216
	s_waitcnt vmcnt(4)
	v_fma_f64 v[2:3], v[128:129], v[112:113], v[2:3]
	scratch_load_b128 v[110:113], off, off offset:232
	s_waitcnt lgkmcnt(0)
	v_fma_f64 v[2:3], v[130:131], v[114:115], v[2:3]
	s_waitcnt vmcnt(4)
	s_delay_alu instid0(VALU_DEP_1)
	v_fma_f64 v[2:3], v[102:103], v[116:117], v[2:3]
	ds_load_b128 v[114:117], v1 offset:560
	ds_load_b128 v[128:131], v1 offset:576
	s_waitcnt lgkmcnt(1)
	v_fma_f64 v[2:3], v[104:105], v[114:115], v[2:3]
	scratch_load_b128 v[102:105], off, off offset:248
	s_waitcnt vmcnt(4)
	v_fma_f64 v[2:3], v[124:125], v[116:117], v[2:3]
	scratch_load_b128 v[114:117], off, off offset:264
	s_waitcnt lgkmcnt(0)
	v_fma_f64 v[2:3], v[126:127], v[128:129], v[2:3]
	ds_load_b128 v[122:125], v1 offset:592
	ds_load_b128 v[126:129], v1 offset:608
	s_waitcnt vmcnt(4)
	v_fma_f64 v[2:3], v[106:107], v[130:131], v[2:3]
	s_waitcnt lgkmcnt(1)
	s_delay_alu instid0(VALU_DEP_1) | instskip(SKIP_4) | instid1(VALU_DEP_1)
	v_fma_f64 v[2:3], v[108:109], v[122:123], v[2:3]
	scratch_load_b128 v[106:109], off, off offset:280
	s_waitcnt vmcnt(4)
	v_fma_f64 v[2:3], v[118:119], v[124:125], v[2:3]
	s_waitcnt lgkmcnt(0)
	v_fma_f64 v[2:3], v[120:121], v[126:127], v[2:3]
	scratch_load_b128 v[118:121], off, off offset:296
	s_waitcnt vmcnt(4)
	v_fma_f64 v[2:3], v[110:111], v[128:129], v[2:3]
	ds_load_b128 v[122:125], v1 offset:624
	ds_load_b128 v[126:129], v1 offset:640
	s_waitcnt lgkmcnt(1)
	v_fma_f64 v[2:3], v[112:113], v[122:123], v[2:3]
	scratch_load_b128 v[110:113], off, off offset:312
	s_waitcnt vmcnt(4)
	v_fma_f64 v[2:3], v[102:103], v[124:125], v[2:3]
	s_waitcnt lgkmcnt(0)
	s_delay_alu instid0(VALU_DEP_1)
	v_fma_f64 v[2:3], v[104:105], v[126:127], v[2:3]
	scratch_load_b128 v[102:105], off, off offset:328
	s_waitcnt vmcnt(4)
	v_fma_f64 v[2:3], v[114:115], v[128:129], v[2:3]
	ds_load_b128 v[122:125], v1 offset:656
	ds_load_b128 v[126:129], v1 offset:672
	s_waitcnt lgkmcnt(1)
	v_fma_f64 v[2:3], v[116:117], v[122:123], v[2:3]
	scratch_load_b128 v[114:117], off, off offset:344
	s_waitcnt vmcnt(4)
	v_fma_f64 v[2:3], v[106:107], v[124:125], v[2:3]
	s_waitcnt lgkmcnt(0)
	s_delay_alu instid0(VALU_DEP_1)
	v_fma_f64 v[2:3], v[108:109], v[126:127], v[2:3]
	scratch_load_b128 v[106:109], off, off offset:360
	s_waitcnt vmcnt(4)
	v_fma_f64 v[2:3], v[118:119], v[128:129], v[2:3]
	ds_load_b128 v[122:125], v1 offset:688
	ds_load_b128 v[126:129], v1 offset:704
	s_waitcnt lgkmcnt(1)
	v_fma_f64 v[2:3], v[120:121], v[122:123], v[2:3]
	s_waitcnt vmcnt(3)
	s_delay_alu instid0(VALU_DEP_1) | instskip(SKIP_1) | instid1(VALU_DEP_1)
	v_fma_f64 v[2:3], v[110:111], v[124:125], v[2:3]
	s_waitcnt lgkmcnt(0)
	v_fma_f64 v[2:3], v[112:113], v[126:127], v[2:3]
	ds_load_b128 v[110:113], v1 offset:720
	ds_load_b128 v[118:121], v1 offset:736
	s_waitcnt vmcnt(2)
	v_fma_f64 v[2:3], v[102:103], v[128:129], v[2:3]
	ds_load_b64 v[102:103], v1 offset:752
	s_waitcnt lgkmcnt(2)
	v_fma_f64 v[2:3], v[104:105], v[110:111], v[2:3]
	s_waitcnt vmcnt(1)
	s_delay_alu instid0(VALU_DEP_1) | instskip(SKIP_1) | instid1(VALU_DEP_1)
	v_fma_f64 v[2:3], v[114:115], v[112:113], v[2:3]
	s_waitcnt lgkmcnt(1)
	v_fma_f64 v[2:3], v[116:117], v[118:119], v[2:3]
	s_waitcnt vmcnt(0)
	s_delay_alu instid0(VALU_DEP_1) | instskip(SKIP_1) | instid1(VALU_DEP_1)
	v_fma_f64 v[2:3], v[106:107], v[120:121], v[2:3]
	s_waitcnt lgkmcnt(0)
	v_fma_f64 v[2:3], v[108:109], v[102:103], v[2:3]
	s_delay_alu instid0(VALU_DEP_1)
	v_add_f64 v[2:3], v[100:101], -v[2:3]
	scratch_store_b64 off, v[2:3], off offset:72
	v_cmpx_lt_u32_e32 8, v0
	s_cbranch_execz .LBB46_275
; %bb.274:
	scratch_load_b64 v[3:4], off, off offset:64
	v_mov_b32_e32 v2, v1
	scratch_store_b64 off, v[1:2], off offset:64
	s_waitcnt vmcnt(0)
	ds_store_b64 v5, v[3:4]
.LBB46_275:
	s_or_b32 exec_lo, exec_lo, s0
	s_waitcnt lgkmcnt(0)
	s_waitcnt_vscnt null, 0x0
	s_barrier
	buffer_gl0_inv
	s_clause 0x4
	scratch_load_b128 v[100:103], off, off offset:64
	scratch_load_b128 v[104:107], off, off offset:80
	;; [unrolled: 1-line block ×5, first 2 shown]
	ds_load_2addr_b64 v[120:123], v1 offset0:57 offset1:58
	ds_load_2addr_b64 v[124:127], v1 offset0:59 offset1:60
	scratch_load_b128 v[128:131], off, off offset:144
	s_mov_b32 s0, exec_lo
	s_waitcnt vmcnt(5) lgkmcnt(1)
	v_fma_f64 v[2:3], v[102:103], v[120:121], 0
	s_waitcnt vmcnt(4)
	s_delay_alu instid0(VALU_DEP_1) | instskip(SKIP_4) | instid1(VALU_DEP_1)
	v_fma_f64 v[2:3], v[104:105], v[122:123], v[2:3]
	scratch_load_b128 v[102:105], off, off offset:160
	s_waitcnt lgkmcnt(0)
	v_fma_f64 v[2:3], v[106:107], v[124:125], v[2:3]
	s_waitcnt vmcnt(4)
	v_fma_f64 v[2:3], v[108:109], v[126:127], v[2:3]
	ds_load_2addr_b64 v[106:109], v1 offset0:61 offset1:62
	ds_load_2addr_b64 v[120:123], v1 offset0:63 offset1:64
	scratch_load_b128 v[124:127], off, off offset:176
	s_waitcnt lgkmcnt(1)
	v_fma_f64 v[2:3], v[110:111], v[106:107], v[2:3]
	s_waitcnt vmcnt(4)
	s_delay_alu instid0(VALU_DEP_1) | instskip(SKIP_4) | instid1(VALU_DEP_1)
	v_fma_f64 v[2:3], v[112:113], v[108:109], v[2:3]
	scratch_load_b128 v[106:109], off, off offset:192
	s_waitcnt lgkmcnt(0)
	v_fma_f64 v[2:3], v[114:115], v[120:121], v[2:3]
	s_waitcnt vmcnt(4)
	v_fma_f64 v[2:3], v[116:117], v[122:123], v[2:3]
	ds_load_2addr_b64 v[110:113], v1 offset0:65 offset1:66
	ds_load_2addr_b64 v[114:117], v1 offset0:67 offset1:68
	s_waitcnt lgkmcnt(1)
	v_fma_f64 v[2:3], v[118:119], v[110:111], v[2:3]
	scratch_load_b128 v[118:121], off, off offset:208
	s_waitcnt vmcnt(4)
	v_fma_f64 v[2:3], v[128:129], v[112:113], v[2:3]
	scratch_load_b128 v[110:113], off, off offset:224
	s_waitcnt lgkmcnt(0)
	v_fma_f64 v[2:3], v[130:131], v[114:115], v[2:3]
	s_waitcnt vmcnt(4)
	s_delay_alu instid0(VALU_DEP_1)
	v_fma_f64 v[2:3], v[102:103], v[116:117], v[2:3]
	ds_load_2addr_b64 v[114:117], v1 offset0:69 offset1:70
	ds_load_2addr_b64 v[128:131], v1 offset0:71 offset1:72
	s_waitcnt lgkmcnt(1)
	v_fma_f64 v[2:3], v[104:105], v[114:115], v[2:3]
	scratch_load_b128 v[102:105], off, off offset:240
	s_waitcnt vmcnt(4)
	v_fma_f64 v[2:3], v[124:125], v[116:117], v[2:3]
	scratch_load_b128 v[114:117], off, off offset:256
	s_waitcnt lgkmcnt(0)
	v_fma_f64 v[2:3], v[126:127], v[128:129], v[2:3]
	ds_load_2addr_b64 v[122:125], v1 offset0:73 offset1:74
	ds_load_2addr_b64 v[126:129], v1 offset0:75 offset1:76
	s_waitcnt vmcnt(4)
	v_fma_f64 v[2:3], v[106:107], v[130:131], v[2:3]
	s_waitcnt lgkmcnt(1)
	s_delay_alu instid0(VALU_DEP_1) | instskip(SKIP_4) | instid1(VALU_DEP_1)
	v_fma_f64 v[2:3], v[108:109], v[122:123], v[2:3]
	scratch_load_b128 v[106:109], off, off offset:272
	s_waitcnt vmcnt(4)
	v_fma_f64 v[2:3], v[118:119], v[124:125], v[2:3]
	s_waitcnt lgkmcnt(0)
	v_fma_f64 v[2:3], v[120:121], v[126:127], v[2:3]
	scratch_load_b128 v[118:121], off, off offset:288
	s_waitcnt vmcnt(4)
	v_fma_f64 v[2:3], v[110:111], v[128:129], v[2:3]
	ds_load_2addr_b64 v[122:125], v1 offset0:77 offset1:78
	ds_load_2addr_b64 v[126:129], v1 offset0:79 offset1:80
	s_waitcnt lgkmcnt(1)
	v_fma_f64 v[2:3], v[112:113], v[122:123], v[2:3]
	scratch_load_b128 v[110:113], off, off offset:304
	s_waitcnt vmcnt(4)
	v_fma_f64 v[2:3], v[102:103], v[124:125], v[2:3]
	s_waitcnt lgkmcnt(0)
	s_delay_alu instid0(VALU_DEP_1)
	v_fma_f64 v[2:3], v[104:105], v[126:127], v[2:3]
	scratch_load_b128 v[102:105], off, off offset:320
	s_waitcnt vmcnt(4)
	v_fma_f64 v[2:3], v[114:115], v[128:129], v[2:3]
	ds_load_2addr_b64 v[122:125], v1 offset0:81 offset1:82
	ds_load_2addr_b64 v[126:129], v1 offset0:83 offset1:84
	s_waitcnt lgkmcnt(1)
	v_fma_f64 v[2:3], v[116:117], v[122:123], v[2:3]
	scratch_load_b128 v[114:117], off, off offset:336
	s_waitcnt vmcnt(4)
	v_fma_f64 v[2:3], v[106:107], v[124:125], v[2:3]
	s_waitcnt lgkmcnt(0)
	s_delay_alu instid0(VALU_DEP_1)
	v_fma_f64 v[2:3], v[108:109], v[126:127], v[2:3]
	scratch_load_b128 v[106:109], off, off offset:352
	s_waitcnt vmcnt(4)
	v_fma_f64 v[2:3], v[118:119], v[128:129], v[2:3]
	ds_load_2addr_b64 v[122:125], v1 offset0:85 offset1:86
	ds_load_2addr_b64 v[126:129], v1 offset0:87 offset1:88
	s_waitcnt lgkmcnt(1)
	v_fma_f64 v[2:3], v[120:121], v[122:123], v[2:3]
	scratch_load_b64 v[122:123], off, off offset:368
	s_waitcnt vmcnt(4)
	v_fma_f64 v[2:3], v[110:111], v[124:125], v[2:3]
	s_waitcnt lgkmcnt(0)
	s_delay_alu instid0(VALU_DEP_1)
	v_fma_f64 v[2:3], v[112:113], v[126:127], v[2:3]
	ds_load_2addr_b64 v[110:113], v1 offset0:89 offset1:90
	ds_load_2addr_b64 v[118:121], v1 offset0:91 offset1:92
	s_waitcnt vmcnt(3)
	v_fma_f64 v[2:3], v[102:103], v[128:129], v[2:3]
	s_waitcnt lgkmcnt(1)
	s_delay_alu instid0(VALU_DEP_1) | instskip(SKIP_1) | instid1(VALU_DEP_1)
	v_fma_f64 v[2:3], v[104:105], v[110:111], v[2:3]
	s_waitcnt vmcnt(2)
	v_fma_f64 v[2:3], v[114:115], v[112:113], v[2:3]
	s_waitcnt lgkmcnt(0)
	s_delay_alu instid0(VALU_DEP_1) | instskip(SKIP_1) | instid1(VALU_DEP_1)
	v_fma_f64 v[2:3], v[116:117], v[118:119], v[2:3]
	s_waitcnt vmcnt(1)
	v_fma_f64 v[102:103], v[106:107], v[120:121], v[2:3]
	ds_load_2addr_b64 v[1:4], v1 offset0:93 offset1:94
	s_waitcnt lgkmcnt(0)
	v_fma_f64 v[1:2], v[108:109], v[1:2], v[102:103]
	s_waitcnt vmcnt(0)
	s_delay_alu instid0(VALU_DEP_1) | instskip(NEXT) | instid1(VALU_DEP_1)
	v_fma_f64 v[1:2], v[122:123], v[3:4], v[1:2]
	v_add_f64 v[1:2], v[100:101], -v[1:2]
	scratch_store_b64 off, v[1:2], off offset:64
	v_cmpx_lt_u32_e32 7, v0
	s_cbranch_execz .LBB46_277
; %bb.276:
	scratch_load_b64 v[1:2], off, off offset:56
	v_mov_b32_e32 v3, 0
	s_delay_alu instid0(VALU_DEP_1)
	v_mov_b32_e32 v4, v3
	scratch_store_b64 off, v[3:4], off offset:56
	s_waitcnt vmcnt(0)
	ds_store_b64 v5, v[1:2]
.LBB46_277:
	s_or_b32 exec_lo, exec_lo, s0
	s_waitcnt lgkmcnt(0)
	s_waitcnt_vscnt null, 0x0
	s_barrier
	buffer_gl0_inv
	s_clause 0x4
	scratch_load_b128 v[100:103], off, off offset:56
	scratch_load_b128 v[104:107], off, off offset:72
	;; [unrolled: 1-line block ×5, first 2 shown]
	v_mov_b32_e32 v1, 0
	ds_load_b128 v[120:123], v1 offset:448
	ds_load_b128 v[124:127], v1 offset:464
	scratch_load_b128 v[128:131], off, off offset:136
	s_mov_b32 s0, exec_lo
	s_waitcnt vmcnt(5) lgkmcnt(1)
	v_fma_f64 v[2:3], v[102:103], v[120:121], 0
	s_waitcnt vmcnt(4)
	s_delay_alu instid0(VALU_DEP_1) | instskip(SKIP_4) | instid1(VALU_DEP_1)
	v_fma_f64 v[2:3], v[104:105], v[122:123], v[2:3]
	scratch_load_b128 v[102:105], off, off offset:152
	s_waitcnt lgkmcnt(0)
	v_fma_f64 v[2:3], v[106:107], v[124:125], v[2:3]
	s_waitcnt vmcnt(4)
	v_fma_f64 v[2:3], v[108:109], v[126:127], v[2:3]
	ds_load_b128 v[106:109], v1 offset:480
	ds_load_b128 v[120:123], v1 offset:496
	scratch_load_b128 v[124:127], off, off offset:168
	s_waitcnt lgkmcnt(1)
	v_fma_f64 v[2:3], v[110:111], v[106:107], v[2:3]
	s_waitcnt vmcnt(4)
	s_delay_alu instid0(VALU_DEP_1) | instskip(SKIP_4) | instid1(VALU_DEP_1)
	v_fma_f64 v[2:3], v[112:113], v[108:109], v[2:3]
	scratch_load_b128 v[106:109], off, off offset:184
	s_waitcnt lgkmcnt(0)
	v_fma_f64 v[2:3], v[114:115], v[120:121], v[2:3]
	s_waitcnt vmcnt(4)
	v_fma_f64 v[2:3], v[116:117], v[122:123], v[2:3]
	ds_load_b128 v[110:113], v1 offset:512
	ds_load_b128 v[114:117], v1 offset:528
	s_waitcnt lgkmcnt(1)
	v_fma_f64 v[2:3], v[118:119], v[110:111], v[2:3]
	scratch_load_b128 v[118:121], off, off offset:200
	s_waitcnt vmcnt(4)
	v_fma_f64 v[2:3], v[128:129], v[112:113], v[2:3]
	scratch_load_b128 v[110:113], off, off offset:216
	s_waitcnt lgkmcnt(0)
	v_fma_f64 v[2:3], v[130:131], v[114:115], v[2:3]
	s_waitcnt vmcnt(4)
	s_delay_alu instid0(VALU_DEP_1)
	v_fma_f64 v[2:3], v[102:103], v[116:117], v[2:3]
	ds_load_b128 v[114:117], v1 offset:544
	ds_load_b128 v[128:131], v1 offset:560
	s_waitcnt lgkmcnt(1)
	v_fma_f64 v[2:3], v[104:105], v[114:115], v[2:3]
	scratch_load_b128 v[102:105], off, off offset:232
	s_waitcnt vmcnt(4)
	v_fma_f64 v[2:3], v[124:125], v[116:117], v[2:3]
	scratch_load_b128 v[114:117], off, off offset:248
	s_waitcnt lgkmcnt(0)
	v_fma_f64 v[2:3], v[126:127], v[128:129], v[2:3]
	ds_load_b128 v[122:125], v1 offset:576
	ds_load_b128 v[126:129], v1 offset:592
	s_waitcnt vmcnt(4)
	v_fma_f64 v[2:3], v[106:107], v[130:131], v[2:3]
	s_waitcnt lgkmcnt(1)
	s_delay_alu instid0(VALU_DEP_1) | instskip(SKIP_4) | instid1(VALU_DEP_1)
	v_fma_f64 v[2:3], v[108:109], v[122:123], v[2:3]
	scratch_load_b128 v[106:109], off, off offset:264
	s_waitcnt vmcnt(4)
	v_fma_f64 v[2:3], v[118:119], v[124:125], v[2:3]
	s_waitcnt lgkmcnt(0)
	v_fma_f64 v[2:3], v[120:121], v[126:127], v[2:3]
	scratch_load_b128 v[118:121], off, off offset:280
	s_waitcnt vmcnt(4)
	v_fma_f64 v[2:3], v[110:111], v[128:129], v[2:3]
	ds_load_b128 v[122:125], v1 offset:608
	ds_load_b128 v[126:129], v1 offset:624
	s_waitcnt lgkmcnt(1)
	v_fma_f64 v[2:3], v[112:113], v[122:123], v[2:3]
	scratch_load_b128 v[110:113], off, off offset:296
	s_waitcnt vmcnt(4)
	v_fma_f64 v[2:3], v[102:103], v[124:125], v[2:3]
	s_waitcnt lgkmcnt(0)
	s_delay_alu instid0(VALU_DEP_1)
	v_fma_f64 v[2:3], v[104:105], v[126:127], v[2:3]
	scratch_load_b128 v[102:105], off, off offset:312
	s_waitcnt vmcnt(4)
	v_fma_f64 v[2:3], v[114:115], v[128:129], v[2:3]
	ds_load_b128 v[122:125], v1 offset:640
	ds_load_b128 v[126:129], v1 offset:656
	s_waitcnt lgkmcnt(1)
	v_fma_f64 v[2:3], v[116:117], v[122:123], v[2:3]
	scratch_load_b128 v[114:117], off, off offset:328
	s_waitcnt vmcnt(4)
	v_fma_f64 v[2:3], v[106:107], v[124:125], v[2:3]
	s_waitcnt lgkmcnt(0)
	s_delay_alu instid0(VALU_DEP_1)
	;; [unrolled: 13-line block ×3, first 2 shown]
	v_fma_f64 v[2:3], v[112:113], v[126:127], v[2:3]
	ds_load_b128 v[110:113], v1 offset:704
	ds_load_b128 v[122:125], v1 offset:720
	s_waitcnt vmcnt(3)
	v_fma_f64 v[2:3], v[102:103], v[128:129], v[2:3]
	s_waitcnt lgkmcnt(1)
	s_delay_alu instid0(VALU_DEP_1) | instskip(SKIP_1) | instid1(VALU_DEP_1)
	v_fma_f64 v[2:3], v[104:105], v[110:111], v[2:3]
	s_waitcnt vmcnt(2)
	v_fma_f64 v[2:3], v[114:115], v[112:113], v[2:3]
	s_waitcnt lgkmcnt(0)
	s_delay_alu instid0(VALU_DEP_1) | instskip(SKIP_1) | instid1(VALU_DEP_1)
	v_fma_f64 v[2:3], v[116:117], v[122:123], v[2:3]
	s_waitcnt vmcnt(1)
	v_fma_f64 v[2:3], v[106:107], v[124:125], v[2:3]
	ds_load_b128 v[102:105], v1 offset:736
	ds_load_b64 v[106:107], v1 offset:752
	s_waitcnt lgkmcnt(1)
	v_fma_f64 v[2:3], v[108:109], v[102:103], v[2:3]
	s_waitcnt vmcnt(0)
	s_delay_alu instid0(VALU_DEP_1) | instskip(SKIP_1) | instid1(VALU_DEP_1)
	v_fma_f64 v[2:3], v[118:119], v[104:105], v[2:3]
	s_waitcnt lgkmcnt(0)
	v_fma_f64 v[2:3], v[120:121], v[106:107], v[2:3]
	s_delay_alu instid0(VALU_DEP_1)
	v_add_f64 v[2:3], v[100:101], -v[2:3]
	scratch_store_b64 off, v[2:3], off offset:56
	v_cmpx_lt_u32_e32 6, v0
	s_cbranch_execz .LBB46_279
; %bb.278:
	scratch_load_b64 v[3:4], off, off offset:48
	v_mov_b32_e32 v2, v1
	scratch_store_b64 off, v[1:2], off offset:48
	s_waitcnt vmcnt(0)
	ds_store_b64 v5, v[3:4]
.LBB46_279:
	s_or_b32 exec_lo, exec_lo, s0
	s_waitcnt lgkmcnt(0)
	s_waitcnt_vscnt null, 0x0
	s_barrier
	buffer_gl0_inv
	s_clause 0x4
	scratch_load_b128 v[100:103], off, off offset:48
	scratch_load_b128 v[104:107], off, off offset:64
	scratch_load_b128 v[108:111], off, off offset:80
	scratch_load_b128 v[112:115], off, off offset:96
	scratch_load_b128 v[116:119], off, off offset:112
	ds_load_2addr_b64 v[120:123], v1 offset0:55 offset1:56
	ds_load_2addr_b64 v[124:127], v1 offset0:57 offset1:58
	scratch_load_b128 v[128:131], off, off offset:128
	s_mov_b32 s0, exec_lo
	s_waitcnt vmcnt(5) lgkmcnt(1)
	v_fma_f64 v[2:3], v[102:103], v[120:121], 0
	s_waitcnt vmcnt(4)
	s_delay_alu instid0(VALU_DEP_1) | instskip(SKIP_4) | instid1(VALU_DEP_1)
	v_fma_f64 v[2:3], v[104:105], v[122:123], v[2:3]
	scratch_load_b128 v[102:105], off, off offset:144
	s_waitcnt lgkmcnt(0)
	v_fma_f64 v[2:3], v[106:107], v[124:125], v[2:3]
	s_waitcnt vmcnt(4)
	v_fma_f64 v[2:3], v[108:109], v[126:127], v[2:3]
	ds_load_2addr_b64 v[106:109], v1 offset0:59 offset1:60
	ds_load_2addr_b64 v[120:123], v1 offset0:61 offset1:62
	scratch_load_b128 v[124:127], off, off offset:160
	s_waitcnt lgkmcnt(1)
	v_fma_f64 v[2:3], v[110:111], v[106:107], v[2:3]
	s_waitcnt vmcnt(4)
	s_delay_alu instid0(VALU_DEP_1) | instskip(SKIP_4) | instid1(VALU_DEP_1)
	v_fma_f64 v[2:3], v[112:113], v[108:109], v[2:3]
	scratch_load_b128 v[106:109], off, off offset:176
	s_waitcnt lgkmcnt(0)
	v_fma_f64 v[2:3], v[114:115], v[120:121], v[2:3]
	s_waitcnt vmcnt(4)
	v_fma_f64 v[2:3], v[116:117], v[122:123], v[2:3]
	ds_load_2addr_b64 v[110:113], v1 offset0:63 offset1:64
	ds_load_2addr_b64 v[114:117], v1 offset0:65 offset1:66
	s_waitcnt lgkmcnt(1)
	v_fma_f64 v[2:3], v[118:119], v[110:111], v[2:3]
	scratch_load_b128 v[118:121], off, off offset:192
	s_waitcnt vmcnt(4)
	v_fma_f64 v[2:3], v[128:129], v[112:113], v[2:3]
	scratch_load_b128 v[110:113], off, off offset:208
	s_waitcnt lgkmcnt(0)
	v_fma_f64 v[2:3], v[130:131], v[114:115], v[2:3]
	s_waitcnt vmcnt(4)
	s_delay_alu instid0(VALU_DEP_1)
	v_fma_f64 v[2:3], v[102:103], v[116:117], v[2:3]
	ds_load_2addr_b64 v[114:117], v1 offset0:67 offset1:68
	ds_load_2addr_b64 v[128:131], v1 offset0:69 offset1:70
	s_waitcnt lgkmcnt(1)
	v_fma_f64 v[2:3], v[104:105], v[114:115], v[2:3]
	scratch_load_b128 v[102:105], off, off offset:224
	s_waitcnt vmcnt(4)
	v_fma_f64 v[2:3], v[124:125], v[116:117], v[2:3]
	scratch_load_b128 v[114:117], off, off offset:240
	s_waitcnt lgkmcnt(0)
	v_fma_f64 v[2:3], v[126:127], v[128:129], v[2:3]
	ds_load_2addr_b64 v[122:125], v1 offset0:71 offset1:72
	ds_load_2addr_b64 v[126:129], v1 offset0:73 offset1:74
	s_waitcnt vmcnt(4)
	v_fma_f64 v[2:3], v[106:107], v[130:131], v[2:3]
	s_waitcnt lgkmcnt(1)
	s_delay_alu instid0(VALU_DEP_1) | instskip(SKIP_4) | instid1(VALU_DEP_1)
	v_fma_f64 v[2:3], v[108:109], v[122:123], v[2:3]
	scratch_load_b128 v[106:109], off, off offset:256
	s_waitcnt vmcnt(4)
	v_fma_f64 v[2:3], v[118:119], v[124:125], v[2:3]
	s_waitcnt lgkmcnt(0)
	v_fma_f64 v[2:3], v[120:121], v[126:127], v[2:3]
	scratch_load_b128 v[118:121], off, off offset:272
	s_waitcnt vmcnt(4)
	v_fma_f64 v[2:3], v[110:111], v[128:129], v[2:3]
	ds_load_2addr_b64 v[122:125], v1 offset0:75 offset1:76
	ds_load_2addr_b64 v[126:129], v1 offset0:77 offset1:78
	s_waitcnt lgkmcnt(1)
	v_fma_f64 v[2:3], v[112:113], v[122:123], v[2:3]
	scratch_load_b128 v[110:113], off, off offset:288
	s_waitcnt vmcnt(4)
	v_fma_f64 v[2:3], v[102:103], v[124:125], v[2:3]
	s_waitcnt lgkmcnt(0)
	s_delay_alu instid0(VALU_DEP_1)
	v_fma_f64 v[2:3], v[104:105], v[126:127], v[2:3]
	scratch_load_b128 v[102:105], off, off offset:304
	s_waitcnt vmcnt(4)
	v_fma_f64 v[2:3], v[114:115], v[128:129], v[2:3]
	ds_load_2addr_b64 v[122:125], v1 offset0:79 offset1:80
	ds_load_2addr_b64 v[126:129], v1 offset0:81 offset1:82
	s_waitcnt lgkmcnt(1)
	v_fma_f64 v[2:3], v[116:117], v[122:123], v[2:3]
	scratch_load_b128 v[114:117], off, off offset:320
	s_waitcnt vmcnt(4)
	v_fma_f64 v[2:3], v[106:107], v[124:125], v[2:3]
	s_waitcnt lgkmcnt(0)
	s_delay_alu instid0(VALU_DEP_1)
	;; [unrolled: 13-line block ×3, first 2 shown]
	v_fma_f64 v[2:3], v[112:113], v[126:127], v[2:3]
	scratch_load_b64 v[126:127], off, off offset:368
	ds_load_2addr_b64 v[110:113], v1 offset0:87 offset1:88
	ds_load_2addr_b64 v[122:125], v1 offset0:89 offset1:90
	s_waitcnt vmcnt(4)
	v_fma_f64 v[2:3], v[102:103], v[128:129], v[2:3]
	s_waitcnt lgkmcnt(1)
	s_delay_alu instid0(VALU_DEP_1) | instskip(SKIP_1) | instid1(VALU_DEP_1)
	v_fma_f64 v[2:3], v[104:105], v[110:111], v[2:3]
	s_waitcnt vmcnt(3)
	v_fma_f64 v[2:3], v[114:115], v[112:113], v[2:3]
	s_waitcnt lgkmcnt(0)
	s_delay_alu instid0(VALU_DEP_1) | instskip(SKIP_1) | instid1(VALU_DEP_1)
	v_fma_f64 v[2:3], v[116:117], v[122:123], v[2:3]
	s_waitcnt vmcnt(2)
	v_fma_f64 v[106:107], v[106:107], v[124:125], v[2:3]
	ds_load_2addr_b64 v[102:105], v1 offset0:91 offset1:92
	ds_load_2addr_b64 v[1:4], v1 offset0:93 offset1:94
	s_waitcnt lgkmcnt(1)
	v_fma_f64 v[102:103], v[108:109], v[102:103], v[106:107]
	s_waitcnt vmcnt(1)
	s_delay_alu instid0(VALU_DEP_1) | instskip(SKIP_1) | instid1(VALU_DEP_1)
	v_fma_f64 v[102:103], v[118:119], v[104:105], v[102:103]
	s_waitcnt lgkmcnt(0)
	v_fma_f64 v[1:2], v[120:121], v[1:2], v[102:103]
	s_waitcnt vmcnt(0)
	s_delay_alu instid0(VALU_DEP_1) | instskip(NEXT) | instid1(VALU_DEP_1)
	v_fma_f64 v[1:2], v[126:127], v[3:4], v[1:2]
	v_add_f64 v[1:2], v[100:101], -v[1:2]
	scratch_store_b64 off, v[1:2], off offset:48
	v_cmpx_lt_u32_e32 5, v0
	s_cbranch_execz .LBB46_281
; %bb.280:
	scratch_load_b64 v[1:2], off, off offset:40
	v_mov_b32_e32 v3, 0
	s_delay_alu instid0(VALU_DEP_1)
	v_mov_b32_e32 v4, v3
	scratch_store_b64 off, v[3:4], off offset:40
	s_waitcnt vmcnt(0)
	ds_store_b64 v5, v[1:2]
.LBB46_281:
	s_or_b32 exec_lo, exec_lo, s0
	s_waitcnt lgkmcnt(0)
	s_waitcnt_vscnt null, 0x0
	s_barrier
	buffer_gl0_inv
	s_clause 0x4
	scratch_load_b128 v[100:103], off, off offset:40
	scratch_load_b128 v[104:107], off, off offset:56
	;; [unrolled: 1-line block ×5, first 2 shown]
	v_mov_b32_e32 v1, 0
	ds_load_b128 v[120:123], v1 offset:432
	ds_load_b128 v[124:127], v1 offset:448
	scratch_load_b128 v[128:131], off, off offset:120
	s_mov_b32 s0, exec_lo
	s_waitcnt vmcnt(5) lgkmcnt(1)
	v_fma_f64 v[2:3], v[102:103], v[120:121], 0
	s_waitcnt vmcnt(4)
	s_delay_alu instid0(VALU_DEP_1) | instskip(SKIP_4) | instid1(VALU_DEP_1)
	v_fma_f64 v[2:3], v[104:105], v[122:123], v[2:3]
	scratch_load_b128 v[102:105], off, off offset:136
	s_waitcnt lgkmcnt(0)
	v_fma_f64 v[2:3], v[106:107], v[124:125], v[2:3]
	s_waitcnt vmcnt(4)
	v_fma_f64 v[2:3], v[108:109], v[126:127], v[2:3]
	ds_load_b128 v[106:109], v1 offset:464
	ds_load_b128 v[120:123], v1 offset:480
	scratch_load_b128 v[124:127], off, off offset:152
	s_waitcnt lgkmcnt(1)
	v_fma_f64 v[2:3], v[110:111], v[106:107], v[2:3]
	s_waitcnt vmcnt(4)
	s_delay_alu instid0(VALU_DEP_1) | instskip(SKIP_4) | instid1(VALU_DEP_1)
	v_fma_f64 v[2:3], v[112:113], v[108:109], v[2:3]
	scratch_load_b128 v[106:109], off, off offset:168
	s_waitcnt lgkmcnt(0)
	v_fma_f64 v[2:3], v[114:115], v[120:121], v[2:3]
	s_waitcnt vmcnt(4)
	v_fma_f64 v[2:3], v[116:117], v[122:123], v[2:3]
	ds_load_b128 v[110:113], v1 offset:496
	ds_load_b128 v[114:117], v1 offset:512
	s_waitcnt lgkmcnt(1)
	v_fma_f64 v[2:3], v[118:119], v[110:111], v[2:3]
	scratch_load_b128 v[118:121], off, off offset:184
	s_waitcnt vmcnt(4)
	v_fma_f64 v[2:3], v[128:129], v[112:113], v[2:3]
	scratch_load_b128 v[110:113], off, off offset:200
	s_waitcnt lgkmcnt(0)
	v_fma_f64 v[2:3], v[130:131], v[114:115], v[2:3]
	s_waitcnt vmcnt(4)
	s_delay_alu instid0(VALU_DEP_1)
	v_fma_f64 v[2:3], v[102:103], v[116:117], v[2:3]
	ds_load_b128 v[114:117], v1 offset:528
	ds_load_b128 v[128:131], v1 offset:544
	s_waitcnt lgkmcnt(1)
	v_fma_f64 v[2:3], v[104:105], v[114:115], v[2:3]
	scratch_load_b128 v[102:105], off, off offset:216
	s_waitcnt vmcnt(4)
	v_fma_f64 v[2:3], v[124:125], v[116:117], v[2:3]
	scratch_load_b128 v[114:117], off, off offset:232
	s_waitcnt lgkmcnt(0)
	v_fma_f64 v[2:3], v[126:127], v[128:129], v[2:3]
	ds_load_b128 v[122:125], v1 offset:560
	ds_load_b128 v[126:129], v1 offset:576
	s_waitcnt vmcnt(4)
	v_fma_f64 v[2:3], v[106:107], v[130:131], v[2:3]
	s_waitcnt lgkmcnt(1)
	s_delay_alu instid0(VALU_DEP_1) | instskip(SKIP_4) | instid1(VALU_DEP_1)
	v_fma_f64 v[2:3], v[108:109], v[122:123], v[2:3]
	scratch_load_b128 v[106:109], off, off offset:248
	s_waitcnt vmcnt(4)
	v_fma_f64 v[2:3], v[118:119], v[124:125], v[2:3]
	s_waitcnt lgkmcnt(0)
	v_fma_f64 v[2:3], v[120:121], v[126:127], v[2:3]
	scratch_load_b128 v[118:121], off, off offset:264
	s_waitcnt vmcnt(4)
	v_fma_f64 v[2:3], v[110:111], v[128:129], v[2:3]
	ds_load_b128 v[122:125], v1 offset:592
	ds_load_b128 v[126:129], v1 offset:608
	s_waitcnt lgkmcnt(1)
	v_fma_f64 v[2:3], v[112:113], v[122:123], v[2:3]
	scratch_load_b128 v[110:113], off, off offset:280
	s_waitcnt vmcnt(4)
	v_fma_f64 v[2:3], v[102:103], v[124:125], v[2:3]
	s_waitcnt lgkmcnt(0)
	s_delay_alu instid0(VALU_DEP_1)
	v_fma_f64 v[2:3], v[104:105], v[126:127], v[2:3]
	scratch_load_b128 v[102:105], off, off offset:296
	s_waitcnt vmcnt(4)
	v_fma_f64 v[2:3], v[114:115], v[128:129], v[2:3]
	ds_load_b128 v[122:125], v1 offset:624
	ds_load_b128 v[126:129], v1 offset:640
	s_waitcnt lgkmcnt(1)
	v_fma_f64 v[2:3], v[116:117], v[122:123], v[2:3]
	scratch_load_b128 v[114:117], off, off offset:312
	s_waitcnt vmcnt(4)
	v_fma_f64 v[2:3], v[106:107], v[124:125], v[2:3]
	s_waitcnt lgkmcnt(0)
	s_delay_alu instid0(VALU_DEP_1)
	;; [unrolled: 13-line block ×3, first 2 shown]
	v_fma_f64 v[2:3], v[112:113], v[126:127], v[2:3]
	scratch_load_b128 v[110:113], off, off offset:360
	s_waitcnt vmcnt(4)
	v_fma_f64 v[2:3], v[102:103], v[128:129], v[2:3]
	ds_load_b128 v[122:125], v1 offset:688
	ds_load_b128 v[126:129], v1 offset:704
	s_waitcnt lgkmcnt(1)
	v_fma_f64 v[2:3], v[104:105], v[122:123], v[2:3]
	s_waitcnt vmcnt(3)
	s_delay_alu instid0(VALU_DEP_1) | instskip(SKIP_1) | instid1(VALU_DEP_1)
	v_fma_f64 v[2:3], v[114:115], v[124:125], v[2:3]
	s_waitcnt lgkmcnt(0)
	v_fma_f64 v[2:3], v[116:117], v[126:127], v[2:3]
	ds_load_b128 v[102:105], v1 offset:720
	ds_load_b128 v[114:117], v1 offset:736
	s_waitcnt vmcnt(2)
	v_fma_f64 v[2:3], v[106:107], v[128:129], v[2:3]
	s_waitcnt lgkmcnt(1)
	s_delay_alu instid0(VALU_DEP_1) | instskip(SKIP_4) | instid1(VALU_DEP_1)
	v_fma_f64 v[2:3], v[108:109], v[102:103], v[2:3]
	ds_load_b64 v[102:103], v1 offset:752
	s_waitcnt vmcnt(1)
	v_fma_f64 v[2:3], v[118:119], v[104:105], v[2:3]
	s_waitcnt lgkmcnt(1)
	v_fma_f64 v[2:3], v[120:121], v[114:115], v[2:3]
	s_waitcnt vmcnt(0)
	s_delay_alu instid0(VALU_DEP_1) | instskip(SKIP_1) | instid1(VALU_DEP_1)
	v_fma_f64 v[2:3], v[110:111], v[116:117], v[2:3]
	s_waitcnt lgkmcnt(0)
	v_fma_f64 v[2:3], v[112:113], v[102:103], v[2:3]
	s_delay_alu instid0(VALU_DEP_1)
	v_add_f64 v[2:3], v[100:101], -v[2:3]
	scratch_store_b64 off, v[2:3], off offset:40
	v_cmpx_lt_u32_e32 4, v0
	s_cbranch_execz .LBB46_283
; %bb.282:
	scratch_load_b64 v[3:4], off, off offset:32
	v_mov_b32_e32 v2, v1
	scratch_store_b64 off, v[1:2], off offset:32
	s_waitcnt vmcnt(0)
	ds_store_b64 v5, v[3:4]
.LBB46_283:
	s_or_b32 exec_lo, exec_lo, s0
	s_waitcnt lgkmcnt(0)
	s_waitcnt_vscnt null, 0x0
	s_barrier
	buffer_gl0_inv
	s_clause 0x4
	scratch_load_b128 v[100:103], off, off offset:32
	scratch_load_b128 v[104:107], off, off offset:48
	;; [unrolled: 1-line block ×5, first 2 shown]
	ds_load_2addr_b64 v[120:123], v1 offset0:53 offset1:54
	ds_load_2addr_b64 v[124:127], v1 offset0:55 offset1:56
	scratch_load_b128 v[128:131], off, off offset:112
	s_mov_b32 s0, exec_lo
	s_waitcnt vmcnt(5) lgkmcnt(1)
	v_fma_f64 v[2:3], v[102:103], v[120:121], 0
	s_waitcnt vmcnt(4)
	s_delay_alu instid0(VALU_DEP_1) | instskip(SKIP_4) | instid1(VALU_DEP_1)
	v_fma_f64 v[2:3], v[104:105], v[122:123], v[2:3]
	scratch_load_b128 v[102:105], off, off offset:128
	s_waitcnt lgkmcnt(0)
	v_fma_f64 v[2:3], v[106:107], v[124:125], v[2:3]
	s_waitcnt vmcnt(4)
	v_fma_f64 v[2:3], v[108:109], v[126:127], v[2:3]
	ds_load_2addr_b64 v[106:109], v1 offset0:57 offset1:58
	ds_load_2addr_b64 v[120:123], v1 offset0:59 offset1:60
	scratch_load_b128 v[124:127], off, off offset:144
	s_waitcnt lgkmcnt(1)
	v_fma_f64 v[2:3], v[110:111], v[106:107], v[2:3]
	s_waitcnt vmcnt(4)
	s_delay_alu instid0(VALU_DEP_1) | instskip(SKIP_4) | instid1(VALU_DEP_1)
	v_fma_f64 v[2:3], v[112:113], v[108:109], v[2:3]
	scratch_load_b128 v[106:109], off, off offset:160
	s_waitcnt lgkmcnt(0)
	v_fma_f64 v[2:3], v[114:115], v[120:121], v[2:3]
	s_waitcnt vmcnt(4)
	v_fma_f64 v[2:3], v[116:117], v[122:123], v[2:3]
	ds_load_2addr_b64 v[110:113], v1 offset0:61 offset1:62
	ds_load_2addr_b64 v[114:117], v1 offset0:63 offset1:64
	s_waitcnt lgkmcnt(1)
	v_fma_f64 v[2:3], v[118:119], v[110:111], v[2:3]
	scratch_load_b128 v[118:121], off, off offset:176
	s_waitcnt vmcnt(4)
	v_fma_f64 v[2:3], v[128:129], v[112:113], v[2:3]
	scratch_load_b128 v[110:113], off, off offset:192
	s_waitcnt lgkmcnt(0)
	v_fma_f64 v[2:3], v[130:131], v[114:115], v[2:3]
	s_waitcnt vmcnt(4)
	s_delay_alu instid0(VALU_DEP_1)
	v_fma_f64 v[2:3], v[102:103], v[116:117], v[2:3]
	ds_load_2addr_b64 v[114:117], v1 offset0:65 offset1:66
	ds_load_2addr_b64 v[128:131], v1 offset0:67 offset1:68
	s_waitcnt lgkmcnt(1)
	v_fma_f64 v[2:3], v[104:105], v[114:115], v[2:3]
	scratch_load_b128 v[102:105], off, off offset:208
	s_waitcnt vmcnt(4)
	v_fma_f64 v[2:3], v[124:125], v[116:117], v[2:3]
	scratch_load_b128 v[114:117], off, off offset:224
	s_waitcnt lgkmcnt(0)
	v_fma_f64 v[2:3], v[126:127], v[128:129], v[2:3]
	ds_load_2addr_b64 v[122:125], v1 offset0:69 offset1:70
	ds_load_2addr_b64 v[126:129], v1 offset0:71 offset1:72
	s_waitcnt vmcnt(4)
	v_fma_f64 v[2:3], v[106:107], v[130:131], v[2:3]
	s_waitcnt lgkmcnt(1)
	s_delay_alu instid0(VALU_DEP_1) | instskip(SKIP_4) | instid1(VALU_DEP_1)
	v_fma_f64 v[2:3], v[108:109], v[122:123], v[2:3]
	scratch_load_b128 v[106:109], off, off offset:240
	s_waitcnt vmcnt(4)
	v_fma_f64 v[2:3], v[118:119], v[124:125], v[2:3]
	s_waitcnt lgkmcnt(0)
	v_fma_f64 v[2:3], v[120:121], v[126:127], v[2:3]
	scratch_load_b128 v[118:121], off, off offset:256
	s_waitcnt vmcnt(4)
	v_fma_f64 v[2:3], v[110:111], v[128:129], v[2:3]
	ds_load_2addr_b64 v[122:125], v1 offset0:73 offset1:74
	ds_load_2addr_b64 v[126:129], v1 offset0:75 offset1:76
	s_waitcnt lgkmcnt(1)
	v_fma_f64 v[2:3], v[112:113], v[122:123], v[2:3]
	scratch_load_b128 v[110:113], off, off offset:272
	s_waitcnt vmcnt(4)
	v_fma_f64 v[2:3], v[102:103], v[124:125], v[2:3]
	s_waitcnt lgkmcnt(0)
	s_delay_alu instid0(VALU_DEP_1)
	v_fma_f64 v[2:3], v[104:105], v[126:127], v[2:3]
	scratch_load_b128 v[102:105], off, off offset:288
	s_waitcnt vmcnt(4)
	v_fma_f64 v[2:3], v[114:115], v[128:129], v[2:3]
	ds_load_2addr_b64 v[122:125], v1 offset0:77 offset1:78
	ds_load_2addr_b64 v[126:129], v1 offset0:79 offset1:80
	s_waitcnt lgkmcnt(1)
	v_fma_f64 v[2:3], v[116:117], v[122:123], v[2:3]
	scratch_load_b128 v[114:117], off, off offset:304
	s_waitcnt vmcnt(4)
	v_fma_f64 v[2:3], v[106:107], v[124:125], v[2:3]
	s_waitcnt lgkmcnt(0)
	s_delay_alu instid0(VALU_DEP_1)
	;; [unrolled: 13-line block ×3, first 2 shown]
	v_fma_f64 v[2:3], v[112:113], v[126:127], v[2:3]
	scratch_load_b128 v[110:113], off, off offset:352
	s_waitcnt vmcnt(4)
	v_fma_f64 v[2:3], v[102:103], v[128:129], v[2:3]
	ds_load_2addr_b64 v[122:125], v1 offset0:85 offset1:86
	ds_load_2addr_b64 v[126:129], v1 offset0:87 offset1:88
	s_waitcnt lgkmcnt(1)
	v_fma_f64 v[2:3], v[104:105], v[122:123], v[2:3]
	scratch_load_b64 v[122:123], off, off offset:368
	s_waitcnt vmcnt(4)
	v_fma_f64 v[2:3], v[114:115], v[124:125], v[2:3]
	s_waitcnt lgkmcnt(0)
	s_delay_alu instid0(VALU_DEP_1)
	v_fma_f64 v[2:3], v[116:117], v[126:127], v[2:3]
	ds_load_2addr_b64 v[102:105], v1 offset0:89 offset1:90
	ds_load_2addr_b64 v[114:117], v1 offset0:91 offset1:92
	s_waitcnt vmcnt(3)
	v_fma_f64 v[2:3], v[106:107], v[128:129], v[2:3]
	s_waitcnt lgkmcnt(1)
	s_delay_alu instid0(VALU_DEP_1) | instskip(SKIP_1) | instid1(VALU_DEP_1)
	v_fma_f64 v[2:3], v[108:109], v[102:103], v[2:3]
	s_waitcnt vmcnt(2)
	v_fma_f64 v[2:3], v[118:119], v[104:105], v[2:3]
	s_waitcnt lgkmcnt(0)
	s_delay_alu instid0(VALU_DEP_1) | instskip(SKIP_1) | instid1(VALU_DEP_1)
	v_fma_f64 v[2:3], v[120:121], v[114:115], v[2:3]
	s_waitcnt vmcnt(1)
	v_fma_f64 v[102:103], v[110:111], v[116:117], v[2:3]
	ds_load_2addr_b64 v[1:4], v1 offset0:93 offset1:94
	s_waitcnt lgkmcnt(0)
	v_fma_f64 v[1:2], v[112:113], v[1:2], v[102:103]
	s_waitcnt vmcnt(0)
	s_delay_alu instid0(VALU_DEP_1) | instskip(NEXT) | instid1(VALU_DEP_1)
	v_fma_f64 v[1:2], v[122:123], v[3:4], v[1:2]
	v_add_f64 v[1:2], v[100:101], -v[1:2]
	scratch_store_b64 off, v[1:2], off offset:32
	v_cmpx_lt_u32_e32 3, v0
	s_cbranch_execz .LBB46_285
; %bb.284:
	scratch_load_b64 v[1:2], off, off offset:24
	v_mov_b32_e32 v3, 0
	s_delay_alu instid0(VALU_DEP_1)
	v_mov_b32_e32 v4, v3
	scratch_store_b64 off, v[3:4], off offset:24
	s_waitcnt vmcnt(0)
	ds_store_b64 v5, v[1:2]
.LBB46_285:
	s_or_b32 exec_lo, exec_lo, s0
	s_waitcnt lgkmcnt(0)
	s_waitcnt_vscnt null, 0x0
	s_barrier
	buffer_gl0_inv
	s_clause 0x4
	scratch_load_b128 v[100:103], off, off offset:24
	scratch_load_b128 v[104:107], off, off offset:40
	;; [unrolled: 1-line block ×5, first 2 shown]
	v_mov_b32_e32 v1, 0
	ds_load_b128 v[120:123], v1 offset:416
	ds_load_b128 v[124:127], v1 offset:432
	scratch_load_b128 v[128:131], off, off offset:104
	s_mov_b32 s0, exec_lo
	s_waitcnt vmcnt(5) lgkmcnt(1)
	v_fma_f64 v[2:3], v[102:103], v[120:121], 0
	s_waitcnt vmcnt(4)
	s_delay_alu instid0(VALU_DEP_1) | instskip(SKIP_4) | instid1(VALU_DEP_1)
	v_fma_f64 v[2:3], v[104:105], v[122:123], v[2:3]
	scratch_load_b128 v[102:105], off, off offset:120
	s_waitcnt lgkmcnt(0)
	v_fma_f64 v[2:3], v[106:107], v[124:125], v[2:3]
	s_waitcnt vmcnt(4)
	v_fma_f64 v[2:3], v[108:109], v[126:127], v[2:3]
	ds_load_b128 v[106:109], v1 offset:448
	ds_load_b128 v[120:123], v1 offset:464
	scratch_load_b128 v[124:127], off, off offset:136
	s_waitcnt lgkmcnt(1)
	v_fma_f64 v[2:3], v[110:111], v[106:107], v[2:3]
	s_waitcnt vmcnt(4)
	s_delay_alu instid0(VALU_DEP_1) | instskip(SKIP_4) | instid1(VALU_DEP_1)
	v_fma_f64 v[2:3], v[112:113], v[108:109], v[2:3]
	scratch_load_b128 v[106:109], off, off offset:152
	s_waitcnt lgkmcnt(0)
	v_fma_f64 v[2:3], v[114:115], v[120:121], v[2:3]
	s_waitcnt vmcnt(4)
	v_fma_f64 v[2:3], v[116:117], v[122:123], v[2:3]
	ds_load_b128 v[110:113], v1 offset:480
	ds_load_b128 v[114:117], v1 offset:496
	s_waitcnt lgkmcnt(1)
	v_fma_f64 v[2:3], v[118:119], v[110:111], v[2:3]
	scratch_load_b128 v[118:121], off, off offset:168
	s_waitcnt vmcnt(4)
	v_fma_f64 v[2:3], v[128:129], v[112:113], v[2:3]
	scratch_load_b128 v[110:113], off, off offset:184
	s_waitcnt lgkmcnt(0)
	v_fma_f64 v[2:3], v[130:131], v[114:115], v[2:3]
	s_waitcnt vmcnt(4)
	s_delay_alu instid0(VALU_DEP_1)
	v_fma_f64 v[2:3], v[102:103], v[116:117], v[2:3]
	ds_load_b128 v[114:117], v1 offset:512
	ds_load_b128 v[128:131], v1 offset:528
	s_waitcnt lgkmcnt(1)
	v_fma_f64 v[2:3], v[104:105], v[114:115], v[2:3]
	scratch_load_b128 v[102:105], off, off offset:200
	s_waitcnt vmcnt(4)
	v_fma_f64 v[2:3], v[124:125], v[116:117], v[2:3]
	scratch_load_b128 v[114:117], off, off offset:216
	s_waitcnt lgkmcnt(0)
	v_fma_f64 v[2:3], v[126:127], v[128:129], v[2:3]
	ds_load_b128 v[122:125], v1 offset:544
	ds_load_b128 v[126:129], v1 offset:560
	s_waitcnt vmcnt(4)
	v_fma_f64 v[2:3], v[106:107], v[130:131], v[2:3]
	s_waitcnt lgkmcnt(1)
	s_delay_alu instid0(VALU_DEP_1) | instskip(SKIP_4) | instid1(VALU_DEP_1)
	v_fma_f64 v[2:3], v[108:109], v[122:123], v[2:3]
	scratch_load_b128 v[106:109], off, off offset:232
	s_waitcnt vmcnt(4)
	v_fma_f64 v[2:3], v[118:119], v[124:125], v[2:3]
	s_waitcnt lgkmcnt(0)
	v_fma_f64 v[2:3], v[120:121], v[126:127], v[2:3]
	scratch_load_b128 v[118:121], off, off offset:248
	s_waitcnt vmcnt(4)
	v_fma_f64 v[2:3], v[110:111], v[128:129], v[2:3]
	ds_load_b128 v[122:125], v1 offset:576
	ds_load_b128 v[126:129], v1 offset:592
	s_waitcnt lgkmcnt(1)
	v_fma_f64 v[2:3], v[112:113], v[122:123], v[2:3]
	scratch_load_b128 v[110:113], off, off offset:264
	s_waitcnt vmcnt(4)
	v_fma_f64 v[2:3], v[102:103], v[124:125], v[2:3]
	s_waitcnt lgkmcnt(0)
	s_delay_alu instid0(VALU_DEP_1)
	v_fma_f64 v[2:3], v[104:105], v[126:127], v[2:3]
	scratch_load_b128 v[102:105], off, off offset:280
	s_waitcnt vmcnt(4)
	v_fma_f64 v[2:3], v[114:115], v[128:129], v[2:3]
	ds_load_b128 v[122:125], v1 offset:608
	ds_load_b128 v[126:129], v1 offset:624
	s_waitcnt lgkmcnt(1)
	v_fma_f64 v[2:3], v[116:117], v[122:123], v[2:3]
	scratch_load_b128 v[114:117], off, off offset:296
	s_waitcnt vmcnt(4)
	v_fma_f64 v[2:3], v[106:107], v[124:125], v[2:3]
	s_waitcnt lgkmcnt(0)
	s_delay_alu instid0(VALU_DEP_1)
	;; [unrolled: 13-line block ×4, first 2 shown]
	v_fma_f64 v[2:3], v[116:117], v[126:127], v[2:3]
	ds_load_b128 v[114:117], v1 offset:704
	ds_load_b128 v[122:125], v1 offset:720
	s_waitcnt vmcnt(3)
	v_fma_f64 v[2:3], v[106:107], v[128:129], v[2:3]
	s_waitcnt lgkmcnt(1)
	s_delay_alu instid0(VALU_DEP_1) | instskip(SKIP_1) | instid1(VALU_DEP_1)
	v_fma_f64 v[2:3], v[108:109], v[114:115], v[2:3]
	s_waitcnt vmcnt(2)
	v_fma_f64 v[2:3], v[118:119], v[116:117], v[2:3]
	s_waitcnt lgkmcnt(0)
	s_delay_alu instid0(VALU_DEP_1) | instskip(SKIP_1) | instid1(VALU_DEP_1)
	v_fma_f64 v[2:3], v[120:121], v[122:123], v[2:3]
	s_waitcnt vmcnt(1)
	v_fma_f64 v[2:3], v[110:111], v[124:125], v[2:3]
	ds_load_b128 v[106:109], v1 offset:736
	ds_load_b64 v[110:111], v1 offset:752
	s_waitcnt lgkmcnt(1)
	v_fma_f64 v[2:3], v[112:113], v[106:107], v[2:3]
	s_waitcnt vmcnt(0)
	s_delay_alu instid0(VALU_DEP_1) | instskip(SKIP_1) | instid1(VALU_DEP_1)
	v_fma_f64 v[2:3], v[102:103], v[108:109], v[2:3]
	s_waitcnt lgkmcnt(0)
	v_fma_f64 v[2:3], v[104:105], v[110:111], v[2:3]
	s_delay_alu instid0(VALU_DEP_1)
	v_add_f64 v[2:3], v[100:101], -v[2:3]
	scratch_store_b64 off, v[2:3], off offset:24
	v_cmpx_lt_u32_e32 2, v0
	s_cbranch_execz .LBB46_287
; %bb.286:
	scratch_load_b64 v[3:4], off, off offset:16
	v_mov_b32_e32 v2, v1
	scratch_store_b64 off, v[1:2], off offset:16
	s_waitcnt vmcnt(0)
	ds_store_b64 v5, v[3:4]
.LBB46_287:
	s_or_b32 exec_lo, exec_lo, s0
	s_waitcnt lgkmcnt(0)
	s_waitcnt_vscnt null, 0x0
	s_barrier
	buffer_gl0_inv
	s_clause 0x4
	scratch_load_b128 v[100:103], off, off offset:16
	scratch_load_b128 v[104:107], off, off offset:32
	;; [unrolled: 1-line block ×5, first 2 shown]
	ds_load_2addr_b64 v[120:123], v1 offset0:51 offset1:52
	ds_load_2addr_b64 v[124:127], v1 offset0:53 offset1:54
	scratch_load_b128 v[128:131], off, off offset:96
	s_mov_b32 s0, exec_lo
	s_waitcnt vmcnt(5) lgkmcnt(1)
	v_fma_f64 v[2:3], v[102:103], v[120:121], 0
	s_waitcnt vmcnt(4)
	s_delay_alu instid0(VALU_DEP_1) | instskip(SKIP_4) | instid1(VALU_DEP_1)
	v_fma_f64 v[2:3], v[104:105], v[122:123], v[2:3]
	scratch_load_b128 v[102:105], off, off offset:112
	s_waitcnt lgkmcnt(0)
	v_fma_f64 v[2:3], v[106:107], v[124:125], v[2:3]
	s_waitcnt vmcnt(4)
	v_fma_f64 v[2:3], v[108:109], v[126:127], v[2:3]
	ds_load_2addr_b64 v[106:109], v1 offset0:55 offset1:56
	ds_load_2addr_b64 v[120:123], v1 offset0:57 offset1:58
	scratch_load_b128 v[124:127], off, off offset:128
	s_waitcnt lgkmcnt(1)
	v_fma_f64 v[2:3], v[110:111], v[106:107], v[2:3]
	s_waitcnt vmcnt(4)
	s_delay_alu instid0(VALU_DEP_1) | instskip(SKIP_4) | instid1(VALU_DEP_1)
	v_fma_f64 v[2:3], v[112:113], v[108:109], v[2:3]
	scratch_load_b128 v[106:109], off, off offset:144
	s_waitcnt lgkmcnt(0)
	v_fma_f64 v[2:3], v[114:115], v[120:121], v[2:3]
	s_waitcnt vmcnt(4)
	v_fma_f64 v[2:3], v[116:117], v[122:123], v[2:3]
	ds_load_2addr_b64 v[110:113], v1 offset0:59 offset1:60
	ds_load_2addr_b64 v[114:117], v1 offset0:61 offset1:62
	s_waitcnt lgkmcnt(1)
	v_fma_f64 v[2:3], v[118:119], v[110:111], v[2:3]
	scratch_load_b128 v[118:121], off, off offset:160
	s_waitcnt vmcnt(4)
	v_fma_f64 v[2:3], v[128:129], v[112:113], v[2:3]
	scratch_load_b128 v[110:113], off, off offset:176
	s_waitcnt lgkmcnt(0)
	v_fma_f64 v[2:3], v[130:131], v[114:115], v[2:3]
	s_waitcnt vmcnt(4)
	s_delay_alu instid0(VALU_DEP_1)
	v_fma_f64 v[2:3], v[102:103], v[116:117], v[2:3]
	ds_load_2addr_b64 v[114:117], v1 offset0:63 offset1:64
	ds_load_2addr_b64 v[128:131], v1 offset0:65 offset1:66
	s_waitcnt lgkmcnt(1)
	v_fma_f64 v[2:3], v[104:105], v[114:115], v[2:3]
	scratch_load_b128 v[102:105], off, off offset:192
	s_waitcnt vmcnt(4)
	v_fma_f64 v[2:3], v[124:125], v[116:117], v[2:3]
	scratch_load_b128 v[114:117], off, off offset:208
	s_waitcnt lgkmcnt(0)
	v_fma_f64 v[2:3], v[126:127], v[128:129], v[2:3]
	ds_load_2addr_b64 v[122:125], v1 offset0:67 offset1:68
	ds_load_2addr_b64 v[126:129], v1 offset0:69 offset1:70
	s_waitcnt vmcnt(4)
	v_fma_f64 v[2:3], v[106:107], v[130:131], v[2:3]
	s_waitcnt lgkmcnt(1)
	s_delay_alu instid0(VALU_DEP_1) | instskip(SKIP_4) | instid1(VALU_DEP_1)
	v_fma_f64 v[2:3], v[108:109], v[122:123], v[2:3]
	scratch_load_b128 v[106:109], off, off offset:224
	s_waitcnt vmcnt(4)
	v_fma_f64 v[2:3], v[118:119], v[124:125], v[2:3]
	s_waitcnt lgkmcnt(0)
	v_fma_f64 v[2:3], v[120:121], v[126:127], v[2:3]
	scratch_load_b128 v[118:121], off, off offset:240
	s_waitcnt vmcnt(4)
	v_fma_f64 v[2:3], v[110:111], v[128:129], v[2:3]
	ds_load_2addr_b64 v[122:125], v1 offset0:71 offset1:72
	ds_load_2addr_b64 v[126:129], v1 offset0:73 offset1:74
	s_waitcnt lgkmcnt(1)
	v_fma_f64 v[2:3], v[112:113], v[122:123], v[2:3]
	scratch_load_b128 v[110:113], off, off offset:256
	s_waitcnt vmcnt(4)
	v_fma_f64 v[2:3], v[102:103], v[124:125], v[2:3]
	s_waitcnt lgkmcnt(0)
	s_delay_alu instid0(VALU_DEP_1)
	v_fma_f64 v[2:3], v[104:105], v[126:127], v[2:3]
	scratch_load_b128 v[102:105], off, off offset:272
	s_waitcnt vmcnt(4)
	v_fma_f64 v[2:3], v[114:115], v[128:129], v[2:3]
	ds_load_2addr_b64 v[122:125], v1 offset0:75 offset1:76
	ds_load_2addr_b64 v[126:129], v1 offset0:77 offset1:78
	s_waitcnt lgkmcnt(1)
	v_fma_f64 v[2:3], v[116:117], v[122:123], v[2:3]
	scratch_load_b128 v[114:117], off, off offset:288
	s_waitcnt vmcnt(4)
	v_fma_f64 v[2:3], v[106:107], v[124:125], v[2:3]
	s_waitcnt lgkmcnt(0)
	s_delay_alu instid0(VALU_DEP_1)
	;; [unrolled: 13-line block ×4, first 2 shown]
	v_fma_f64 v[2:3], v[116:117], v[126:127], v[2:3]
	scratch_load_b64 v[126:127], off, off offset:368
	ds_load_2addr_b64 v[114:117], v1 offset0:87 offset1:88
	ds_load_2addr_b64 v[122:125], v1 offset0:89 offset1:90
	s_waitcnt vmcnt(4)
	v_fma_f64 v[2:3], v[106:107], v[128:129], v[2:3]
	s_waitcnt lgkmcnt(1)
	s_delay_alu instid0(VALU_DEP_1) | instskip(SKIP_1) | instid1(VALU_DEP_1)
	v_fma_f64 v[2:3], v[108:109], v[114:115], v[2:3]
	s_waitcnt vmcnt(3)
	v_fma_f64 v[2:3], v[118:119], v[116:117], v[2:3]
	s_waitcnt lgkmcnt(0)
	s_delay_alu instid0(VALU_DEP_1) | instskip(SKIP_1) | instid1(VALU_DEP_1)
	v_fma_f64 v[2:3], v[120:121], v[122:123], v[2:3]
	s_waitcnt vmcnt(2)
	v_fma_f64 v[110:111], v[110:111], v[124:125], v[2:3]
	ds_load_2addr_b64 v[106:109], v1 offset0:91 offset1:92
	ds_load_2addr_b64 v[1:4], v1 offset0:93 offset1:94
	s_waitcnt lgkmcnt(1)
	v_fma_f64 v[106:107], v[112:113], v[106:107], v[110:111]
	s_waitcnt vmcnt(1)
	s_delay_alu instid0(VALU_DEP_1) | instskip(SKIP_1) | instid1(VALU_DEP_1)
	v_fma_f64 v[102:103], v[102:103], v[108:109], v[106:107]
	s_waitcnt lgkmcnt(0)
	v_fma_f64 v[1:2], v[104:105], v[1:2], v[102:103]
	s_waitcnt vmcnt(0)
	s_delay_alu instid0(VALU_DEP_1) | instskip(NEXT) | instid1(VALU_DEP_1)
	v_fma_f64 v[1:2], v[126:127], v[3:4], v[1:2]
	v_add_f64 v[1:2], v[100:101], -v[1:2]
	scratch_store_b64 off, v[1:2], off offset:16
	v_cmpx_lt_u32_e32 1, v0
	s_cbranch_execz .LBB46_289
; %bb.288:
	scratch_load_b64 v[1:2], off, off offset:8
	v_mov_b32_e32 v3, 0
	s_delay_alu instid0(VALU_DEP_1)
	v_mov_b32_e32 v4, v3
	scratch_store_b64 off, v[3:4], off offset:8
	s_waitcnt vmcnt(0)
	ds_store_b64 v5, v[1:2]
.LBB46_289:
	s_or_b32 exec_lo, exec_lo, s0
	s_waitcnt lgkmcnt(0)
	s_waitcnt_vscnt null, 0x0
	s_barrier
	buffer_gl0_inv
	s_clause 0x4
	scratch_load_b128 v[1:4], off, off offset:8
	scratch_load_b128 v[101:104], off, off offset:24
	;; [unrolled: 1-line block ×5, first 2 shown]
	v_mov_b32_e32 v100, 0
	ds_load_b128 v[117:120], v100 offset:400
	ds_load_b128 v[121:124], v100 offset:416
	scratch_load_b128 v[125:128], off, off offset:88
	s_mov_b32 s0, exec_lo
	s_waitcnt vmcnt(5) lgkmcnt(1)
	v_fma_f64 v[3:4], v[3:4], v[117:118], 0
	s_waitcnt vmcnt(4)
	s_delay_alu instid0(VALU_DEP_1) | instskip(SKIP_1) | instid1(VALU_DEP_1)
	v_fma_f64 v[3:4], v[101:102], v[119:120], v[3:4]
	s_waitcnt lgkmcnt(0)
	v_fma_f64 v[3:4], v[103:104], v[121:122], v[3:4]
	scratch_load_b128 v[101:104], off, off offset:104
	s_waitcnt vmcnt(4)
	v_fma_f64 v[3:4], v[105:106], v[123:124], v[3:4]
	ds_load_b128 v[117:120], v100 offset:432
	ds_load_b128 v[121:124], v100 offset:448
	s_waitcnt lgkmcnt(1)
	v_fma_f64 v[3:4], v[107:108], v[117:118], v[3:4]
	scratch_load_b128 v[105:108], off, off offset:120
	s_waitcnt vmcnt(4)
	v_fma_f64 v[3:4], v[109:110], v[119:120], v[3:4]
	s_waitcnt lgkmcnt(0)
	s_delay_alu instid0(VALU_DEP_1)
	v_fma_f64 v[3:4], v[111:112], v[121:122], v[3:4]
	scratch_load_b128 v[109:112], off, off offset:136
	s_waitcnt vmcnt(4)
	v_fma_f64 v[3:4], v[113:114], v[123:124], v[3:4]
	ds_load_b128 v[117:120], v100 offset:464
	ds_load_b128 v[121:124], v100 offset:480
	s_waitcnt lgkmcnt(1)
	v_fma_f64 v[3:4], v[115:116], v[117:118], v[3:4]
	scratch_load_b128 v[113:116], off, off offset:152
	s_waitcnt vmcnt(4)
	v_fma_f64 v[3:4], v[125:126], v[119:120], v[3:4]
	scratch_load_b128 v[117:120], off, off offset:168
	s_waitcnt lgkmcnt(0)
	v_fma_f64 v[3:4], v[127:128], v[121:122], v[3:4]
	s_waitcnt vmcnt(4)
	s_delay_alu instid0(VALU_DEP_1)
	v_fma_f64 v[3:4], v[101:102], v[123:124], v[3:4]
	ds_load_b128 v[121:124], v100 offset:496
	ds_load_b128 v[125:128], v100 offset:512
	s_waitcnt lgkmcnt(1)
	v_fma_f64 v[3:4], v[103:104], v[121:122], v[3:4]
	scratch_load_b128 v[101:104], off, off offset:184
	s_waitcnt vmcnt(4)
	v_fma_f64 v[3:4], v[105:106], v[123:124], v[3:4]
	s_waitcnt lgkmcnt(0)
	s_delay_alu instid0(VALU_DEP_1)
	v_fma_f64 v[3:4], v[107:108], v[125:126], v[3:4]
	scratch_load_b128 v[105:108], off, off offset:200
	s_waitcnt vmcnt(4)
	v_fma_f64 v[3:4], v[109:110], v[127:128], v[3:4]
	ds_load_b128 v[121:124], v100 offset:528
	ds_load_b128 v[125:128], v100 offset:544
	s_waitcnt lgkmcnt(1)
	v_fma_f64 v[3:4], v[111:112], v[121:122], v[3:4]
	scratch_load_b128 v[109:112], off, off offset:216
	s_waitcnt vmcnt(4)
	v_fma_f64 v[3:4], v[113:114], v[123:124], v[3:4]
	s_waitcnt lgkmcnt(0)
	s_delay_alu instid0(VALU_DEP_1)
	v_fma_f64 v[3:4], v[115:116], v[125:126], v[3:4]
	scratch_load_b128 v[113:116], off, off offset:232
	s_waitcnt vmcnt(4)
	;; [unrolled: 13-line block ×6, first 2 shown]
	v_fma_f64 v[3:4], v[109:110], v[127:128], v[3:4]
	ds_load_b128 v[121:124], v100 offset:688
	ds_load_b128 v[125:128], v100 offset:704
	s_waitcnt lgkmcnt(1)
	v_fma_f64 v[3:4], v[111:112], v[121:122], v[3:4]
	s_waitcnt vmcnt(3)
	s_delay_alu instid0(VALU_DEP_1) | instskip(SKIP_1) | instid1(VALU_DEP_1)
	v_fma_f64 v[3:4], v[113:114], v[123:124], v[3:4]
	s_waitcnt lgkmcnt(0)
	v_fma_f64 v[3:4], v[115:116], v[125:126], v[3:4]
	ds_load_b128 v[109:112], v100 offset:720
	ds_load_b128 v[113:116], v100 offset:736
	s_waitcnt vmcnt(2)
	v_fma_f64 v[3:4], v[117:118], v[127:128], v[3:4]
	s_waitcnt lgkmcnt(1)
	s_delay_alu instid0(VALU_DEP_1) | instskip(SKIP_1) | instid1(VALU_DEP_1)
	v_fma_f64 v[3:4], v[119:120], v[109:110], v[3:4]
	s_waitcnt vmcnt(1)
	v_fma_f64 v[3:4], v[101:102], v[111:112], v[3:4]
	ds_load_b64 v[101:102], v100 offset:752
	s_waitcnt lgkmcnt(1)
	v_fma_f64 v[3:4], v[103:104], v[113:114], v[3:4]
	s_waitcnt vmcnt(0)
	s_delay_alu instid0(VALU_DEP_1) | instskip(SKIP_1) | instid1(VALU_DEP_1)
	v_fma_f64 v[3:4], v[105:106], v[115:116], v[3:4]
	s_waitcnt lgkmcnt(0)
	v_fma_f64 v[3:4], v[107:108], v[101:102], v[3:4]
	s_delay_alu instid0(VALU_DEP_1)
	v_add_f64 v[1:2], v[1:2], -v[3:4]
	scratch_store_b64 off, v[1:2], off offset:8
	v_cmpx_ne_u32_e32 0, v0
	s_cbranch_execz .LBB46_291
; %bb.290:
	scratch_load_b64 v[0:1], off, off
	v_mov_b32_e32 v101, v100
	scratch_store_b64 off, v[100:101], off
	s_waitcnt vmcnt(0)
	ds_store_b64 v5, v[0:1]
.LBB46_291:
	s_or_b32 exec_lo, exec_lo, s0
	s_waitcnt lgkmcnt(0)
	s_waitcnt_vscnt null, 0x0
	s_barrier
	buffer_gl0_inv
	s_clause 0x4
	scratch_load_b128 v[0:3], off, off
	scratch_load_b128 v[101:104], off, off offset:16
	scratch_load_b128 v[105:108], off, off offset:32
	;; [unrolled: 1-line block ×4, first 2 shown]
	ds_load_2addr_b64 v[117:120], v100 offset0:49 offset1:50
	ds_load_2addr_b64 v[121:124], v100 offset0:51 offset1:52
	s_and_b32 vcc_lo, exec_lo, s16
	s_waitcnt vmcnt(4) lgkmcnt(1)
	v_fma_f64 v[117:118], v[2:3], v[117:118], 0
	scratch_load_b128 v[2:5], off, off offset:80
	s_waitcnt vmcnt(4)
	v_fma_f64 v[101:102], v[101:102], v[119:120], v[117:118]
	s_waitcnt lgkmcnt(0)
	s_delay_alu instid0(VALU_DEP_1)
	v_fma_f64 v[117:118], v[103:104], v[121:122], v[101:102]
	scratch_load_b128 v[101:104], off, off offset:96
	s_waitcnt vmcnt(4)
	v_fma_f64 v[105:106], v[105:106], v[123:124], v[117:118]
	ds_load_2addr_b64 v[117:120], v100 offset0:53 offset1:54
	ds_load_2addr_b64 v[121:124], v100 offset0:55 offset1:56
	s_waitcnt lgkmcnt(1)
	v_fma_f64 v[117:118], v[107:108], v[117:118], v[105:106]
	scratch_load_b128 v[105:108], off, off offset:112
	s_waitcnt vmcnt(4)
	v_fma_f64 v[109:110], v[109:110], v[119:120], v[117:118]
	s_waitcnt lgkmcnt(0)
	s_delay_alu instid0(VALU_DEP_1)
	v_fma_f64 v[117:118], v[111:112], v[121:122], v[109:110]
	scratch_load_b128 v[109:112], off, off offset:128
	s_waitcnt vmcnt(4)
	v_fma_f64 v[113:114], v[113:114], v[123:124], v[117:118]
	ds_load_2addr_b64 v[117:120], v100 offset0:57 offset1:58
	ds_load_2addr_b64 v[121:124], v100 offset0:59 offset1:60
	s_waitcnt lgkmcnt(1)
	;; [unrolled: 13-line block ×7, first 2 shown]
	v_fma_f64 v[117:118], v[115:116], v[117:118], v[113:114]
	scratch_load_b128 v[113:116], off, off offset:304
	s_waitcnt vmcnt(4)
	v_fma_f64 v[2:3], v[2:3], v[119:120], v[117:118]
	scratch_load_b128 v[117:120], off, off offset:320
	s_waitcnt lgkmcnt(0)
	v_fma_f64 v[2:3], v[4:5], v[121:122], v[2:3]
	s_waitcnt vmcnt(4)
	s_delay_alu instid0(VALU_DEP_1)
	v_fma_f64 v[101:102], v[101:102], v[123:124], v[2:3]
	ds_load_2addr_b64 v[2:5], v100 offset0:81 offset1:82
	ds_load_2addr_b64 v[121:124], v100 offset0:83 offset1:84
	s_waitcnt lgkmcnt(1)
	v_fma_f64 v[2:3], v[103:104], v[2:3], v[101:102]
	scratch_load_b128 v[101:104], off, off offset:336
	s_waitcnt vmcnt(4)
	v_fma_f64 v[2:3], v[105:106], v[4:5], v[2:3]
	s_waitcnt lgkmcnt(0)
	s_delay_alu instid0(VALU_DEP_1)
	v_fma_f64 v[105:106], v[107:108], v[121:122], v[2:3]
	scratch_load_b128 v[2:5], off, off offset:352
	s_waitcnt vmcnt(4)
	v_fma_f64 v[109:110], v[109:110], v[123:124], v[105:106]
	ds_load_2addr_b64 v[105:108], v100 offset0:85 offset1:86
	ds_load_2addr_b64 v[121:124], v100 offset0:87 offset1:88
	scratch_load_b64 v[125:126], off, off offset:368
	s_waitcnt lgkmcnt(1)
	v_fma_f64 v[105:106], v[111:112], v[105:106], v[109:110]
	s_waitcnt vmcnt(4)
	s_delay_alu instid0(VALU_DEP_1) | instskip(SKIP_1) | instid1(VALU_DEP_1)
	v_fma_f64 v[105:106], v[113:114], v[107:108], v[105:106]
	s_waitcnt lgkmcnt(0)
	v_fma_f64 v[105:106], v[115:116], v[121:122], v[105:106]
	s_waitcnt vmcnt(3)
	s_delay_alu instid0(VALU_DEP_1)
	v_fma_f64 v[113:114], v[117:118], v[123:124], v[105:106]
	ds_load_2addr_b64 v[105:108], v100 offset0:89 offset1:90
	ds_load_2addr_b64 v[109:112], v100 offset0:91 offset1:92
	s_waitcnt lgkmcnt(1)
	v_fma_f64 v[105:106], v[119:120], v[105:106], v[113:114]
	s_waitcnt vmcnt(2)
	s_delay_alu instid0(VALU_DEP_1) | instskip(SKIP_1) | instid1(VALU_DEP_1)
	v_fma_f64 v[101:102], v[101:102], v[107:108], v[105:106]
	s_waitcnt lgkmcnt(0)
	v_fma_f64 v[101:102], v[103:104], v[109:110], v[101:102]
	s_waitcnt vmcnt(1)
	s_delay_alu instid0(VALU_DEP_1) | instskip(SKIP_4) | instid1(VALU_DEP_1)
	v_fma_f64 v[2:3], v[2:3], v[111:112], v[101:102]
	ds_load_2addr_b64 v[100:103], v100 offset0:93 offset1:94
	s_waitcnt lgkmcnt(0)
	v_fma_f64 v[2:3], v[4:5], v[100:101], v[2:3]
	s_waitcnt vmcnt(0)
	v_fma_f64 v[2:3], v[125:126], v[102:103], v[2:3]
	s_delay_alu instid0(VALU_DEP_1)
	v_add_f64 v[0:1], v[0:1], -v[2:3]
	scratch_store_b64 off, v[0:1], off
	s_cbranch_vccz .LBB46_385
; %bb.292:
	v_dual_mov_b32 v0, s12 :: v_dual_mov_b32 v1, s13
	s_mov_b32 s0, exec_lo
	flat_load_b32 v0, v[0:1] offset:180
	s_waitcnt vmcnt(0) lgkmcnt(0)
	v_cmpx_ne_u32_e32 46, v0
	s_cbranch_execz .LBB46_294
; %bb.293:
	v_lshl_add_u32 v2, v0, 3, 0
	scratch_load_b64 v[0:1], v2, off offset:-8
	s_waitcnt vmcnt(0)
	scratch_store_b64 off, v[0:1], off offset:360
	scratch_store_b64 v2, v[4:5], off offset:-8
.LBB46_294:
	s_or_b32 exec_lo, exec_lo, s0
	v_dual_mov_b32 v0, s12 :: v_dual_mov_b32 v1, s13
	s_mov_b32 s0, exec_lo
	flat_load_b32 v0, v[0:1] offset:176
	s_waitcnt vmcnt(0) lgkmcnt(0)
	v_cmpx_ne_u32_e32 45, v0
	s_cbranch_execz .LBB46_296
; %bb.295:
	v_lshl_add_u32 v4, v0, 3, 0
	scratch_load_b64 v[0:1], v4, off offset:-8
	scratch_load_b64 v[2:3], off, off offset:352
	s_waitcnt vmcnt(1)
	scratch_store_b64 off, v[0:1], off offset:352
	s_waitcnt vmcnt(0)
	scratch_store_b64 v4, v[2:3], off offset:-8
.LBB46_296:
	s_or_b32 exec_lo, exec_lo, s0
	v_dual_mov_b32 v0, s12 :: v_dual_mov_b32 v1, s13
	s_mov_b32 s0, exec_lo
	flat_load_b32 v0, v[0:1] offset:172
	s_waitcnt vmcnt(0) lgkmcnt(0)
	v_cmpx_ne_u32_e32 44, v0
	s_cbranch_execz .LBB46_298
; %bb.297:
	v_lshl_add_u32 v4, v0, 3, 0
	scratch_load_b64 v[0:1], v4, off offset:-8
	scratch_load_b64 v[2:3], off, off offset:344
	s_waitcnt vmcnt(1)
	scratch_store_b64 off, v[0:1], off offset:344
	s_waitcnt vmcnt(0)
	scratch_store_b64 v4, v[2:3], off offset:-8
.LBB46_298:
	;; [unrolled: 16-line block ×44, first 2 shown]
	s_or_b32 exec_lo, exec_lo, s0
	v_dual_mov_b32 v0, s12 :: v_dual_mov_b32 v1, s13
	s_mov_b32 s0, exec_lo
	flat_load_b32 v2, v[0:1]
	scratch_load_b64 v[0:1], off, off
	s_waitcnt vmcnt(1) lgkmcnt(0)
	v_cmpx_ne_u32_e32 1, v2
	s_cbranch_execz .LBB46_384
; %bb.383:
	v_lshl_add_u32 v4, v2, 3, 0
	scratch_load_b64 v[2:3], v4, off offset:-8
	s_waitcnt vmcnt(0)
	scratch_store_b64 off, v[2:3], off
	scratch_store_b64 v4, v[0:1], off offset:-8
	scratch_load_b64 v[0:1], off, off
.LBB46_384:
	s_or_b32 exec_lo, exec_lo, s0
.LBB46_385:
	s_clause 0x9
	scratch_load_b128 v[2:5], off, off offset:8
	scratch_load_b128 v[100:103], off, off offset:24
	;; [unrolled: 1-line block ×10, first 2 shown]
	s_waitcnt vmcnt(10)
	global_store_b64 v[30:31], v[0:1], off
	s_clause 0x1
	scratch_load_b128 v[136:139], off, off offset:168
	scratch_load_b128 v[140:143], off, off offset:184
	s_waitcnt vmcnt(11)
	s_clause 0x1
	global_store_b64 v[10:11], v[2:3], off
	global_store_b64 v[18:19], v[4:5], off
	s_clause 0x1
	scratch_load_b128 v[0:3], off, off offset:200
	scratch_load_b128 v[144:147], off, off offset:216
	s_waitcnt vmcnt(12)
	s_clause 0x1
	global_store_b64 v[8:9], v[100:101], off
	;; [unrolled: 7-line block ×6, first 2 shown]
	global_store_b64 v[22:23], v[118:119], off
	scratch_load_b128 v[12:15], off, off offset:360
	s_waitcnt vmcnt(16)
	s_clause 0x1
	global_store_b64 v[20:21], v[120:121], off
	global_store_b64 v[28:29], v[122:123], off
	s_waitcnt vmcnt(15)
	s_clause 0x1
	global_store_b64 v[36:37], v[124:125], off
	global_store_b64 v[38:39], v[126:127], off
	;; [unrolled: 4-line block ×17, first 2 shown]
	s_endpgm
	.section	.rodata,"a",@progbits
	.p2align	6, 0x0
	.amdhsa_kernel _ZN9rocsolver6v33100L18getri_kernel_smallILi47EdPdEEvT1_iilPiilS4_bb
		.amdhsa_group_segment_fixed_size 760
		.amdhsa_private_segment_fixed_size 384
		.amdhsa_kernarg_size 60
		.amdhsa_user_sgpr_count 15
		.amdhsa_user_sgpr_dispatch_ptr 0
		.amdhsa_user_sgpr_queue_ptr 0
		.amdhsa_user_sgpr_kernarg_segment_ptr 1
		.amdhsa_user_sgpr_dispatch_id 0
		.amdhsa_user_sgpr_private_segment_size 0
		.amdhsa_wavefront_size32 1
		.amdhsa_uses_dynamic_stack 0
		.amdhsa_enable_private_segment 1
		.amdhsa_system_sgpr_workgroup_id_x 1
		.amdhsa_system_sgpr_workgroup_id_y 0
		.amdhsa_system_sgpr_workgroup_id_z 0
		.amdhsa_system_sgpr_workgroup_info 0
		.amdhsa_system_vgpr_workitem_id 0
		.amdhsa_next_free_vgpr 148
		.amdhsa_next_free_sgpr 18
		.amdhsa_reserve_vcc 1
		.amdhsa_float_round_mode_32 0
		.amdhsa_float_round_mode_16_64 0
		.amdhsa_float_denorm_mode_32 3
		.amdhsa_float_denorm_mode_16_64 3
		.amdhsa_dx10_clamp 1
		.amdhsa_ieee_mode 1
		.amdhsa_fp16_overflow 0
		.amdhsa_workgroup_processor_mode 1
		.amdhsa_memory_ordered 1
		.amdhsa_forward_progress 0
		.amdhsa_shared_vgpr_count 0
		.amdhsa_exception_fp_ieee_invalid_op 0
		.amdhsa_exception_fp_denorm_src 0
		.amdhsa_exception_fp_ieee_div_zero 0
		.amdhsa_exception_fp_ieee_overflow 0
		.amdhsa_exception_fp_ieee_underflow 0
		.amdhsa_exception_fp_ieee_inexact 0
		.amdhsa_exception_int_div_zero 0
	.end_amdhsa_kernel
	.section	.text._ZN9rocsolver6v33100L18getri_kernel_smallILi47EdPdEEvT1_iilPiilS4_bb,"axG",@progbits,_ZN9rocsolver6v33100L18getri_kernel_smallILi47EdPdEEvT1_iilPiilS4_bb,comdat
.Lfunc_end46:
	.size	_ZN9rocsolver6v33100L18getri_kernel_smallILi47EdPdEEvT1_iilPiilS4_bb, .Lfunc_end46-_ZN9rocsolver6v33100L18getri_kernel_smallILi47EdPdEEvT1_iilPiilS4_bb
                                        ; -- End function
	.section	.AMDGPU.csdata,"",@progbits
; Kernel info:
; codeLenInByte = 43852
; NumSgprs: 20
; NumVgprs: 148
; ScratchSize: 384
; MemoryBound: 0
; FloatMode: 240
; IeeeMode: 1
; LDSByteSize: 760 bytes/workgroup (compile time only)
; SGPRBlocks: 2
; VGPRBlocks: 18
; NumSGPRsForWavesPerEU: 20
; NumVGPRsForWavesPerEU: 148
; Occupancy: 9
; WaveLimiterHint : 1
; COMPUTE_PGM_RSRC2:SCRATCH_EN: 1
; COMPUTE_PGM_RSRC2:USER_SGPR: 15
; COMPUTE_PGM_RSRC2:TRAP_HANDLER: 0
; COMPUTE_PGM_RSRC2:TGID_X_EN: 1
; COMPUTE_PGM_RSRC2:TGID_Y_EN: 0
; COMPUTE_PGM_RSRC2:TGID_Z_EN: 0
; COMPUTE_PGM_RSRC2:TIDIG_COMP_CNT: 0
	.section	.text._ZN9rocsolver6v33100L18getri_kernel_smallILi48EdPdEEvT1_iilPiilS4_bb,"axG",@progbits,_ZN9rocsolver6v33100L18getri_kernel_smallILi48EdPdEEvT1_iilPiilS4_bb,comdat
	.globl	_ZN9rocsolver6v33100L18getri_kernel_smallILi48EdPdEEvT1_iilPiilS4_bb ; -- Begin function _ZN9rocsolver6v33100L18getri_kernel_smallILi48EdPdEEvT1_iilPiilS4_bb
	.p2align	8
	.type	_ZN9rocsolver6v33100L18getri_kernel_smallILi48EdPdEEvT1_iilPiilS4_bb,@function
_ZN9rocsolver6v33100L18getri_kernel_smallILi48EdPdEEvT1_iilPiilS4_bb: ; @_ZN9rocsolver6v33100L18getri_kernel_smallILi48EdPdEEvT1_iilPiilS4_bb
; %bb.0:
	s_mov_b32 s2, exec_lo
	v_cmpx_gt_u32_e32 48, v0
	s_cbranch_execz .LBB47_202
; %bb.1:
	s_clause 0x2
	s_load_b32 s17, s[0:1], 0x38
	s_load_b128 s[8:11], s[0:1], 0x10
	s_load_b128 s[4:7], s[0:1], 0x28
	s_mov_b32 s14, s15
                                        ; implicit-def: $sgpr12_sgpr13
	s_waitcnt lgkmcnt(0)
	s_bitcmp1_b32 s17, 8
	s_cselect_b32 s16, -1, 0
	s_bfe_u32 s2, s17, 0x10008
	s_ashr_i32 s15, s15, 31
	s_cmp_eq_u32 s2, 0
	s_cbranch_scc1 .LBB47_3
; %bb.2:
	s_load_b32 s2, s[0:1], 0x20
	s_mul_i32 s3, s14, s5
	s_mul_hi_u32 s5, s14, s4
	s_mul_i32 s12, s15, s4
	s_add_i32 s3, s5, s3
	s_mul_i32 s4, s14, s4
	s_add_i32 s5, s3, s12
	s_delay_alu instid0(SALU_CYCLE_1)
	s_lshl_b64 s[4:5], s[4:5], 2
	s_waitcnt lgkmcnt(0)
	s_ashr_i32 s3, s2, 31
	s_add_u32 s4, s10, s4
	s_addc_u32 s5, s11, s5
	s_lshl_b64 s[2:3], s[2:3], 2
	s_delay_alu instid0(SALU_CYCLE_1)
	s_add_u32 s12, s4, s2
	s_addc_u32 s13, s5, s3
.LBB47_3:
	s_load_b128 s[0:3], s[0:1], 0x0
	s_mul_i32 s4, s14, s9
	s_mul_hi_u32 s5, s14, s8
	s_mul_i32 s9, s15, s8
	s_add_i32 s5, s5, s4
	s_mul_i32 s4, s14, s8
	s_add_i32 s5, s5, s9
	v_lshlrev_b32_e32 v3, 3, v0
	s_lshl_b64 s[4:5], s[4:5], 3
	s_waitcnt lgkmcnt(0)
	v_add3_u32 v1, s3, s3, v0
	s_ashr_i32 s9, s2, 31
	s_mov_b32 s8, s2
	s_add_u32 s2, s0, s4
	s_addc_u32 s5, s1, s5
	v_add_nc_u32_e32 v4, s3, v1
	s_lshl_b64 s[0:1], s[8:9], 3
	v_ashrrev_i32_e32 v2, 31, v1
	s_add_u32 s0, s2, s0
	s_addc_u32 s1, s5, s1
	v_add_nc_u32_e32 v6, s3, v4
	v_add_co_u32 v30, s2, s0, v3
	v_ashrrev_i32_e32 v5, 31, v4
	s_mov_b32 s4, s3
	s_ashr_i32 s5, s3, 31
	v_add_co_ci_u32_e64 v31, null, s1, 0, s2
	v_lshlrev_b64 v[1:2], 3, v[1:2]
	s_lshl_b64 s[4:5], s[4:5], 3
	v_add_nc_u32_e32 v8, s3, v6
	v_add_co_u32 v22, vcc_lo, v30, s4
	v_lshlrev_b64 v[4:5], 3, v[4:5]
	v_ashrrev_i32_e32 v7, 31, v6
	v_add_co_ci_u32_e32 v23, vcc_lo, s5, v31, vcc_lo
	v_add_co_u32 v20, vcc_lo, s0, v1
	v_ashrrev_i32_e32 v9, 31, v8
	v_add_co_ci_u32_e32 v21, vcc_lo, s1, v2, vcc_lo
	v_lshlrev_b64 v[6:7], 3, v[6:7]
	v_add_co_u32 v24, vcc_lo, s0, v4
	s_clause 0x1
	global_load_b64 v[48:49], v3, s[0:1]
	global_load_b64 v[50:51], v[22:23], off
	v_add_co_ci_u32_e32 v25, vcc_lo, s1, v5, vcc_lo
	v_lshlrev_b64 v[4:5], 3, v[8:9]
	v_add_nc_u32_e32 v1, s3, v8
	v_add_co_u32 v14, vcc_lo, s0, v6
	v_add_co_ci_u32_e32 v15, vcc_lo, s1, v7, vcc_lo
	s_delay_alu instid0(VALU_DEP_4) | instskip(NEXT) | instid1(VALU_DEP_4)
	v_add_co_u32 v8, vcc_lo, s0, v4
	v_add_nc_u32_e32 v4, s3, v1
	v_ashrrev_i32_e32 v2, 31, v1
	v_add_co_ci_u32_e32 v9, vcc_lo, s1, v5, vcc_lo
	s_clause 0x3
	global_load_b64 v[56:57], v[20:21], off
	global_load_b64 v[58:59], v[24:25], off
	;; [unrolled: 1-line block ×4, first 2 shown]
	v_add_nc_u32_e32 v6, s3, v4
	v_ashrrev_i32_e32 v5, 31, v4
	v_lshlrev_b64 v[1:2], 3, v[1:2]
	s_bitcmp0_b32 s17, 0
	s_delay_alu instid0(VALU_DEP_3) | instskip(NEXT) | instid1(VALU_DEP_3)
	v_add_nc_u32_e32 v18, s3, v6
	v_lshlrev_b64 v[4:5], 3, v[4:5]
	v_ashrrev_i32_e32 v7, 31, v6
	s_delay_alu instid0(VALU_DEP_4) | instskip(NEXT) | instid1(VALU_DEP_4)
	v_add_co_u32 v16, vcc_lo, s0, v1
	v_ashrrev_i32_e32 v19, 31, v18
	v_add_co_ci_u32_e32 v17, vcc_lo, s1, v2, vcc_lo
	s_delay_alu instid0(VALU_DEP_4) | instskip(SKIP_3) | instid1(VALU_DEP_4)
	v_lshlrev_b64 v[1:2], 3, v[6:7]
	v_add_co_u32 v10, vcc_lo, s0, v4
	v_add_co_ci_u32_e32 v11, vcc_lo, s1, v5, vcc_lo
	v_lshlrev_b64 v[4:5], 3, v[18:19]
	v_add_co_u32 v12, vcc_lo, s0, v1
	v_add_co_ci_u32_e32 v13, vcc_lo, s1, v2, vcc_lo
	s_clause 0x1
	global_load_b64 v[64:65], v[16:17], off
	global_load_b64 v[66:67], v[10:11], off
	v_add_co_u32 v6, vcc_lo, s0, v4
	v_add_co_ci_u32_e32 v7, vcc_lo, s1, v5, vcc_lo
	s_clause 0x1
	global_load_b64 v[68:69], v[12:13], off
	global_load_b64 v[70:71], v[6:7], off
	v_add_nc_u32_e32 v1, s3, v18
	s_delay_alu instid0(VALU_DEP_1) | instskip(SKIP_1) | instid1(VALU_DEP_2)
	v_add_nc_u32_e32 v4, s3, v1
	v_ashrrev_i32_e32 v2, 31, v1
	v_add_nc_u32_e32 v18, s3, v4
	v_ashrrev_i32_e32 v5, 31, v4
	s_delay_alu instid0(VALU_DEP_3) | instskip(NEXT) | instid1(VALU_DEP_3)
	v_lshlrev_b64 v[1:2], 3, v[1:2]
	v_add_nc_u32_e32 v26, s3, v18
	s_delay_alu instid0(VALU_DEP_3) | instskip(SKIP_1) | instid1(VALU_DEP_4)
	v_lshlrev_b64 v[4:5], 3, v[4:5]
	v_ashrrev_i32_e32 v19, 31, v18
	v_add_co_u32 v36, vcc_lo, s0, v1
	s_delay_alu instid0(VALU_DEP_4) | instskip(SKIP_3) | instid1(VALU_DEP_4)
	v_add_nc_u32_e32 v34, s3, v26
	v_ashrrev_i32_e32 v27, 31, v26
	v_add_co_ci_u32_e32 v37, vcc_lo, s1, v2, vcc_lo
	v_lshlrev_b64 v[1:2], 3, v[18:19]
	v_add_nc_u32_e32 v38, s3, v34
	v_add_co_u32 v32, vcc_lo, s0, v4
	v_add_co_ci_u32_e32 v33, vcc_lo, s1, v5, vcc_lo
	s_delay_alu instid0(VALU_DEP_3) | instskip(SKIP_3) | instid1(VALU_DEP_4)
	v_add_nc_u32_e32 v40, s3, v38
	v_lshlrev_b64 v[4:5], 3, v[26:27]
	v_ashrrev_i32_e32 v35, 31, v34
	v_add_co_u32 v28, vcc_lo, s0, v1
	v_add_nc_u32_e32 v42, s3, v40
	v_ashrrev_i32_e32 v39, 31, v38
	v_add_co_ci_u32_e32 v29, vcc_lo, s1, v2, vcc_lo
	v_lshlrev_b64 v[1:2], 3, v[34:35]
	s_delay_alu instid0(VALU_DEP_4) | instskip(SKIP_2) | instid1(VALU_DEP_3)
	v_add_nc_u32_e32 v44, s3, v42
	v_add_co_u32 v18, vcc_lo, s0, v4
	v_add_co_ci_u32_e32 v19, vcc_lo, s1, v5, vcc_lo
	v_add_nc_u32_e32 v46, s3, v44
	v_lshlrev_b64 v[4:5], 3, v[38:39]
	v_ashrrev_i32_e32 v41, 31, v40
	v_add_co_u32 v26, vcc_lo, s0, v1
	s_delay_alu instid0(VALU_DEP_4) | instskip(SKIP_1) | instid1(VALU_DEP_4)
	v_add_nc_u32_e32 v52, s3, v46
	v_add_co_ci_u32_e32 v27, vcc_lo, s1, v2, vcc_lo
	v_lshlrev_b64 v[1:2], 3, v[40:41]
	v_add_co_u32 v34, vcc_lo, s0, v4
	s_delay_alu instid0(VALU_DEP_4)
	v_add_nc_u32_e32 v54, s3, v52
	s_clause 0x2
	global_load_b64 v[72:73], v[36:37], off
	global_load_b64 v[74:75], v[32:33], off
	;; [unrolled: 1-line block ×3, first 2 shown]
	v_ashrrev_i32_e32 v43, 31, v42
	v_add_co_ci_u32_e32 v35, vcc_lo, s1, v5, vcc_lo
	v_add_nc_u32_e32 v92, s3, v54
	v_add_co_u32 v38, vcc_lo, s0, v1
	v_ashrrev_i32_e32 v45, 31, v44
	v_lshlrev_b64 v[40:41], 3, v[42:43]
	s_delay_alu instid0(VALU_DEP_4) | instskip(SKIP_1) | instid1(VALU_DEP_4)
	v_add_nc_u32_e32 v94, s3, v92
	v_add_co_ci_u32_e32 v39, vcc_lo, s1, v2, vcc_lo
	v_lshlrev_b64 v[44:45], 3, v[44:45]
	v_ashrrev_i32_e32 v47, 31, v46
	s_delay_alu instid0(VALU_DEP_4)
	v_add_nc_u32_e32 v100, s3, v94
	v_add_co_u32 v42, vcc_lo, s0, v40
	s_clause 0x2
	global_load_b64 v[78:79], v[18:19], off
	global_load_b64 v[80:81], v[26:27], off
	;; [unrolled: 1-line block ×3, first 2 shown]
	v_add_co_ci_u32_e32 v43, vcc_lo, s1, v41, vcc_lo
	v_add_nc_u32_e32 v102, s3, v100
	v_ashrrev_i32_e32 v53, 31, v52
	v_add_co_u32 v44, vcc_lo, s0, v44
	v_lshlrev_b64 v[46:47], 3, v[46:47]
	s_delay_alu instid0(VALU_DEP_4) | instskip(SKIP_3) | instid1(VALU_DEP_4)
	v_add_nc_u32_e32 v106, s3, v102
	v_add_co_ci_u32_e32 v45, vcc_lo, s1, v45, vcc_lo
	v_ashrrev_i32_e32 v55, 31, v54
	v_ashrrev_i32_e32 v93, 31, v92
	v_add_nc_u32_e32 v108, s3, v106
	v_ashrrev_i32_e32 v95, 31, v94
	global_load_b64 v[84:85], v[38:39], off
	v_ashrrev_i32_e32 v101, 31, v100
	v_ashrrev_i32_e32 v103, 31, v102
	v_add_nc_u32_e32 v114, s3, v108
	v_ashrrev_i32_e32 v107, 31, v106
	v_ashrrev_i32_e32 v109, 31, v108
	s_delay_alu instid0(VALU_DEP_3) | instskip(SKIP_1) | instid1(VALU_DEP_2)
	v_add_nc_u32_e32 v116, s3, v114
	v_ashrrev_i32_e32 v115, 31, v114
	v_add_nc_u32_e32 v118, s3, v116
	v_ashrrev_i32_e32 v117, 31, v116
	s_delay_alu instid0(VALU_DEP_2) | instskip(SKIP_1) | instid1(VALU_DEP_2)
	v_add_nc_u32_e32 v120, s3, v118
	v_ashrrev_i32_e32 v119, 31, v118
	v_add_nc_u32_e32 v122, s3, v120
	v_ashrrev_i32_e32 v121, 31, v120
	s_delay_alu instid0(VALU_DEP_2) | instskip(SKIP_1) | instid1(VALU_DEP_2)
	;; [unrolled: 5-line block ×9, first 2 shown]
	v_add_nc_u32_e32 v1, s3, v4
	v_ashrrev_i32_e32 v5, 31, v4
	v_ashrrev_i32_e32 v2, 31, v1
	s_delay_alu instid0(VALU_DEP_2) | instskip(NEXT) | instid1(VALU_DEP_2)
	v_lshlrev_b64 v[4:5], 3, v[4:5]
	v_lshlrev_b64 v[1:2], 3, v[1:2]
	s_delay_alu instid0(VALU_DEP_1) | instskip(NEXT) | instid1(VALU_DEP_2)
	v_add_co_u32 v40, vcc_lo, s0, v1
	v_add_co_ci_u32_e32 v41, vcc_lo, s1, v2, vcc_lo
	v_lshlrev_b64 v[1:2], 3, v[52:53]
	v_add_co_u32 v46, vcc_lo, s0, v46
	global_load_b64 v[104:105], v[40:41], off
	v_add_co_ci_u32_e32 v47, vcc_lo, s1, v47, vcc_lo
	s_waitcnt vmcnt(16)
	scratch_store_b128 off, v[48:51], off
	v_lshlrev_b64 v[50:51], 3, v[54:55]
	v_add_co_u32 v48, vcc_lo, s0, v1
	v_add_co_ci_u32_e32 v49, vcc_lo, s1, v2, vcc_lo
	v_lshlrev_b64 v[1:2], 3, v[92:93]
	s_clause 0x2
	global_load_b64 v[86:87], v[42:43], off
	global_load_b64 v[88:89], v[44:45], off
	;; [unrolled: 1-line block ×3, first 2 shown]
	v_add_co_u32 v50, vcc_lo, s0, v50
	v_add_co_ci_u32_e32 v51, vcc_lo, s1, v51, vcc_lo
	v_lshlrev_b64 v[54:55], 3, v[94:95]
	v_add_co_u32 v52, vcc_lo, s0, v1
	v_add_co_ci_u32_e32 v53, vcc_lo, s1, v2, vcc_lo
	v_lshlrev_b64 v[1:2], 3, v[100:101]
	s_delay_alu instid0(VALU_DEP_4)
	v_add_co_u32 v54, vcc_lo, s0, v54
	v_add_co_ci_u32_e32 v55, vcc_lo, s1, v55, vcc_lo
	s_waitcnt vmcnt(17)
	scratch_store_b128 off, v[56:59], off offset:16
	s_waitcnt vmcnt(15)
	scratch_store_b128 off, v[60:63], off offset:32
	v_add_co_u32 v56, vcc_lo, s0, v1
	v_add_co_ci_u32_e32 v57, vcc_lo, s1, v2, vcc_lo
	v_lshlrev_b64 v[1:2], 3, v[102:103]
	s_clause 0x3
	global_load_b64 v[92:93], v[48:49], off
	global_load_b64 v[94:95], v[50:51], off
	global_load_b64 v[96:97], v[52:53], off
	global_load_b64 v[98:99], v[54:55], off
	v_lshlrev_b64 v[60:61], 3, v[106:107]
	global_load_b64 v[106:107], v[56:57], off
	v_lshlrev_b64 v[100:101], 3, v[126:127]
	v_add_co_u32 v58, vcc_lo, s0, v1
	v_add_co_ci_u32_e32 v59, vcc_lo, s1, v2, vcc_lo
	v_lshlrev_b64 v[1:2], 3, v[108:109]
	v_add_co_u32 v60, vcc_lo, s0, v60
	global_load_b64 v[108:109], v[58:59], off
	v_add_co_ci_u32_e32 v61, vcc_lo, s1, v61, vcc_lo
	v_add_co_u32 v62, vcc_lo, s0, v1
	v_add_co_ci_u32_e32 v63, vcc_lo, s1, v2, vcc_lo
	s_waitcnt vmcnt(19)
	scratch_store_b128 off, v[64:67], off offset:48
	s_waitcnt vmcnt(17)
	scratch_store_b128 off, v[68:71], off offset:64
	s_clause 0x1
	global_load_b64 v[110:111], v[60:61], off
	global_load_b64 v[112:113], v[62:63], off
	v_lshlrev_b64 v[1:2], 3, v[114:115]
	v_lshlrev_b64 v[68:69], 3, v[118:119]
	s_delay_alu instid0(VALU_DEP_2) | instskip(NEXT) | instid1(VALU_DEP_3)
	v_add_co_u32 v64, vcc_lo, s0, v1
	v_add_co_ci_u32_e32 v65, vcc_lo, s1, v2, vcc_lo
	v_lshlrev_b64 v[1:2], 3, v[116:117]
	global_load_b64 v[114:115], v[64:65], off
	v_add_co_u32 v66, vcc_lo, s0, v1
	v_add_co_ci_u32_e32 v67, vcc_lo, s1, v2, vcc_lo
	v_lshlrev_b64 v[1:2], 3, v[120:121]
	v_add_co_u32 v68, vcc_lo, s0, v68
	v_add_co_ci_u32_e32 v69, vcc_lo, s1, v69, vcc_lo
	s_delay_alu instid0(VALU_DEP_3) | instskip(NEXT) | instid1(VALU_DEP_4)
	v_add_co_u32 v70, vcc_lo, s0, v1
	v_add_co_ci_u32_e32 v71, vcc_lo, s1, v2, vcc_lo
	v_lshlrev_b64 v[1:2], 3, v[124:125]
	s_waitcnt vmcnt(18)
	scratch_store_b128 off, v[72:75], off offset:80
	v_lshlrev_b64 v[72:73], 3, v[122:123]
	s_waitcnt vmcnt(16)
	scratch_store_b128 off, v[76:79], off offset:96
	s_waitcnt vmcnt(14)
	scratch_store_b128 off, v[80:83], off offset:112
	v_add_co_u32 v72, vcc_lo, s0, v72
	v_add_co_ci_u32_e32 v73, vcc_lo, s1, v73, vcc_lo
	v_add_co_u32 v74, vcc_lo, s0, v1
	v_add_co_ci_u32_e32 v75, vcc_lo, s1, v2, vcc_lo
	v_lshlrev_b64 v[1:2], 3, v[128:129]
	v_add_co_u32 v76, vcc_lo, s0, v100
	v_add_co_ci_u32_e32 v77, vcc_lo, s1, v101, vcc_lo
	v_lshlrev_b64 v[80:81], 3, v[130:131]
	s_delay_alu instid0(VALU_DEP_4) | instskip(SKIP_2) | instid1(VALU_DEP_4)
	v_add_co_u32 v78, vcc_lo, s0, v1
	v_add_co_ci_u32_e32 v79, vcc_lo, s1, v2, vcc_lo
	v_lshlrev_b64 v[1:2], 3, v[132:133]
	v_add_co_u32 v80, vcc_lo, s0, v80
	v_add_co_ci_u32_e32 v81, vcc_lo, s1, v81, vcc_lo
	v_lshlrev_b64 v[100:101], 3, v[134:135]
	s_delay_alu instid0(VALU_DEP_4)
	v_add_co_u32 v82, vcc_lo, s0, v1
	v_add_co_ci_u32_e32 v83, vcc_lo, s1, v2, vcc_lo
	v_lshlrev_b64 v[1:2], 3, v[136:137]
	s_clause 0x3
	global_load_b64 v[116:117], v[66:67], off
	global_load_b64 v[118:119], v[68:69], off
	;; [unrolled: 1-line block ×4, first 2 shown]
	s_waitcnt vmcnt(15)
	scratch_store_b128 off, v[84:87], off offset:128
	s_waitcnt vmcnt(13)
	scratch_store_b128 off, v[88:91], off offset:144
	v_add_co_u32 v84, vcc_lo, s0, v100
	v_add_co_ci_u32_e32 v85, vcc_lo, s1, v101, vcc_lo
	v_lshlrev_b64 v[88:89], 3, v[138:139]
	v_add_co_u32 v86, vcc_lo, s0, v1
	v_add_co_ci_u32_e32 v87, vcc_lo, s1, v2, vcc_lo
	v_lshlrev_b64 v[1:2], 3, v[140:141]
	s_delay_alu instid0(VALU_DEP_4) | instskip(SKIP_2) | instid1(VALU_DEP_4)
	v_add_co_u32 v88, vcc_lo, s0, v88
	v_add_co_ci_u32_e32 v89, vcc_lo, s1, v89, vcc_lo
	v_lshlrev_b64 v[100:101], 3, v[142:143]
	v_add_co_u32 v90, vcc_lo, s0, v1
	v_add_co_ci_u32_e32 v91, vcc_lo, s1, v2, vcc_lo
	v_lshlrev_b64 v[1:2], 3, v[144:145]
	s_clause 0x3
	global_load_b64 v[124:125], v[74:75], off
	global_load_b64 v[126:127], v[76:77], off
	;; [unrolled: 1-line block ×4, first 2 shown]
	s_waitcnt vmcnt(15)
	scratch_store_b128 off, v[92:95], off offset:160
	s_waitcnt vmcnt(13)
	scratch_store_b128 off, v[96:99], off offset:176
	v_add_co_u32 v92, vcc_lo, s0, v100
	v_add_co_ci_u32_e32 v93, vcc_lo, s1, v101, vcc_lo
	v_lshlrev_b64 v[96:97], 3, v[146:147]
	v_add_co_u32 v94, vcc_lo, s0, v1
	v_add_co_ci_u32_e32 v95, vcc_lo, s1, v2, vcc_lo
	v_lshlrev_b64 v[1:2], 3, v[148:149]
	s_delay_alu instid0(VALU_DEP_4)
	v_add_co_u32 v96, vcc_lo, s0, v96
	v_add_co_ci_u32_e32 v97, vcc_lo, s1, v97, vcc_lo
	s_clause 0x3
	global_load_b64 v[132:133], v[82:83], off
	global_load_b64 v[134:135], v[84:85], off
	;; [unrolled: 1-line block ×4, first 2 shown]
	v_add_co_u32 v98, vcc_lo, s0, v1
	v_add_co_ci_u32_e32 v99, vcc_lo, s1, v2, vcc_lo
	v_add_co_u32 v100, vcc_lo, s0, v4
	v_add_co_ci_u32_e32 v101, vcc_lo, s1, v5, vcc_lo
	s_waitcnt vmcnt(15)
	scratch_store_b128 off, v[106:109], off offset:192
	s_clause 0x2
	global_load_b64 v[140:141], v[90:91], off
	global_load_b64 v[106:107], v[92:93], off
	;; [unrolled: 1-line block ×3, first 2 shown]
	s_waitcnt vmcnt(16)
	scratch_store_b128 off, v[110:113], off offset:208
	s_clause 0x2
	global_load_b64 v[110:111], v[96:97], off
	global_load_b64 v[112:113], v[98:99], off
	;; [unrolled: 1-line block ×3, first 2 shown]
	s_mov_b32 s1, -1
	s_waitcnt vmcnt(17)
	scratch_store_b128 off, v[114:117], off offset:224
	s_waitcnt vmcnt(15)
	scratch_store_b128 off, v[118:121], off offset:240
	;; [unrolled: 2-line block ×10, first 2 shown]
	s_cbranch_scc1 .LBB47_200
; %bb.4:
	v_cmp_eq_u32_e64 s0, 0, v0
	s_delay_alu instid0(VALU_DEP_1)
	s_and_saveexec_b32 s1, s0
	s_cbranch_execz .LBB47_6
; %bb.5:
	v_mov_b32_e32 v1, 0
	ds_store_b32 v1, v1 offset:768
.LBB47_6:
	s_or_b32 exec_lo, exec_lo, s1
	s_waitcnt lgkmcnt(0)
	s_waitcnt_vscnt null, 0x0
	s_barrier
	buffer_gl0_inv
	scratch_load_b64 v[1:2], v3, off
	s_mov_b32 s2, exec_lo
	s_waitcnt vmcnt(0)
	v_cmpx_eq_f64_e32 0, v[1:2]
	s_cbranch_execz .LBB47_10
; %bb.7:
	v_mov_b32_e32 v1, 0
	s_mov_b32 s3, 0
	ds_load_b32 v2, v1 offset:768
	s_waitcnt lgkmcnt(0)
	v_readfirstlane_b32 s1, v2
	v_add_nc_u32_e32 v2, 1, v0
	s_delay_alu instid0(VALU_DEP_2) | instskip(NEXT) | instid1(VALU_DEP_1)
	s_cmp_eq_u32 s1, 0
	v_cmp_gt_i32_e32 vcc_lo, s1, v2
	s_cselect_b32 s4, -1, 0
	s_delay_alu instid0(SALU_CYCLE_1) | instskip(NEXT) | instid1(SALU_CYCLE_1)
	s_or_b32 s4, s4, vcc_lo
	s_and_b32 exec_lo, exec_lo, s4
	s_cbranch_execz .LBB47_10
; %bb.8:
	v_mov_b32_e32 v4, s1
.LBB47_9:                               ; =>This Inner Loop Header: Depth=1
	ds_cmpstore_rtn_b32 v4, v1, v2, v4 offset:768
	s_waitcnt lgkmcnt(0)
	v_cmp_ne_u32_e32 vcc_lo, 0, v4
	v_cmp_le_i32_e64 s1, v4, v2
	s_delay_alu instid0(VALU_DEP_1) | instskip(NEXT) | instid1(SALU_CYCLE_1)
	s_and_b32 s1, vcc_lo, s1
	s_and_b32 s1, exec_lo, s1
	s_delay_alu instid0(SALU_CYCLE_1) | instskip(NEXT) | instid1(SALU_CYCLE_1)
	s_or_b32 s3, s1, s3
	s_and_not1_b32 exec_lo, exec_lo, s3
	s_cbranch_execnz .LBB47_9
.LBB47_10:
	s_or_b32 exec_lo, exec_lo, s2
	v_mov_b32_e32 v1, 0
	s_barrier
	buffer_gl0_inv
	ds_load_b32 v2, v1 offset:768
	s_and_saveexec_b32 s1, s0
	s_cbranch_execz .LBB47_12
; %bb.11:
	s_lshl_b64 s[2:3], s[14:15], 2
	s_delay_alu instid0(SALU_CYCLE_1)
	s_add_u32 s2, s6, s2
	s_addc_u32 s3, s7, s3
	s_waitcnt lgkmcnt(0)
	global_store_b32 v1, v2, s[2:3]
.LBB47_12:
	s_or_b32 exec_lo, exec_lo, s1
	s_waitcnt lgkmcnt(0)
	v_cmp_ne_u32_e32 vcc_lo, 0, v2
	s_mov_b32 s1, 0
	s_cbranch_vccnz .LBB47_200
; %bb.13:
	v_add_nc_u32_e32 v4, 0, v3
	v_add_nc_u32_e32 v5, 0x180, v3
	scratch_load_b64 v[1:2], v4, off
	s_waitcnt vmcnt(0)
	v_div_scale_f64 v[102:103], null, v[1:2], v[1:2], 1.0
	v_div_scale_f64 v[108:109], vcc_lo, 1.0, v[1:2], 1.0
	s_delay_alu instid0(VALU_DEP_2) | instskip(SKIP_2) | instid1(VALU_DEP_1)
	v_rcp_f64_e32 v[104:105], v[102:103]
	s_waitcnt_depctr 0xfff
	v_fma_f64 v[106:107], -v[102:103], v[104:105], 1.0
	v_fma_f64 v[104:105], v[104:105], v[106:107], v[104:105]
	s_delay_alu instid0(VALU_DEP_1) | instskip(NEXT) | instid1(VALU_DEP_1)
	v_fma_f64 v[106:107], -v[102:103], v[104:105], 1.0
	v_fma_f64 v[104:105], v[104:105], v[106:107], v[104:105]
	s_delay_alu instid0(VALU_DEP_1) | instskip(NEXT) | instid1(VALU_DEP_1)
	v_mul_f64 v[106:107], v[108:109], v[104:105]
	v_fma_f64 v[102:103], -v[102:103], v[106:107], v[108:109]
	s_delay_alu instid0(VALU_DEP_1) | instskip(NEXT) | instid1(VALU_DEP_1)
	v_div_fmas_f64 v[102:103], v[102:103], v[104:105], v[106:107]
	v_div_fixup_f64 v[1:2], v[102:103], v[1:2], 1.0
	scratch_store_b64 v4, v[1:2], off
	scratch_load_b64 v[102:103], off, off offset:8
	v_xor_b32_e32 v2, 0x80000000, v2
	s_waitcnt vmcnt(0)
	ds_store_2addr_b64 v3, v[1:2], v[102:103] offset1:48
	s_waitcnt lgkmcnt(0)
	s_waitcnt_vscnt null, 0x0
	s_barrier
	buffer_gl0_inv
	s_and_saveexec_b32 s1, s0
	s_cbranch_execz .LBB47_15
; %bb.14:
	scratch_load_b64 v[1:2], v4, off
	ds_load_b64 v[102:103], v5
	s_waitcnt vmcnt(0) lgkmcnt(0)
	v_fma_f64 v[1:2], v[1:2], v[102:103], 0
	v_mov_b32_e32 v102, 0
	ds_load_b64 v[102:103], v102 offset:8
	s_waitcnt lgkmcnt(0)
	v_mul_f64 v[1:2], v[1:2], v[102:103]
	scratch_store_b64 off, v[1:2], off offset:8
.LBB47_15:
	s_or_b32 exec_lo, exec_lo, s1
	s_waitcnt_vscnt null, 0x0
	s_barrier
	buffer_gl0_inv
	scratch_load_b64 v[1:2], off, off offset:16
	s_mov_b32 s1, exec_lo
	s_waitcnt vmcnt(0)
	ds_store_b64 v5, v[1:2]
	s_waitcnt lgkmcnt(0)
	s_barrier
	buffer_gl0_inv
	v_cmpx_gt_u32_e32 2, v0
	s_cbranch_execz .LBB47_19
; %bb.16:
	scratch_load_b64 v[1:2], v4, off
	ds_load_b64 v[102:103], v5
	s_waitcnt vmcnt(0) lgkmcnt(0)
	v_fma_f64 v[1:2], v[1:2], v[102:103], 0
	s_and_saveexec_b32 s2, s0
	s_cbranch_execz .LBB47_18
; %bb.17:
	scratch_load_b64 v[102:103], off, off offset:8
	v_mov_b32_e32 v104, 0
	ds_load_b64 v[104:105], v104 offset:392
	s_waitcnt vmcnt(0) lgkmcnt(0)
	v_fma_f64 v[1:2], v[102:103], v[104:105], v[1:2]
.LBB47_18:
	s_or_b32 exec_lo, exec_lo, s2
	v_mov_b32_e32 v102, 0
	ds_load_b64 v[102:103], v102 offset:16
	s_waitcnt lgkmcnt(0)
	v_mul_f64 v[1:2], v[1:2], v[102:103]
	scratch_store_b64 off, v[1:2], off offset:16
.LBB47_19:
	s_or_b32 exec_lo, exec_lo, s1
	s_waitcnt_vscnt null, 0x0
	s_barrier
	buffer_gl0_inv
	scratch_load_b64 v[1:2], off, off offset:24
	v_add_nc_u32_e32 v102, -1, v0
	s_mov_b32 s0, exec_lo
	s_waitcnt vmcnt(0)
	ds_store_b64 v5, v[1:2]
	s_waitcnt lgkmcnt(0)
	s_barrier
	buffer_gl0_inv
	v_cmpx_gt_u32_e32 3, v0
	s_cbranch_execz .LBB47_23
; %bb.20:
	v_dual_mov_b32 v1, 0 :: v_dual_add_nc_u32 v104, 0x180, v3
	v_dual_mov_b32 v2, 0 :: v_dual_add_nc_u32 v103, -1, v0
	v_add_nc_u32_e32 v105, 0, v3
	s_mov_b32 s1, 0
.LBB47_21:                              ; =>This Inner Loop Header: Depth=1
	scratch_load_b64 v[106:107], v105, off
	ds_load_b64 v[108:109], v104
	v_add_nc_u32_e32 v103, 1, v103
	v_add_nc_u32_e32 v104, 8, v104
	v_add_nc_u32_e32 v105, 8, v105
	s_delay_alu instid0(VALU_DEP_3)
	v_cmp_lt_u32_e32 vcc_lo, 1, v103
	s_or_b32 s1, vcc_lo, s1
	s_waitcnt vmcnt(0) lgkmcnt(0)
	v_fma_f64 v[1:2], v[106:107], v[108:109], v[1:2]
	s_and_not1_b32 exec_lo, exec_lo, s1
	s_cbranch_execnz .LBB47_21
; %bb.22:
	s_or_b32 exec_lo, exec_lo, s1
	v_mov_b32_e32 v103, 0
	ds_load_b64 v[103:104], v103 offset:24
	s_waitcnt lgkmcnt(0)
	v_mul_f64 v[1:2], v[1:2], v[103:104]
	scratch_store_b64 off, v[1:2], off offset:24
.LBB47_23:
	s_or_b32 exec_lo, exec_lo, s0
	s_waitcnt_vscnt null, 0x0
	s_barrier
	buffer_gl0_inv
	scratch_load_b64 v[1:2], off, off offset:32
	s_mov_b32 s0, exec_lo
	s_waitcnt vmcnt(0)
	ds_store_b64 v5, v[1:2]
	s_waitcnt lgkmcnt(0)
	s_barrier
	buffer_gl0_inv
	v_cmpx_gt_u32_e32 4, v0
	s_cbranch_execz .LBB47_27
; %bb.24:
	v_dual_mov_b32 v1, 0 :: v_dual_add_nc_u32 v104, 0x180, v3
	v_dual_mov_b32 v2, 0 :: v_dual_add_nc_u32 v103, -1, v0
	v_add_nc_u32_e32 v105, 0, v3
	s_mov_b32 s1, 0
.LBB47_25:                              ; =>This Inner Loop Header: Depth=1
	scratch_load_b64 v[106:107], v105, off
	ds_load_b64 v[108:109], v104
	v_add_nc_u32_e32 v103, 1, v103
	v_add_nc_u32_e32 v104, 8, v104
	v_add_nc_u32_e32 v105, 8, v105
	s_delay_alu instid0(VALU_DEP_3)
	v_cmp_lt_u32_e32 vcc_lo, 2, v103
	s_or_b32 s1, vcc_lo, s1
	s_waitcnt vmcnt(0) lgkmcnt(0)
	v_fma_f64 v[1:2], v[106:107], v[108:109], v[1:2]
	s_and_not1_b32 exec_lo, exec_lo, s1
	s_cbranch_execnz .LBB47_25
; %bb.26:
	s_or_b32 exec_lo, exec_lo, s1
	v_mov_b32_e32 v103, 0
	ds_load_b64 v[103:104], v103 offset:32
	s_waitcnt lgkmcnt(0)
	v_mul_f64 v[1:2], v[1:2], v[103:104]
	scratch_store_b64 off, v[1:2], off offset:32
.LBB47_27:
	s_or_b32 exec_lo, exec_lo, s0
	s_waitcnt_vscnt null, 0x0
	s_barrier
	buffer_gl0_inv
	scratch_load_b64 v[1:2], off, off offset:40
	;; [unrolled: 39-line block ×20, first 2 shown]
	s_mov_b32 s0, exec_lo
	s_waitcnt vmcnt(0)
	ds_store_b64 v5, v[1:2]
	s_waitcnt lgkmcnt(0)
	s_barrier
	buffer_gl0_inv
	v_cmpx_gt_u32_e32 23, v0
	s_cbranch_execz .LBB47_103
; %bb.100:
	v_dual_mov_b32 v1, 0 :: v_dual_add_nc_u32 v104, 0x180, v3
	v_dual_mov_b32 v2, 0 :: v_dual_add_nc_u32 v103, -1, v0
	v_add_nc_u32_e32 v105, 0, v3
	s_mov_b32 s1, 0
.LBB47_101:                             ; =>This Inner Loop Header: Depth=1
	scratch_load_b64 v[106:107], v105, off
	ds_load_b64 v[108:109], v104
	v_add_nc_u32_e32 v103, 1, v103
	v_add_nc_u32_e32 v104, 8, v104
	v_add_nc_u32_e32 v105, 8, v105
	s_delay_alu instid0(VALU_DEP_3)
	v_cmp_lt_u32_e32 vcc_lo, 21, v103
	s_or_b32 s1, vcc_lo, s1
	s_waitcnt vmcnt(0) lgkmcnt(0)
	v_fma_f64 v[1:2], v[106:107], v[108:109], v[1:2]
	s_and_not1_b32 exec_lo, exec_lo, s1
	s_cbranch_execnz .LBB47_101
; %bb.102:
	s_or_b32 exec_lo, exec_lo, s1
	v_mov_b32_e32 v103, 0
	ds_load_b64 v[103:104], v103 offset:184
	s_waitcnt lgkmcnt(0)
	v_mul_f64 v[1:2], v[1:2], v[103:104]
	scratch_store_b64 off, v[1:2], off offset:184
.LBB47_103:
	s_or_b32 exec_lo, exec_lo, s0
	s_waitcnt_vscnt null, 0x0
	s_barrier
	buffer_gl0_inv
	scratch_load_b64 v[1:2], off, off offset:192
	s_mov_b32 s0, exec_lo
	s_waitcnt vmcnt(0)
	ds_store_b64 v5, v[1:2]
	s_waitcnt lgkmcnt(0)
	s_barrier
	buffer_gl0_inv
	v_cmpx_gt_u32_e32 24, v0
	s_cbranch_execz .LBB47_107
; %bb.104:
	v_dual_mov_b32 v1, 0 :: v_dual_add_nc_u32 v104, 0x180, v3
	v_dual_mov_b32 v2, 0 :: v_dual_add_nc_u32 v103, -1, v0
	v_add_nc_u32_e32 v105, 0, v3
	s_mov_b32 s1, 0
.LBB47_105:                             ; =>This Inner Loop Header: Depth=1
	scratch_load_b64 v[106:107], v105, off
	ds_load_b64 v[108:109], v104
	v_add_nc_u32_e32 v103, 1, v103
	v_add_nc_u32_e32 v104, 8, v104
	v_add_nc_u32_e32 v105, 8, v105
	s_delay_alu instid0(VALU_DEP_3)
	v_cmp_lt_u32_e32 vcc_lo, 22, v103
	s_or_b32 s1, vcc_lo, s1
	s_waitcnt vmcnt(0) lgkmcnt(0)
	v_fma_f64 v[1:2], v[106:107], v[108:109], v[1:2]
	s_and_not1_b32 exec_lo, exec_lo, s1
	s_cbranch_execnz .LBB47_105
; %bb.106:
	s_or_b32 exec_lo, exec_lo, s1
	v_mov_b32_e32 v103, 0
	ds_load_b64 v[103:104], v103 offset:192
	s_waitcnt lgkmcnt(0)
	v_mul_f64 v[1:2], v[1:2], v[103:104]
	scratch_store_b64 off, v[1:2], off offset:192
.LBB47_107:
	s_or_b32 exec_lo, exec_lo, s0
	s_waitcnt_vscnt null, 0x0
	s_barrier
	buffer_gl0_inv
	scratch_load_b64 v[1:2], off, off offset:200
	;; [unrolled: 39-line block ×24, first 2 shown]
	s_mov_b32 s0, exec_lo
	s_waitcnt vmcnt(0)
	ds_store_b64 v5, v[1:2]
	s_waitcnt lgkmcnt(0)
	s_barrier
	buffer_gl0_inv
	v_cmpx_ne_u32_e32 47, v0
	s_cbranch_execz .LBB47_199
; %bb.196:
	v_mov_b32_e32 v1, 0
	v_mov_b32_e32 v2, 0
	s_mov_b32 s1, 0
.LBB47_197:                             ; =>This Inner Loop Header: Depth=1
	scratch_load_b64 v[103:104], v4, off
	ds_load_b64 v[105:106], v5
	v_add_nc_u32_e32 v102, 1, v102
	v_add_nc_u32_e32 v5, 8, v5
	;; [unrolled: 1-line block ×3, first 2 shown]
	s_delay_alu instid0(VALU_DEP_3)
	v_cmp_lt_u32_e32 vcc_lo, 45, v102
	s_or_b32 s1, vcc_lo, s1
	s_waitcnt vmcnt(0) lgkmcnt(0)
	v_fma_f64 v[1:2], v[103:104], v[105:106], v[1:2]
	s_and_not1_b32 exec_lo, exec_lo, s1
	s_cbranch_execnz .LBB47_197
; %bb.198:
	s_or_b32 exec_lo, exec_lo, s1
	v_mov_b32_e32 v3, 0
	ds_load_b64 v[3:4], v3 offset:376
	s_waitcnt lgkmcnt(0)
	v_mul_f64 v[1:2], v[1:2], v[3:4]
	scratch_store_b64 off, v[1:2], off offset:376
.LBB47_199:
	s_or_b32 exec_lo, exec_lo, s0
	s_mov_b32 s1, -1
	s_waitcnt_vscnt null, 0x0
	s_barrier
	buffer_gl0_inv
.LBB47_200:
	s_and_b32 vcc_lo, exec_lo, s1
	s_cbranch_vccz .LBB47_202
; %bb.201:
	s_lshl_b64 s[0:1], s[14:15], 2
	v_mov_b32_e32 v1, 0
	s_add_u32 s0, s6, s0
	s_addc_u32 s1, s7, s1
	global_load_b32 v1, v1, s[0:1]
	s_waitcnt vmcnt(0)
	v_cmp_ne_u32_e32 vcc_lo, 0, v1
	s_cbranch_vccz .LBB47_203
.LBB47_202:
	s_endpgm
.LBB47_203:
	v_lshl_add_u32 v5, v0, 3, 0x180
	s_mov_b32 s0, exec_lo
	v_cmpx_eq_u32_e32 47, v0
	s_cbranch_execz .LBB47_205
; %bb.204:
	scratch_load_b64 v[1:2], off, off offset:368
	v_mov_b32_e32 v3, 0
	s_delay_alu instid0(VALU_DEP_1)
	v_mov_b32_e32 v4, v3
	scratch_store_b64 off, v[3:4], off offset:368
	s_waitcnt vmcnt(0)
	ds_store_b64 v5, v[1:2]
.LBB47_205:
	s_or_b32 exec_lo, exec_lo, s0
	s_waitcnt lgkmcnt(0)
	s_waitcnt_vscnt null, 0x0
	s_barrier
	buffer_gl0_inv
	scratch_load_b128 v[102:105], off, off offset:368
	v_mov_b32_e32 v1, 0
	s_mov_b32 s0, exec_lo
	ds_load_b64 v[2:3], v1 offset:760
	s_waitcnt vmcnt(0) lgkmcnt(0)
	v_fma_f64 v[2:3], v[104:105], v[2:3], 0
	s_delay_alu instid0(VALU_DEP_1)
	v_add_f64 v[2:3], v[102:103], -v[2:3]
	scratch_store_b64 off, v[2:3], off offset:368
	v_cmpx_lt_u32_e32 45, v0
	s_cbranch_execz .LBB47_207
; %bb.206:
	scratch_load_b64 v[3:4], off, off offset:360
	v_mov_b32_e32 v2, v1
	scratch_store_b64 off, v[1:2], off offset:360
	s_waitcnt vmcnt(0)
	ds_store_b64 v5, v[3:4]
.LBB47_207:
	s_or_b32 exec_lo, exec_lo, s0
	s_waitcnt lgkmcnt(0)
	s_waitcnt_vscnt null, 0x0
	s_barrier
	buffer_gl0_inv
	s_clause 0x1
	scratch_load_b128 v[102:105], off, off offset:360
	scratch_load_b64 v[106:107], off, off offset:376
	ds_load_b128 v[1:4], v1 offset:752
	s_mov_b32 s0, exec_lo
	s_waitcnt vmcnt(1) lgkmcnt(0)
	v_fma_f64 v[1:2], v[104:105], v[1:2], 0
	s_waitcnt vmcnt(0)
	s_delay_alu instid0(VALU_DEP_1) | instskip(NEXT) | instid1(VALU_DEP_1)
	v_fma_f64 v[1:2], v[106:107], v[3:4], v[1:2]
	v_add_f64 v[1:2], v[102:103], -v[1:2]
	scratch_store_b64 off, v[1:2], off offset:360
	v_cmpx_lt_u32_e32 44, v0
	s_cbranch_execz .LBB47_209
; %bb.208:
	scratch_load_b64 v[1:2], off, off offset:352
	v_mov_b32_e32 v3, 0
	s_delay_alu instid0(VALU_DEP_1)
	v_mov_b32_e32 v4, v3
	scratch_store_b64 off, v[3:4], off offset:352
	s_waitcnt vmcnt(0)
	ds_store_b64 v5, v[1:2]
.LBB47_209:
	s_or_b32 exec_lo, exec_lo, s0
	s_waitcnt lgkmcnt(0)
	s_waitcnt_vscnt null, 0x0
	s_barrier
	buffer_gl0_inv
	s_clause 0x1
	scratch_load_b128 v[102:105], off, off offset:352
	scratch_load_b128 v[106:109], off, off offset:368
	v_mov_b32_e32 v1, 0
	ds_load_2addr_b64 v[110:113], v1 offset0:93 offset1:94
	ds_load_b64 v[2:3], v1 offset:760
	s_mov_b32 s0, exec_lo
	s_waitcnt vmcnt(1) lgkmcnt(1)
	v_fma_f64 v[104:105], v[104:105], v[110:111], 0
	s_waitcnt vmcnt(0)
	s_delay_alu instid0(VALU_DEP_1) | instskip(SKIP_1) | instid1(VALU_DEP_1)
	v_fma_f64 v[104:105], v[106:107], v[112:113], v[104:105]
	s_waitcnt lgkmcnt(0)
	v_fma_f64 v[2:3], v[108:109], v[2:3], v[104:105]
	s_delay_alu instid0(VALU_DEP_1)
	v_add_f64 v[2:3], v[102:103], -v[2:3]
	scratch_store_b64 off, v[2:3], off offset:352
	v_cmpx_lt_u32_e32 43, v0
	s_cbranch_execz .LBB47_211
; %bb.210:
	scratch_load_b64 v[3:4], off, off offset:344
	v_mov_b32_e32 v2, v1
	scratch_store_b64 off, v[1:2], off offset:344
	s_waitcnt vmcnt(0)
	ds_store_b64 v5, v[3:4]
.LBB47_211:
	s_or_b32 exec_lo, exec_lo, s0
	s_waitcnt lgkmcnt(0)
	s_waitcnt_vscnt null, 0x0
	s_barrier
	buffer_gl0_inv
	s_clause 0x2
	scratch_load_b128 v[102:105], off, off offset:344
	scratch_load_b128 v[106:109], off, off offset:360
	scratch_load_b64 v[114:115], off, off offset:376
	ds_load_b128 v[110:113], v1 offset:736
	ds_load_b128 v[1:4], v1 offset:752
	s_mov_b32 s0, exec_lo
	s_waitcnt vmcnt(2) lgkmcnt(1)
	v_fma_f64 v[104:105], v[104:105], v[110:111], 0
	s_waitcnt vmcnt(1)
	s_delay_alu instid0(VALU_DEP_1) | instskip(SKIP_1) | instid1(VALU_DEP_1)
	v_fma_f64 v[104:105], v[106:107], v[112:113], v[104:105]
	s_waitcnt lgkmcnt(0)
	v_fma_f64 v[1:2], v[108:109], v[1:2], v[104:105]
	s_waitcnt vmcnt(0)
	s_delay_alu instid0(VALU_DEP_1) | instskip(NEXT) | instid1(VALU_DEP_1)
	v_fma_f64 v[1:2], v[114:115], v[3:4], v[1:2]
	v_add_f64 v[1:2], v[102:103], -v[1:2]
	scratch_store_b64 off, v[1:2], off offset:344
	v_cmpx_lt_u32_e32 42, v0
	s_cbranch_execz .LBB47_213
; %bb.212:
	scratch_load_b64 v[1:2], off, off offset:336
	v_mov_b32_e32 v3, 0
	s_delay_alu instid0(VALU_DEP_1)
	v_mov_b32_e32 v4, v3
	scratch_store_b64 off, v[3:4], off offset:336
	s_waitcnt vmcnt(0)
	ds_store_b64 v5, v[1:2]
.LBB47_213:
	s_or_b32 exec_lo, exec_lo, s0
	s_waitcnt lgkmcnt(0)
	s_waitcnt_vscnt null, 0x0
	s_barrier
	buffer_gl0_inv
	s_clause 0x2
	scratch_load_b128 v[102:105], off, off offset:336
	scratch_load_b128 v[106:109], off, off offset:352
	;; [unrolled: 1-line block ×3, first 2 shown]
	v_mov_b32_e32 v1, 0
	s_mov_b32 s0, exec_lo
	ds_load_2addr_b64 v[114:117], v1 offset0:91 offset1:92
	s_waitcnt vmcnt(2) lgkmcnt(0)
	v_fma_f64 v[2:3], v[104:105], v[114:115], 0
	s_waitcnt vmcnt(1)
	s_delay_alu instid0(VALU_DEP_1)
	v_fma_f64 v[2:3], v[106:107], v[116:117], v[2:3]
	ds_load_2addr_b64 v[104:107], v1 offset0:93 offset1:94
	s_waitcnt lgkmcnt(0)
	v_fma_f64 v[2:3], v[108:109], v[104:105], v[2:3]
	ds_load_b64 v[104:105], v1 offset:760
	s_waitcnt vmcnt(0)
	v_fma_f64 v[2:3], v[110:111], v[106:107], v[2:3]
	s_waitcnt lgkmcnt(0)
	s_delay_alu instid0(VALU_DEP_1) | instskip(NEXT) | instid1(VALU_DEP_1)
	v_fma_f64 v[2:3], v[112:113], v[104:105], v[2:3]
	v_add_f64 v[2:3], v[102:103], -v[2:3]
	scratch_store_b64 off, v[2:3], off offset:336
	v_cmpx_lt_u32_e32 41, v0
	s_cbranch_execz .LBB47_215
; %bb.214:
	scratch_load_b64 v[3:4], off, off offset:328
	v_mov_b32_e32 v2, v1
	scratch_store_b64 off, v[1:2], off offset:328
	s_waitcnt vmcnt(0)
	ds_store_b64 v5, v[3:4]
.LBB47_215:
	s_or_b32 exec_lo, exec_lo, s0
	s_waitcnt lgkmcnt(0)
	s_waitcnt_vscnt null, 0x0
	s_barrier
	buffer_gl0_inv
	s_clause 0x3
	scratch_load_b128 v[102:105], off, off offset:328
	scratch_load_b128 v[106:109], off, off offset:344
	;; [unrolled: 1-line block ×3, first 2 shown]
	scratch_load_b64 v[118:119], off, off offset:376
	ds_load_b128 v[114:117], v1 offset:720
	s_mov_b32 s0, exec_lo
	s_waitcnt vmcnt(3) lgkmcnt(0)
	v_fma_f64 v[2:3], v[104:105], v[114:115], 0
	s_waitcnt vmcnt(2)
	s_delay_alu instid0(VALU_DEP_1) | instskip(SKIP_4) | instid1(VALU_DEP_1)
	v_fma_f64 v[2:3], v[106:107], v[116:117], v[2:3]
	ds_load_b128 v[104:107], v1 offset:736
	s_waitcnt lgkmcnt(0)
	v_fma_f64 v[2:3], v[108:109], v[104:105], v[2:3]
	s_waitcnt vmcnt(1)
	v_fma_f64 v[104:105], v[110:111], v[106:107], v[2:3]
	ds_load_b128 v[1:4], v1 offset:752
	s_waitcnt lgkmcnt(0)
	v_fma_f64 v[1:2], v[112:113], v[1:2], v[104:105]
	s_waitcnt vmcnt(0)
	s_delay_alu instid0(VALU_DEP_1) | instskip(NEXT) | instid1(VALU_DEP_1)
	v_fma_f64 v[1:2], v[118:119], v[3:4], v[1:2]
	v_add_f64 v[1:2], v[102:103], -v[1:2]
	scratch_store_b64 off, v[1:2], off offset:328
	v_cmpx_lt_u32_e32 40, v0
	s_cbranch_execz .LBB47_217
; %bb.216:
	scratch_load_b64 v[1:2], off, off offset:320
	v_mov_b32_e32 v3, 0
	s_delay_alu instid0(VALU_DEP_1)
	v_mov_b32_e32 v4, v3
	scratch_store_b64 off, v[3:4], off offset:320
	s_waitcnt vmcnt(0)
	ds_store_b64 v5, v[1:2]
.LBB47_217:
	s_or_b32 exec_lo, exec_lo, s0
	s_waitcnt lgkmcnt(0)
	s_waitcnt_vscnt null, 0x0
	s_barrier
	buffer_gl0_inv
	s_clause 0x3
	scratch_load_b128 v[102:105], off, off offset:320
	scratch_load_b128 v[106:109], off, off offset:336
	;; [unrolled: 1-line block ×4, first 2 shown]
	v_mov_b32_e32 v1, 0
	s_mov_b32 s0, exec_lo
	ds_load_2addr_b64 v[118:121], v1 offset0:89 offset1:90
	s_waitcnt vmcnt(3) lgkmcnt(0)
	v_fma_f64 v[2:3], v[104:105], v[118:119], 0
	s_waitcnt vmcnt(2)
	s_delay_alu instid0(VALU_DEP_1) | instskip(SKIP_4) | instid1(VALU_DEP_1)
	v_fma_f64 v[2:3], v[106:107], v[120:121], v[2:3]
	ds_load_2addr_b64 v[104:107], v1 offset0:91 offset1:92
	s_waitcnt lgkmcnt(0)
	v_fma_f64 v[2:3], v[108:109], v[104:105], v[2:3]
	s_waitcnt vmcnt(1)
	v_fma_f64 v[2:3], v[110:111], v[106:107], v[2:3]
	ds_load_2addr_b64 v[104:107], v1 offset0:93 offset1:94
	s_waitcnt lgkmcnt(0)
	v_fma_f64 v[2:3], v[112:113], v[104:105], v[2:3]
	ds_load_b64 v[104:105], v1 offset:760
	s_waitcnt vmcnt(0)
	v_fma_f64 v[2:3], v[114:115], v[106:107], v[2:3]
	s_waitcnt lgkmcnt(0)
	s_delay_alu instid0(VALU_DEP_1) | instskip(NEXT) | instid1(VALU_DEP_1)
	v_fma_f64 v[2:3], v[116:117], v[104:105], v[2:3]
	v_add_f64 v[2:3], v[102:103], -v[2:3]
	scratch_store_b64 off, v[2:3], off offset:320
	v_cmpx_lt_u32_e32 39, v0
	s_cbranch_execz .LBB47_219
; %bb.218:
	scratch_load_b64 v[3:4], off, off offset:312
	v_mov_b32_e32 v2, v1
	scratch_store_b64 off, v[1:2], off offset:312
	s_waitcnt vmcnt(0)
	ds_store_b64 v5, v[3:4]
.LBB47_219:
	s_or_b32 exec_lo, exec_lo, s0
	s_waitcnt lgkmcnt(0)
	s_waitcnt_vscnt null, 0x0
	s_barrier
	buffer_gl0_inv
	s_clause 0x4
	scratch_load_b128 v[102:105], off, off offset:312
	scratch_load_b128 v[106:109], off, off offset:328
	;; [unrolled: 1-line block ×4, first 2 shown]
	scratch_load_b64 v[126:127], off, off offset:376
	ds_load_b128 v[118:121], v1 offset:704
	ds_load_b128 v[122:125], v1 offset:720
	s_mov_b32 s0, exec_lo
	s_waitcnt vmcnt(4) lgkmcnt(1)
	v_fma_f64 v[2:3], v[104:105], v[118:119], 0
	s_waitcnt vmcnt(3)
	s_delay_alu instid0(VALU_DEP_1) | instskip(SKIP_1) | instid1(VALU_DEP_1)
	v_fma_f64 v[2:3], v[106:107], v[120:121], v[2:3]
	s_waitcnt lgkmcnt(0)
	v_fma_f64 v[2:3], v[108:109], v[122:123], v[2:3]
	s_waitcnt vmcnt(2)
	s_delay_alu instid0(VALU_DEP_1)
	v_fma_f64 v[108:109], v[110:111], v[124:125], v[2:3]
	ds_load_b128 v[104:107], v1 offset:736
	ds_load_b128 v[1:4], v1 offset:752
	s_waitcnt lgkmcnt(1)
	v_fma_f64 v[104:105], v[112:113], v[104:105], v[108:109]
	s_waitcnt vmcnt(1)
	s_delay_alu instid0(VALU_DEP_1) | instskip(SKIP_1) | instid1(VALU_DEP_1)
	v_fma_f64 v[104:105], v[114:115], v[106:107], v[104:105]
	s_waitcnt lgkmcnt(0)
	v_fma_f64 v[1:2], v[116:117], v[1:2], v[104:105]
	s_waitcnt vmcnt(0)
	s_delay_alu instid0(VALU_DEP_1) | instskip(NEXT) | instid1(VALU_DEP_1)
	v_fma_f64 v[1:2], v[126:127], v[3:4], v[1:2]
	v_add_f64 v[1:2], v[102:103], -v[1:2]
	scratch_store_b64 off, v[1:2], off offset:312
	v_cmpx_lt_u32_e32 38, v0
	s_cbranch_execz .LBB47_221
; %bb.220:
	scratch_load_b64 v[1:2], off, off offset:304
	v_mov_b32_e32 v3, 0
	s_delay_alu instid0(VALU_DEP_1)
	v_mov_b32_e32 v4, v3
	scratch_store_b64 off, v[3:4], off offset:304
	s_waitcnt vmcnt(0)
	ds_store_b64 v5, v[1:2]
.LBB47_221:
	s_or_b32 exec_lo, exec_lo, s0
	s_waitcnt lgkmcnt(0)
	s_waitcnt_vscnt null, 0x0
	s_barrier
	buffer_gl0_inv
	s_clause 0x4
	scratch_load_b128 v[102:105], off, off offset:304
	scratch_load_b128 v[106:109], off, off offset:320
	;; [unrolled: 1-line block ×5, first 2 shown]
	v_mov_b32_e32 v1, 0
	ds_load_2addr_b64 v[122:125], v1 offset0:87 offset1:88
	ds_load_2addr_b64 v[126:129], v1 offset0:89 offset1:90
	s_mov_b32 s0, exec_lo
	s_waitcnt vmcnt(4) lgkmcnt(1)
	v_fma_f64 v[2:3], v[104:105], v[122:123], 0
	s_waitcnt vmcnt(3)
	s_delay_alu instid0(VALU_DEP_1) | instskip(SKIP_1) | instid1(VALU_DEP_1)
	v_fma_f64 v[2:3], v[106:107], v[124:125], v[2:3]
	s_waitcnt lgkmcnt(0)
	v_fma_f64 v[2:3], v[108:109], v[126:127], v[2:3]
	s_waitcnt vmcnt(2)
	s_delay_alu instid0(VALU_DEP_1)
	v_fma_f64 v[2:3], v[110:111], v[128:129], v[2:3]
	ds_load_2addr_b64 v[104:107], v1 offset0:91 offset1:92
	ds_load_2addr_b64 v[108:111], v1 offset0:93 offset1:94
	s_waitcnt lgkmcnt(1)
	v_fma_f64 v[2:3], v[112:113], v[104:105], v[2:3]
	ds_load_b64 v[104:105], v1 offset:760
	s_waitcnt vmcnt(1)
	v_fma_f64 v[2:3], v[114:115], v[106:107], v[2:3]
	s_waitcnt lgkmcnt(1)
	s_delay_alu instid0(VALU_DEP_1) | instskip(SKIP_1) | instid1(VALU_DEP_1)
	v_fma_f64 v[2:3], v[116:117], v[108:109], v[2:3]
	s_waitcnt vmcnt(0)
	v_fma_f64 v[2:3], v[118:119], v[110:111], v[2:3]
	s_waitcnt lgkmcnt(0)
	s_delay_alu instid0(VALU_DEP_1) | instskip(NEXT) | instid1(VALU_DEP_1)
	v_fma_f64 v[2:3], v[120:121], v[104:105], v[2:3]
	v_add_f64 v[2:3], v[102:103], -v[2:3]
	scratch_store_b64 off, v[2:3], off offset:304
	v_cmpx_lt_u32_e32 37, v0
	s_cbranch_execz .LBB47_223
; %bb.222:
	scratch_load_b64 v[3:4], off, off offset:296
	v_mov_b32_e32 v2, v1
	scratch_store_b64 off, v[1:2], off offset:296
	s_waitcnt vmcnt(0)
	ds_store_b64 v5, v[3:4]
.LBB47_223:
	s_or_b32 exec_lo, exec_lo, s0
	s_waitcnt lgkmcnt(0)
	s_waitcnt_vscnt null, 0x0
	s_barrier
	buffer_gl0_inv
	s_clause 0x4
	scratch_load_b128 v[102:105], off, off offset:296
	scratch_load_b128 v[106:109], off, off offset:312
	;; [unrolled: 1-line block ×5, first 2 shown]
	ds_load_b128 v[122:125], v1 offset:688
	ds_load_b128 v[126:129], v1 offset:704
	s_mov_b32 s0, exec_lo
	s_waitcnt vmcnt(4) lgkmcnt(1)
	v_fma_f64 v[2:3], v[104:105], v[122:123], 0
	scratch_load_b64 v[122:123], off, off offset:376
	s_waitcnt vmcnt(4)
	v_fma_f64 v[2:3], v[106:107], v[124:125], v[2:3]
	s_waitcnt lgkmcnt(0)
	s_delay_alu instid0(VALU_DEP_1) | instskip(SKIP_1) | instid1(VALU_DEP_1)
	v_fma_f64 v[2:3], v[108:109], v[126:127], v[2:3]
	s_waitcnt vmcnt(3)
	v_fma_f64 v[2:3], v[110:111], v[128:129], v[2:3]
	ds_load_b128 v[104:107], v1 offset:720
	ds_load_b128 v[108:111], v1 offset:736
	s_waitcnt lgkmcnt(1)
	v_fma_f64 v[2:3], v[112:113], v[104:105], v[2:3]
	s_waitcnt vmcnt(2)
	s_delay_alu instid0(VALU_DEP_1) | instskip(SKIP_1) | instid1(VALU_DEP_1)
	v_fma_f64 v[2:3], v[114:115], v[106:107], v[2:3]
	s_waitcnt lgkmcnt(0)
	v_fma_f64 v[2:3], v[116:117], v[108:109], v[2:3]
	s_waitcnt vmcnt(1)
	s_delay_alu instid0(VALU_DEP_1) | instskip(SKIP_4) | instid1(VALU_DEP_1)
	v_fma_f64 v[104:105], v[118:119], v[110:111], v[2:3]
	ds_load_b128 v[1:4], v1 offset:752
	s_waitcnt lgkmcnt(0)
	v_fma_f64 v[1:2], v[120:121], v[1:2], v[104:105]
	s_waitcnt vmcnt(0)
	v_fma_f64 v[1:2], v[122:123], v[3:4], v[1:2]
	s_delay_alu instid0(VALU_DEP_1)
	v_add_f64 v[1:2], v[102:103], -v[1:2]
	scratch_store_b64 off, v[1:2], off offset:296
	v_cmpx_lt_u32_e32 36, v0
	s_cbranch_execz .LBB47_225
; %bb.224:
	scratch_load_b64 v[1:2], off, off offset:288
	v_mov_b32_e32 v3, 0
	s_delay_alu instid0(VALU_DEP_1)
	v_mov_b32_e32 v4, v3
	scratch_store_b64 off, v[3:4], off offset:288
	s_waitcnt vmcnt(0)
	ds_store_b64 v5, v[1:2]
.LBB47_225:
	s_or_b32 exec_lo, exec_lo, s0
	s_waitcnt lgkmcnt(0)
	s_waitcnt_vscnt null, 0x0
	s_barrier
	buffer_gl0_inv
	s_clause 0x4
	scratch_load_b128 v[102:105], off, off offset:288
	scratch_load_b128 v[106:109], off, off offset:304
	scratch_load_b128 v[110:113], off, off offset:320
	scratch_load_b128 v[114:117], off, off offset:336
	scratch_load_b128 v[118:121], off, off offset:352
	v_mov_b32_e32 v1, 0
	ds_load_2addr_b64 v[122:125], v1 offset0:85 offset1:86
	ds_load_2addr_b64 v[126:129], v1 offset0:87 offset1:88
	scratch_load_b128 v[130:133], off, off offset:368
	s_mov_b32 s0, exec_lo
	s_waitcnt vmcnt(5) lgkmcnt(1)
	v_fma_f64 v[2:3], v[104:105], v[122:123], 0
	s_waitcnt vmcnt(4)
	s_delay_alu instid0(VALU_DEP_1) | instskip(SKIP_1) | instid1(VALU_DEP_1)
	v_fma_f64 v[2:3], v[106:107], v[124:125], v[2:3]
	s_waitcnt lgkmcnt(0)
	v_fma_f64 v[2:3], v[108:109], v[126:127], v[2:3]
	s_waitcnt vmcnt(3)
	s_delay_alu instid0(VALU_DEP_1)
	v_fma_f64 v[2:3], v[110:111], v[128:129], v[2:3]
	ds_load_2addr_b64 v[104:107], v1 offset0:89 offset1:90
	ds_load_2addr_b64 v[108:111], v1 offset0:91 offset1:92
	s_waitcnt lgkmcnt(1)
	v_fma_f64 v[2:3], v[112:113], v[104:105], v[2:3]
	s_waitcnt vmcnt(2)
	s_delay_alu instid0(VALU_DEP_1) | instskip(SKIP_1) | instid1(VALU_DEP_1)
	v_fma_f64 v[2:3], v[114:115], v[106:107], v[2:3]
	s_waitcnt lgkmcnt(0)
	v_fma_f64 v[2:3], v[116:117], v[108:109], v[2:3]
	ds_load_2addr_b64 v[104:107], v1 offset0:93 offset1:94
	ds_load_b64 v[108:109], v1 offset:760
	s_waitcnt vmcnt(1)
	v_fma_f64 v[2:3], v[118:119], v[110:111], v[2:3]
	s_waitcnt lgkmcnt(1)
	s_delay_alu instid0(VALU_DEP_1) | instskip(SKIP_1) | instid1(VALU_DEP_1)
	v_fma_f64 v[2:3], v[120:121], v[104:105], v[2:3]
	s_waitcnt vmcnt(0)
	v_fma_f64 v[2:3], v[130:131], v[106:107], v[2:3]
	s_waitcnt lgkmcnt(0)
	s_delay_alu instid0(VALU_DEP_1) | instskip(NEXT) | instid1(VALU_DEP_1)
	v_fma_f64 v[2:3], v[132:133], v[108:109], v[2:3]
	v_add_f64 v[2:3], v[102:103], -v[2:3]
	scratch_store_b64 off, v[2:3], off offset:288
	v_cmpx_lt_u32_e32 35, v0
	s_cbranch_execz .LBB47_227
; %bb.226:
	scratch_load_b64 v[3:4], off, off offset:280
	v_mov_b32_e32 v2, v1
	scratch_store_b64 off, v[1:2], off offset:280
	s_waitcnt vmcnt(0)
	ds_store_b64 v5, v[3:4]
.LBB47_227:
	s_or_b32 exec_lo, exec_lo, s0
	s_waitcnt lgkmcnt(0)
	s_waitcnt_vscnt null, 0x0
	s_barrier
	buffer_gl0_inv
	s_clause 0x4
	scratch_load_b128 v[102:105], off, off offset:280
	scratch_load_b128 v[106:109], off, off offset:296
	;; [unrolled: 1-line block ×5, first 2 shown]
	ds_load_b128 v[122:125], v1 offset:672
	ds_load_b128 v[126:129], v1 offset:688
	scratch_load_b128 v[130:133], off, off offset:360
	s_mov_b32 s0, exec_lo
	s_waitcnt vmcnt(5) lgkmcnt(1)
	v_fma_f64 v[2:3], v[104:105], v[122:123], 0
	scratch_load_b64 v[122:123], off, off offset:376
	s_waitcnt vmcnt(5)
	v_fma_f64 v[2:3], v[106:107], v[124:125], v[2:3]
	s_waitcnt lgkmcnt(0)
	s_delay_alu instid0(VALU_DEP_1) | instskip(SKIP_1) | instid1(VALU_DEP_1)
	v_fma_f64 v[2:3], v[108:109], v[126:127], v[2:3]
	s_waitcnt vmcnt(4)
	v_fma_f64 v[2:3], v[110:111], v[128:129], v[2:3]
	ds_load_b128 v[104:107], v1 offset:704
	ds_load_b128 v[108:111], v1 offset:720
	s_waitcnt lgkmcnt(1)
	v_fma_f64 v[2:3], v[112:113], v[104:105], v[2:3]
	s_waitcnt vmcnt(3)
	s_delay_alu instid0(VALU_DEP_1) | instskip(SKIP_1) | instid1(VALU_DEP_1)
	v_fma_f64 v[2:3], v[114:115], v[106:107], v[2:3]
	s_waitcnt lgkmcnt(0)
	v_fma_f64 v[2:3], v[116:117], v[108:109], v[2:3]
	s_waitcnt vmcnt(2)
	s_delay_alu instid0(VALU_DEP_1)
	v_fma_f64 v[108:109], v[118:119], v[110:111], v[2:3]
	ds_load_b128 v[104:107], v1 offset:736
	ds_load_b128 v[1:4], v1 offset:752
	s_waitcnt lgkmcnt(1)
	v_fma_f64 v[104:105], v[120:121], v[104:105], v[108:109]
	s_waitcnt vmcnt(1)
	s_delay_alu instid0(VALU_DEP_1) | instskip(SKIP_1) | instid1(VALU_DEP_1)
	v_fma_f64 v[104:105], v[130:131], v[106:107], v[104:105]
	s_waitcnt lgkmcnt(0)
	v_fma_f64 v[1:2], v[132:133], v[1:2], v[104:105]
	s_waitcnt vmcnt(0)
	s_delay_alu instid0(VALU_DEP_1) | instskip(NEXT) | instid1(VALU_DEP_1)
	v_fma_f64 v[1:2], v[122:123], v[3:4], v[1:2]
	v_add_f64 v[1:2], v[102:103], -v[1:2]
	scratch_store_b64 off, v[1:2], off offset:280
	v_cmpx_lt_u32_e32 34, v0
	s_cbranch_execz .LBB47_229
; %bb.228:
	scratch_load_b64 v[1:2], off, off offset:272
	v_mov_b32_e32 v3, 0
	s_delay_alu instid0(VALU_DEP_1)
	v_mov_b32_e32 v4, v3
	scratch_store_b64 off, v[3:4], off offset:272
	s_waitcnt vmcnt(0)
	ds_store_b64 v5, v[1:2]
.LBB47_229:
	s_or_b32 exec_lo, exec_lo, s0
	s_waitcnt lgkmcnt(0)
	s_waitcnt_vscnt null, 0x0
	s_barrier
	buffer_gl0_inv
	s_clause 0x4
	scratch_load_b128 v[102:105], off, off offset:272
	scratch_load_b128 v[106:109], off, off offset:288
	;; [unrolled: 1-line block ×5, first 2 shown]
	v_mov_b32_e32 v1, 0
	ds_load_2addr_b64 v[122:125], v1 offset0:83 offset1:84
	ds_load_2addr_b64 v[126:129], v1 offset0:85 offset1:86
	scratch_load_b128 v[130:133], off, off offset:352
	s_mov_b32 s0, exec_lo
	s_waitcnt vmcnt(5) lgkmcnt(1)
	v_fma_f64 v[2:3], v[104:105], v[122:123], 0
	s_waitcnt vmcnt(4)
	s_delay_alu instid0(VALU_DEP_1) | instskip(SKIP_4) | instid1(VALU_DEP_1)
	v_fma_f64 v[2:3], v[106:107], v[124:125], v[2:3]
	scratch_load_b128 v[104:107], off, off offset:368
	s_waitcnt lgkmcnt(0)
	v_fma_f64 v[2:3], v[108:109], v[126:127], v[2:3]
	s_waitcnt vmcnt(4)
	v_fma_f64 v[2:3], v[110:111], v[128:129], v[2:3]
	ds_load_2addr_b64 v[108:111], v1 offset0:87 offset1:88
	ds_load_2addr_b64 v[122:125], v1 offset0:89 offset1:90
	s_waitcnt lgkmcnt(1)
	v_fma_f64 v[2:3], v[112:113], v[108:109], v[2:3]
	s_waitcnt vmcnt(3)
	s_delay_alu instid0(VALU_DEP_1)
	v_fma_f64 v[2:3], v[114:115], v[110:111], v[2:3]
	ds_load_2addr_b64 v[108:111], v1 offset0:91 offset1:92
	ds_load_2addr_b64 v[112:115], v1 offset0:93 offset1:94
	s_waitcnt lgkmcnt(2)
	v_fma_f64 v[2:3], v[116:117], v[122:123], v[2:3]
	s_waitcnt vmcnt(2)
	s_delay_alu instid0(VALU_DEP_1) | instskip(SKIP_1) | instid1(VALU_DEP_1)
	v_fma_f64 v[2:3], v[118:119], v[124:125], v[2:3]
	s_waitcnt lgkmcnt(1)
	v_fma_f64 v[2:3], v[120:121], v[108:109], v[2:3]
	s_waitcnt vmcnt(1)
	s_delay_alu instid0(VALU_DEP_1) | instskip(SKIP_1) | instid1(VALU_DEP_1)
	v_fma_f64 v[2:3], v[130:131], v[110:111], v[2:3]
	s_waitcnt lgkmcnt(0)
	v_fma_f64 v[2:3], v[132:133], v[112:113], v[2:3]
	s_waitcnt vmcnt(0)
	s_delay_alu instid0(VALU_DEP_1) | instskip(SKIP_3) | instid1(VALU_DEP_1)
	v_fma_f64 v[2:3], v[104:105], v[114:115], v[2:3]
	ds_load_b64 v[104:105], v1 offset:760
	s_waitcnt lgkmcnt(0)
	v_fma_f64 v[2:3], v[106:107], v[104:105], v[2:3]
	v_add_f64 v[2:3], v[102:103], -v[2:3]
	scratch_store_b64 off, v[2:3], off offset:272
	v_cmpx_lt_u32_e32 33, v0
	s_cbranch_execz .LBB47_231
; %bb.230:
	scratch_load_b64 v[3:4], off, off offset:264
	v_mov_b32_e32 v2, v1
	scratch_store_b64 off, v[1:2], off offset:264
	s_waitcnt vmcnt(0)
	ds_store_b64 v5, v[3:4]
.LBB47_231:
	s_or_b32 exec_lo, exec_lo, s0
	s_waitcnt lgkmcnt(0)
	s_waitcnt_vscnt null, 0x0
	s_barrier
	buffer_gl0_inv
	s_clause 0x4
	scratch_load_b128 v[102:105], off, off offset:264
	scratch_load_b128 v[106:109], off, off offset:280
	;; [unrolled: 1-line block ×5, first 2 shown]
	ds_load_b128 v[122:125], v1 offset:656
	ds_load_b128 v[126:129], v1 offset:672
	scratch_load_b128 v[130:133], off, off offset:344
	s_mov_b32 s0, exec_lo
	s_waitcnt vmcnt(5) lgkmcnt(1)
	v_fma_f64 v[2:3], v[104:105], v[122:123], 0
	s_waitcnt vmcnt(4)
	s_delay_alu instid0(VALU_DEP_1) | instskip(SKIP_4) | instid1(VALU_DEP_1)
	v_fma_f64 v[2:3], v[106:107], v[124:125], v[2:3]
	scratch_load_b128 v[104:107], off, off offset:360
	s_waitcnt lgkmcnt(0)
	v_fma_f64 v[2:3], v[108:109], v[126:127], v[2:3]
	s_waitcnt vmcnt(4)
	v_fma_f64 v[2:3], v[110:111], v[128:129], v[2:3]
	ds_load_b128 v[108:111], v1 offset:688
	ds_load_b128 v[122:125], v1 offset:704
	scratch_load_b64 v[126:127], off, off offset:376
	s_waitcnt lgkmcnt(1)
	v_fma_f64 v[2:3], v[112:113], v[108:109], v[2:3]
	s_waitcnt vmcnt(4)
	s_delay_alu instid0(VALU_DEP_1)
	v_fma_f64 v[2:3], v[114:115], v[110:111], v[2:3]
	ds_load_b128 v[108:111], v1 offset:720
	ds_load_b128 v[112:115], v1 offset:736
	s_waitcnt lgkmcnt(2)
	v_fma_f64 v[2:3], v[116:117], v[122:123], v[2:3]
	s_waitcnt vmcnt(3)
	s_delay_alu instid0(VALU_DEP_1) | instskip(SKIP_1) | instid1(VALU_DEP_1)
	v_fma_f64 v[2:3], v[118:119], v[124:125], v[2:3]
	s_waitcnt lgkmcnt(1)
	v_fma_f64 v[2:3], v[120:121], v[108:109], v[2:3]
	s_waitcnt vmcnt(2)
	s_delay_alu instid0(VALU_DEP_1) | instskip(SKIP_1) | instid1(VALU_DEP_1)
	v_fma_f64 v[2:3], v[130:131], v[110:111], v[2:3]
	s_waitcnt lgkmcnt(0)
	v_fma_f64 v[2:3], v[132:133], v[112:113], v[2:3]
	s_waitcnt vmcnt(1)
	s_delay_alu instid0(VALU_DEP_1) | instskip(SKIP_4) | instid1(VALU_DEP_1)
	v_fma_f64 v[104:105], v[104:105], v[114:115], v[2:3]
	ds_load_b128 v[1:4], v1 offset:752
	s_waitcnt lgkmcnt(0)
	v_fma_f64 v[1:2], v[106:107], v[1:2], v[104:105]
	s_waitcnt vmcnt(0)
	v_fma_f64 v[1:2], v[126:127], v[3:4], v[1:2]
	s_delay_alu instid0(VALU_DEP_1)
	v_add_f64 v[1:2], v[102:103], -v[1:2]
	scratch_store_b64 off, v[1:2], off offset:264
	v_cmpx_lt_u32_e32 32, v0
	s_cbranch_execz .LBB47_233
; %bb.232:
	scratch_load_b64 v[1:2], off, off offset:256
	v_mov_b32_e32 v3, 0
	s_delay_alu instid0(VALU_DEP_1)
	v_mov_b32_e32 v4, v3
	scratch_store_b64 off, v[3:4], off offset:256
	s_waitcnt vmcnt(0)
	ds_store_b64 v5, v[1:2]
.LBB47_233:
	s_or_b32 exec_lo, exec_lo, s0
	s_waitcnt lgkmcnt(0)
	s_waitcnt_vscnt null, 0x0
	s_barrier
	buffer_gl0_inv
	s_clause 0x4
	scratch_load_b128 v[102:105], off, off offset:256
	scratch_load_b128 v[106:109], off, off offset:272
	;; [unrolled: 1-line block ×5, first 2 shown]
	v_mov_b32_e32 v1, 0
	ds_load_2addr_b64 v[122:125], v1 offset0:81 offset1:82
	ds_load_2addr_b64 v[126:129], v1 offset0:83 offset1:84
	scratch_load_b128 v[130:133], off, off offset:336
	s_mov_b32 s0, exec_lo
	s_waitcnt vmcnt(5) lgkmcnt(1)
	v_fma_f64 v[2:3], v[104:105], v[122:123], 0
	s_waitcnt vmcnt(4)
	s_delay_alu instid0(VALU_DEP_1) | instskip(SKIP_4) | instid1(VALU_DEP_1)
	v_fma_f64 v[2:3], v[106:107], v[124:125], v[2:3]
	scratch_load_b128 v[104:107], off, off offset:352
	s_waitcnt lgkmcnt(0)
	v_fma_f64 v[2:3], v[108:109], v[126:127], v[2:3]
	s_waitcnt vmcnt(4)
	v_fma_f64 v[2:3], v[110:111], v[128:129], v[2:3]
	ds_load_2addr_b64 v[108:111], v1 offset0:85 offset1:86
	ds_load_2addr_b64 v[122:125], v1 offset0:87 offset1:88
	scratch_load_b128 v[126:129], off, off offset:368
	s_waitcnt lgkmcnt(1)
	v_fma_f64 v[2:3], v[112:113], v[108:109], v[2:3]
	s_waitcnt vmcnt(4)
	s_delay_alu instid0(VALU_DEP_1)
	v_fma_f64 v[2:3], v[114:115], v[110:111], v[2:3]
	ds_load_2addr_b64 v[108:111], v1 offset0:89 offset1:90
	ds_load_2addr_b64 v[112:115], v1 offset0:91 offset1:92
	s_waitcnt lgkmcnt(2)
	v_fma_f64 v[2:3], v[116:117], v[122:123], v[2:3]
	s_waitcnt vmcnt(3)
	s_delay_alu instid0(VALU_DEP_1) | instskip(SKIP_1) | instid1(VALU_DEP_1)
	v_fma_f64 v[2:3], v[118:119], v[124:125], v[2:3]
	s_waitcnt lgkmcnt(1)
	v_fma_f64 v[2:3], v[120:121], v[108:109], v[2:3]
	s_waitcnt vmcnt(2)
	s_delay_alu instid0(VALU_DEP_1) | instskip(SKIP_1) | instid1(VALU_DEP_1)
	v_fma_f64 v[2:3], v[130:131], v[110:111], v[2:3]
	s_waitcnt lgkmcnt(0)
	v_fma_f64 v[2:3], v[132:133], v[112:113], v[2:3]
	s_waitcnt vmcnt(1)
	s_delay_alu instid0(VALU_DEP_1)
	v_fma_f64 v[2:3], v[104:105], v[114:115], v[2:3]
	ds_load_2addr_b64 v[108:111], v1 offset0:93 offset1:94
	ds_load_b64 v[104:105], v1 offset:760
	s_waitcnt lgkmcnt(1)
	v_fma_f64 v[2:3], v[106:107], v[108:109], v[2:3]
	s_waitcnt vmcnt(0)
	s_delay_alu instid0(VALU_DEP_1) | instskip(SKIP_1) | instid1(VALU_DEP_1)
	v_fma_f64 v[2:3], v[126:127], v[110:111], v[2:3]
	s_waitcnt lgkmcnt(0)
	v_fma_f64 v[2:3], v[128:129], v[104:105], v[2:3]
	s_delay_alu instid0(VALU_DEP_1)
	v_add_f64 v[2:3], v[102:103], -v[2:3]
	scratch_store_b64 off, v[2:3], off offset:256
	v_cmpx_lt_u32_e32 31, v0
	s_cbranch_execz .LBB47_235
; %bb.234:
	scratch_load_b64 v[3:4], off, off offset:248
	v_mov_b32_e32 v2, v1
	scratch_store_b64 off, v[1:2], off offset:248
	s_waitcnt vmcnt(0)
	ds_store_b64 v5, v[3:4]
.LBB47_235:
	s_or_b32 exec_lo, exec_lo, s0
	s_waitcnt lgkmcnt(0)
	s_waitcnt_vscnt null, 0x0
	s_barrier
	buffer_gl0_inv
	s_clause 0x4
	scratch_load_b128 v[102:105], off, off offset:248
	scratch_load_b128 v[106:109], off, off offset:264
	;; [unrolled: 1-line block ×5, first 2 shown]
	ds_load_b128 v[122:125], v1 offset:640
	ds_load_b128 v[126:129], v1 offset:656
	scratch_load_b128 v[130:133], off, off offset:328
	s_mov_b32 s0, exec_lo
	s_waitcnt vmcnt(5) lgkmcnt(1)
	v_fma_f64 v[2:3], v[104:105], v[122:123], 0
	s_waitcnt vmcnt(4)
	s_delay_alu instid0(VALU_DEP_1) | instskip(SKIP_4) | instid1(VALU_DEP_1)
	v_fma_f64 v[2:3], v[106:107], v[124:125], v[2:3]
	scratch_load_b128 v[104:107], off, off offset:344
	s_waitcnt lgkmcnt(0)
	v_fma_f64 v[2:3], v[108:109], v[126:127], v[2:3]
	s_waitcnt vmcnt(4)
	v_fma_f64 v[2:3], v[110:111], v[128:129], v[2:3]
	ds_load_b128 v[108:111], v1 offset:672
	ds_load_b128 v[122:125], v1 offset:688
	scratch_load_b128 v[126:129], off, off offset:360
	s_waitcnt lgkmcnt(1)
	v_fma_f64 v[2:3], v[112:113], v[108:109], v[2:3]
	s_waitcnt vmcnt(4)
	s_delay_alu instid0(VALU_DEP_1) | instskip(SKIP_1) | instid1(VALU_DEP_1)
	v_fma_f64 v[2:3], v[114:115], v[110:111], v[2:3]
	s_waitcnt lgkmcnt(0)
	v_fma_f64 v[2:3], v[116:117], v[122:123], v[2:3]
	scratch_load_b64 v[116:117], off, off offset:376
	ds_load_b128 v[108:111], v1 offset:704
	ds_load_b128 v[112:115], v1 offset:720
	s_waitcnt vmcnt(4)
	v_fma_f64 v[2:3], v[118:119], v[124:125], v[2:3]
	s_waitcnt lgkmcnt(1)
	s_delay_alu instid0(VALU_DEP_1) | instskip(SKIP_1) | instid1(VALU_DEP_1)
	v_fma_f64 v[2:3], v[120:121], v[108:109], v[2:3]
	s_waitcnt vmcnt(3)
	v_fma_f64 v[2:3], v[130:131], v[110:111], v[2:3]
	s_waitcnt lgkmcnt(0)
	s_delay_alu instid0(VALU_DEP_1) | instskip(SKIP_1) | instid1(VALU_DEP_1)
	v_fma_f64 v[2:3], v[132:133], v[112:113], v[2:3]
	s_waitcnt vmcnt(2)
	v_fma_f64 v[104:105], v[104:105], v[114:115], v[2:3]
	ds_load_b128 v[108:111], v1 offset:736
	ds_load_b128 v[1:4], v1 offset:752
	s_waitcnt lgkmcnt(1)
	v_fma_f64 v[104:105], v[106:107], v[108:109], v[104:105]
	s_waitcnt vmcnt(1)
	s_delay_alu instid0(VALU_DEP_1) | instskip(SKIP_1) | instid1(VALU_DEP_1)
	v_fma_f64 v[104:105], v[126:127], v[110:111], v[104:105]
	s_waitcnt lgkmcnt(0)
	v_fma_f64 v[1:2], v[128:129], v[1:2], v[104:105]
	s_waitcnt vmcnt(0)
	s_delay_alu instid0(VALU_DEP_1) | instskip(NEXT) | instid1(VALU_DEP_1)
	v_fma_f64 v[1:2], v[116:117], v[3:4], v[1:2]
	v_add_f64 v[1:2], v[102:103], -v[1:2]
	scratch_store_b64 off, v[1:2], off offset:248
	v_cmpx_lt_u32_e32 30, v0
	s_cbranch_execz .LBB47_237
; %bb.236:
	scratch_load_b64 v[1:2], off, off offset:240
	v_mov_b32_e32 v3, 0
	s_delay_alu instid0(VALU_DEP_1)
	v_mov_b32_e32 v4, v3
	scratch_store_b64 off, v[3:4], off offset:240
	s_waitcnt vmcnt(0)
	ds_store_b64 v5, v[1:2]
.LBB47_237:
	s_or_b32 exec_lo, exec_lo, s0
	s_waitcnt lgkmcnt(0)
	s_waitcnt_vscnt null, 0x0
	s_barrier
	buffer_gl0_inv
	s_clause 0x4
	scratch_load_b128 v[102:105], off, off offset:240
	scratch_load_b128 v[106:109], off, off offset:256
	;; [unrolled: 1-line block ×5, first 2 shown]
	v_mov_b32_e32 v1, 0
	ds_load_2addr_b64 v[122:125], v1 offset0:79 offset1:80
	ds_load_2addr_b64 v[126:129], v1 offset0:81 offset1:82
	scratch_load_b128 v[130:133], off, off offset:320
	s_mov_b32 s0, exec_lo
	s_waitcnt vmcnt(5) lgkmcnt(1)
	v_fma_f64 v[2:3], v[104:105], v[122:123], 0
	s_waitcnt vmcnt(4)
	s_delay_alu instid0(VALU_DEP_1) | instskip(SKIP_4) | instid1(VALU_DEP_1)
	v_fma_f64 v[2:3], v[106:107], v[124:125], v[2:3]
	scratch_load_b128 v[104:107], off, off offset:336
	s_waitcnt lgkmcnt(0)
	v_fma_f64 v[2:3], v[108:109], v[126:127], v[2:3]
	s_waitcnt vmcnt(4)
	v_fma_f64 v[2:3], v[110:111], v[128:129], v[2:3]
	ds_load_2addr_b64 v[108:111], v1 offset0:83 offset1:84
	ds_load_2addr_b64 v[122:125], v1 offset0:85 offset1:86
	scratch_load_b128 v[126:129], off, off offset:352
	s_waitcnt lgkmcnt(1)
	v_fma_f64 v[2:3], v[112:113], v[108:109], v[2:3]
	s_waitcnt vmcnt(4)
	s_delay_alu instid0(VALU_DEP_1) | instskip(SKIP_4) | instid1(VALU_DEP_1)
	v_fma_f64 v[2:3], v[114:115], v[110:111], v[2:3]
	scratch_load_b128 v[108:111], off, off offset:368
	s_waitcnt lgkmcnt(0)
	v_fma_f64 v[2:3], v[116:117], v[122:123], v[2:3]
	s_waitcnt vmcnt(4)
	v_fma_f64 v[2:3], v[118:119], v[124:125], v[2:3]
	ds_load_2addr_b64 v[112:115], v1 offset0:87 offset1:88
	ds_load_2addr_b64 v[116:119], v1 offset0:89 offset1:90
	s_waitcnt lgkmcnt(1)
	v_fma_f64 v[2:3], v[120:121], v[112:113], v[2:3]
	s_waitcnt vmcnt(3)
	s_delay_alu instid0(VALU_DEP_1) | instskip(SKIP_1) | instid1(VALU_DEP_1)
	v_fma_f64 v[2:3], v[130:131], v[114:115], v[2:3]
	s_waitcnt lgkmcnt(0)
	v_fma_f64 v[2:3], v[132:133], v[116:117], v[2:3]
	s_waitcnt vmcnt(2)
	s_delay_alu instid0(VALU_DEP_1)
	v_fma_f64 v[2:3], v[104:105], v[118:119], v[2:3]
	ds_load_2addr_b64 v[112:115], v1 offset0:91 offset1:92
	ds_load_2addr_b64 v[116:119], v1 offset0:93 offset1:94
	ds_load_b64 v[104:105], v1 offset:760
	s_waitcnt lgkmcnt(2)
	v_fma_f64 v[2:3], v[106:107], v[112:113], v[2:3]
	s_waitcnt vmcnt(1)
	s_delay_alu instid0(VALU_DEP_1) | instskip(SKIP_1) | instid1(VALU_DEP_1)
	v_fma_f64 v[2:3], v[126:127], v[114:115], v[2:3]
	s_waitcnt lgkmcnt(1)
	v_fma_f64 v[2:3], v[128:129], v[116:117], v[2:3]
	s_waitcnt vmcnt(0)
	s_delay_alu instid0(VALU_DEP_1) | instskip(SKIP_1) | instid1(VALU_DEP_1)
	v_fma_f64 v[2:3], v[108:109], v[118:119], v[2:3]
	s_waitcnt lgkmcnt(0)
	v_fma_f64 v[2:3], v[110:111], v[104:105], v[2:3]
	s_delay_alu instid0(VALU_DEP_1)
	v_add_f64 v[2:3], v[102:103], -v[2:3]
	scratch_store_b64 off, v[2:3], off offset:240
	v_cmpx_lt_u32_e32 29, v0
	s_cbranch_execz .LBB47_239
; %bb.238:
	scratch_load_b64 v[3:4], off, off offset:232
	v_mov_b32_e32 v2, v1
	scratch_store_b64 off, v[1:2], off offset:232
	s_waitcnt vmcnt(0)
	ds_store_b64 v5, v[3:4]
.LBB47_239:
	s_or_b32 exec_lo, exec_lo, s0
	s_waitcnt lgkmcnt(0)
	s_waitcnt_vscnt null, 0x0
	s_barrier
	buffer_gl0_inv
	s_clause 0x4
	scratch_load_b128 v[102:105], off, off offset:232
	scratch_load_b128 v[106:109], off, off offset:248
	;; [unrolled: 1-line block ×5, first 2 shown]
	ds_load_b128 v[122:125], v1 offset:624
	ds_load_b128 v[126:129], v1 offset:640
	scratch_load_b128 v[130:133], off, off offset:312
	s_mov_b32 s0, exec_lo
	s_waitcnt vmcnt(5) lgkmcnt(1)
	v_fma_f64 v[2:3], v[104:105], v[122:123], 0
	s_waitcnt vmcnt(4)
	s_delay_alu instid0(VALU_DEP_1) | instskip(SKIP_4) | instid1(VALU_DEP_1)
	v_fma_f64 v[2:3], v[106:107], v[124:125], v[2:3]
	scratch_load_b128 v[104:107], off, off offset:328
	s_waitcnt lgkmcnt(0)
	v_fma_f64 v[2:3], v[108:109], v[126:127], v[2:3]
	s_waitcnt vmcnt(4)
	v_fma_f64 v[2:3], v[110:111], v[128:129], v[2:3]
	ds_load_b128 v[108:111], v1 offset:656
	ds_load_b128 v[122:125], v1 offset:672
	scratch_load_b128 v[126:129], off, off offset:344
	s_waitcnt lgkmcnt(1)
	v_fma_f64 v[2:3], v[112:113], v[108:109], v[2:3]
	s_waitcnt vmcnt(4)
	s_delay_alu instid0(VALU_DEP_1) | instskip(SKIP_4) | instid1(VALU_DEP_1)
	v_fma_f64 v[2:3], v[114:115], v[110:111], v[2:3]
	scratch_load_b128 v[108:111], off, off offset:360
	s_waitcnt lgkmcnt(0)
	v_fma_f64 v[2:3], v[116:117], v[122:123], v[2:3]
	s_waitcnt vmcnt(4)
	v_fma_f64 v[2:3], v[118:119], v[124:125], v[2:3]
	ds_load_b128 v[112:115], v1 offset:688
	ds_load_b128 v[116:119], v1 offset:704
	s_waitcnt lgkmcnt(1)
	v_fma_f64 v[2:3], v[120:121], v[112:113], v[2:3]
	scratch_load_b64 v[120:121], off, off offset:376
	s_waitcnt vmcnt(4)
	v_fma_f64 v[2:3], v[130:131], v[114:115], v[2:3]
	s_waitcnt lgkmcnt(0)
	s_delay_alu instid0(VALU_DEP_1) | instskip(SKIP_1) | instid1(VALU_DEP_1)
	v_fma_f64 v[2:3], v[132:133], v[116:117], v[2:3]
	s_waitcnt vmcnt(3)
	v_fma_f64 v[2:3], v[104:105], v[118:119], v[2:3]
	ds_load_b128 v[112:115], v1 offset:720
	ds_load_b128 v[116:119], v1 offset:736
	s_waitcnt lgkmcnt(1)
	v_fma_f64 v[2:3], v[106:107], v[112:113], v[2:3]
	s_waitcnt vmcnt(2)
	s_delay_alu instid0(VALU_DEP_1) | instskip(SKIP_1) | instid1(VALU_DEP_1)
	v_fma_f64 v[2:3], v[126:127], v[114:115], v[2:3]
	s_waitcnt lgkmcnt(0)
	v_fma_f64 v[2:3], v[128:129], v[116:117], v[2:3]
	s_waitcnt vmcnt(1)
	s_delay_alu instid0(VALU_DEP_1) | instskip(SKIP_4) | instid1(VALU_DEP_1)
	v_fma_f64 v[104:105], v[108:109], v[118:119], v[2:3]
	ds_load_b128 v[1:4], v1 offset:752
	s_waitcnt lgkmcnt(0)
	v_fma_f64 v[1:2], v[110:111], v[1:2], v[104:105]
	s_waitcnt vmcnt(0)
	v_fma_f64 v[1:2], v[120:121], v[3:4], v[1:2]
	s_delay_alu instid0(VALU_DEP_1)
	v_add_f64 v[1:2], v[102:103], -v[1:2]
	scratch_store_b64 off, v[1:2], off offset:232
	v_cmpx_lt_u32_e32 28, v0
	s_cbranch_execz .LBB47_241
; %bb.240:
	scratch_load_b64 v[1:2], off, off offset:224
	v_mov_b32_e32 v3, 0
	s_delay_alu instid0(VALU_DEP_1)
	v_mov_b32_e32 v4, v3
	scratch_store_b64 off, v[3:4], off offset:224
	s_waitcnt vmcnt(0)
	ds_store_b64 v5, v[1:2]
.LBB47_241:
	s_or_b32 exec_lo, exec_lo, s0
	s_waitcnt lgkmcnt(0)
	s_waitcnt_vscnt null, 0x0
	s_barrier
	buffer_gl0_inv
	s_clause 0x4
	scratch_load_b128 v[102:105], off, off offset:224
	scratch_load_b128 v[106:109], off, off offset:240
	scratch_load_b128 v[110:113], off, off offset:256
	scratch_load_b128 v[114:117], off, off offset:272
	scratch_load_b128 v[118:121], off, off offset:288
	v_mov_b32_e32 v1, 0
	ds_load_2addr_b64 v[122:125], v1 offset0:77 offset1:78
	ds_load_2addr_b64 v[126:129], v1 offset0:79 offset1:80
	scratch_load_b128 v[130:133], off, off offset:304
	s_mov_b32 s0, exec_lo
	s_waitcnt vmcnt(5) lgkmcnt(1)
	v_fma_f64 v[2:3], v[104:105], v[122:123], 0
	s_waitcnt vmcnt(4)
	s_delay_alu instid0(VALU_DEP_1) | instskip(SKIP_4) | instid1(VALU_DEP_1)
	v_fma_f64 v[2:3], v[106:107], v[124:125], v[2:3]
	scratch_load_b128 v[104:107], off, off offset:320
	s_waitcnt lgkmcnt(0)
	v_fma_f64 v[2:3], v[108:109], v[126:127], v[2:3]
	s_waitcnt vmcnt(4)
	v_fma_f64 v[2:3], v[110:111], v[128:129], v[2:3]
	ds_load_2addr_b64 v[108:111], v1 offset0:81 offset1:82
	ds_load_2addr_b64 v[122:125], v1 offset0:83 offset1:84
	scratch_load_b128 v[126:129], off, off offset:336
	s_waitcnt lgkmcnt(1)
	v_fma_f64 v[2:3], v[112:113], v[108:109], v[2:3]
	s_waitcnt vmcnt(4)
	s_delay_alu instid0(VALU_DEP_1) | instskip(SKIP_4) | instid1(VALU_DEP_1)
	v_fma_f64 v[2:3], v[114:115], v[110:111], v[2:3]
	scratch_load_b128 v[108:111], off, off offset:352
	s_waitcnt lgkmcnt(0)
	v_fma_f64 v[2:3], v[116:117], v[122:123], v[2:3]
	s_waitcnt vmcnt(4)
	v_fma_f64 v[2:3], v[118:119], v[124:125], v[2:3]
	ds_load_2addr_b64 v[112:115], v1 offset0:85 offset1:86
	ds_load_2addr_b64 v[116:119], v1 offset0:87 offset1:88
	s_waitcnt lgkmcnt(1)
	v_fma_f64 v[2:3], v[120:121], v[112:113], v[2:3]
	scratch_load_b128 v[120:123], off, off offset:368
	s_waitcnt vmcnt(4)
	v_fma_f64 v[2:3], v[130:131], v[114:115], v[2:3]
	s_waitcnt lgkmcnt(0)
	s_delay_alu instid0(VALU_DEP_1) | instskip(SKIP_1) | instid1(VALU_DEP_1)
	v_fma_f64 v[2:3], v[132:133], v[116:117], v[2:3]
	s_waitcnt vmcnt(3)
	v_fma_f64 v[2:3], v[104:105], v[118:119], v[2:3]
	ds_load_2addr_b64 v[112:115], v1 offset0:89 offset1:90
	ds_load_2addr_b64 v[116:119], v1 offset0:91 offset1:92
	s_waitcnt lgkmcnt(1)
	v_fma_f64 v[2:3], v[106:107], v[112:113], v[2:3]
	s_waitcnt vmcnt(2)
	s_delay_alu instid0(VALU_DEP_1) | instskip(SKIP_1) | instid1(VALU_DEP_1)
	v_fma_f64 v[2:3], v[126:127], v[114:115], v[2:3]
	s_waitcnt lgkmcnt(0)
	v_fma_f64 v[2:3], v[128:129], v[116:117], v[2:3]
	s_waitcnt vmcnt(1)
	s_delay_alu instid0(VALU_DEP_1)
	v_fma_f64 v[2:3], v[108:109], v[118:119], v[2:3]
	ds_load_2addr_b64 v[104:107], v1 offset0:93 offset1:94
	ds_load_b64 v[108:109], v1 offset:760
	s_waitcnt lgkmcnt(1)
	v_fma_f64 v[2:3], v[110:111], v[104:105], v[2:3]
	s_waitcnt vmcnt(0)
	s_delay_alu instid0(VALU_DEP_1) | instskip(SKIP_1) | instid1(VALU_DEP_1)
	v_fma_f64 v[2:3], v[120:121], v[106:107], v[2:3]
	s_waitcnt lgkmcnt(0)
	v_fma_f64 v[2:3], v[122:123], v[108:109], v[2:3]
	s_delay_alu instid0(VALU_DEP_1)
	v_add_f64 v[2:3], v[102:103], -v[2:3]
	scratch_store_b64 off, v[2:3], off offset:224
	v_cmpx_lt_u32_e32 27, v0
	s_cbranch_execz .LBB47_243
; %bb.242:
	scratch_load_b64 v[3:4], off, off offset:216
	v_mov_b32_e32 v2, v1
	scratch_store_b64 off, v[1:2], off offset:216
	s_waitcnt vmcnt(0)
	ds_store_b64 v5, v[3:4]
.LBB47_243:
	s_or_b32 exec_lo, exec_lo, s0
	s_waitcnt lgkmcnt(0)
	s_waitcnt_vscnt null, 0x0
	s_barrier
	buffer_gl0_inv
	s_clause 0x4
	scratch_load_b128 v[102:105], off, off offset:216
	scratch_load_b128 v[106:109], off, off offset:232
	;; [unrolled: 1-line block ×5, first 2 shown]
	ds_load_b128 v[122:125], v1 offset:608
	ds_load_b128 v[126:129], v1 offset:624
	scratch_load_b128 v[130:133], off, off offset:296
	s_mov_b32 s0, exec_lo
	s_waitcnt vmcnt(5) lgkmcnt(1)
	v_fma_f64 v[2:3], v[104:105], v[122:123], 0
	s_waitcnt vmcnt(4)
	s_delay_alu instid0(VALU_DEP_1) | instskip(SKIP_4) | instid1(VALU_DEP_1)
	v_fma_f64 v[2:3], v[106:107], v[124:125], v[2:3]
	scratch_load_b128 v[104:107], off, off offset:312
	s_waitcnt lgkmcnt(0)
	v_fma_f64 v[2:3], v[108:109], v[126:127], v[2:3]
	s_waitcnt vmcnt(4)
	v_fma_f64 v[2:3], v[110:111], v[128:129], v[2:3]
	ds_load_b128 v[108:111], v1 offset:640
	ds_load_b128 v[122:125], v1 offset:656
	scratch_load_b128 v[126:129], off, off offset:328
	s_waitcnt lgkmcnt(1)
	v_fma_f64 v[2:3], v[112:113], v[108:109], v[2:3]
	s_waitcnt vmcnt(4)
	s_delay_alu instid0(VALU_DEP_1) | instskip(SKIP_4) | instid1(VALU_DEP_1)
	v_fma_f64 v[2:3], v[114:115], v[110:111], v[2:3]
	scratch_load_b128 v[108:111], off, off offset:344
	s_waitcnt lgkmcnt(0)
	v_fma_f64 v[2:3], v[116:117], v[122:123], v[2:3]
	s_waitcnt vmcnt(4)
	v_fma_f64 v[2:3], v[118:119], v[124:125], v[2:3]
	ds_load_b128 v[112:115], v1 offset:672
	ds_load_b128 v[116:119], v1 offset:688
	scratch_load_b64 v[124:125], off, off offset:376
	s_waitcnt lgkmcnt(1)
	v_fma_f64 v[2:3], v[120:121], v[112:113], v[2:3]
	scratch_load_b128 v[120:123], off, off offset:360
	s_waitcnt vmcnt(5)
	v_fma_f64 v[2:3], v[130:131], v[114:115], v[2:3]
	s_waitcnt lgkmcnt(0)
	s_delay_alu instid0(VALU_DEP_1) | instskip(SKIP_1) | instid1(VALU_DEP_1)
	v_fma_f64 v[2:3], v[132:133], v[116:117], v[2:3]
	s_waitcnt vmcnt(4)
	v_fma_f64 v[2:3], v[104:105], v[118:119], v[2:3]
	ds_load_b128 v[112:115], v1 offset:704
	ds_load_b128 v[116:119], v1 offset:720
	s_waitcnt lgkmcnt(1)
	v_fma_f64 v[2:3], v[106:107], v[112:113], v[2:3]
	s_waitcnt vmcnt(3)
	s_delay_alu instid0(VALU_DEP_1) | instskip(SKIP_1) | instid1(VALU_DEP_1)
	v_fma_f64 v[2:3], v[126:127], v[114:115], v[2:3]
	s_waitcnt lgkmcnt(0)
	v_fma_f64 v[2:3], v[128:129], v[116:117], v[2:3]
	s_waitcnt vmcnt(2)
	s_delay_alu instid0(VALU_DEP_1)
	v_fma_f64 v[108:109], v[108:109], v[118:119], v[2:3]
	ds_load_b128 v[104:107], v1 offset:736
	ds_load_b128 v[1:4], v1 offset:752
	s_waitcnt lgkmcnt(1)
	v_fma_f64 v[104:105], v[110:111], v[104:105], v[108:109]
	s_waitcnt vmcnt(0)
	s_delay_alu instid0(VALU_DEP_1) | instskip(SKIP_1) | instid1(VALU_DEP_1)
	v_fma_f64 v[104:105], v[120:121], v[106:107], v[104:105]
	s_waitcnt lgkmcnt(0)
	v_fma_f64 v[1:2], v[122:123], v[1:2], v[104:105]
	s_delay_alu instid0(VALU_DEP_1) | instskip(NEXT) | instid1(VALU_DEP_1)
	v_fma_f64 v[1:2], v[124:125], v[3:4], v[1:2]
	v_add_f64 v[1:2], v[102:103], -v[1:2]
	scratch_store_b64 off, v[1:2], off offset:216
	v_cmpx_lt_u32_e32 26, v0
	s_cbranch_execz .LBB47_245
; %bb.244:
	scratch_load_b64 v[1:2], off, off offset:208
	v_mov_b32_e32 v3, 0
	s_delay_alu instid0(VALU_DEP_1)
	v_mov_b32_e32 v4, v3
	scratch_store_b64 off, v[3:4], off offset:208
	s_waitcnt vmcnt(0)
	ds_store_b64 v5, v[1:2]
.LBB47_245:
	s_or_b32 exec_lo, exec_lo, s0
	s_waitcnt lgkmcnt(0)
	s_waitcnt_vscnt null, 0x0
	s_barrier
	buffer_gl0_inv
	s_clause 0x4
	scratch_load_b128 v[102:105], off, off offset:208
	scratch_load_b128 v[106:109], off, off offset:224
	;; [unrolled: 1-line block ×5, first 2 shown]
	v_mov_b32_e32 v1, 0
	ds_load_2addr_b64 v[122:125], v1 offset0:75 offset1:76
	ds_load_2addr_b64 v[126:129], v1 offset0:77 offset1:78
	scratch_load_b128 v[130:133], off, off offset:288
	s_mov_b32 s0, exec_lo
	s_waitcnt vmcnt(5) lgkmcnt(1)
	v_fma_f64 v[2:3], v[104:105], v[122:123], 0
	s_waitcnt vmcnt(4)
	s_delay_alu instid0(VALU_DEP_1) | instskip(SKIP_4) | instid1(VALU_DEP_1)
	v_fma_f64 v[2:3], v[106:107], v[124:125], v[2:3]
	scratch_load_b128 v[104:107], off, off offset:304
	s_waitcnt lgkmcnt(0)
	v_fma_f64 v[2:3], v[108:109], v[126:127], v[2:3]
	s_waitcnt vmcnt(4)
	v_fma_f64 v[2:3], v[110:111], v[128:129], v[2:3]
	ds_load_2addr_b64 v[108:111], v1 offset0:79 offset1:80
	ds_load_2addr_b64 v[122:125], v1 offset0:81 offset1:82
	scratch_load_b128 v[126:129], off, off offset:320
	s_waitcnt lgkmcnt(1)
	v_fma_f64 v[2:3], v[112:113], v[108:109], v[2:3]
	s_waitcnt vmcnt(4)
	s_delay_alu instid0(VALU_DEP_1) | instskip(SKIP_4) | instid1(VALU_DEP_1)
	v_fma_f64 v[2:3], v[114:115], v[110:111], v[2:3]
	scratch_load_b128 v[108:111], off, off offset:336
	s_waitcnt lgkmcnt(0)
	v_fma_f64 v[2:3], v[116:117], v[122:123], v[2:3]
	s_waitcnt vmcnt(4)
	v_fma_f64 v[2:3], v[118:119], v[124:125], v[2:3]
	ds_load_2addr_b64 v[112:115], v1 offset0:83 offset1:84
	ds_load_2addr_b64 v[116:119], v1 offset0:85 offset1:86
	s_waitcnt lgkmcnt(1)
	v_fma_f64 v[2:3], v[120:121], v[112:113], v[2:3]
	scratch_load_b128 v[120:123], off, off offset:352
	s_waitcnt vmcnt(4)
	v_fma_f64 v[2:3], v[130:131], v[114:115], v[2:3]
	scratch_load_b128 v[112:115], off, off offset:368
	s_waitcnt lgkmcnt(0)
	v_fma_f64 v[2:3], v[132:133], v[116:117], v[2:3]
	s_waitcnt vmcnt(4)
	s_delay_alu instid0(VALU_DEP_1)
	v_fma_f64 v[2:3], v[104:105], v[118:119], v[2:3]
	ds_load_2addr_b64 v[116:119], v1 offset0:87 offset1:88
	ds_load_2addr_b64 v[130:133], v1 offset0:89 offset1:90
	s_waitcnt lgkmcnt(1)
	v_fma_f64 v[2:3], v[106:107], v[116:117], v[2:3]
	s_waitcnt vmcnt(3)
	s_delay_alu instid0(VALU_DEP_1)
	v_fma_f64 v[2:3], v[126:127], v[118:119], v[2:3]
	ds_load_2addr_b64 v[104:107], v1 offset0:91 offset1:92
	ds_load_2addr_b64 v[116:119], v1 offset0:93 offset1:94
	s_waitcnt lgkmcnt(2)
	v_fma_f64 v[2:3], v[128:129], v[130:131], v[2:3]
	s_waitcnt vmcnt(2)
	s_delay_alu instid0(VALU_DEP_1) | instskip(SKIP_1) | instid1(VALU_DEP_1)
	v_fma_f64 v[2:3], v[108:109], v[132:133], v[2:3]
	s_waitcnt lgkmcnt(1)
	v_fma_f64 v[2:3], v[110:111], v[104:105], v[2:3]
	ds_load_b64 v[104:105], v1 offset:760
	s_waitcnt vmcnt(1)
	v_fma_f64 v[2:3], v[120:121], v[106:107], v[2:3]
	s_waitcnt lgkmcnt(1)
	s_delay_alu instid0(VALU_DEP_1) | instskip(SKIP_1) | instid1(VALU_DEP_1)
	v_fma_f64 v[2:3], v[122:123], v[116:117], v[2:3]
	s_waitcnt vmcnt(0)
	v_fma_f64 v[2:3], v[112:113], v[118:119], v[2:3]
	s_waitcnt lgkmcnt(0)
	s_delay_alu instid0(VALU_DEP_1) | instskip(NEXT) | instid1(VALU_DEP_1)
	v_fma_f64 v[2:3], v[114:115], v[104:105], v[2:3]
	v_add_f64 v[2:3], v[102:103], -v[2:3]
	scratch_store_b64 off, v[2:3], off offset:208
	v_cmpx_lt_u32_e32 25, v0
	s_cbranch_execz .LBB47_247
; %bb.246:
	scratch_load_b64 v[3:4], off, off offset:200
	v_mov_b32_e32 v2, v1
	scratch_store_b64 off, v[1:2], off offset:200
	s_waitcnt vmcnt(0)
	ds_store_b64 v5, v[3:4]
.LBB47_247:
	s_or_b32 exec_lo, exec_lo, s0
	s_waitcnt lgkmcnt(0)
	s_waitcnt_vscnt null, 0x0
	s_barrier
	buffer_gl0_inv
	s_clause 0x4
	scratch_load_b128 v[102:105], off, off offset:200
	scratch_load_b128 v[106:109], off, off offset:216
	;; [unrolled: 1-line block ×5, first 2 shown]
	ds_load_b128 v[122:125], v1 offset:592
	ds_load_b128 v[126:129], v1 offset:608
	scratch_load_b128 v[130:133], off, off offset:280
	s_mov_b32 s0, exec_lo
	s_waitcnt vmcnt(5) lgkmcnt(1)
	v_fma_f64 v[2:3], v[104:105], v[122:123], 0
	s_waitcnt vmcnt(4)
	s_delay_alu instid0(VALU_DEP_1) | instskip(SKIP_4) | instid1(VALU_DEP_1)
	v_fma_f64 v[2:3], v[106:107], v[124:125], v[2:3]
	scratch_load_b128 v[104:107], off, off offset:296
	s_waitcnt lgkmcnt(0)
	v_fma_f64 v[2:3], v[108:109], v[126:127], v[2:3]
	s_waitcnt vmcnt(4)
	v_fma_f64 v[2:3], v[110:111], v[128:129], v[2:3]
	ds_load_b128 v[108:111], v1 offset:624
	ds_load_b128 v[122:125], v1 offset:640
	scratch_load_b128 v[126:129], off, off offset:312
	s_waitcnt lgkmcnt(1)
	v_fma_f64 v[2:3], v[112:113], v[108:109], v[2:3]
	s_waitcnt vmcnt(4)
	s_delay_alu instid0(VALU_DEP_1) | instskip(SKIP_4) | instid1(VALU_DEP_1)
	v_fma_f64 v[2:3], v[114:115], v[110:111], v[2:3]
	scratch_load_b128 v[108:111], off, off offset:328
	s_waitcnt lgkmcnt(0)
	v_fma_f64 v[2:3], v[116:117], v[122:123], v[2:3]
	s_waitcnt vmcnt(4)
	v_fma_f64 v[2:3], v[118:119], v[124:125], v[2:3]
	ds_load_b128 v[112:115], v1 offset:656
	ds_load_b128 v[116:119], v1 offset:672
	s_waitcnt lgkmcnt(1)
	v_fma_f64 v[2:3], v[120:121], v[112:113], v[2:3]
	scratch_load_b128 v[120:123], off, off offset:344
	s_waitcnt vmcnt(4)
	v_fma_f64 v[2:3], v[130:131], v[114:115], v[2:3]
	scratch_load_b128 v[112:115], off, off offset:360
	s_waitcnt lgkmcnt(0)
	v_fma_f64 v[2:3], v[132:133], v[116:117], v[2:3]
	s_waitcnt vmcnt(4)
	s_delay_alu instid0(VALU_DEP_1)
	v_fma_f64 v[2:3], v[104:105], v[118:119], v[2:3]
	ds_load_b128 v[116:119], v1 offset:688
	ds_load_b128 v[130:133], v1 offset:704
	scratch_load_b64 v[124:125], off, off offset:376
	s_waitcnt lgkmcnt(1)
	v_fma_f64 v[2:3], v[106:107], v[116:117], v[2:3]
	s_waitcnt vmcnt(4)
	s_delay_alu instid0(VALU_DEP_1)
	v_fma_f64 v[2:3], v[126:127], v[118:119], v[2:3]
	ds_load_b128 v[104:107], v1 offset:720
	ds_load_b128 v[116:119], v1 offset:736
	s_waitcnt lgkmcnt(2)
	v_fma_f64 v[2:3], v[128:129], v[130:131], v[2:3]
	s_waitcnt vmcnt(3)
	s_delay_alu instid0(VALU_DEP_1) | instskip(SKIP_1) | instid1(VALU_DEP_1)
	v_fma_f64 v[2:3], v[108:109], v[132:133], v[2:3]
	s_waitcnt lgkmcnt(1)
	v_fma_f64 v[2:3], v[110:111], v[104:105], v[2:3]
	s_waitcnt vmcnt(2)
	s_delay_alu instid0(VALU_DEP_1) | instskip(SKIP_1) | instid1(VALU_DEP_1)
	v_fma_f64 v[2:3], v[120:121], v[106:107], v[2:3]
	s_waitcnt lgkmcnt(0)
	v_fma_f64 v[2:3], v[122:123], v[116:117], v[2:3]
	s_waitcnt vmcnt(1)
	s_delay_alu instid0(VALU_DEP_1) | instskip(SKIP_4) | instid1(VALU_DEP_1)
	v_fma_f64 v[104:105], v[112:113], v[118:119], v[2:3]
	ds_load_b128 v[1:4], v1 offset:752
	s_waitcnt lgkmcnt(0)
	v_fma_f64 v[1:2], v[114:115], v[1:2], v[104:105]
	s_waitcnt vmcnt(0)
	v_fma_f64 v[1:2], v[124:125], v[3:4], v[1:2]
	s_delay_alu instid0(VALU_DEP_1)
	v_add_f64 v[1:2], v[102:103], -v[1:2]
	scratch_store_b64 off, v[1:2], off offset:200
	v_cmpx_lt_u32_e32 24, v0
	s_cbranch_execz .LBB47_249
; %bb.248:
	scratch_load_b64 v[1:2], off, off offset:192
	v_mov_b32_e32 v3, 0
	s_delay_alu instid0(VALU_DEP_1)
	v_mov_b32_e32 v4, v3
	scratch_store_b64 off, v[3:4], off offset:192
	s_waitcnt vmcnt(0)
	ds_store_b64 v5, v[1:2]
.LBB47_249:
	s_or_b32 exec_lo, exec_lo, s0
	s_waitcnt lgkmcnt(0)
	s_waitcnt_vscnt null, 0x0
	s_barrier
	buffer_gl0_inv
	s_clause 0x4
	scratch_load_b128 v[102:105], off, off offset:192
	scratch_load_b128 v[106:109], off, off offset:208
	;; [unrolled: 1-line block ×5, first 2 shown]
	v_mov_b32_e32 v1, 0
	ds_load_2addr_b64 v[122:125], v1 offset0:73 offset1:74
	ds_load_2addr_b64 v[126:129], v1 offset0:75 offset1:76
	scratch_load_b128 v[130:133], off, off offset:272
	s_mov_b32 s0, exec_lo
	s_waitcnt vmcnt(5) lgkmcnt(1)
	v_fma_f64 v[2:3], v[104:105], v[122:123], 0
	s_waitcnt vmcnt(4)
	s_delay_alu instid0(VALU_DEP_1) | instskip(SKIP_4) | instid1(VALU_DEP_1)
	v_fma_f64 v[2:3], v[106:107], v[124:125], v[2:3]
	scratch_load_b128 v[104:107], off, off offset:288
	s_waitcnt lgkmcnt(0)
	v_fma_f64 v[2:3], v[108:109], v[126:127], v[2:3]
	s_waitcnt vmcnt(4)
	v_fma_f64 v[2:3], v[110:111], v[128:129], v[2:3]
	ds_load_2addr_b64 v[108:111], v1 offset0:77 offset1:78
	ds_load_2addr_b64 v[122:125], v1 offset0:79 offset1:80
	scratch_load_b128 v[126:129], off, off offset:304
	s_waitcnt lgkmcnt(1)
	v_fma_f64 v[2:3], v[112:113], v[108:109], v[2:3]
	s_waitcnt vmcnt(4)
	s_delay_alu instid0(VALU_DEP_1) | instskip(SKIP_4) | instid1(VALU_DEP_1)
	v_fma_f64 v[2:3], v[114:115], v[110:111], v[2:3]
	scratch_load_b128 v[108:111], off, off offset:320
	s_waitcnt lgkmcnt(0)
	v_fma_f64 v[2:3], v[116:117], v[122:123], v[2:3]
	s_waitcnt vmcnt(4)
	v_fma_f64 v[2:3], v[118:119], v[124:125], v[2:3]
	ds_load_2addr_b64 v[112:115], v1 offset0:81 offset1:82
	ds_load_2addr_b64 v[116:119], v1 offset0:83 offset1:84
	s_waitcnt lgkmcnt(1)
	v_fma_f64 v[2:3], v[120:121], v[112:113], v[2:3]
	scratch_load_b128 v[120:123], off, off offset:336
	s_waitcnt vmcnt(4)
	v_fma_f64 v[2:3], v[130:131], v[114:115], v[2:3]
	scratch_load_b128 v[112:115], off, off offset:352
	s_waitcnt lgkmcnt(0)
	v_fma_f64 v[2:3], v[132:133], v[116:117], v[2:3]
	s_waitcnt vmcnt(4)
	s_delay_alu instid0(VALU_DEP_1)
	v_fma_f64 v[2:3], v[104:105], v[118:119], v[2:3]
	ds_load_2addr_b64 v[116:119], v1 offset0:85 offset1:86
	ds_load_2addr_b64 v[130:133], v1 offset0:87 offset1:88
	s_waitcnt lgkmcnt(1)
	v_fma_f64 v[2:3], v[106:107], v[116:117], v[2:3]
	scratch_load_b128 v[104:107], off, off offset:368
	s_waitcnt vmcnt(4)
	v_fma_f64 v[2:3], v[126:127], v[118:119], v[2:3]
	ds_load_2addr_b64 v[116:119], v1 offset0:89 offset1:90
	ds_load_2addr_b64 v[124:127], v1 offset0:91 offset1:92
	s_waitcnt lgkmcnt(2)
	v_fma_f64 v[2:3], v[128:129], v[130:131], v[2:3]
	s_waitcnt vmcnt(3)
	s_delay_alu instid0(VALU_DEP_1) | instskip(SKIP_1) | instid1(VALU_DEP_1)
	v_fma_f64 v[2:3], v[108:109], v[132:133], v[2:3]
	s_waitcnt lgkmcnt(1)
	v_fma_f64 v[2:3], v[110:111], v[116:117], v[2:3]
	s_waitcnt vmcnt(2)
	s_delay_alu instid0(VALU_DEP_1) | instskip(SKIP_1) | instid1(VALU_DEP_1)
	v_fma_f64 v[2:3], v[120:121], v[118:119], v[2:3]
	s_waitcnt lgkmcnt(0)
	v_fma_f64 v[2:3], v[122:123], v[124:125], v[2:3]
	s_waitcnt vmcnt(1)
	s_delay_alu instid0(VALU_DEP_1)
	v_fma_f64 v[2:3], v[112:113], v[126:127], v[2:3]
	ds_load_2addr_b64 v[108:111], v1 offset0:93 offset1:94
	ds_load_b64 v[112:113], v1 offset:760
	s_waitcnt lgkmcnt(1)
	v_fma_f64 v[2:3], v[114:115], v[108:109], v[2:3]
	s_waitcnt vmcnt(0)
	s_delay_alu instid0(VALU_DEP_1) | instskip(SKIP_1) | instid1(VALU_DEP_1)
	v_fma_f64 v[2:3], v[104:105], v[110:111], v[2:3]
	s_waitcnt lgkmcnt(0)
	v_fma_f64 v[2:3], v[106:107], v[112:113], v[2:3]
	s_delay_alu instid0(VALU_DEP_1)
	v_add_f64 v[2:3], v[102:103], -v[2:3]
	scratch_store_b64 off, v[2:3], off offset:192
	v_cmpx_lt_u32_e32 23, v0
	s_cbranch_execz .LBB47_251
; %bb.250:
	scratch_load_b64 v[3:4], off, off offset:184
	v_mov_b32_e32 v2, v1
	scratch_store_b64 off, v[1:2], off offset:184
	s_waitcnt vmcnt(0)
	ds_store_b64 v5, v[3:4]
.LBB47_251:
	s_or_b32 exec_lo, exec_lo, s0
	s_waitcnt lgkmcnt(0)
	s_waitcnt_vscnt null, 0x0
	s_barrier
	buffer_gl0_inv
	s_clause 0x4
	scratch_load_b128 v[102:105], off, off offset:184
	scratch_load_b128 v[106:109], off, off offset:200
	;; [unrolled: 1-line block ×5, first 2 shown]
	ds_load_b128 v[122:125], v1 offset:576
	ds_load_b128 v[126:129], v1 offset:592
	scratch_load_b128 v[130:133], off, off offset:264
	s_mov_b32 s0, exec_lo
	s_waitcnt vmcnt(5) lgkmcnt(1)
	v_fma_f64 v[2:3], v[104:105], v[122:123], 0
	s_waitcnt vmcnt(4)
	s_delay_alu instid0(VALU_DEP_1) | instskip(SKIP_4) | instid1(VALU_DEP_1)
	v_fma_f64 v[2:3], v[106:107], v[124:125], v[2:3]
	scratch_load_b128 v[104:107], off, off offset:280
	s_waitcnt lgkmcnt(0)
	v_fma_f64 v[2:3], v[108:109], v[126:127], v[2:3]
	s_waitcnt vmcnt(4)
	v_fma_f64 v[2:3], v[110:111], v[128:129], v[2:3]
	ds_load_b128 v[108:111], v1 offset:608
	ds_load_b128 v[122:125], v1 offset:624
	scratch_load_b128 v[126:129], off, off offset:296
	s_waitcnt lgkmcnt(1)
	v_fma_f64 v[2:3], v[112:113], v[108:109], v[2:3]
	s_waitcnt vmcnt(4)
	s_delay_alu instid0(VALU_DEP_1) | instskip(SKIP_4) | instid1(VALU_DEP_1)
	v_fma_f64 v[2:3], v[114:115], v[110:111], v[2:3]
	scratch_load_b128 v[108:111], off, off offset:312
	s_waitcnt lgkmcnt(0)
	v_fma_f64 v[2:3], v[116:117], v[122:123], v[2:3]
	s_waitcnt vmcnt(4)
	v_fma_f64 v[2:3], v[118:119], v[124:125], v[2:3]
	ds_load_b128 v[112:115], v1 offset:640
	ds_load_b128 v[116:119], v1 offset:656
	s_waitcnt lgkmcnt(1)
	v_fma_f64 v[2:3], v[120:121], v[112:113], v[2:3]
	scratch_load_b128 v[120:123], off, off offset:328
	s_waitcnt vmcnt(4)
	v_fma_f64 v[2:3], v[130:131], v[114:115], v[2:3]
	scratch_load_b128 v[112:115], off, off offset:344
	s_waitcnt lgkmcnt(0)
	v_fma_f64 v[2:3], v[132:133], v[116:117], v[2:3]
	s_waitcnt vmcnt(4)
	s_delay_alu instid0(VALU_DEP_1)
	v_fma_f64 v[2:3], v[104:105], v[118:119], v[2:3]
	ds_load_b128 v[116:119], v1 offset:672
	ds_load_b128 v[130:133], v1 offset:688
	s_waitcnt lgkmcnt(1)
	v_fma_f64 v[2:3], v[106:107], v[116:117], v[2:3]
	scratch_load_b128 v[104:107], off, off offset:360
	s_waitcnt vmcnt(4)
	v_fma_f64 v[2:3], v[126:127], v[118:119], v[2:3]
	s_waitcnt lgkmcnt(0)
	s_delay_alu instid0(VALU_DEP_1)
	v_fma_f64 v[2:3], v[128:129], v[130:131], v[2:3]
	scratch_load_b64 v[128:129], off, off offset:376
	ds_load_b128 v[116:119], v1 offset:704
	ds_load_b128 v[124:127], v1 offset:720
	s_waitcnt vmcnt(4)
	v_fma_f64 v[2:3], v[108:109], v[132:133], v[2:3]
	s_waitcnt lgkmcnt(1)
	s_delay_alu instid0(VALU_DEP_1) | instskip(SKIP_1) | instid1(VALU_DEP_1)
	v_fma_f64 v[2:3], v[110:111], v[116:117], v[2:3]
	s_waitcnt vmcnt(3)
	v_fma_f64 v[2:3], v[120:121], v[118:119], v[2:3]
	s_waitcnt lgkmcnt(0)
	s_delay_alu instid0(VALU_DEP_1) | instskip(SKIP_1) | instid1(VALU_DEP_1)
	v_fma_f64 v[2:3], v[122:123], v[124:125], v[2:3]
	s_waitcnt vmcnt(2)
	v_fma_f64 v[112:113], v[112:113], v[126:127], v[2:3]
	ds_load_b128 v[108:111], v1 offset:736
	ds_load_b128 v[1:4], v1 offset:752
	s_waitcnt lgkmcnt(1)
	v_fma_f64 v[108:109], v[114:115], v[108:109], v[112:113]
	s_waitcnt vmcnt(1)
	s_delay_alu instid0(VALU_DEP_1) | instskip(SKIP_1) | instid1(VALU_DEP_1)
	v_fma_f64 v[104:105], v[104:105], v[110:111], v[108:109]
	s_waitcnt lgkmcnt(0)
	v_fma_f64 v[1:2], v[106:107], v[1:2], v[104:105]
	s_waitcnt vmcnt(0)
	s_delay_alu instid0(VALU_DEP_1) | instskip(NEXT) | instid1(VALU_DEP_1)
	v_fma_f64 v[1:2], v[128:129], v[3:4], v[1:2]
	v_add_f64 v[1:2], v[102:103], -v[1:2]
	scratch_store_b64 off, v[1:2], off offset:184
	v_cmpx_lt_u32_e32 22, v0
	s_cbranch_execz .LBB47_253
; %bb.252:
	scratch_load_b64 v[1:2], off, off offset:176
	v_mov_b32_e32 v3, 0
	s_delay_alu instid0(VALU_DEP_1)
	v_mov_b32_e32 v4, v3
	scratch_store_b64 off, v[3:4], off offset:176
	s_waitcnt vmcnt(0)
	ds_store_b64 v5, v[1:2]
.LBB47_253:
	s_or_b32 exec_lo, exec_lo, s0
	s_waitcnt lgkmcnt(0)
	s_waitcnt_vscnt null, 0x0
	s_barrier
	buffer_gl0_inv
	s_clause 0x4
	scratch_load_b128 v[102:105], off, off offset:176
	scratch_load_b128 v[106:109], off, off offset:192
	scratch_load_b128 v[110:113], off, off offset:208
	scratch_load_b128 v[114:117], off, off offset:224
	scratch_load_b128 v[118:121], off, off offset:240
	v_mov_b32_e32 v1, 0
	ds_load_2addr_b64 v[122:125], v1 offset0:71 offset1:72
	ds_load_2addr_b64 v[126:129], v1 offset0:73 offset1:74
	scratch_load_b128 v[130:133], off, off offset:256
	s_mov_b32 s0, exec_lo
	s_waitcnt vmcnt(5) lgkmcnt(1)
	v_fma_f64 v[2:3], v[104:105], v[122:123], 0
	s_waitcnt vmcnt(4)
	s_delay_alu instid0(VALU_DEP_1) | instskip(SKIP_4) | instid1(VALU_DEP_1)
	v_fma_f64 v[2:3], v[106:107], v[124:125], v[2:3]
	scratch_load_b128 v[104:107], off, off offset:272
	s_waitcnt lgkmcnt(0)
	v_fma_f64 v[2:3], v[108:109], v[126:127], v[2:3]
	s_waitcnt vmcnt(4)
	v_fma_f64 v[2:3], v[110:111], v[128:129], v[2:3]
	ds_load_2addr_b64 v[108:111], v1 offset0:75 offset1:76
	ds_load_2addr_b64 v[122:125], v1 offset0:77 offset1:78
	scratch_load_b128 v[126:129], off, off offset:288
	s_waitcnt lgkmcnt(1)
	v_fma_f64 v[2:3], v[112:113], v[108:109], v[2:3]
	s_waitcnt vmcnt(4)
	s_delay_alu instid0(VALU_DEP_1) | instskip(SKIP_4) | instid1(VALU_DEP_1)
	v_fma_f64 v[2:3], v[114:115], v[110:111], v[2:3]
	scratch_load_b128 v[108:111], off, off offset:304
	s_waitcnt lgkmcnt(0)
	v_fma_f64 v[2:3], v[116:117], v[122:123], v[2:3]
	s_waitcnt vmcnt(4)
	v_fma_f64 v[2:3], v[118:119], v[124:125], v[2:3]
	ds_load_2addr_b64 v[112:115], v1 offset0:79 offset1:80
	ds_load_2addr_b64 v[116:119], v1 offset0:81 offset1:82
	s_waitcnt lgkmcnt(1)
	v_fma_f64 v[2:3], v[120:121], v[112:113], v[2:3]
	scratch_load_b128 v[120:123], off, off offset:320
	s_waitcnt vmcnt(4)
	v_fma_f64 v[2:3], v[130:131], v[114:115], v[2:3]
	scratch_load_b128 v[112:115], off, off offset:336
	s_waitcnt lgkmcnt(0)
	v_fma_f64 v[2:3], v[132:133], v[116:117], v[2:3]
	s_waitcnt vmcnt(4)
	s_delay_alu instid0(VALU_DEP_1)
	v_fma_f64 v[2:3], v[104:105], v[118:119], v[2:3]
	ds_load_2addr_b64 v[116:119], v1 offset0:83 offset1:84
	ds_load_2addr_b64 v[130:133], v1 offset0:85 offset1:86
	s_waitcnt lgkmcnt(1)
	v_fma_f64 v[2:3], v[106:107], v[116:117], v[2:3]
	scratch_load_b128 v[104:107], off, off offset:352
	s_waitcnt vmcnt(4)
	v_fma_f64 v[2:3], v[126:127], v[118:119], v[2:3]
	scratch_load_b128 v[116:119], off, off offset:368
	s_waitcnt lgkmcnt(0)
	v_fma_f64 v[2:3], v[128:129], v[130:131], v[2:3]
	ds_load_2addr_b64 v[124:127], v1 offset0:87 offset1:88
	ds_load_2addr_b64 v[128:131], v1 offset0:89 offset1:90
	s_waitcnt vmcnt(4)
	v_fma_f64 v[2:3], v[108:109], v[132:133], v[2:3]
	s_waitcnt lgkmcnt(1)
	s_delay_alu instid0(VALU_DEP_1) | instskip(SKIP_1) | instid1(VALU_DEP_1)
	v_fma_f64 v[2:3], v[110:111], v[124:125], v[2:3]
	s_waitcnt vmcnt(3)
	v_fma_f64 v[2:3], v[120:121], v[126:127], v[2:3]
	s_waitcnt lgkmcnt(0)
	s_delay_alu instid0(VALU_DEP_1)
	v_fma_f64 v[2:3], v[122:123], v[128:129], v[2:3]
	ds_load_2addr_b64 v[108:111], v1 offset0:91 offset1:92
	ds_load_2addr_b64 v[120:123], v1 offset0:93 offset1:94
	s_waitcnt vmcnt(2)
	v_fma_f64 v[2:3], v[112:113], v[130:131], v[2:3]
	s_waitcnt lgkmcnt(1)
	s_delay_alu instid0(VALU_DEP_1) | instskip(SKIP_1) | instid1(VALU_DEP_1)
	v_fma_f64 v[2:3], v[114:115], v[108:109], v[2:3]
	s_waitcnt vmcnt(1)
	v_fma_f64 v[2:3], v[104:105], v[110:111], v[2:3]
	ds_load_b64 v[104:105], v1 offset:760
	s_waitcnt lgkmcnt(1)
	v_fma_f64 v[2:3], v[106:107], v[120:121], v[2:3]
	s_waitcnt vmcnt(0)
	s_delay_alu instid0(VALU_DEP_1) | instskip(SKIP_1) | instid1(VALU_DEP_1)
	v_fma_f64 v[2:3], v[116:117], v[122:123], v[2:3]
	s_waitcnt lgkmcnt(0)
	v_fma_f64 v[2:3], v[118:119], v[104:105], v[2:3]
	s_delay_alu instid0(VALU_DEP_1)
	v_add_f64 v[2:3], v[102:103], -v[2:3]
	scratch_store_b64 off, v[2:3], off offset:176
	v_cmpx_lt_u32_e32 21, v0
	s_cbranch_execz .LBB47_255
; %bb.254:
	scratch_load_b64 v[3:4], off, off offset:168
	v_mov_b32_e32 v2, v1
	scratch_store_b64 off, v[1:2], off offset:168
	s_waitcnt vmcnt(0)
	ds_store_b64 v5, v[3:4]
.LBB47_255:
	s_or_b32 exec_lo, exec_lo, s0
	s_waitcnt lgkmcnt(0)
	s_waitcnt_vscnt null, 0x0
	s_barrier
	buffer_gl0_inv
	s_clause 0x4
	scratch_load_b128 v[102:105], off, off offset:168
	scratch_load_b128 v[106:109], off, off offset:184
	;; [unrolled: 1-line block ×5, first 2 shown]
	ds_load_b128 v[122:125], v1 offset:560
	ds_load_b128 v[126:129], v1 offset:576
	scratch_load_b128 v[130:133], off, off offset:248
	s_mov_b32 s0, exec_lo
	s_waitcnt vmcnt(5) lgkmcnt(1)
	v_fma_f64 v[2:3], v[104:105], v[122:123], 0
	s_waitcnt vmcnt(4)
	s_delay_alu instid0(VALU_DEP_1) | instskip(SKIP_4) | instid1(VALU_DEP_1)
	v_fma_f64 v[2:3], v[106:107], v[124:125], v[2:3]
	scratch_load_b128 v[104:107], off, off offset:264
	s_waitcnt lgkmcnt(0)
	v_fma_f64 v[2:3], v[108:109], v[126:127], v[2:3]
	s_waitcnt vmcnt(4)
	v_fma_f64 v[2:3], v[110:111], v[128:129], v[2:3]
	ds_load_b128 v[108:111], v1 offset:592
	ds_load_b128 v[122:125], v1 offset:608
	scratch_load_b128 v[126:129], off, off offset:280
	s_waitcnt lgkmcnt(1)
	v_fma_f64 v[2:3], v[112:113], v[108:109], v[2:3]
	s_waitcnt vmcnt(4)
	s_delay_alu instid0(VALU_DEP_1) | instskip(SKIP_4) | instid1(VALU_DEP_1)
	v_fma_f64 v[2:3], v[114:115], v[110:111], v[2:3]
	scratch_load_b128 v[108:111], off, off offset:296
	s_waitcnt lgkmcnt(0)
	v_fma_f64 v[2:3], v[116:117], v[122:123], v[2:3]
	s_waitcnt vmcnt(4)
	v_fma_f64 v[2:3], v[118:119], v[124:125], v[2:3]
	ds_load_b128 v[112:115], v1 offset:624
	ds_load_b128 v[116:119], v1 offset:640
	s_waitcnt lgkmcnt(1)
	v_fma_f64 v[2:3], v[120:121], v[112:113], v[2:3]
	scratch_load_b128 v[120:123], off, off offset:312
	s_waitcnt vmcnt(4)
	v_fma_f64 v[2:3], v[130:131], v[114:115], v[2:3]
	scratch_load_b128 v[112:115], off, off offset:328
	s_waitcnt lgkmcnt(0)
	v_fma_f64 v[2:3], v[132:133], v[116:117], v[2:3]
	s_waitcnt vmcnt(4)
	s_delay_alu instid0(VALU_DEP_1)
	v_fma_f64 v[2:3], v[104:105], v[118:119], v[2:3]
	ds_load_b128 v[116:119], v1 offset:656
	ds_load_b128 v[130:133], v1 offset:672
	s_waitcnt lgkmcnt(1)
	v_fma_f64 v[2:3], v[106:107], v[116:117], v[2:3]
	scratch_load_b128 v[104:107], off, off offset:344
	s_waitcnt vmcnt(4)
	v_fma_f64 v[2:3], v[126:127], v[118:119], v[2:3]
	scratch_load_b128 v[116:119], off, off offset:360
	s_waitcnt lgkmcnt(0)
	v_fma_f64 v[2:3], v[128:129], v[130:131], v[2:3]
	ds_load_b128 v[124:127], v1 offset:688
	ds_load_b128 v[128:131], v1 offset:704
	s_waitcnt vmcnt(4)
	v_fma_f64 v[2:3], v[108:109], v[132:133], v[2:3]
	s_waitcnt lgkmcnt(1)
	s_delay_alu instid0(VALU_DEP_1) | instskip(SKIP_4) | instid1(VALU_DEP_1)
	v_fma_f64 v[2:3], v[110:111], v[124:125], v[2:3]
	scratch_load_b64 v[124:125], off, off offset:376
	s_waitcnt vmcnt(4)
	v_fma_f64 v[2:3], v[120:121], v[126:127], v[2:3]
	s_waitcnt lgkmcnt(0)
	v_fma_f64 v[2:3], v[122:123], v[128:129], v[2:3]
	ds_load_b128 v[108:111], v1 offset:720
	ds_load_b128 v[120:123], v1 offset:736
	s_waitcnt vmcnt(3)
	v_fma_f64 v[2:3], v[112:113], v[130:131], v[2:3]
	s_waitcnt lgkmcnt(1)
	s_delay_alu instid0(VALU_DEP_1) | instskip(SKIP_1) | instid1(VALU_DEP_1)
	v_fma_f64 v[2:3], v[114:115], v[108:109], v[2:3]
	s_waitcnt vmcnt(2)
	v_fma_f64 v[2:3], v[104:105], v[110:111], v[2:3]
	s_waitcnt lgkmcnt(0)
	s_delay_alu instid0(VALU_DEP_1) | instskip(SKIP_1) | instid1(VALU_DEP_1)
	v_fma_f64 v[2:3], v[106:107], v[120:121], v[2:3]
	s_waitcnt vmcnt(1)
	v_fma_f64 v[104:105], v[116:117], v[122:123], v[2:3]
	ds_load_b128 v[1:4], v1 offset:752
	s_waitcnt lgkmcnt(0)
	v_fma_f64 v[1:2], v[118:119], v[1:2], v[104:105]
	s_waitcnt vmcnt(0)
	s_delay_alu instid0(VALU_DEP_1) | instskip(NEXT) | instid1(VALU_DEP_1)
	v_fma_f64 v[1:2], v[124:125], v[3:4], v[1:2]
	v_add_f64 v[1:2], v[102:103], -v[1:2]
	scratch_store_b64 off, v[1:2], off offset:168
	v_cmpx_lt_u32_e32 20, v0
	s_cbranch_execz .LBB47_257
; %bb.256:
	scratch_load_b64 v[1:2], off, off offset:160
	v_mov_b32_e32 v3, 0
	s_delay_alu instid0(VALU_DEP_1)
	v_mov_b32_e32 v4, v3
	scratch_store_b64 off, v[3:4], off offset:160
	s_waitcnt vmcnt(0)
	ds_store_b64 v5, v[1:2]
.LBB47_257:
	s_or_b32 exec_lo, exec_lo, s0
	s_waitcnt lgkmcnt(0)
	s_waitcnt_vscnt null, 0x0
	s_barrier
	buffer_gl0_inv
	s_clause 0x4
	scratch_load_b128 v[102:105], off, off offset:160
	scratch_load_b128 v[106:109], off, off offset:176
	;; [unrolled: 1-line block ×5, first 2 shown]
	v_mov_b32_e32 v1, 0
	ds_load_2addr_b64 v[122:125], v1 offset0:69 offset1:70
	ds_load_2addr_b64 v[126:129], v1 offset0:71 offset1:72
	scratch_load_b128 v[130:133], off, off offset:240
	s_mov_b32 s0, exec_lo
	s_waitcnt vmcnt(5) lgkmcnt(1)
	v_fma_f64 v[2:3], v[104:105], v[122:123], 0
	s_waitcnt vmcnt(4)
	s_delay_alu instid0(VALU_DEP_1) | instskip(SKIP_4) | instid1(VALU_DEP_1)
	v_fma_f64 v[2:3], v[106:107], v[124:125], v[2:3]
	scratch_load_b128 v[104:107], off, off offset:256
	s_waitcnt lgkmcnt(0)
	v_fma_f64 v[2:3], v[108:109], v[126:127], v[2:3]
	s_waitcnt vmcnt(4)
	v_fma_f64 v[2:3], v[110:111], v[128:129], v[2:3]
	ds_load_2addr_b64 v[108:111], v1 offset0:73 offset1:74
	ds_load_2addr_b64 v[122:125], v1 offset0:75 offset1:76
	scratch_load_b128 v[126:129], off, off offset:272
	s_waitcnt lgkmcnt(1)
	v_fma_f64 v[2:3], v[112:113], v[108:109], v[2:3]
	s_waitcnt vmcnt(4)
	s_delay_alu instid0(VALU_DEP_1) | instskip(SKIP_4) | instid1(VALU_DEP_1)
	v_fma_f64 v[2:3], v[114:115], v[110:111], v[2:3]
	scratch_load_b128 v[108:111], off, off offset:288
	s_waitcnt lgkmcnt(0)
	v_fma_f64 v[2:3], v[116:117], v[122:123], v[2:3]
	s_waitcnt vmcnt(4)
	v_fma_f64 v[2:3], v[118:119], v[124:125], v[2:3]
	ds_load_2addr_b64 v[112:115], v1 offset0:77 offset1:78
	ds_load_2addr_b64 v[116:119], v1 offset0:79 offset1:80
	s_waitcnt lgkmcnt(1)
	v_fma_f64 v[2:3], v[120:121], v[112:113], v[2:3]
	scratch_load_b128 v[120:123], off, off offset:304
	s_waitcnt vmcnt(4)
	v_fma_f64 v[2:3], v[130:131], v[114:115], v[2:3]
	scratch_load_b128 v[112:115], off, off offset:320
	s_waitcnt lgkmcnt(0)
	v_fma_f64 v[2:3], v[132:133], v[116:117], v[2:3]
	s_waitcnt vmcnt(4)
	s_delay_alu instid0(VALU_DEP_1)
	v_fma_f64 v[2:3], v[104:105], v[118:119], v[2:3]
	ds_load_2addr_b64 v[116:119], v1 offset0:81 offset1:82
	ds_load_2addr_b64 v[130:133], v1 offset0:83 offset1:84
	s_waitcnt lgkmcnt(1)
	v_fma_f64 v[2:3], v[106:107], v[116:117], v[2:3]
	scratch_load_b128 v[104:107], off, off offset:336
	s_waitcnt vmcnt(4)
	v_fma_f64 v[2:3], v[126:127], v[118:119], v[2:3]
	scratch_load_b128 v[116:119], off, off offset:352
	s_waitcnt lgkmcnt(0)
	v_fma_f64 v[2:3], v[128:129], v[130:131], v[2:3]
	ds_load_2addr_b64 v[124:127], v1 offset0:85 offset1:86
	ds_load_2addr_b64 v[128:131], v1 offset0:87 offset1:88
	s_waitcnt vmcnt(4)
	v_fma_f64 v[2:3], v[108:109], v[132:133], v[2:3]
	s_waitcnt lgkmcnt(1)
	s_delay_alu instid0(VALU_DEP_1) | instskip(SKIP_4) | instid1(VALU_DEP_1)
	v_fma_f64 v[2:3], v[110:111], v[124:125], v[2:3]
	scratch_load_b128 v[108:111], off, off offset:368
	s_waitcnt vmcnt(4)
	v_fma_f64 v[2:3], v[120:121], v[126:127], v[2:3]
	s_waitcnt lgkmcnt(0)
	v_fma_f64 v[2:3], v[122:123], v[128:129], v[2:3]
	ds_load_2addr_b64 v[120:123], v1 offset0:89 offset1:90
	ds_load_2addr_b64 v[124:127], v1 offset0:91 offset1:92
	s_waitcnt vmcnt(3)
	v_fma_f64 v[2:3], v[112:113], v[130:131], v[2:3]
	s_waitcnt lgkmcnt(1)
	s_delay_alu instid0(VALU_DEP_1) | instskip(SKIP_1) | instid1(VALU_DEP_1)
	v_fma_f64 v[2:3], v[114:115], v[120:121], v[2:3]
	s_waitcnt vmcnt(2)
	v_fma_f64 v[2:3], v[104:105], v[122:123], v[2:3]
	s_waitcnt lgkmcnt(0)
	s_delay_alu instid0(VALU_DEP_1)
	v_fma_f64 v[2:3], v[106:107], v[124:125], v[2:3]
	ds_load_2addr_b64 v[104:107], v1 offset0:93 offset1:94
	ds_load_b64 v[112:113], v1 offset:760
	s_waitcnt vmcnt(1)
	v_fma_f64 v[2:3], v[116:117], v[126:127], v[2:3]
	s_waitcnt lgkmcnt(1)
	s_delay_alu instid0(VALU_DEP_1) | instskip(SKIP_1) | instid1(VALU_DEP_1)
	v_fma_f64 v[2:3], v[118:119], v[104:105], v[2:3]
	s_waitcnt vmcnt(0)
	v_fma_f64 v[2:3], v[108:109], v[106:107], v[2:3]
	s_waitcnt lgkmcnt(0)
	s_delay_alu instid0(VALU_DEP_1) | instskip(NEXT) | instid1(VALU_DEP_1)
	v_fma_f64 v[2:3], v[110:111], v[112:113], v[2:3]
	v_add_f64 v[2:3], v[102:103], -v[2:3]
	scratch_store_b64 off, v[2:3], off offset:160
	v_cmpx_lt_u32_e32 19, v0
	s_cbranch_execz .LBB47_259
; %bb.258:
	scratch_load_b64 v[3:4], off, off offset:152
	v_mov_b32_e32 v2, v1
	scratch_store_b64 off, v[1:2], off offset:152
	s_waitcnt vmcnt(0)
	ds_store_b64 v5, v[3:4]
.LBB47_259:
	s_or_b32 exec_lo, exec_lo, s0
	s_waitcnt lgkmcnt(0)
	s_waitcnt_vscnt null, 0x0
	s_barrier
	buffer_gl0_inv
	s_clause 0x4
	scratch_load_b128 v[102:105], off, off offset:152
	scratch_load_b128 v[106:109], off, off offset:168
	;; [unrolled: 1-line block ×5, first 2 shown]
	ds_load_b128 v[122:125], v1 offset:544
	ds_load_b128 v[126:129], v1 offset:560
	scratch_load_b128 v[130:133], off, off offset:232
	s_mov_b32 s0, exec_lo
	s_waitcnt vmcnt(5) lgkmcnt(1)
	v_fma_f64 v[2:3], v[104:105], v[122:123], 0
	s_waitcnt vmcnt(4)
	s_delay_alu instid0(VALU_DEP_1) | instskip(SKIP_4) | instid1(VALU_DEP_1)
	v_fma_f64 v[2:3], v[106:107], v[124:125], v[2:3]
	scratch_load_b128 v[104:107], off, off offset:248
	s_waitcnt lgkmcnt(0)
	v_fma_f64 v[2:3], v[108:109], v[126:127], v[2:3]
	s_waitcnt vmcnt(4)
	v_fma_f64 v[2:3], v[110:111], v[128:129], v[2:3]
	ds_load_b128 v[108:111], v1 offset:576
	ds_load_b128 v[122:125], v1 offset:592
	scratch_load_b128 v[126:129], off, off offset:264
	s_waitcnt lgkmcnt(1)
	v_fma_f64 v[2:3], v[112:113], v[108:109], v[2:3]
	s_waitcnt vmcnt(4)
	s_delay_alu instid0(VALU_DEP_1) | instskip(SKIP_4) | instid1(VALU_DEP_1)
	v_fma_f64 v[2:3], v[114:115], v[110:111], v[2:3]
	scratch_load_b128 v[108:111], off, off offset:280
	s_waitcnt lgkmcnt(0)
	v_fma_f64 v[2:3], v[116:117], v[122:123], v[2:3]
	s_waitcnt vmcnt(4)
	v_fma_f64 v[2:3], v[118:119], v[124:125], v[2:3]
	ds_load_b128 v[112:115], v1 offset:608
	ds_load_b128 v[116:119], v1 offset:624
	s_waitcnt lgkmcnt(1)
	v_fma_f64 v[2:3], v[120:121], v[112:113], v[2:3]
	scratch_load_b128 v[120:123], off, off offset:296
	s_waitcnt vmcnt(4)
	v_fma_f64 v[2:3], v[130:131], v[114:115], v[2:3]
	scratch_load_b128 v[112:115], off, off offset:312
	s_waitcnt lgkmcnt(0)
	v_fma_f64 v[2:3], v[132:133], v[116:117], v[2:3]
	s_waitcnt vmcnt(4)
	s_delay_alu instid0(VALU_DEP_1)
	v_fma_f64 v[2:3], v[104:105], v[118:119], v[2:3]
	ds_load_b128 v[116:119], v1 offset:640
	ds_load_b128 v[130:133], v1 offset:656
	s_waitcnt lgkmcnt(1)
	v_fma_f64 v[2:3], v[106:107], v[116:117], v[2:3]
	scratch_load_b128 v[104:107], off, off offset:328
	s_waitcnt vmcnt(4)
	v_fma_f64 v[2:3], v[126:127], v[118:119], v[2:3]
	scratch_load_b128 v[116:119], off, off offset:344
	s_waitcnt lgkmcnt(0)
	v_fma_f64 v[2:3], v[128:129], v[130:131], v[2:3]
	ds_load_b128 v[124:127], v1 offset:672
	ds_load_b128 v[128:131], v1 offset:688
	s_waitcnt vmcnt(4)
	v_fma_f64 v[2:3], v[108:109], v[132:133], v[2:3]
	s_waitcnt lgkmcnt(1)
	s_delay_alu instid0(VALU_DEP_1) | instskip(SKIP_4) | instid1(VALU_DEP_1)
	v_fma_f64 v[2:3], v[110:111], v[124:125], v[2:3]
	scratch_load_b128 v[108:111], off, off offset:360
	s_waitcnt vmcnt(4)
	v_fma_f64 v[2:3], v[120:121], v[126:127], v[2:3]
	s_waitcnt lgkmcnt(0)
	v_fma_f64 v[2:3], v[122:123], v[128:129], v[2:3]
	scratch_load_b64 v[128:129], off, off offset:376
	ds_load_b128 v[120:123], v1 offset:704
	ds_load_b128 v[124:127], v1 offset:720
	s_waitcnt vmcnt(4)
	v_fma_f64 v[2:3], v[112:113], v[130:131], v[2:3]
	s_waitcnt lgkmcnt(1)
	s_delay_alu instid0(VALU_DEP_1) | instskip(SKIP_1) | instid1(VALU_DEP_1)
	v_fma_f64 v[2:3], v[114:115], v[120:121], v[2:3]
	s_waitcnt vmcnt(3)
	v_fma_f64 v[2:3], v[104:105], v[122:123], v[2:3]
	s_waitcnt lgkmcnt(0)
	s_delay_alu instid0(VALU_DEP_1) | instskip(SKIP_1) | instid1(VALU_DEP_1)
	v_fma_f64 v[2:3], v[106:107], v[124:125], v[2:3]
	s_waitcnt vmcnt(2)
	v_fma_f64 v[112:113], v[116:117], v[126:127], v[2:3]
	ds_load_b128 v[104:107], v1 offset:736
	ds_load_b128 v[1:4], v1 offset:752
	s_waitcnt lgkmcnt(1)
	v_fma_f64 v[104:105], v[118:119], v[104:105], v[112:113]
	s_waitcnt vmcnt(1)
	s_delay_alu instid0(VALU_DEP_1) | instskip(SKIP_1) | instid1(VALU_DEP_1)
	v_fma_f64 v[104:105], v[108:109], v[106:107], v[104:105]
	s_waitcnt lgkmcnt(0)
	v_fma_f64 v[1:2], v[110:111], v[1:2], v[104:105]
	s_waitcnt vmcnt(0)
	s_delay_alu instid0(VALU_DEP_1) | instskip(NEXT) | instid1(VALU_DEP_1)
	v_fma_f64 v[1:2], v[128:129], v[3:4], v[1:2]
	v_add_f64 v[1:2], v[102:103], -v[1:2]
	scratch_store_b64 off, v[1:2], off offset:152
	v_cmpx_lt_u32_e32 18, v0
	s_cbranch_execz .LBB47_261
; %bb.260:
	scratch_load_b64 v[1:2], off, off offset:144
	v_mov_b32_e32 v3, 0
	s_delay_alu instid0(VALU_DEP_1)
	v_mov_b32_e32 v4, v3
	scratch_store_b64 off, v[3:4], off offset:144
	s_waitcnt vmcnt(0)
	ds_store_b64 v5, v[1:2]
.LBB47_261:
	s_or_b32 exec_lo, exec_lo, s0
	s_waitcnt lgkmcnt(0)
	s_waitcnt_vscnt null, 0x0
	s_barrier
	buffer_gl0_inv
	s_clause 0x4
	scratch_load_b128 v[102:105], off, off offset:144
	scratch_load_b128 v[106:109], off, off offset:160
	;; [unrolled: 1-line block ×5, first 2 shown]
	v_mov_b32_e32 v1, 0
	ds_load_2addr_b64 v[122:125], v1 offset0:67 offset1:68
	ds_load_2addr_b64 v[126:129], v1 offset0:69 offset1:70
	scratch_load_b128 v[130:133], off, off offset:224
	s_mov_b32 s0, exec_lo
	s_waitcnt vmcnt(5) lgkmcnt(1)
	v_fma_f64 v[2:3], v[104:105], v[122:123], 0
	s_waitcnt vmcnt(4)
	s_delay_alu instid0(VALU_DEP_1) | instskip(SKIP_4) | instid1(VALU_DEP_1)
	v_fma_f64 v[2:3], v[106:107], v[124:125], v[2:3]
	scratch_load_b128 v[104:107], off, off offset:240
	s_waitcnt lgkmcnt(0)
	v_fma_f64 v[2:3], v[108:109], v[126:127], v[2:3]
	s_waitcnt vmcnt(4)
	v_fma_f64 v[2:3], v[110:111], v[128:129], v[2:3]
	ds_load_2addr_b64 v[108:111], v1 offset0:71 offset1:72
	ds_load_2addr_b64 v[122:125], v1 offset0:73 offset1:74
	scratch_load_b128 v[126:129], off, off offset:256
	s_waitcnt lgkmcnt(1)
	v_fma_f64 v[2:3], v[112:113], v[108:109], v[2:3]
	s_waitcnt vmcnt(4)
	s_delay_alu instid0(VALU_DEP_1) | instskip(SKIP_4) | instid1(VALU_DEP_1)
	v_fma_f64 v[2:3], v[114:115], v[110:111], v[2:3]
	scratch_load_b128 v[108:111], off, off offset:272
	s_waitcnt lgkmcnt(0)
	v_fma_f64 v[2:3], v[116:117], v[122:123], v[2:3]
	s_waitcnt vmcnt(4)
	v_fma_f64 v[2:3], v[118:119], v[124:125], v[2:3]
	ds_load_2addr_b64 v[112:115], v1 offset0:75 offset1:76
	ds_load_2addr_b64 v[116:119], v1 offset0:77 offset1:78
	s_waitcnt lgkmcnt(1)
	v_fma_f64 v[2:3], v[120:121], v[112:113], v[2:3]
	scratch_load_b128 v[120:123], off, off offset:288
	s_waitcnt vmcnt(4)
	v_fma_f64 v[2:3], v[130:131], v[114:115], v[2:3]
	scratch_load_b128 v[112:115], off, off offset:304
	s_waitcnt lgkmcnt(0)
	v_fma_f64 v[2:3], v[132:133], v[116:117], v[2:3]
	s_waitcnt vmcnt(4)
	s_delay_alu instid0(VALU_DEP_1)
	v_fma_f64 v[2:3], v[104:105], v[118:119], v[2:3]
	ds_load_2addr_b64 v[116:119], v1 offset0:79 offset1:80
	ds_load_2addr_b64 v[130:133], v1 offset0:81 offset1:82
	s_waitcnt lgkmcnt(1)
	v_fma_f64 v[2:3], v[106:107], v[116:117], v[2:3]
	scratch_load_b128 v[104:107], off, off offset:320
	s_waitcnt vmcnt(4)
	v_fma_f64 v[2:3], v[126:127], v[118:119], v[2:3]
	scratch_load_b128 v[116:119], off, off offset:336
	s_waitcnt lgkmcnt(0)
	v_fma_f64 v[2:3], v[128:129], v[130:131], v[2:3]
	ds_load_2addr_b64 v[124:127], v1 offset0:83 offset1:84
	ds_load_2addr_b64 v[128:131], v1 offset0:85 offset1:86
	s_waitcnt vmcnt(4)
	v_fma_f64 v[2:3], v[108:109], v[132:133], v[2:3]
	s_waitcnt lgkmcnt(1)
	s_delay_alu instid0(VALU_DEP_1) | instskip(SKIP_4) | instid1(VALU_DEP_1)
	v_fma_f64 v[2:3], v[110:111], v[124:125], v[2:3]
	scratch_load_b128 v[108:111], off, off offset:352
	s_waitcnt vmcnt(4)
	v_fma_f64 v[2:3], v[120:121], v[126:127], v[2:3]
	s_waitcnt lgkmcnt(0)
	v_fma_f64 v[2:3], v[122:123], v[128:129], v[2:3]
	scratch_load_b128 v[120:123], off, off offset:368
	s_waitcnt vmcnt(4)
	v_fma_f64 v[2:3], v[112:113], v[130:131], v[2:3]
	ds_load_2addr_b64 v[124:127], v1 offset0:87 offset1:88
	ds_load_2addr_b64 v[128:131], v1 offset0:89 offset1:90
	s_waitcnt lgkmcnt(1)
	v_fma_f64 v[2:3], v[114:115], v[124:125], v[2:3]
	s_waitcnt vmcnt(3)
	s_delay_alu instid0(VALU_DEP_1) | instskip(SKIP_1) | instid1(VALU_DEP_1)
	v_fma_f64 v[2:3], v[104:105], v[126:127], v[2:3]
	s_waitcnt lgkmcnt(0)
	v_fma_f64 v[2:3], v[106:107], v[128:129], v[2:3]
	ds_load_2addr_b64 v[104:107], v1 offset0:91 offset1:92
	ds_load_2addr_b64 v[112:115], v1 offset0:93 offset1:94
	s_waitcnt vmcnt(2)
	v_fma_f64 v[2:3], v[116:117], v[130:131], v[2:3]
	s_waitcnt lgkmcnt(1)
	s_delay_alu instid0(VALU_DEP_1) | instskip(SKIP_4) | instid1(VALU_DEP_1)
	v_fma_f64 v[2:3], v[118:119], v[104:105], v[2:3]
	ds_load_b64 v[104:105], v1 offset:760
	s_waitcnt vmcnt(1)
	v_fma_f64 v[2:3], v[108:109], v[106:107], v[2:3]
	s_waitcnt lgkmcnt(1)
	v_fma_f64 v[2:3], v[110:111], v[112:113], v[2:3]
	s_waitcnt vmcnt(0)
	s_delay_alu instid0(VALU_DEP_1) | instskip(SKIP_1) | instid1(VALU_DEP_1)
	v_fma_f64 v[2:3], v[120:121], v[114:115], v[2:3]
	s_waitcnt lgkmcnt(0)
	v_fma_f64 v[2:3], v[122:123], v[104:105], v[2:3]
	s_delay_alu instid0(VALU_DEP_1)
	v_add_f64 v[2:3], v[102:103], -v[2:3]
	scratch_store_b64 off, v[2:3], off offset:144
	v_cmpx_lt_u32_e32 17, v0
	s_cbranch_execz .LBB47_263
; %bb.262:
	scratch_load_b64 v[3:4], off, off offset:136
	v_mov_b32_e32 v2, v1
	scratch_store_b64 off, v[1:2], off offset:136
	s_waitcnt vmcnt(0)
	ds_store_b64 v5, v[3:4]
.LBB47_263:
	s_or_b32 exec_lo, exec_lo, s0
	s_waitcnt lgkmcnt(0)
	s_waitcnt_vscnt null, 0x0
	s_barrier
	buffer_gl0_inv
	s_clause 0x4
	scratch_load_b128 v[102:105], off, off offset:136
	scratch_load_b128 v[106:109], off, off offset:152
	;; [unrolled: 1-line block ×5, first 2 shown]
	ds_load_b128 v[122:125], v1 offset:528
	ds_load_b128 v[126:129], v1 offset:544
	scratch_load_b128 v[130:133], off, off offset:216
	s_mov_b32 s0, exec_lo
	s_waitcnt vmcnt(5) lgkmcnt(1)
	v_fma_f64 v[2:3], v[104:105], v[122:123], 0
	s_waitcnt vmcnt(4)
	s_delay_alu instid0(VALU_DEP_1) | instskip(SKIP_4) | instid1(VALU_DEP_1)
	v_fma_f64 v[2:3], v[106:107], v[124:125], v[2:3]
	scratch_load_b128 v[104:107], off, off offset:232
	s_waitcnt lgkmcnt(0)
	v_fma_f64 v[2:3], v[108:109], v[126:127], v[2:3]
	s_waitcnt vmcnt(4)
	v_fma_f64 v[2:3], v[110:111], v[128:129], v[2:3]
	ds_load_b128 v[108:111], v1 offset:560
	ds_load_b128 v[122:125], v1 offset:576
	scratch_load_b128 v[126:129], off, off offset:248
	s_waitcnt lgkmcnt(1)
	v_fma_f64 v[2:3], v[112:113], v[108:109], v[2:3]
	s_waitcnt vmcnt(4)
	s_delay_alu instid0(VALU_DEP_1) | instskip(SKIP_4) | instid1(VALU_DEP_1)
	v_fma_f64 v[2:3], v[114:115], v[110:111], v[2:3]
	scratch_load_b128 v[108:111], off, off offset:264
	s_waitcnt lgkmcnt(0)
	v_fma_f64 v[2:3], v[116:117], v[122:123], v[2:3]
	s_waitcnt vmcnt(4)
	v_fma_f64 v[2:3], v[118:119], v[124:125], v[2:3]
	ds_load_b128 v[112:115], v1 offset:592
	ds_load_b128 v[116:119], v1 offset:608
	s_waitcnt lgkmcnt(1)
	v_fma_f64 v[2:3], v[120:121], v[112:113], v[2:3]
	scratch_load_b128 v[120:123], off, off offset:280
	s_waitcnt vmcnt(4)
	v_fma_f64 v[2:3], v[130:131], v[114:115], v[2:3]
	scratch_load_b128 v[112:115], off, off offset:296
	s_waitcnt lgkmcnt(0)
	v_fma_f64 v[2:3], v[132:133], v[116:117], v[2:3]
	s_waitcnt vmcnt(4)
	s_delay_alu instid0(VALU_DEP_1)
	v_fma_f64 v[2:3], v[104:105], v[118:119], v[2:3]
	ds_load_b128 v[116:119], v1 offset:624
	ds_load_b128 v[130:133], v1 offset:640
	s_waitcnt lgkmcnt(1)
	v_fma_f64 v[2:3], v[106:107], v[116:117], v[2:3]
	scratch_load_b128 v[104:107], off, off offset:312
	s_waitcnt vmcnt(4)
	v_fma_f64 v[2:3], v[126:127], v[118:119], v[2:3]
	scratch_load_b128 v[116:119], off, off offset:328
	s_waitcnt lgkmcnt(0)
	v_fma_f64 v[2:3], v[128:129], v[130:131], v[2:3]
	ds_load_b128 v[124:127], v1 offset:656
	ds_load_b128 v[128:131], v1 offset:672
	s_waitcnt vmcnt(4)
	v_fma_f64 v[2:3], v[108:109], v[132:133], v[2:3]
	s_waitcnt lgkmcnt(1)
	s_delay_alu instid0(VALU_DEP_1) | instskip(SKIP_4) | instid1(VALU_DEP_1)
	v_fma_f64 v[2:3], v[110:111], v[124:125], v[2:3]
	scratch_load_b128 v[108:111], off, off offset:344
	s_waitcnt vmcnt(4)
	v_fma_f64 v[2:3], v[120:121], v[126:127], v[2:3]
	s_waitcnt lgkmcnt(0)
	v_fma_f64 v[2:3], v[122:123], v[128:129], v[2:3]
	scratch_load_b128 v[120:123], off, off offset:360
	s_waitcnt vmcnt(4)
	v_fma_f64 v[2:3], v[112:113], v[130:131], v[2:3]
	ds_load_b128 v[124:127], v1 offset:688
	ds_load_b128 v[128:131], v1 offset:704
	s_waitcnt lgkmcnt(1)
	v_fma_f64 v[2:3], v[114:115], v[124:125], v[2:3]
	scratch_load_b64 v[124:125], off, off offset:376
	s_waitcnt vmcnt(4)
	v_fma_f64 v[2:3], v[104:105], v[126:127], v[2:3]
	s_waitcnt lgkmcnt(0)
	s_delay_alu instid0(VALU_DEP_1)
	v_fma_f64 v[2:3], v[106:107], v[128:129], v[2:3]
	ds_load_b128 v[104:107], v1 offset:720
	ds_load_b128 v[112:115], v1 offset:736
	s_waitcnt vmcnt(3)
	v_fma_f64 v[2:3], v[116:117], v[130:131], v[2:3]
	s_waitcnt lgkmcnt(1)
	s_delay_alu instid0(VALU_DEP_1) | instskip(SKIP_1) | instid1(VALU_DEP_1)
	v_fma_f64 v[2:3], v[118:119], v[104:105], v[2:3]
	s_waitcnt vmcnt(2)
	v_fma_f64 v[2:3], v[108:109], v[106:107], v[2:3]
	s_waitcnt lgkmcnt(0)
	s_delay_alu instid0(VALU_DEP_1) | instskip(SKIP_1) | instid1(VALU_DEP_1)
	v_fma_f64 v[2:3], v[110:111], v[112:113], v[2:3]
	s_waitcnt vmcnt(1)
	v_fma_f64 v[104:105], v[120:121], v[114:115], v[2:3]
	ds_load_b128 v[1:4], v1 offset:752
	s_waitcnt lgkmcnt(0)
	v_fma_f64 v[1:2], v[122:123], v[1:2], v[104:105]
	s_waitcnt vmcnt(0)
	s_delay_alu instid0(VALU_DEP_1) | instskip(NEXT) | instid1(VALU_DEP_1)
	v_fma_f64 v[1:2], v[124:125], v[3:4], v[1:2]
	v_add_f64 v[1:2], v[102:103], -v[1:2]
	scratch_store_b64 off, v[1:2], off offset:136
	v_cmpx_lt_u32_e32 16, v0
	s_cbranch_execz .LBB47_265
; %bb.264:
	scratch_load_b64 v[1:2], off, off offset:128
	v_mov_b32_e32 v3, 0
	s_delay_alu instid0(VALU_DEP_1)
	v_mov_b32_e32 v4, v3
	scratch_store_b64 off, v[3:4], off offset:128
	s_waitcnt vmcnt(0)
	ds_store_b64 v5, v[1:2]
.LBB47_265:
	s_or_b32 exec_lo, exec_lo, s0
	s_waitcnt lgkmcnt(0)
	s_waitcnt_vscnt null, 0x0
	s_barrier
	buffer_gl0_inv
	s_clause 0x4
	scratch_load_b128 v[102:105], off, off offset:128
	scratch_load_b128 v[106:109], off, off offset:144
	;; [unrolled: 1-line block ×5, first 2 shown]
	v_mov_b32_e32 v1, 0
	ds_load_2addr_b64 v[122:125], v1 offset0:65 offset1:66
	ds_load_2addr_b64 v[126:129], v1 offset0:67 offset1:68
	scratch_load_b128 v[130:133], off, off offset:208
	s_mov_b32 s0, exec_lo
	s_waitcnt vmcnt(5) lgkmcnt(1)
	v_fma_f64 v[2:3], v[104:105], v[122:123], 0
	s_waitcnt vmcnt(4)
	s_delay_alu instid0(VALU_DEP_1) | instskip(SKIP_4) | instid1(VALU_DEP_1)
	v_fma_f64 v[2:3], v[106:107], v[124:125], v[2:3]
	scratch_load_b128 v[104:107], off, off offset:224
	s_waitcnt lgkmcnt(0)
	v_fma_f64 v[2:3], v[108:109], v[126:127], v[2:3]
	s_waitcnt vmcnt(4)
	v_fma_f64 v[2:3], v[110:111], v[128:129], v[2:3]
	ds_load_2addr_b64 v[108:111], v1 offset0:69 offset1:70
	ds_load_2addr_b64 v[122:125], v1 offset0:71 offset1:72
	scratch_load_b128 v[126:129], off, off offset:240
	s_waitcnt lgkmcnt(1)
	v_fma_f64 v[2:3], v[112:113], v[108:109], v[2:3]
	s_waitcnt vmcnt(4)
	s_delay_alu instid0(VALU_DEP_1) | instskip(SKIP_4) | instid1(VALU_DEP_1)
	v_fma_f64 v[2:3], v[114:115], v[110:111], v[2:3]
	scratch_load_b128 v[108:111], off, off offset:256
	s_waitcnt lgkmcnt(0)
	v_fma_f64 v[2:3], v[116:117], v[122:123], v[2:3]
	s_waitcnt vmcnt(4)
	v_fma_f64 v[2:3], v[118:119], v[124:125], v[2:3]
	ds_load_2addr_b64 v[112:115], v1 offset0:73 offset1:74
	ds_load_2addr_b64 v[116:119], v1 offset0:75 offset1:76
	s_waitcnt lgkmcnt(1)
	v_fma_f64 v[2:3], v[120:121], v[112:113], v[2:3]
	scratch_load_b128 v[120:123], off, off offset:272
	s_waitcnt vmcnt(4)
	v_fma_f64 v[2:3], v[130:131], v[114:115], v[2:3]
	scratch_load_b128 v[112:115], off, off offset:288
	s_waitcnt lgkmcnt(0)
	v_fma_f64 v[2:3], v[132:133], v[116:117], v[2:3]
	s_waitcnt vmcnt(4)
	s_delay_alu instid0(VALU_DEP_1)
	v_fma_f64 v[2:3], v[104:105], v[118:119], v[2:3]
	ds_load_2addr_b64 v[116:119], v1 offset0:77 offset1:78
	ds_load_2addr_b64 v[130:133], v1 offset0:79 offset1:80
	s_waitcnt lgkmcnt(1)
	v_fma_f64 v[2:3], v[106:107], v[116:117], v[2:3]
	scratch_load_b128 v[104:107], off, off offset:304
	s_waitcnt vmcnt(4)
	v_fma_f64 v[2:3], v[126:127], v[118:119], v[2:3]
	scratch_load_b128 v[116:119], off, off offset:320
	s_waitcnt lgkmcnt(0)
	v_fma_f64 v[2:3], v[128:129], v[130:131], v[2:3]
	ds_load_2addr_b64 v[124:127], v1 offset0:81 offset1:82
	ds_load_2addr_b64 v[128:131], v1 offset0:83 offset1:84
	s_waitcnt vmcnt(4)
	v_fma_f64 v[2:3], v[108:109], v[132:133], v[2:3]
	s_waitcnt lgkmcnt(1)
	s_delay_alu instid0(VALU_DEP_1) | instskip(SKIP_4) | instid1(VALU_DEP_1)
	v_fma_f64 v[2:3], v[110:111], v[124:125], v[2:3]
	scratch_load_b128 v[108:111], off, off offset:336
	s_waitcnt vmcnt(4)
	v_fma_f64 v[2:3], v[120:121], v[126:127], v[2:3]
	s_waitcnt lgkmcnt(0)
	v_fma_f64 v[2:3], v[122:123], v[128:129], v[2:3]
	scratch_load_b128 v[120:123], off, off offset:352
	s_waitcnt vmcnt(4)
	v_fma_f64 v[2:3], v[112:113], v[130:131], v[2:3]
	ds_load_2addr_b64 v[124:127], v1 offset0:85 offset1:86
	ds_load_2addr_b64 v[128:131], v1 offset0:87 offset1:88
	s_waitcnt lgkmcnt(1)
	v_fma_f64 v[2:3], v[114:115], v[124:125], v[2:3]
	scratch_load_b128 v[112:115], off, off offset:368
	s_waitcnt vmcnt(4)
	v_fma_f64 v[2:3], v[104:105], v[126:127], v[2:3]
	s_waitcnt lgkmcnt(0)
	s_delay_alu instid0(VALU_DEP_1)
	v_fma_f64 v[2:3], v[106:107], v[128:129], v[2:3]
	ds_load_2addr_b64 v[104:107], v1 offset0:89 offset1:90
	ds_load_2addr_b64 v[124:127], v1 offset0:91 offset1:92
	s_waitcnt vmcnt(3)
	v_fma_f64 v[2:3], v[116:117], v[130:131], v[2:3]
	s_waitcnt lgkmcnt(1)
	s_delay_alu instid0(VALU_DEP_1) | instskip(SKIP_1) | instid1(VALU_DEP_1)
	v_fma_f64 v[2:3], v[118:119], v[104:105], v[2:3]
	s_waitcnt vmcnt(2)
	v_fma_f64 v[2:3], v[108:109], v[106:107], v[2:3]
	ds_load_2addr_b64 v[104:107], v1 offset0:93 offset1:94
	ds_load_b64 v[108:109], v1 offset:760
	s_waitcnt lgkmcnt(2)
	v_fma_f64 v[2:3], v[110:111], v[124:125], v[2:3]
	s_waitcnt vmcnt(1)
	s_delay_alu instid0(VALU_DEP_1) | instskip(SKIP_1) | instid1(VALU_DEP_1)
	v_fma_f64 v[2:3], v[120:121], v[126:127], v[2:3]
	s_waitcnt lgkmcnt(1)
	v_fma_f64 v[2:3], v[122:123], v[104:105], v[2:3]
	s_waitcnt vmcnt(0)
	s_delay_alu instid0(VALU_DEP_1) | instskip(SKIP_1) | instid1(VALU_DEP_1)
	v_fma_f64 v[2:3], v[112:113], v[106:107], v[2:3]
	s_waitcnt lgkmcnt(0)
	v_fma_f64 v[2:3], v[114:115], v[108:109], v[2:3]
	s_delay_alu instid0(VALU_DEP_1)
	v_add_f64 v[2:3], v[102:103], -v[2:3]
	scratch_store_b64 off, v[2:3], off offset:128
	v_cmpx_lt_u32_e32 15, v0
	s_cbranch_execz .LBB47_267
; %bb.266:
	scratch_load_b64 v[3:4], off, off offset:120
	v_mov_b32_e32 v2, v1
	scratch_store_b64 off, v[1:2], off offset:120
	s_waitcnt vmcnt(0)
	ds_store_b64 v5, v[3:4]
.LBB47_267:
	s_or_b32 exec_lo, exec_lo, s0
	s_waitcnt lgkmcnt(0)
	s_waitcnt_vscnt null, 0x0
	s_barrier
	buffer_gl0_inv
	s_clause 0x4
	scratch_load_b128 v[102:105], off, off offset:120
	scratch_load_b128 v[106:109], off, off offset:136
	;; [unrolled: 1-line block ×5, first 2 shown]
	ds_load_b128 v[122:125], v1 offset:512
	ds_load_b128 v[126:129], v1 offset:528
	scratch_load_b128 v[130:133], off, off offset:200
	s_mov_b32 s0, exec_lo
	s_waitcnt vmcnt(5) lgkmcnt(1)
	v_fma_f64 v[2:3], v[104:105], v[122:123], 0
	s_waitcnt vmcnt(4)
	s_delay_alu instid0(VALU_DEP_1) | instskip(SKIP_4) | instid1(VALU_DEP_1)
	v_fma_f64 v[2:3], v[106:107], v[124:125], v[2:3]
	scratch_load_b128 v[104:107], off, off offset:216
	s_waitcnt lgkmcnt(0)
	v_fma_f64 v[2:3], v[108:109], v[126:127], v[2:3]
	s_waitcnt vmcnt(4)
	v_fma_f64 v[2:3], v[110:111], v[128:129], v[2:3]
	ds_load_b128 v[108:111], v1 offset:544
	ds_load_b128 v[122:125], v1 offset:560
	scratch_load_b128 v[126:129], off, off offset:232
	s_waitcnt lgkmcnt(1)
	v_fma_f64 v[2:3], v[112:113], v[108:109], v[2:3]
	s_waitcnt vmcnt(4)
	s_delay_alu instid0(VALU_DEP_1) | instskip(SKIP_4) | instid1(VALU_DEP_1)
	v_fma_f64 v[2:3], v[114:115], v[110:111], v[2:3]
	scratch_load_b128 v[108:111], off, off offset:248
	s_waitcnt lgkmcnt(0)
	v_fma_f64 v[2:3], v[116:117], v[122:123], v[2:3]
	s_waitcnt vmcnt(4)
	v_fma_f64 v[2:3], v[118:119], v[124:125], v[2:3]
	ds_load_b128 v[112:115], v1 offset:576
	ds_load_b128 v[116:119], v1 offset:592
	s_waitcnt lgkmcnt(1)
	v_fma_f64 v[2:3], v[120:121], v[112:113], v[2:3]
	scratch_load_b128 v[120:123], off, off offset:264
	s_waitcnt vmcnt(4)
	v_fma_f64 v[2:3], v[130:131], v[114:115], v[2:3]
	scratch_load_b128 v[112:115], off, off offset:280
	s_waitcnt lgkmcnt(0)
	v_fma_f64 v[2:3], v[132:133], v[116:117], v[2:3]
	s_waitcnt vmcnt(4)
	s_delay_alu instid0(VALU_DEP_1)
	v_fma_f64 v[2:3], v[104:105], v[118:119], v[2:3]
	ds_load_b128 v[116:119], v1 offset:608
	ds_load_b128 v[130:133], v1 offset:624
	s_waitcnt lgkmcnt(1)
	v_fma_f64 v[2:3], v[106:107], v[116:117], v[2:3]
	scratch_load_b128 v[104:107], off, off offset:296
	s_waitcnt vmcnt(4)
	v_fma_f64 v[2:3], v[126:127], v[118:119], v[2:3]
	scratch_load_b128 v[116:119], off, off offset:312
	s_waitcnt lgkmcnt(0)
	v_fma_f64 v[2:3], v[128:129], v[130:131], v[2:3]
	ds_load_b128 v[124:127], v1 offset:640
	ds_load_b128 v[128:131], v1 offset:656
	s_waitcnt vmcnt(4)
	v_fma_f64 v[2:3], v[108:109], v[132:133], v[2:3]
	s_waitcnt lgkmcnt(1)
	s_delay_alu instid0(VALU_DEP_1) | instskip(SKIP_4) | instid1(VALU_DEP_1)
	v_fma_f64 v[2:3], v[110:111], v[124:125], v[2:3]
	scratch_load_b128 v[108:111], off, off offset:328
	s_waitcnt vmcnt(4)
	v_fma_f64 v[2:3], v[120:121], v[126:127], v[2:3]
	s_waitcnt lgkmcnt(0)
	v_fma_f64 v[2:3], v[122:123], v[128:129], v[2:3]
	scratch_load_b128 v[120:123], off, off offset:344
	s_waitcnt vmcnt(4)
	v_fma_f64 v[2:3], v[112:113], v[130:131], v[2:3]
	ds_load_b128 v[124:127], v1 offset:672
	ds_load_b128 v[128:131], v1 offset:688
	s_waitcnt lgkmcnt(1)
	v_fma_f64 v[2:3], v[114:115], v[124:125], v[2:3]
	scratch_load_b128 v[112:115], off, off offset:360
	s_waitcnt vmcnt(4)
	v_fma_f64 v[2:3], v[104:105], v[126:127], v[2:3]
	s_waitcnt lgkmcnt(0)
	s_delay_alu instid0(VALU_DEP_1)
	v_fma_f64 v[2:3], v[106:107], v[128:129], v[2:3]
	scratch_load_b64 v[128:129], off, off offset:376
	ds_load_b128 v[104:107], v1 offset:704
	ds_load_b128 v[124:127], v1 offset:720
	s_waitcnt vmcnt(4)
	v_fma_f64 v[2:3], v[116:117], v[130:131], v[2:3]
	s_waitcnt lgkmcnt(1)
	s_delay_alu instid0(VALU_DEP_1) | instskip(SKIP_1) | instid1(VALU_DEP_1)
	v_fma_f64 v[2:3], v[118:119], v[104:105], v[2:3]
	s_waitcnt vmcnt(3)
	v_fma_f64 v[2:3], v[108:109], v[106:107], v[2:3]
	s_waitcnt lgkmcnt(0)
	s_delay_alu instid0(VALU_DEP_1) | instskip(SKIP_1) | instid1(VALU_DEP_1)
	v_fma_f64 v[2:3], v[110:111], v[124:125], v[2:3]
	s_waitcnt vmcnt(2)
	v_fma_f64 v[108:109], v[120:121], v[126:127], v[2:3]
	ds_load_b128 v[104:107], v1 offset:736
	ds_load_b128 v[1:4], v1 offset:752
	s_waitcnt lgkmcnt(1)
	v_fma_f64 v[104:105], v[122:123], v[104:105], v[108:109]
	s_waitcnt vmcnt(1)
	s_delay_alu instid0(VALU_DEP_1) | instskip(SKIP_1) | instid1(VALU_DEP_1)
	v_fma_f64 v[104:105], v[112:113], v[106:107], v[104:105]
	s_waitcnt lgkmcnt(0)
	v_fma_f64 v[1:2], v[114:115], v[1:2], v[104:105]
	s_waitcnt vmcnt(0)
	s_delay_alu instid0(VALU_DEP_1) | instskip(NEXT) | instid1(VALU_DEP_1)
	v_fma_f64 v[1:2], v[128:129], v[3:4], v[1:2]
	v_add_f64 v[1:2], v[102:103], -v[1:2]
	scratch_store_b64 off, v[1:2], off offset:120
	v_cmpx_lt_u32_e32 14, v0
	s_cbranch_execz .LBB47_269
; %bb.268:
	scratch_load_b64 v[1:2], off, off offset:112
	v_mov_b32_e32 v3, 0
	s_delay_alu instid0(VALU_DEP_1)
	v_mov_b32_e32 v4, v3
	scratch_store_b64 off, v[3:4], off offset:112
	s_waitcnt vmcnt(0)
	ds_store_b64 v5, v[1:2]
.LBB47_269:
	s_or_b32 exec_lo, exec_lo, s0
	s_waitcnt lgkmcnt(0)
	s_waitcnt_vscnt null, 0x0
	s_barrier
	buffer_gl0_inv
	s_clause 0x4
	scratch_load_b128 v[102:105], off, off offset:112
	scratch_load_b128 v[106:109], off, off offset:128
	scratch_load_b128 v[110:113], off, off offset:144
	scratch_load_b128 v[114:117], off, off offset:160
	scratch_load_b128 v[118:121], off, off offset:176
	v_mov_b32_e32 v1, 0
	ds_load_2addr_b64 v[122:125], v1 offset0:63 offset1:64
	ds_load_2addr_b64 v[126:129], v1 offset0:65 offset1:66
	scratch_load_b128 v[130:133], off, off offset:192
	s_mov_b32 s0, exec_lo
	s_waitcnt vmcnt(5) lgkmcnt(1)
	v_fma_f64 v[2:3], v[104:105], v[122:123], 0
	s_waitcnt vmcnt(4)
	s_delay_alu instid0(VALU_DEP_1) | instskip(SKIP_4) | instid1(VALU_DEP_1)
	v_fma_f64 v[2:3], v[106:107], v[124:125], v[2:3]
	scratch_load_b128 v[104:107], off, off offset:208
	s_waitcnt lgkmcnt(0)
	v_fma_f64 v[2:3], v[108:109], v[126:127], v[2:3]
	s_waitcnt vmcnt(4)
	v_fma_f64 v[2:3], v[110:111], v[128:129], v[2:3]
	ds_load_2addr_b64 v[108:111], v1 offset0:67 offset1:68
	ds_load_2addr_b64 v[122:125], v1 offset0:69 offset1:70
	scratch_load_b128 v[126:129], off, off offset:224
	s_waitcnt lgkmcnt(1)
	v_fma_f64 v[2:3], v[112:113], v[108:109], v[2:3]
	s_waitcnt vmcnt(4)
	s_delay_alu instid0(VALU_DEP_1) | instskip(SKIP_4) | instid1(VALU_DEP_1)
	v_fma_f64 v[2:3], v[114:115], v[110:111], v[2:3]
	scratch_load_b128 v[108:111], off, off offset:240
	s_waitcnt lgkmcnt(0)
	v_fma_f64 v[2:3], v[116:117], v[122:123], v[2:3]
	s_waitcnt vmcnt(4)
	v_fma_f64 v[2:3], v[118:119], v[124:125], v[2:3]
	ds_load_2addr_b64 v[112:115], v1 offset0:71 offset1:72
	ds_load_2addr_b64 v[116:119], v1 offset0:73 offset1:74
	s_waitcnt lgkmcnt(1)
	v_fma_f64 v[2:3], v[120:121], v[112:113], v[2:3]
	scratch_load_b128 v[120:123], off, off offset:256
	s_waitcnt vmcnt(4)
	v_fma_f64 v[2:3], v[130:131], v[114:115], v[2:3]
	scratch_load_b128 v[112:115], off, off offset:272
	s_waitcnt lgkmcnt(0)
	v_fma_f64 v[2:3], v[132:133], v[116:117], v[2:3]
	s_waitcnt vmcnt(4)
	s_delay_alu instid0(VALU_DEP_1)
	v_fma_f64 v[2:3], v[104:105], v[118:119], v[2:3]
	ds_load_2addr_b64 v[116:119], v1 offset0:75 offset1:76
	ds_load_2addr_b64 v[130:133], v1 offset0:77 offset1:78
	s_waitcnt lgkmcnt(1)
	v_fma_f64 v[2:3], v[106:107], v[116:117], v[2:3]
	scratch_load_b128 v[104:107], off, off offset:288
	s_waitcnt vmcnt(4)
	v_fma_f64 v[2:3], v[126:127], v[118:119], v[2:3]
	scratch_load_b128 v[116:119], off, off offset:304
	s_waitcnt lgkmcnt(0)
	v_fma_f64 v[2:3], v[128:129], v[130:131], v[2:3]
	ds_load_2addr_b64 v[124:127], v1 offset0:79 offset1:80
	ds_load_2addr_b64 v[128:131], v1 offset0:81 offset1:82
	s_waitcnt vmcnt(4)
	v_fma_f64 v[2:3], v[108:109], v[132:133], v[2:3]
	s_waitcnt lgkmcnt(1)
	s_delay_alu instid0(VALU_DEP_1) | instskip(SKIP_4) | instid1(VALU_DEP_1)
	v_fma_f64 v[2:3], v[110:111], v[124:125], v[2:3]
	scratch_load_b128 v[108:111], off, off offset:320
	s_waitcnt vmcnt(4)
	v_fma_f64 v[2:3], v[120:121], v[126:127], v[2:3]
	s_waitcnt lgkmcnt(0)
	v_fma_f64 v[2:3], v[122:123], v[128:129], v[2:3]
	scratch_load_b128 v[120:123], off, off offset:336
	s_waitcnt vmcnt(4)
	v_fma_f64 v[2:3], v[112:113], v[130:131], v[2:3]
	ds_load_2addr_b64 v[124:127], v1 offset0:83 offset1:84
	ds_load_2addr_b64 v[128:131], v1 offset0:85 offset1:86
	s_waitcnt lgkmcnt(1)
	v_fma_f64 v[2:3], v[114:115], v[124:125], v[2:3]
	scratch_load_b128 v[112:115], off, off offset:352
	s_waitcnt vmcnt(4)
	v_fma_f64 v[2:3], v[104:105], v[126:127], v[2:3]
	s_waitcnt lgkmcnt(0)
	s_delay_alu instid0(VALU_DEP_1)
	v_fma_f64 v[2:3], v[106:107], v[128:129], v[2:3]
	scratch_load_b128 v[104:107], off, off offset:368
	s_waitcnt vmcnt(4)
	v_fma_f64 v[2:3], v[116:117], v[130:131], v[2:3]
	ds_load_2addr_b64 v[124:127], v1 offset0:87 offset1:88
	ds_load_2addr_b64 v[128:131], v1 offset0:89 offset1:90
	s_waitcnt lgkmcnt(1)
	v_fma_f64 v[2:3], v[118:119], v[124:125], v[2:3]
	s_waitcnt vmcnt(3)
	s_delay_alu instid0(VALU_DEP_1) | instskip(SKIP_1) | instid1(VALU_DEP_1)
	v_fma_f64 v[2:3], v[108:109], v[126:127], v[2:3]
	s_waitcnt lgkmcnt(0)
	v_fma_f64 v[2:3], v[110:111], v[128:129], v[2:3]
	ds_load_2addr_b64 v[108:111], v1 offset0:91 offset1:92
	ds_load_2addr_b64 v[116:119], v1 offset0:93 offset1:94
	s_waitcnt vmcnt(2)
	v_fma_f64 v[2:3], v[120:121], v[130:131], v[2:3]
	s_waitcnt lgkmcnt(1)
	s_delay_alu instid0(VALU_DEP_1) | instskip(SKIP_1) | instid1(VALU_DEP_1)
	v_fma_f64 v[2:3], v[122:123], v[108:109], v[2:3]
	s_waitcnt vmcnt(1)
	v_fma_f64 v[2:3], v[112:113], v[110:111], v[2:3]
	s_waitcnt lgkmcnt(0)
	s_delay_alu instid0(VALU_DEP_1) | instskip(SKIP_1) | instid1(VALU_DEP_1)
	v_fma_f64 v[2:3], v[114:115], v[116:117], v[2:3]
	s_waitcnt vmcnt(0)
	v_fma_f64 v[2:3], v[104:105], v[118:119], v[2:3]
	ds_load_b64 v[104:105], v1 offset:760
	s_waitcnt lgkmcnt(0)
	v_fma_f64 v[2:3], v[106:107], v[104:105], v[2:3]
	s_delay_alu instid0(VALU_DEP_1)
	v_add_f64 v[2:3], v[102:103], -v[2:3]
	scratch_store_b64 off, v[2:3], off offset:112
	v_cmpx_lt_u32_e32 13, v0
	s_cbranch_execz .LBB47_271
; %bb.270:
	scratch_load_b64 v[3:4], off, off offset:104
	v_mov_b32_e32 v2, v1
	scratch_store_b64 off, v[1:2], off offset:104
	s_waitcnt vmcnt(0)
	ds_store_b64 v5, v[3:4]
.LBB47_271:
	s_or_b32 exec_lo, exec_lo, s0
	s_waitcnt lgkmcnt(0)
	s_waitcnt_vscnt null, 0x0
	s_barrier
	buffer_gl0_inv
	s_clause 0x4
	scratch_load_b128 v[102:105], off, off offset:104
	scratch_load_b128 v[106:109], off, off offset:120
	;; [unrolled: 1-line block ×5, first 2 shown]
	ds_load_b128 v[122:125], v1 offset:496
	ds_load_b128 v[126:129], v1 offset:512
	scratch_load_b128 v[130:133], off, off offset:184
	s_mov_b32 s0, exec_lo
	s_waitcnt vmcnt(5) lgkmcnt(1)
	v_fma_f64 v[2:3], v[104:105], v[122:123], 0
	s_waitcnt vmcnt(4)
	s_delay_alu instid0(VALU_DEP_1) | instskip(SKIP_4) | instid1(VALU_DEP_1)
	v_fma_f64 v[2:3], v[106:107], v[124:125], v[2:3]
	scratch_load_b128 v[104:107], off, off offset:200
	s_waitcnt lgkmcnt(0)
	v_fma_f64 v[2:3], v[108:109], v[126:127], v[2:3]
	s_waitcnt vmcnt(4)
	v_fma_f64 v[2:3], v[110:111], v[128:129], v[2:3]
	ds_load_b128 v[108:111], v1 offset:528
	ds_load_b128 v[122:125], v1 offset:544
	scratch_load_b128 v[126:129], off, off offset:216
	s_waitcnt lgkmcnt(1)
	v_fma_f64 v[2:3], v[112:113], v[108:109], v[2:3]
	s_waitcnt vmcnt(4)
	s_delay_alu instid0(VALU_DEP_1) | instskip(SKIP_4) | instid1(VALU_DEP_1)
	v_fma_f64 v[2:3], v[114:115], v[110:111], v[2:3]
	scratch_load_b128 v[108:111], off, off offset:232
	s_waitcnt lgkmcnt(0)
	v_fma_f64 v[2:3], v[116:117], v[122:123], v[2:3]
	s_waitcnt vmcnt(4)
	v_fma_f64 v[2:3], v[118:119], v[124:125], v[2:3]
	ds_load_b128 v[112:115], v1 offset:560
	ds_load_b128 v[116:119], v1 offset:576
	s_waitcnt lgkmcnt(1)
	v_fma_f64 v[2:3], v[120:121], v[112:113], v[2:3]
	scratch_load_b128 v[120:123], off, off offset:248
	s_waitcnt vmcnt(4)
	v_fma_f64 v[2:3], v[130:131], v[114:115], v[2:3]
	scratch_load_b128 v[112:115], off, off offset:264
	s_waitcnt lgkmcnt(0)
	v_fma_f64 v[2:3], v[132:133], v[116:117], v[2:3]
	s_waitcnt vmcnt(4)
	s_delay_alu instid0(VALU_DEP_1)
	v_fma_f64 v[2:3], v[104:105], v[118:119], v[2:3]
	ds_load_b128 v[116:119], v1 offset:592
	ds_load_b128 v[130:133], v1 offset:608
	s_waitcnt lgkmcnt(1)
	v_fma_f64 v[2:3], v[106:107], v[116:117], v[2:3]
	scratch_load_b128 v[104:107], off, off offset:280
	s_waitcnt vmcnt(4)
	v_fma_f64 v[2:3], v[126:127], v[118:119], v[2:3]
	scratch_load_b128 v[116:119], off, off offset:296
	s_waitcnt lgkmcnt(0)
	v_fma_f64 v[2:3], v[128:129], v[130:131], v[2:3]
	ds_load_b128 v[124:127], v1 offset:624
	ds_load_b128 v[128:131], v1 offset:640
	s_waitcnt vmcnt(4)
	v_fma_f64 v[2:3], v[108:109], v[132:133], v[2:3]
	s_waitcnt lgkmcnt(1)
	s_delay_alu instid0(VALU_DEP_1) | instskip(SKIP_4) | instid1(VALU_DEP_1)
	v_fma_f64 v[2:3], v[110:111], v[124:125], v[2:3]
	scratch_load_b128 v[108:111], off, off offset:312
	s_waitcnt vmcnt(4)
	v_fma_f64 v[2:3], v[120:121], v[126:127], v[2:3]
	s_waitcnt lgkmcnt(0)
	v_fma_f64 v[2:3], v[122:123], v[128:129], v[2:3]
	scratch_load_b128 v[120:123], off, off offset:328
	s_waitcnt vmcnt(4)
	v_fma_f64 v[2:3], v[112:113], v[130:131], v[2:3]
	ds_load_b128 v[124:127], v1 offset:656
	ds_load_b128 v[128:131], v1 offset:672
	s_waitcnt lgkmcnt(1)
	v_fma_f64 v[2:3], v[114:115], v[124:125], v[2:3]
	scratch_load_b128 v[112:115], off, off offset:344
	s_waitcnt vmcnt(4)
	v_fma_f64 v[2:3], v[104:105], v[126:127], v[2:3]
	s_waitcnt lgkmcnt(0)
	s_delay_alu instid0(VALU_DEP_1)
	v_fma_f64 v[2:3], v[106:107], v[128:129], v[2:3]
	scratch_load_b128 v[104:107], off, off offset:360
	s_waitcnt vmcnt(4)
	v_fma_f64 v[2:3], v[116:117], v[130:131], v[2:3]
	ds_load_b128 v[124:127], v1 offset:688
	ds_load_b128 v[128:131], v1 offset:704
	s_waitcnt lgkmcnt(1)
	v_fma_f64 v[2:3], v[118:119], v[124:125], v[2:3]
	scratch_load_b64 v[124:125], off, off offset:376
	s_waitcnt vmcnt(4)
	v_fma_f64 v[2:3], v[108:109], v[126:127], v[2:3]
	s_waitcnt lgkmcnt(0)
	s_delay_alu instid0(VALU_DEP_1)
	v_fma_f64 v[2:3], v[110:111], v[128:129], v[2:3]
	ds_load_b128 v[108:111], v1 offset:720
	ds_load_b128 v[116:119], v1 offset:736
	s_waitcnt vmcnt(3)
	v_fma_f64 v[2:3], v[120:121], v[130:131], v[2:3]
	s_waitcnt lgkmcnt(1)
	s_delay_alu instid0(VALU_DEP_1) | instskip(SKIP_1) | instid1(VALU_DEP_1)
	v_fma_f64 v[2:3], v[122:123], v[108:109], v[2:3]
	s_waitcnt vmcnt(2)
	v_fma_f64 v[2:3], v[112:113], v[110:111], v[2:3]
	s_waitcnt lgkmcnt(0)
	s_delay_alu instid0(VALU_DEP_1) | instskip(SKIP_1) | instid1(VALU_DEP_1)
	v_fma_f64 v[2:3], v[114:115], v[116:117], v[2:3]
	s_waitcnt vmcnt(1)
	v_fma_f64 v[104:105], v[104:105], v[118:119], v[2:3]
	ds_load_b128 v[1:4], v1 offset:752
	s_waitcnt lgkmcnt(0)
	v_fma_f64 v[1:2], v[106:107], v[1:2], v[104:105]
	s_waitcnt vmcnt(0)
	s_delay_alu instid0(VALU_DEP_1) | instskip(NEXT) | instid1(VALU_DEP_1)
	v_fma_f64 v[1:2], v[124:125], v[3:4], v[1:2]
	v_add_f64 v[1:2], v[102:103], -v[1:2]
	scratch_store_b64 off, v[1:2], off offset:104
	v_cmpx_lt_u32_e32 12, v0
	s_cbranch_execz .LBB47_273
; %bb.272:
	scratch_load_b64 v[1:2], off, off offset:96
	v_mov_b32_e32 v3, 0
	s_delay_alu instid0(VALU_DEP_1)
	v_mov_b32_e32 v4, v3
	scratch_store_b64 off, v[3:4], off offset:96
	s_waitcnt vmcnt(0)
	ds_store_b64 v5, v[1:2]
.LBB47_273:
	s_or_b32 exec_lo, exec_lo, s0
	s_waitcnt lgkmcnt(0)
	s_waitcnt_vscnt null, 0x0
	s_barrier
	buffer_gl0_inv
	s_clause 0x4
	scratch_load_b128 v[102:105], off, off offset:96
	scratch_load_b128 v[106:109], off, off offset:112
	scratch_load_b128 v[110:113], off, off offset:128
	scratch_load_b128 v[114:117], off, off offset:144
	scratch_load_b128 v[118:121], off, off offset:160
	v_mov_b32_e32 v1, 0
	ds_load_2addr_b64 v[122:125], v1 offset0:61 offset1:62
	ds_load_2addr_b64 v[126:129], v1 offset0:63 offset1:64
	scratch_load_b128 v[130:133], off, off offset:176
	s_mov_b32 s0, exec_lo
	s_waitcnt vmcnt(5) lgkmcnt(1)
	v_fma_f64 v[2:3], v[104:105], v[122:123], 0
	s_waitcnt vmcnt(4)
	s_delay_alu instid0(VALU_DEP_1) | instskip(SKIP_4) | instid1(VALU_DEP_1)
	v_fma_f64 v[2:3], v[106:107], v[124:125], v[2:3]
	scratch_load_b128 v[104:107], off, off offset:192
	s_waitcnt lgkmcnt(0)
	v_fma_f64 v[2:3], v[108:109], v[126:127], v[2:3]
	s_waitcnt vmcnt(4)
	v_fma_f64 v[2:3], v[110:111], v[128:129], v[2:3]
	ds_load_2addr_b64 v[108:111], v1 offset0:65 offset1:66
	ds_load_2addr_b64 v[122:125], v1 offset0:67 offset1:68
	scratch_load_b128 v[126:129], off, off offset:208
	s_waitcnt lgkmcnt(1)
	v_fma_f64 v[2:3], v[112:113], v[108:109], v[2:3]
	s_waitcnt vmcnt(4)
	s_delay_alu instid0(VALU_DEP_1) | instskip(SKIP_4) | instid1(VALU_DEP_1)
	v_fma_f64 v[2:3], v[114:115], v[110:111], v[2:3]
	scratch_load_b128 v[108:111], off, off offset:224
	s_waitcnt lgkmcnt(0)
	v_fma_f64 v[2:3], v[116:117], v[122:123], v[2:3]
	s_waitcnt vmcnt(4)
	v_fma_f64 v[2:3], v[118:119], v[124:125], v[2:3]
	ds_load_2addr_b64 v[112:115], v1 offset0:69 offset1:70
	ds_load_2addr_b64 v[116:119], v1 offset0:71 offset1:72
	s_waitcnt lgkmcnt(1)
	v_fma_f64 v[2:3], v[120:121], v[112:113], v[2:3]
	scratch_load_b128 v[120:123], off, off offset:240
	s_waitcnt vmcnt(4)
	v_fma_f64 v[2:3], v[130:131], v[114:115], v[2:3]
	scratch_load_b128 v[112:115], off, off offset:256
	s_waitcnt lgkmcnt(0)
	v_fma_f64 v[2:3], v[132:133], v[116:117], v[2:3]
	s_waitcnt vmcnt(4)
	s_delay_alu instid0(VALU_DEP_1)
	v_fma_f64 v[2:3], v[104:105], v[118:119], v[2:3]
	ds_load_2addr_b64 v[116:119], v1 offset0:73 offset1:74
	ds_load_2addr_b64 v[130:133], v1 offset0:75 offset1:76
	s_waitcnt lgkmcnt(1)
	v_fma_f64 v[2:3], v[106:107], v[116:117], v[2:3]
	scratch_load_b128 v[104:107], off, off offset:272
	s_waitcnt vmcnt(4)
	v_fma_f64 v[2:3], v[126:127], v[118:119], v[2:3]
	scratch_load_b128 v[116:119], off, off offset:288
	s_waitcnt lgkmcnt(0)
	v_fma_f64 v[2:3], v[128:129], v[130:131], v[2:3]
	ds_load_2addr_b64 v[124:127], v1 offset0:77 offset1:78
	ds_load_2addr_b64 v[128:131], v1 offset0:79 offset1:80
	s_waitcnt vmcnt(4)
	v_fma_f64 v[2:3], v[108:109], v[132:133], v[2:3]
	s_waitcnt lgkmcnt(1)
	s_delay_alu instid0(VALU_DEP_1) | instskip(SKIP_4) | instid1(VALU_DEP_1)
	v_fma_f64 v[2:3], v[110:111], v[124:125], v[2:3]
	scratch_load_b128 v[108:111], off, off offset:304
	s_waitcnt vmcnt(4)
	v_fma_f64 v[2:3], v[120:121], v[126:127], v[2:3]
	s_waitcnt lgkmcnt(0)
	v_fma_f64 v[2:3], v[122:123], v[128:129], v[2:3]
	scratch_load_b128 v[120:123], off, off offset:320
	s_waitcnt vmcnt(4)
	v_fma_f64 v[2:3], v[112:113], v[130:131], v[2:3]
	ds_load_2addr_b64 v[124:127], v1 offset0:81 offset1:82
	ds_load_2addr_b64 v[128:131], v1 offset0:83 offset1:84
	s_waitcnt lgkmcnt(1)
	v_fma_f64 v[2:3], v[114:115], v[124:125], v[2:3]
	scratch_load_b128 v[112:115], off, off offset:336
	s_waitcnt vmcnt(4)
	v_fma_f64 v[2:3], v[104:105], v[126:127], v[2:3]
	s_waitcnt lgkmcnt(0)
	s_delay_alu instid0(VALU_DEP_1)
	v_fma_f64 v[2:3], v[106:107], v[128:129], v[2:3]
	scratch_load_b128 v[104:107], off, off offset:352
	s_waitcnt vmcnt(4)
	v_fma_f64 v[2:3], v[116:117], v[130:131], v[2:3]
	ds_load_2addr_b64 v[124:127], v1 offset0:85 offset1:86
	ds_load_2addr_b64 v[128:131], v1 offset0:87 offset1:88
	s_waitcnt lgkmcnt(1)
	v_fma_f64 v[2:3], v[118:119], v[124:125], v[2:3]
	scratch_load_b128 v[116:119], off, off offset:368
	s_waitcnt vmcnt(4)
	v_fma_f64 v[2:3], v[108:109], v[126:127], v[2:3]
	s_waitcnt lgkmcnt(0)
	s_delay_alu instid0(VALU_DEP_1)
	v_fma_f64 v[2:3], v[110:111], v[128:129], v[2:3]
	ds_load_2addr_b64 v[108:111], v1 offset0:89 offset1:90
	ds_load_2addr_b64 v[124:127], v1 offset0:91 offset1:92
	s_waitcnt vmcnt(3)
	v_fma_f64 v[2:3], v[120:121], v[130:131], v[2:3]
	s_waitcnt lgkmcnt(1)
	s_delay_alu instid0(VALU_DEP_1) | instskip(SKIP_1) | instid1(VALU_DEP_1)
	v_fma_f64 v[2:3], v[122:123], v[108:109], v[2:3]
	s_waitcnt vmcnt(2)
	v_fma_f64 v[2:3], v[112:113], v[110:111], v[2:3]
	s_waitcnt lgkmcnt(0)
	s_delay_alu instid0(VALU_DEP_1) | instskip(SKIP_1) | instid1(VALU_DEP_1)
	v_fma_f64 v[2:3], v[114:115], v[124:125], v[2:3]
	s_waitcnt vmcnt(1)
	v_fma_f64 v[2:3], v[104:105], v[126:127], v[2:3]
	ds_load_2addr_b64 v[108:111], v1 offset0:93 offset1:94
	ds_load_b64 v[104:105], v1 offset:760
	s_waitcnt lgkmcnt(1)
	v_fma_f64 v[2:3], v[106:107], v[108:109], v[2:3]
	s_waitcnt vmcnt(0)
	s_delay_alu instid0(VALU_DEP_1) | instskip(SKIP_1) | instid1(VALU_DEP_1)
	v_fma_f64 v[2:3], v[116:117], v[110:111], v[2:3]
	s_waitcnt lgkmcnt(0)
	v_fma_f64 v[2:3], v[118:119], v[104:105], v[2:3]
	s_delay_alu instid0(VALU_DEP_1)
	v_add_f64 v[2:3], v[102:103], -v[2:3]
	scratch_store_b64 off, v[2:3], off offset:96
	v_cmpx_lt_u32_e32 11, v0
	s_cbranch_execz .LBB47_275
; %bb.274:
	scratch_load_b64 v[3:4], off, off offset:88
	v_mov_b32_e32 v2, v1
	scratch_store_b64 off, v[1:2], off offset:88
	s_waitcnt vmcnt(0)
	ds_store_b64 v5, v[3:4]
.LBB47_275:
	s_or_b32 exec_lo, exec_lo, s0
	s_waitcnt lgkmcnt(0)
	s_waitcnt_vscnt null, 0x0
	s_barrier
	buffer_gl0_inv
	s_clause 0x4
	scratch_load_b128 v[102:105], off, off offset:88
	scratch_load_b128 v[106:109], off, off offset:104
	;; [unrolled: 1-line block ×5, first 2 shown]
	ds_load_b128 v[122:125], v1 offset:480
	ds_load_b128 v[126:129], v1 offset:496
	scratch_load_b128 v[130:133], off, off offset:168
	s_mov_b32 s0, exec_lo
	s_waitcnt vmcnt(5) lgkmcnt(1)
	v_fma_f64 v[2:3], v[104:105], v[122:123], 0
	s_waitcnt vmcnt(4)
	s_delay_alu instid0(VALU_DEP_1) | instskip(SKIP_4) | instid1(VALU_DEP_1)
	v_fma_f64 v[2:3], v[106:107], v[124:125], v[2:3]
	scratch_load_b128 v[104:107], off, off offset:184
	s_waitcnt lgkmcnt(0)
	v_fma_f64 v[2:3], v[108:109], v[126:127], v[2:3]
	s_waitcnt vmcnt(4)
	v_fma_f64 v[2:3], v[110:111], v[128:129], v[2:3]
	ds_load_b128 v[108:111], v1 offset:512
	ds_load_b128 v[122:125], v1 offset:528
	scratch_load_b128 v[126:129], off, off offset:200
	s_waitcnt lgkmcnt(1)
	v_fma_f64 v[2:3], v[112:113], v[108:109], v[2:3]
	s_waitcnt vmcnt(4)
	s_delay_alu instid0(VALU_DEP_1) | instskip(SKIP_4) | instid1(VALU_DEP_1)
	v_fma_f64 v[2:3], v[114:115], v[110:111], v[2:3]
	scratch_load_b128 v[108:111], off, off offset:216
	s_waitcnt lgkmcnt(0)
	v_fma_f64 v[2:3], v[116:117], v[122:123], v[2:3]
	s_waitcnt vmcnt(4)
	v_fma_f64 v[2:3], v[118:119], v[124:125], v[2:3]
	ds_load_b128 v[112:115], v1 offset:544
	ds_load_b128 v[116:119], v1 offset:560
	s_waitcnt lgkmcnt(1)
	v_fma_f64 v[2:3], v[120:121], v[112:113], v[2:3]
	scratch_load_b128 v[120:123], off, off offset:232
	s_waitcnt vmcnt(4)
	v_fma_f64 v[2:3], v[130:131], v[114:115], v[2:3]
	scratch_load_b128 v[112:115], off, off offset:248
	s_waitcnt lgkmcnt(0)
	v_fma_f64 v[2:3], v[132:133], v[116:117], v[2:3]
	s_waitcnt vmcnt(4)
	s_delay_alu instid0(VALU_DEP_1)
	v_fma_f64 v[2:3], v[104:105], v[118:119], v[2:3]
	ds_load_b128 v[116:119], v1 offset:576
	ds_load_b128 v[130:133], v1 offset:592
	s_waitcnt lgkmcnt(1)
	v_fma_f64 v[2:3], v[106:107], v[116:117], v[2:3]
	scratch_load_b128 v[104:107], off, off offset:264
	s_waitcnt vmcnt(4)
	v_fma_f64 v[2:3], v[126:127], v[118:119], v[2:3]
	scratch_load_b128 v[116:119], off, off offset:280
	s_waitcnt lgkmcnt(0)
	v_fma_f64 v[2:3], v[128:129], v[130:131], v[2:3]
	ds_load_b128 v[124:127], v1 offset:608
	ds_load_b128 v[128:131], v1 offset:624
	s_waitcnt vmcnt(4)
	v_fma_f64 v[2:3], v[108:109], v[132:133], v[2:3]
	s_waitcnt lgkmcnt(1)
	s_delay_alu instid0(VALU_DEP_1) | instskip(SKIP_4) | instid1(VALU_DEP_1)
	v_fma_f64 v[2:3], v[110:111], v[124:125], v[2:3]
	scratch_load_b128 v[108:111], off, off offset:296
	s_waitcnt vmcnt(4)
	v_fma_f64 v[2:3], v[120:121], v[126:127], v[2:3]
	s_waitcnt lgkmcnt(0)
	v_fma_f64 v[2:3], v[122:123], v[128:129], v[2:3]
	scratch_load_b128 v[120:123], off, off offset:312
	s_waitcnt vmcnt(4)
	v_fma_f64 v[2:3], v[112:113], v[130:131], v[2:3]
	ds_load_b128 v[124:127], v1 offset:640
	ds_load_b128 v[128:131], v1 offset:656
	s_waitcnt lgkmcnt(1)
	v_fma_f64 v[2:3], v[114:115], v[124:125], v[2:3]
	scratch_load_b128 v[112:115], off, off offset:328
	s_waitcnt vmcnt(4)
	v_fma_f64 v[2:3], v[104:105], v[126:127], v[2:3]
	s_waitcnt lgkmcnt(0)
	s_delay_alu instid0(VALU_DEP_1)
	v_fma_f64 v[2:3], v[106:107], v[128:129], v[2:3]
	scratch_load_b128 v[104:107], off, off offset:344
	s_waitcnt vmcnt(4)
	v_fma_f64 v[2:3], v[116:117], v[130:131], v[2:3]
	ds_load_b128 v[124:127], v1 offset:672
	ds_load_b128 v[128:131], v1 offset:688
	s_waitcnt lgkmcnt(1)
	v_fma_f64 v[2:3], v[118:119], v[124:125], v[2:3]
	scratch_load_b128 v[116:119], off, off offset:360
	s_waitcnt vmcnt(4)
	v_fma_f64 v[2:3], v[108:109], v[126:127], v[2:3]
	s_waitcnt lgkmcnt(0)
	s_delay_alu instid0(VALU_DEP_1)
	v_fma_f64 v[2:3], v[110:111], v[128:129], v[2:3]
	scratch_load_b64 v[128:129], off, off offset:376
	ds_load_b128 v[108:111], v1 offset:704
	ds_load_b128 v[124:127], v1 offset:720
	s_waitcnt vmcnt(4)
	v_fma_f64 v[2:3], v[120:121], v[130:131], v[2:3]
	s_waitcnt lgkmcnt(1)
	s_delay_alu instid0(VALU_DEP_1) | instskip(SKIP_1) | instid1(VALU_DEP_1)
	v_fma_f64 v[2:3], v[122:123], v[108:109], v[2:3]
	s_waitcnt vmcnt(3)
	v_fma_f64 v[2:3], v[112:113], v[110:111], v[2:3]
	s_waitcnt lgkmcnt(0)
	s_delay_alu instid0(VALU_DEP_1) | instskip(SKIP_1) | instid1(VALU_DEP_1)
	v_fma_f64 v[2:3], v[114:115], v[124:125], v[2:3]
	s_waitcnt vmcnt(2)
	v_fma_f64 v[104:105], v[104:105], v[126:127], v[2:3]
	ds_load_b128 v[108:111], v1 offset:736
	ds_load_b128 v[1:4], v1 offset:752
	s_waitcnt lgkmcnt(1)
	v_fma_f64 v[104:105], v[106:107], v[108:109], v[104:105]
	s_waitcnt vmcnt(1)
	s_delay_alu instid0(VALU_DEP_1) | instskip(SKIP_1) | instid1(VALU_DEP_1)
	v_fma_f64 v[104:105], v[116:117], v[110:111], v[104:105]
	s_waitcnt lgkmcnt(0)
	v_fma_f64 v[1:2], v[118:119], v[1:2], v[104:105]
	s_waitcnt vmcnt(0)
	s_delay_alu instid0(VALU_DEP_1) | instskip(NEXT) | instid1(VALU_DEP_1)
	v_fma_f64 v[1:2], v[128:129], v[3:4], v[1:2]
	v_add_f64 v[1:2], v[102:103], -v[1:2]
	scratch_store_b64 off, v[1:2], off offset:88
	v_cmpx_lt_u32_e32 10, v0
	s_cbranch_execz .LBB47_277
; %bb.276:
	scratch_load_b64 v[1:2], off, off offset:80
	v_mov_b32_e32 v3, 0
	s_delay_alu instid0(VALU_DEP_1)
	v_mov_b32_e32 v4, v3
	scratch_store_b64 off, v[3:4], off offset:80
	s_waitcnt vmcnt(0)
	ds_store_b64 v5, v[1:2]
.LBB47_277:
	s_or_b32 exec_lo, exec_lo, s0
	s_waitcnt lgkmcnt(0)
	s_waitcnt_vscnt null, 0x0
	s_barrier
	buffer_gl0_inv
	s_clause 0x4
	scratch_load_b128 v[102:105], off, off offset:80
	scratch_load_b128 v[106:109], off, off offset:96
	;; [unrolled: 1-line block ×5, first 2 shown]
	v_mov_b32_e32 v1, 0
	ds_load_2addr_b64 v[122:125], v1 offset0:59 offset1:60
	ds_load_2addr_b64 v[126:129], v1 offset0:61 offset1:62
	scratch_load_b128 v[130:133], off, off offset:160
	s_mov_b32 s0, exec_lo
	s_waitcnt vmcnt(5) lgkmcnt(1)
	v_fma_f64 v[2:3], v[104:105], v[122:123], 0
	s_waitcnt vmcnt(4)
	s_delay_alu instid0(VALU_DEP_1) | instskip(SKIP_4) | instid1(VALU_DEP_1)
	v_fma_f64 v[2:3], v[106:107], v[124:125], v[2:3]
	scratch_load_b128 v[104:107], off, off offset:176
	s_waitcnt lgkmcnt(0)
	v_fma_f64 v[2:3], v[108:109], v[126:127], v[2:3]
	s_waitcnt vmcnt(4)
	v_fma_f64 v[2:3], v[110:111], v[128:129], v[2:3]
	ds_load_2addr_b64 v[108:111], v1 offset0:63 offset1:64
	ds_load_2addr_b64 v[122:125], v1 offset0:65 offset1:66
	scratch_load_b128 v[126:129], off, off offset:192
	s_waitcnt lgkmcnt(1)
	v_fma_f64 v[2:3], v[112:113], v[108:109], v[2:3]
	s_waitcnt vmcnt(4)
	s_delay_alu instid0(VALU_DEP_1) | instskip(SKIP_4) | instid1(VALU_DEP_1)
	v_fma_f64 v[2:3], v[114:115], v[110:111], v[2:3]
	scratch_load_b128 v[108:111], off, off offset:208
	s_waitcnt lgkmcnt(0)
	v_fma_f64 v[2:3], v[116:117], v[122:123], v[2:3]
	s_waitcnt vmcnt(4)
	v_fma_f64 v[2:3], v[118:119], v[124:125], v[2:3]
	ds_load_2addr_b64 v[112:115], v1 offset0:67 offset1:68
	ds_load_2addr_b64 v[116:119], v1 offset0:69 offset1:70
	s_waitcnt lgkmcnt(1)
	v_fma_f64 v[2:3], v[120:121], v[112:113], v[2:3]
	scratch_load_b128 v[120:123], off, off offset:224
	s_waitcnt vmcnt(4)
	v_fma_f64 v[2:3], v[130:131], v[114:115], v[2:3]
	scratch_load_b128 v[112:115], off, off offset:240
	s_waitcnt lgkmcnt(0)
	v_fma_f64 v[2:3], v[132:133], v[116:117], v[2:3]
	s_waitcnt vmcnt(4)
	s_delay_alu instid0(VALU_DEP_1)
	v_fma_f64 v[2:3], v[104:105], v[118:119], v[2:3]
	ds_load_2addr_b64 v[116:119], v1 offset0:71 offset1:72
	ds_load_2addr_b64 v[130:133], v1 offset0:73 offset1:74
	s_waitcnt lgkmcnt(1)
	v_fma_f64 v[2:3], v[106:107], v[116:117], v[2:3]
	scratch_load_b128 v[104:107], off, off offset:256
	s_waitcnt vmcnt(4)
	v_fma_f64 v[2:3], v[126:127], v[118:119], v[2:3]
	scratch_load_b128 v[116:119], off, off offset:272
	s_waitcnt lgkmcnt(0)
	v_fma_f64 v[2:3], v[128:129], v[130:131], v[2:3]
	ds_load_2addr_b64 v[124:127], v1 offset0:75 offset1:76
	ds_load_2addr_b64 v[128:131], v1 offset0:77 offset1:78
	s_waitcnt vmcnt(4)
	v_fma_f64 v[2:3], v[108:109], v[132:133], v[2:3]
	s_waitcnt lgkmcnt(1)
	s_delay_alu instid0(VALU_DEP_1) | instskip(SKIP_4) | instid1(VALU_DEP_1)
	v_fma_f64 v[2:3], v[110:111], v[124:125], v[2:3]
	scratch_load_b128 v[108:111], off, off offset:288
	s_waitcnt vmcnt(4)
	v_fma_f64 v[2:3], v[120:121], v[126:127], v[2:3]
	s_waitcnt lgkmcnt(0)
	v_fma_f64 v[2:3], v[122:123], v[128:129], v[2:3]
	scratch_load_b128 v[120:123], off, off offset:304
	s_waitcnt vmcnt(4)
	v_fma_f64 v[2:3], v[112:113], v[130:131], v[2:3]
	ds_load_2addr_b64 v[124:127], v1 offset0:79 offset1:80
	ds_load_2addr_b64 v[128:131], v1 offset0:81 offset1:82
	s_waitcnt lgkmcnt(1)
	v_fma_f64 v[2:3], v[114:115], v[124:125], v[2:3]
	scratch_load_b128 v[112:115], off, off offset:320
	s_waitcnt vmcnt(4)
	v_fma_f64 v[2:3], v[104:105], v[126:127], v[2:3]
	s_waitcnt lgkmcnt(0)
	s_delay_alu instid0(VALU_DEP_1)
	v_fma_f64 v[2:3], v[106:107], v[128:129], v[2:3]
	scratch_load_b128 v[104:107], off, off offset:336
	s_waitcnt vmcnt(4)
	v_fma_f64 v[2:3], v[116:117], v[130:131], v[2:3]
	ds_load_2addr_b64 v[124:127], v1 offset0:83 offset1:84
	ds_load_2addr_b64 v[128:131], v1 offset0:85 offset1:86
	s_waitcnt lgkmcnt(1)
	v_fma_f64 v[2:3], v[118:119], v[124:125], v[2:3]
	scratch_load_b128 v[116:119], off, off offset:352
	s_waitcnt vmcnt(4)
	v_fma_f64 v[2:3], v[108:109], v[126:127], v[2:3]
	s_waitcnt lgkmcnt(0)
	s_delay_alu instid0(VALU_DEP_1)
	v_fma_f64 v[2:3], v[110:111], v[128:129], v[2:3]
	scratch_load_b128 v[108:111], off, off offset:368
	s_waitcnt vmcnt(4)
	v_fma_f64 v[2:3], v[120:121], v[130:131], v[2:3]
	ds_load_2addr_b64 v[124:127], v1 offset0:87 offset1:88
	ds_load_2addr_b64 v[128:131], v1 offset0:89 offset1:90
	s_waitcnt lgkmcnt(1)
	v_fma_f64 v[2:3], v[122:123], v[124:125], v[2:3]
	s_waitcnt vmcnt(3)
	s_delay_alu instid0(VALU_DEP_1) | instskip(SKIP_1) | instid1(VALU_DEP_1)
	v_fma_f64 v[2:3], v[112:113], v[126:127], v[2:3]
	s_waitcnt lgkmcnt(0)
	v_fma_f64 v[2:3], v[114:115], v[128:129], v[2:3]
	ds_load_2addr_b64 v[112:115], v1 offset0:91 offset1:92
	ds_load_2addr_b64 v[120:123], v1 offset0:93 offset1:94
	s_waitcnt vmcnt(2)
	v_fma_f64 v[2:3], v[104:105], v[130:131], v[2:3]
	ds_load_b64 v[104:105], v1 offset:760
	s_waitcnt lgkmcnt(2)
	v_fma_f64 v[2:3], v[106:107], v[112:113], v[2:3]
	s_waitcnt vmcnt(1)
	s_delay_alu instid0(VALU_DEP_1) | instskip(SKIP_1) | instid1(VALU_DEP_1)
	v_fma_f64 v[2:3], v[116:117], v[114:115], v[2:3]
	s_waitcnt lgkmcnt(1)
	v_fma_f64 v[2:3], v[118:119], v[120:121], v[2:3]
	s_waitcnt vmcnt(0)
	s_delay_alu instid0(VALU_DEP_1) | instskip(SKIP_1) | instid1(VALU_DEP_1)
	v_fma_f64 v[2:3], v[108:109], v[122:123], v[2:3]
	s_waitcnt lgkmcnt(0)
	v_fma_f64 v[2:3], v[110:111], v[104:105], v[2:3]
	s_delay_alu instid0(VALU_DEP_1)
	v_add_f64 v[2:3], v[102:103], -v[2:3]
	scratch_store_b64 off, v[2:3], off offset:80
	v_cmpx_lt_u32_e32 9, v0
	s_cbranch_execz .LBB47_279
; %bb.278:
	scratch_load_b64 v[3:4], off, off offset:72
	v_mov_b32_e32 v2, v1
	scratch_store_b64 off, v[1:2], off offset:72
	s_waitcnt vmcnt(0)
	ds_store_b64 v5, v[3:4]
.LBB47_279:
	s_or_b32 exec_lo, exec_lo, s0
	s_waitcnt lgkmcnt(0)
	s_waitcnt_vscnt null, 0x0
	s_barrier
	buffer_gl0_inv
	s_clause 0x4
	scratch_load_b128 v[102:105], off, off offset:72
	scratch_load_b128 v[106:109], off, off offset:88
	;; [unrolled: 1-line block ×5, first 2 shown]
	ds_load_b128 v[122:125], v1 offset:464
	ds_load_b128 v[126:129], v1 offset:480
	scratch_load_b128 v[130:133], off, off offset:152
	s_mov_b32 s0, exec_lo
	s_waitcnt vmcnt(5) lgkmcnt(1)
	v_fma_f64 v[2:3], v[104:105], v[122:123], 0
	s_waitcnt vmcnt(4)
	s_delay_alu instid0(VALU_DEP_1) | instskip(SKIP_4) | instid1(VALU_DEP_1)
	v_fma_f64 v[2:3], v[106:107], v[124:125], v[2:3]
	scratch_load_b128 v[104:107], off, off offset:168
	s_waitcnt lgkmcnt(0)
	v_fma_f64 v[2:3], v[108:109], v[126:127], v[2:3]
	s_waitcnt vmcnt(4)
	v_fma_f64 v[2:3], v[110:111], v[128:129], v[2:3]
	ds_load_b128 v[108:111], v1 offset:496
	ds_load_b128 v[122:125], v1 offset:512
	scratch_load_b128 v[126:129], off, off offset:184
	s_waitcnt lgkmcnt(1)
	v_fma_f64 v[2:3], v[112:113], v[108:109], v[2:3]
	s_waitcnt vmcnt(4)
	s_delay_alu instid0(VALU_DEP_1) | instskip(SKIP_4) | instid1(VALU_DEP_1)
	v_fma_f64 v[2:3], v[114:115], v[110:111], v[2:3]
	scratch_load_b128 v[108:111], off, off offset:200
	s_waitcnt lgkmcnt(0)
	v_fma_f64 v[2:3], v[116:117], v[122:123], v[2:3]
	s_waitcnt vmcnt(4)
	v_fma_f64 v[2:3], v[118:119], v[124:125], v[2:3]
	ds_load_b128 v[112:115], v1 offset:528
	ds_load_b128 v[116:119], v1 offset:544
	s_waitcnt lgkmcnt(1)
	v_fma_f64 v[2:3], v[120:121], v[112:113], v[2:3]
	scratch_load_b128 v[120:123], off, off offset:216
	s_waitcnt vmcnt(4)
	v_fma_f64 v[2:3], v[130:131], v[114:115], v[2:3]
	scratch_load_b128 v[112:115], off, off offset:232
	s_waitcnt lgkmcnt(0)
	v_fma_f64 v[2:3], v[132:133], v[116:117], v[2:3]
	s_waitcnt vmcnt(4)
	s_delay_alu instid0(VALU_DEP_1)
	v_fma_f64 v[2:3], v[104:105], v[118:119], v[2:3]
	ds_load_b128 v[116:119], v1 offset:560
	ds_load_b128 v[130:133], v1 offset:576
	s_waitcnt lgkmcnt(1)
	v_fma_f64 v[2:3], v[106:107], v[116:117], v[2:3]
	scratch_load_b128 v[104:107], off, off offset:248
	s_waitcnt vmcnt(4)
	v_fma_f64 v[2:3], v[126:127], v[118:119], v[2:3]
	scratch_load_b128 v[116:119], off, off offset:264
	s_waitcnt lgkmcnt(0)
	v_fma_f64 v[2:3], v[128:129], v[130:131], v[2:3]
	ds_load_b128 v[124:127], v1 offset:592
	ds_load_b128 v[128:131], v1 offset:608
	s_waitcnt vmcnt(4)
	v_fma_f64 v[2:3], v[108:109], v[132:133], v[2:3]
	s_waitcnt lgkmcnt(1)
	s_delay_alu instid0(VALU_DEP_1) | instskip(SKIP_4) | instid1(VALU_DEP_1)
	v_fma_f64 v[2:3], v[110:111], v[124:125], v[2:3]
	scratch_load_b128 v[108:111], off, off offset:280
	s_waitcnt vmcnt(4)
	v_fma_f64 v[2:3], v[120:121], v[126:127], v[2:3]
	s_waitcnt lgkmcnt(0)
	v_fma_f64 v[2:3], v[122:123], v[128:129], v[2:3]
	scratch_load_b128 v[120:123], off, off offset:296
	s_waitcnt vmcnt(4)
	v_fma_f64 v[2:3], v[112:113], v[130:131], v[2:3]
	ds_load_b128 v[124:127], v1 offset:624
	ds_load_b128 v[128:131], v1 offset:640
	s_waitcnt lgkmcnt(1)
	v_fma_f64 v[2:3], v[114:115], v[124:125], v[2:3]
	scratch_load_b128 v[112:115], off, off offset:312
	s_waitcnt vmcnt(4)
	v_fma_f64 v[2:3], v[104:105], v[126:127], v[2:3]
	s_waitcnt lgkmcnt(0)
	s_delay_alu instid0(VALU_DEP_1)
	v_fma_f64 v[2:3], v[106:107], v[128:129], v[2:3]
	scratch_load_b128 v[104:107], off, off offset:328
	s_waitcnt vmcnt(4)
	v_fma_f64 v[2:3], v[116:117], v[130:131], v[2:3]
	ds_load_b128 v[124:127], v1 offset:656
	ds_load_b128 v[128:131], v1 offset:672
	s_waitcnt lgkmcnt(1)
	v_fma_f64 v[2:3], v[118:119], v[124:125], v[2:3]
	scratch_load_b128 v[116:119], off, off offset:344
	s_waitcnt vmcnt(4)
	v_fma_f64 v[2:3], v[108:109], v[126:127], v[2:3]
	s_waitcnt lgkmcnt(0)
	s_delay_alu instid0(VALU_DEP_1)
	v_fma_f64 v[2:3], v[110:111], v[128:129], v[2:3]
	scratch_load_b128 v[108:111], off, off offset:360
	s_waitcnt vmcnt(4)
	v_fma_f64 v[2:3], v[120:121], v[130:131], v[2:3]
	ds_load_b128 v[124:127], v1 offset:688
	ds_load_b128 v[128:131], v1 offset:704
	s_waitcnt lgkmcnt(1)
	v_fma_f64 v[2:3], v[122:123], v[124:125], v[2:3]
	scratch_load_b64 v[124:125], off, off offset:376
	s_waitcnt vmcnt(4)
	v_fma_f64 v[2:3], v[112:113], v[126:127], v[2:3]
	s_waitcnt lgkmcnt(0)
	s_delay_alu instid0(VALU_DEP_1)
	v_fma_f64 v[2:3], v[114:115], v[128:129], v[2:3]
	ds_load_b128 v[112:115], v1 offset:720
	ds_load_b128 v[120:123], v1 offset:736
	s_waitcnt vmcnt(3)
	v_fma_f64 v[2:3], v[104:105], v[130:131], v[2:3]
	s_waitcnt lgkmcnt(1)
	s_delay_alu instid0(VALU_DEP_1) | instskip(SKIP_1) | instid1(VALU_DEP_1)
	v_fma_f64 v[2:3], v[106:107], v[112:113], v[2:3]
	s_waitcnt vmcnt(2)
	v_fma_f64 v[2:3], v[116:117], v[114:115], v[2:3]
	s_waitcnt lgkmcnt(0)
	s_delay_alu instid0(VALU_DEP_1) | instskip(SKIP_1) | instid1(VALU_DEP_1)
	v_fma_f64 v[2:3], v[118:119], v[120:121], v[2:3]
	s_waitcnt vmcnt(1)
	v_fma_f64 v[104:105], v[108:109], v[122:123], v[2:3]
	ds_load_b128 v[1:4], v1 offset:752
	s_waitcnt lgkmcnt(0)
	v_fma_f64 v[1:2], v[110:111], v[1:2], v[104:105]
	s_waitcnt vmcnt(0)
	s_delay_alu instid0(VALU_DEP_1) | instskip(NEXT) | instid1(VALU_DEP_1)
	v_fma_f64 v[1:2], v[124:125], v[3:4], v[1:2]
	v_add_f64 v[1:2], v[102:103], -v[1:2]
	scratch_store_b64 off, v[1:2], off offset:72
	v_cmpx_lt_u32_e32 8, v0
	s_cbranch_execz .LBB47_281
; %bb.280:
	scratch_load_b64 v[1:2], off, off offset:64
	v_mov_b32_e32 v3, 0
	s_delay_alu instid0(VALU_DEP_1)
	v_mov_b32_e32 v4, v3
	scratch_store_b64 off, v[3:4], off offset:64
	s_waitcnt vmcnt(0)
	ds_store_b64 v5, v[1:2]
.LBB47_281:
	s_or_b32 exec_lo, exec_lo, s0
	s_waitcnt lgkmcnt(0)
	s_waitcnt_vscnt null, 0x0
	s_barrier
	buffer_gl0_inv
	s_clause 0x4
	scratch_load_b128 v[102:105], off, off offset:64
	scratch_load_b128 v[106:109], off, off offset:80
	;; [unrolled: 1-line block ×5, first 2 shown]
	v_mov_b32_e32 v1, 0
	ds_load_2addr_b64 v[122:125], v1 offset0:57 offset1:58
	ds_load_2addr_b64 v[126:129], v1 offset0:59 offset1:60
	scratch_load_b128 v[130:133], off, off offset:144
	s_mov_b32 s0, exec_lo
	s_waitcnt vmcnt(5) lgkmcnt(1)
	v_fma_f64 v[2:3], v[104:105], v[122:123], 0
	s_waitcnt vmcnt(4)
	s_delay_alu instid0(VALU_DEP_1) | instskip(SKIP_4) | instid1(VALU_DEP_1)
	v_fma_f64 v[2:3], v[106:107], v[124:125], v[2:3]
	scratch_load_b128 v[104:107], off, off offset:160
	s_waitcnt lgkmcnt(0)
	v_fma_f64 v[2:3], v[108:109], v[126:127], v[2:3]
	s_waitcnt vmcnt(4)
	v_fma_f64 v[2:3], v[110:111], v[128:129], v[2:3]
	ds_load_2addr_b64 v[108:111], v1 offset0:61 offset1:62
	ds_load_2addr_b64 v[122:125], v1 offset0:63 offset1:64
	scratch_load_b128 v[126:129], off, off offset:176
	s_waitcnt lgkmcnt(1)
	v_fma_f64 v[2:3], v[112:113], v[108:109], v[2:3]
	s_waitcnt vmcnt(4)
	s_delay_alu instid0(VALU_DEP_1) | instskip(SKIP_4) | instid1(VALU_DEP_1)
	v_fma_f64 v[2:3], v[114:115], v[110:111], v[2:3]
	scratch_load_b128 v[108:111], off, off offset:192
	s_waitcnt lgkmcnt(0)
	v_fma_f64 v[2:3], v[116:117], v[122:123], v[2:3]
	s_waitcnt vmcnt(4)
	v_fma_f64 v[2:3], v[118:119], v[124:125], v[2:3]
	ds_load_2addr_b64 v[112:115], v1 offset0:65 offset1:66
	ds_load_2addr_b64 v[116:119], v1 offset0:67 offset1:68
	s_waitcnt lgkmcnt(1)
	v_fma_f64 v[2:3], v[120:121], v[112:113], v[2:3]
	scratch_load_b128 v[120:123], off, off offset:208
	s_waitcnt vmcnt(4)
	v_fma_f64 v[2:3], v[130:131], v[114:115], v[2:3]
	scratch_load_b128 v[112:115], off, off offset:224
	s_waitcnt lgkmcnt(0)
	v_fma_f64 v[2:3], v[132:133], v[116:117], v[2:3]
	s_waitcnt vmcnt(4)
	s_delay_alu instid0(VALU_DEP_1)
	v_fma_f64 v[2:3], v[104:105], v[118:119], v[2:3]
	ds_load_2addr_b64 v[116:119], v1 offset0:69 offset1:70
	ds_load_2addr_b64 v[130:133], v1 offset0:71 offset1:72
	s_waitcnt lgkmcnt(1)
	v_fma_f64 v[2:3], v[106:107], v[116:117], v[2:3]
	scratch_load_b128 v[104:107], off, off offset:240
	s_waitcnt vmcnt(4)
	v_fma_f64 v[2:3], v[126:127], v[118:119], v[2:3]
	scratch_load_b128 v[116:119], off, off offset:256
	s_waitcnt lgkmcnt(0)
	v_fma_f64 v[2:3], v[128:129], v[130:131], v[2:3]
	ds_load_2addr_b64 v[124:127], v1 offset0:73 offset1:74
	ds_load_2addr_b64 v[128:131], v1 offset0:75 offset1:76
	s_waitcnt vmcnt(4)
	v_fma_f64 v[2:3], v[108:109], v[132:133], v[2:3]
	s_waitcnt lgkmcnt(1)
	s_delay_alu instid0(VALU_DEP_1) | instskip(SKIP_4) | instid1(VALU_DEP_1)
	v_fma_f64 v[2:3], v[110:111], v[124:125], v[2:3]
	scratch_load_b128 v[108:111], off, off offset:272
	s_waitcnt vmcnt(4)
	v_fma_f64 v[2:3], v[120:121], v[126:127], v[2:3]
	s_waitcnt lgkmcnt(0)
	v_fma_f64 v[2:3], v[122:123], v[128:129], v[2:3]
	scratch_load_b128 v[120:123], off, off offset:288
	s_waitcnt vmcnt(4)
	v_fma_f64 v[2:3], v[112:113], v[130:131], v[2:3]
	ds_load_2addr_b64 v[124:127], v1 offset0:77 offset1:78
	ds_load_2addr_b64 v[128:131], v1 offset0:79 offset1:80
	s_waitcnt lgkmcnt(1)
	v_fma_f64 v[2:3], v[114:115], v[124:125], v[2:3]
	scratch_load_b128 v[112:115], off, off offset:304
	s_waitcnt vmcnt(4)
	v_fma_f64 v[2:3], v[104:105], v[126:127], v[2:3]
	s_waitcnt lgkmcnt(0)
	s_delay_alu instid0(VALU_DEP_1)
	v_fma_f64 v[2:3], v[106:107], v[128:129], v[2:3]
	scratch_load_b128 v[104:107], off, off offset:320
	s_waitcnt vmcnt(4)
	v_fma_f64 v[2:3], v[116:117], v[130:131], v[2:3]
	ds_load_2addr_b64 v[124:127], v1 offset0:81 offset1:82
	ds_load_2addr_b64 v[128:131], v1 offset0:83 offset1:84
	s_waitcnt lgkmcnt(1)
	v_fma_f64 v[2:3], v[118:119], v[124:125], v[2:3]
	scratch_load_b128 v[116:119], off, off offset:336
	s_waitcnt vmcnt(4)
	v_fma_f64 v[2:3], v[108:109], v[126:127], v[2:3]
	s_waitcnt lgkmcnt(0)
	s_delay_alu instid0(VALU_DEP_1)
	;; [unrolled: 13-line block ×3, first 2 shown]
	v_fma_f64 v[2:3], v[114:115], v[128:129], v[2:3]
	ds_load_2addr_b64 v[112:115], v1 offset0:89 offset1:90
	ds_load_2addr_b64 v[124:127], v1 offset0:91 offset1:92
	s_waitcnt vmcnt(3)
	v_fma_f64 v[2:3], v[104:105], v[130:131], v[2:3]
	s_waitcnt lgkmcnt(1)
	s_delay_alu instid0(VALU_DEP_1) | instskip(SKIP_1) | instid1(VALU_DEP_1)
	v_fma_f64 v[2:3], v[106:107], v[112:113], v[2:3]
	s_waitcnt vmcnt(2)
	v_fma_f64 v[2:3], v[116:117], v[114:115], v[2:3]
	s_waitcnt lgkmcnt(0)
	s_delay_alu instid0(VALU_DEP_1) | instskip(SKIP_1) | instid1(VALU_DEP_1)
	v_fma_f64 v[2:3], v[118:119], v[124:125], v[2:3]
	s_waitcnt vmcnt(1)
	v_fma_f64 v[2:3], v[108:109], v[126:127], v[2:3]
	ds_load_2addr_b64 v[104:107], v1 offset0:93 offset1:94
	ds_load_b64 v[108:109], v1 offset:760
	s_waitcnt lgkmcnt(1)
	v_fma_f64 v[2:3], v[110:111], v[104:105], v[2:3]
	s_waitcnt vmcnt(0)
	s_delay_alu instid0(VALU_DEP_1) | instskip(SKIP_1) | instid1(VALU_DEP_1)
	v_fma_f64 v[2:3], v[120:121], v[106:107], v[2:3]
	s_waitcnt lgkmcnt(0)
	v_fma_f64 v[2:3], v[122:123], v[108:109], v[2:3]
	s_delay_alu instid0(VALU_DEP_1)
	v_add_f64 v[2:3], v[102:103], -v[2:3]
	scratch_store_b64 off, v[2:3], off offset:64
	v_cmpx_lt_u32_e32 7, v0
	s_cbranch_execz .LBB47_283
; %bb.282:
	scratch_load_b64 v[3:4], off, off offset:56
	v_mov_b32_e32 v2, v1
	scratch_store_b64 off, v[1:2], off offset:56
	s_waitcnt vmcnt(0)
	ds_store_b64 v5, v[3:4]
.LBB47_283:
	s_or_b32 exec_lo, exec_lo, s0
	s_waitcnt lgkmcnt(0)
	s_waitcnt_vscnt null, 0x0
	s_barrier
	buffer_gl0_inv
	s_clause 0x4
	scratch_load_b128 v[102:105], off, off offset:56
	scratch_load_b128 v[106:109], off, off offset:72
	;; [unrolled: 1-line block ×5, first 2 shown]
	ds_load_b128 v[122:125], v1 offset:448
	ds_load_b128 v[126:129], v1 offset:464
	scratch_load_b128 v[130:133], off, off offset:136
	s_mov_b32 s0, exec_lo
	s_waitcnt vmcnt(5) lgkmcnt(1)
	v_fma_f64 v[2:3], v[104:105], v[122:123], 0
	s_waitcnt vmcnt(4)
	s_delay_alu instid0(VALU_DEP_1) | instskip(SKIP_4) | instid1(VALU_DEP_1)
	v_fma_f64 v[2:3], v[106:107], v[124:125], v[2:3]
	scratch_load_b128 v[104:107], off, off offset:152
	s_waitcnt lgkmcnt(0)
	v_fma_f64 v[2:3], v[108:109], v[126:127], v[2:3]
	s_waitcnt vmcnt(4)
	v_fma_f64 v[2:3], v[110:111], v[128:129], v[2:3]
	ds_load_b128 v[108:111], v1 offset:480
	ds_load_b128 v[122:125], v1 offset:496
	scratch_load_b128 v[126:129], off, off offset:168
	s_waitcnt lgkmcnt(1)
	v_fma_f64 v[2:3], v[112:113], v[108:109], v[2:3]
	s_waitcnt vmcnt(4)
	s_delay_alu instid0(VALU_DEP_1) | instskip(SKIP_4) | instid1(VALU_DEP_1)
	v_fma_f64 v[2:3], v[114:115], v[110:111], v[2:3]
	scratch_load_b128 v[108:111], off, off offset:184
	s_waitcnt lgkmcnt(0)
	v_fma_f64 v[2:3], v[116:117], v[122:123], v[2:3]
	s_waitcnt vmcnt(4)
	v_fma_f64 v[2:3], v[118:119], v[124:125], v[2:3]
	ds_load_b128 v[112:115], v1 offset:512
	ds_load_b128 v[116:119], v1 offset:528
	s_waitcnt lgkmcnt(1)
	v_fma_f64 v[2:3], v[120:121], v[112:113], v[2:3]
	scratch_load_b128 v[120:123], off, off offset:200
	s_waitcnt vmcnt(4)
	v_fma_f64 v[2:3], v[130:131], v[114:115], v[2:3]
	scratch_load_b128 v[112:115], off, off offset:216
	s_waitcnt lgkmcnt(0)
	v_fma_f64 v[2:3], v[132:133], v[116:117], v[2:3]
	s_waitcnt vmcnt(4)
	s_delay_alu instid0(VALU_DEP_1)
	v_fma_f64 v[2:3], v[104:105], v[118:119], v[2:3]
	ds_load_b128 v[116:119], v1 offset:544
	ds_load_b128 v[130:133], v1 offset:560
	s_waitcnt lgkmcnt(1)
	v_fma_f64 v[2:3], v[106:107], v[116:117], v[2:3]
	scratch_load_b128 v[104:107], off, off offset:232
	s_waitcnt vmcnt(4)
	v_fma_f64 v[2:3], v[126:127], v[118:119], v[2:3]
	scratch_load_b128 v[116:119], off, off offset:248
	s_waitcnt lgkmcnt(0)
	v_fma_f64 v[2:3], v[128:129], v[130:131], v[2:3]
	ds_load_b128 v[124:127], v1 offset:576
	ds_load_b128 v[128:131], v1 offset:592
	s_waitcnt vmcnt(4)
	v_fma_f64 v[2:3], v[108:109], v[132:133], v[2:3]
	s_waitcnt lgkmcnt(1)
	s_delay_alu instid0(VALU_DEP_1) | instskip(SKIP_4) | instid1(VALU_DEP_1)
	v_fma_f64 v[2:3], v[110:111], v[124:125], v[2:3]
	scratch_load_b128 v[108:111], off, off offset:264
	s_waitcnt vmcnt(4)
	v_fma_f64 v[2:3], v[120:121], v[126:127], v[2:3]
	s_waitcnt lgkmcnt(0)
	v_fma_f64 v[2:3], v[122:123], v[128:129], v[2:3]
	scratch_load_b128 v[120:123], off, off offset:280
	s_waitcnt vmcnt(4)
	v_fma_f64 v[2:3], v[112:113], v[130:131], v[2:3]
	ds_load_b128 v[124:127], v1 offset:608
	ds_load_b128 v[128:131], v1 offset:624
	s_waitcnt lgkmcnt(1)
	v_fma_f64 v[2:3], v[114:115], v[124:125], v[2:3]
	scratch_load_b128 v[112:115], off, off offset:296
	s_waitcnt vmcnt(4)
	v_fma_f64 v[2:3], v[104:105], v[126:127], v[2:3]
	s_waitcnt lgkmcnt(0)
	s_delay_alu instid0(VALU_DEP_1)
	v_fma_f64 v[2:3], v[106:107], v[128:129], v[2:3]
	scratch_load_b128 v[104:107], off, off offset:312
	s_waitcnt vmcnt(4)
	v_fma_f64 v[2:3], v[116:117], v[130:131], v[2:3]
	ds_load_b128 v[124:127], v1 offset:640
	ds_load_b128 v[128:131], v1 offset:656
	s_waitcnt lgkmcnt(1)
	v_fma_f64 v[2:3], v[118:119], v[124:125], v[2:3]
	scratch_load_b128 v[116:119], off, off offset:328
	s_waitcnt vmcnt(4)
	v_fma_f64 v[2:3], v[108:109], v[126:127], v[2:3]
	s_waitcnt lgkmcnt(0)
	s_delay_alu instid0(VALU_DEP_1)
	;; [unrolled: 13-line block ×3, first 2 shown]
	v_fma_f64 v[2:3], v[114:115], v[128:129], v[2:3]
	scratch_load_b64 v[128:129], off, off offset:376
	ds_load_b128 v[112:115], v1 offset:704
	ds_load_b128 v[124:127], v1 offset:720
	s_waitcnt vmcnt(4)
	v_fma_f64 v[2:3], v[104:105], v[130:131], v[2:3]
	s_waitcnt lgkmcnt(1)
	s_delay_alu instid0(VALU_DEP_1) | instskip(SKIP_1) | instid1(VALU_DEP_1)
	v_fma_f64 v[2:3], v[106:107], v[112:113], v[2:3]
	s_waitcnt vmcnt(3)
	v_fma_f64 v[2:3], v[116:117], v[114:115], v[2:3]
	s_waitcnt lgkmcnt(0)
	s_delay_alu instid0(VALU_DEP_1) | instskip(SKIP_1) | instid1(VALU_DEP_1)
	v_fma_f64 v[2:3], v[118:119], v[124:125], v[2:3]
	s_waitcnt vmcnt(2)
	v_fma_f64 v[108:109], v[108:109], v[126:127], v[2:3]
	ds_load_b128 v[104:107], v1 offset:736
	ds_load_b128 v[1:4], v1 offset:752
	s_waitcnt lgkmcnt(1)
	v_fma_f64 v[104:105], v[110:111], v[104:105], v[108:109]
	s_waitcnt vmcnt(1)
	s_delay_alu instid0(VALU_DEP_1) | instskip(SKIP_1) | instid1(VALU_DEP_1)
	v_fma_f64 v[104:105], v[120:121], v[106:107], v[104:105]
	s_waitcnt lgkmcnt(0)
	v_fma_f64 v[1:2], v[122:123], v[1:2], v[104:105]
	s_waitcnt vmcnt(0)
	s_delay_alu instid0(VALU_DEP_1) | instskip(NEXT) | instid1(VALU_DEP_1)
	v_fma_f64 v[1:2], v[128:129], v[3:4], v[1:2]
	v_add_f64 v[1:2], v[102:103], -v[1:2]
	scratch_store_b64 off, v[1:2], off offset:56
	v_cmpx_lt_u32_e32 6, v0
	s_cbranch_execz .LBB47_285
; %bb.284:
	scratch_load_b64 v[1:2], off, off offset:48
	v_mov_b32_e32 v3, 0
	s_delay_alu instid0(VALU_DEP_1)
	v_mov_b32_e32 v4, v3
	scratch_store_b64 off, v[3:4], off offset:48
	s_waitcnt vmcnt(0)
	ds_store_b64 v5, v[1:2]
.LBB47_285:
	s_or_b32 exec_lo, exec_lo, s0
	s_waitcnt lgkmcnt(0)
	s_waitcnt_vscnt null, 0x0
	s_barrier
	buffer_gl0_inv
	s_clause 0x4
	scratch_load_b128 v[102:105], off, off offset:48
	scratch_load_b128 v[106:109], off, off offset:64
	;; [unrolled: 1-line block ×5, first 2 shown]
	v_mov_b32_e32 v1, 0
	ds_load_2addr_b64 v[122:125], v1 offset0:55 offset1:56
	ds_load_2addr_b64 v[126:129], v1 offset0:57 offset1:58
	scratch_load_b128 v[130:133], off, off offset:128
	s_mov_b32 s0, exec_lo
	s_waitcnt vmcnt(5) lgkmcnt(1)
	v_fma_f64 v[2:3], v[104:105], v[122:123], 0
	s_waitcnt vmcnt(4)
	s_delay_alu instid0(VALU_DEP_1) | instskip(SKIP_4) | instid1(VALU_DEP_1)
	v_fma_f64 v[2:3], v[106:107], v[124:125], v[2:3]
	scratch_load_b128 v[104:107], off, off offset:144
	s_waitcnt lgkmcnt(0)
	v_fma_f64 v[2:3], v[108:109], v[126:127], v[2:3]
	s_waitcnt vmcnt(4)
	v_fma_f64 v[2:3], v[110:111], v[128:129], v[2:3]
	ds_load_2addr_b64 v[108:111], v1 offset0:59 offset1:60
	ds_load_2addr_b64 v[122:125], v1 offset0:61 offset1:62
	scratch_load_b128 v[126:129], off, off offset:160
	s_waitcnt lgkmcnt(1)
	v_fma_f64 v[2:3], v[112:113], v[108:109], v[2:3]
	s_waitcnt vmcnt(4)
	s_delay_alu instid0(VALU_DEP_1) | instskip(SKIP_4) | instid1(VALU_DEP_1)
	v_fma_f64 v[2:3], v[114:115], v[110:111], v[2:3]
	scratch_load_b128 v[108:111], off, off offset:176
	s_waitcnt lgkmcnt(0)
	v_fma_f64 v[2:3], v[116:117], v[122:123], v[2:3]
	s_waitcnt vmcnt(4)
	v_fma_f64 v[2:3], v[118:119], v[124:125], v[2:3]
	ds_load_2addr_b64 v[112:115], v1 offset0:63 offset1:64
	ds_load_2addr_b64 v[116:119], v1 offset0:65 offset1:66
	s_waitcnt lgkmcnt(1)
	v_fma_f64 v[2:3], v[120:121], v[112:113], v[2:3]
	scratch_load_b128 v[120:123], off, off offset:192
	s_waitcnt vmcnt(4)
	v_fma_f64 v[2:3], v[130:131], v[114:115], v[2:3]
	scratch_load_b128 v[112:115], off, off offset:208
	s_waitcnt lgkmcnt(0)
	v_fma_f64 v[2:3], v[132:133], v[116:117], v[2:3]
	s_waitcnt vmcnt(4)
	s_delay_alu instid0(VALU_DEP_1)
	v_fma_f64 v[2:3], v[104:105], v[118:119], v[2:3]
	ds_load_2addr_b64 v[116:119], v1 offset0:67 offset1:68
	ds_load_2addr_b64 v[130:133], v1 offset0:69 offset1:70
	s_waitcnt lgkmcnt(1)
	v_fma_f64 v[2:3], v[106:107], v[116:117], v[2:3]
	scratch_load_b128 v[104:107], off, off offset:224
	s_waitcnt vmcnt(4)
	v_fma_f64 v[2:3], v[126:127], v[118:119], v[2:3]
	scratch_load_b128 v[116:119], off, off offset:240
	s_waitcnt lgkmcnt(0)
	v_fma_f64 v[2:3], v[128:129], v[130:131], v[2:3]
	ds_load_2addr_b64 v[124:127], v1 offset0:71 offset1:72
	ds_load_2addr_b64 v[128:131], v1 offset0:73 offset1:74
	s_waitcnt vmcnt(4)
	v_fma_f64 v[2:3], v[108:109], v[132:133], v[2:3]
	s_waitcnt lgkmcnt(1)
	s_delay_alu instid0(VALU_DEP_1) | instskip(SKIP_4) | instid1(VALU_DEP_1)
	v_fma_f64 v[2:3], v[110:111], v[124:125], v[2:3]
	scratch_load_b128 v[108:111], off, off offset:256
	s_waitcnt vmcnt(4)
	v_fma_f64 v[2:3], v[120:121], v[126:127], v[2:3]
	s_waitcnt lgkmcnt(0)
	v_fma_f64 v[2:3], v[122:123], v[128:129], v[2:3]
	scratch_load_b128 v[120:123], off, off offset:272
	s_waitcnt vmcnt(4)
	v_fma_f64 v[2:3], v[112:113], v[130:131], v[2:3]
	ds_load_2addr_b64 v[124:127], v1 offset0:75 offset1:76
	ds_load_2addr_b64 v[128:131], v1 offset0:77 offset1:78
	s_waitcnt lgkmcnt(1)
	v_fma_f64 v[2:3], v[114:115], v[124:125], v[2:3]
	scratch_load_b128 v[112:115], off, off offset:288
	s_waitcnt vmcnt(4)
	v_fma_f64 v[2:3], v[104:105], v[126:127], v[2:3]
	s_waitcnt lgkmcnt(0)
	s_delay_alu instid0(VALU_DEP_1)
	v_fma_f64 v[2:3], v[106:107], v[128:129], v[2:3]
	scratch_load_b128 v[104:107], off, off offset:304
	s_waitcnt vmcnt(4)
	v_fma_f64 v[2:3], v[116:117], v[130:131], v[2:3]
	ds_load_2addr_b64 v[124:127], v1 offset0:79 offset1:80
	ds_load_2addr_b64 v[128:131], v1 offset0:81 offset1:82
	s_waitcnt lgkmcnt(1)
	v_fma_f64 v[2:3], v[118:119], v[124:125], v[2:3]
	scratch_load_b128 v[116:119], off, off offset:320
	s_waitcnt vmcnt(4)
	v_fma_f64 v[2:3], v[108:109], v[126:127], v[2:3]
	s_waitcnt lgkmcnt(0)
	s_delay_alu instid0(VALU_DEP_1)
	;; [unrolled: 13-line block ×3, first 2 shown]
	v_fma_f64 v[2:3], v[114:115], v[128:129], v[2:3]
	scratch_load_b128 v[112:115], off, off offset:368
	s_waitcnt vmcnt(4)
	v_fma_f64 v[2:3], v[104:105], v[130:131], v[2:3]
	ds_load_2addr_b64 v[124:127], v1 offset0:87 offset1:88
	ds_load_2addr_b64 v[128:131], v1 offset0:89 offset1:90
	s_waitcnt lgkmcnt(1)
	v_fma_f64 v[2:3], v[106:107], v[124:125], v[2:3]
	s_waitcnt vmcnt(3)
	s_delay_alu instid0(VALU_DEP_1) | instskip(SKIP_1) | instid1(VALU_DEP_1)
	v_fma_f64 v[2:3], v[116:117], v[126:127], v[2:3]
	s_waitcnt lgkmcnt(0)
	v_fma_f64 v[2:3], v[118:119], v[128:129], v[2:3]
	ds_load_2addr_b64 v[104:107], v1 offset0:91 offset1:92
	ds_load_2addr_b64 v[116:119], v1 offset0:93 offset1:94
	s_waitcnt vmcnt(2)
	v_fma_f64 v[2:3], v[108:109], v[130:131], v[2:3]
	s_waitcnt lgkmcnt(1)
	s_delay_alu instid0(VALU_DEP_1) | instskip(SKIP_4) | instid1(VALU_DEP_1)
	v_fma_f64 v[2:3], v[110:111], v[104:105], v[2:3]
	ds_load_b64 v[104:105], v1 offset:760
	s_waitcnt vmcnt(1)
	v_fma_f64 v[2:3], v[120:121], v[106:107], v[2:3]
	s_waitcnt lgkmcnt(1)
	v_fma_f64 v[2:3], v[122:123], v[116:117], v[2:3]
	s_waitcnt vmcnt(0)
	s_delay_alu instid0(VALU_DEP_1) | instskip(SKIP_1) | instid1(VALU_DEP_1)
	v_fma_f64 v[2:3], v[112:113], v[118:119], v[2:3]
	s_waitcnt lgkmcnt(0)
	v_fma_f64 v[2:3], v[114:115], v[104:105], v[2:3]
	s_delay_alu instid0(VALU_DEP_1)
	v_add_f64 v[2:3], v[102:103], -v[2:3]
	scratch_store_b64 off, v[2:3], off offset:48
	v_cmpx_lt_u32_e32 5, v0
	s_cbranch_execz .LBB47_287
; %bb.286:
	scratch_load_b64 v[3:4], off, off offset:40
	v_mov_b32_e32 v2, v1
	scratch_store_b64 off, v[1:2], off offset:40
	s_waitcnt vmcnt(0)
	ds_store_b64 v5, v[3:4]
.LBB47_287:
	s_or_b32 exec_lo, exec_lo, s0
	s_waitcnt lgkmcnt(0)
	s_waitcnt_vscnt null, 0x0
	s_barrier
	buffer_gl0_inv
	s_clause 0x4
	scratch_load_b128 v[102:105], off, off offset:40
	scratch_load_b128 v[106:109], off, off offset:56
	;; [unrolled: 1-line block ×5, first 2 shown]
	ds_load_b128 v[122:125], v1 offset:432
	ds_load_b128 v[126:129], v1 offset:448
	scratch_load_b128 v[130:133], off, off offset:120
	s_mov_b32 s0, exec_lo
	s_waitcnt vmcnt(5) lgkmcnt(1)
	v_fma_f64 v[2:3], v[104:105], v[122:123], 0
	s_waitcnt vmcnt(4)
	s_delay_alu instid0(VALU_DEP_1) | instskip(SKIP_4) | instid1(VALU_DEP_1)
	v_fma_f64 v[2:3], v[106:107], v[124:125], v[2:3]
	scratch_load_b128 v[104:107], off, off offset:136
	s_waitcnt lgkmcnt(0)
	v_fma_f64 v[2:3], v[108:109], v[126:127], v[2:3]
	s_waitcnt vmcnt(4)
	v_fma_f64 v[2:3], v[110:111], v[128:129], v[2:3]
	ds_load_b128 v[108:111], v1 offset:464
	ds_load_b128 v[122:125], v1 offset:480
	scratch_load_b128 v[126:129], off, off offset:152
	s_waitcnt lgkmcnt(1)
	v_fma_f64 v[2:3], v[112:113], v[108:109], v[2:3]
	s_waitcnt vmcnt(4)
	s_delay_alu instid0(VALU_DEP_1) | instskip(SKIP_4) | instid1(VALU_DEP_1)
	v_fma_f64 v[2:3], v[114:115], v[110:111], v[2:3]
	scratch_load_b128 v[108:111], off, off offset:168
	s_waitcnt lgkmcnt(0)
	v_fma_f64 v[2:3], v[116:117], v[122:123], v[2:3]
	s_waitcnt vmcnt(4)
	v_fma_f64 v[2:3], v[118:119], v[124:125], v[2:3]
	ds_load_b128 v[112:115], v1 offset:496
	ds_load_b128 v[116:119], v1 offset:512
	s_waitcnt lgkmcnt(1)
	v_fma_f64 v[2:3], v[120:121], v[112:113], v[2:3]
	scratch_load_b128 v[120:123], off, off offset:184
	s_waitcnt vmcnt(4)
	v_fma_f64 v[2:3], v[130:131], v[114:115], v[2:3]
	scratch_load_b128 v[112:115], off, off offset:200
	s_waitcnt lgkmcnt(0)
	v_fma_f64 v[2:3], v[132:133], v[116:117], v[2:3]
	s_waitcnt vmcnt(4)
	s_delay_alu instid0(VALU_DEP_1)
	v_fma_f64 v[2:3], v[104:105], v[118:119], v[2:3]
	ds_load_b128 v[116:119], v1 offset:528
	ds_load_b128 v[130:133], v1 offset:544
	s_waitcnt lgkmcnt(1)
	v_fma_f64 v[2:3], v[106:107], v[116:117], v[2:3]
	scratch_load_b128 v[104:107], off, off offset:216
	s_waitcnt vmcnt(4)
	v_fma_f64 v[2:3], v[126:127], v[118:119], v[2:3]
	scratch_load_b128 v[116:119], off, off offset:232
	s_waitcnt lgkmcnt(0)
	v_fma_f64 v[2:3], v[128:129], v[130:131], v[2:3]
	ds_load_b128 v[124:127], v1 offset:560
	ds_load_b128 v[128:131], v1 offset:576
	s_waitcnt vmcnt(4)
	v_fma_f64 v[2:3], v[108:109], v[132:133], v[2:3]
	s_waitcnt lgkmcnt(1)
	s_delay_alu instid0(VALU_DEP_1) | instskip(SKIP_4) | instid1(VALU_DEP_1)
	v_fma_f64 v[2:3], v[110:111], v[124:125], v[2:3]
	scratch_load_b128 v[108:111], off, off offset:248
	s_waitcnt vmcnt(4)
	v_fma_f64 v[2:3], v[120:121], v[126:127], v[2:3]
	s_waitcnt lgkmcnt(0)
	v_fma_f64 v[2:3], v[122:123], v[128:129], v[2:3]
	scratch_load_b128 v[120:123], off, off offset:264
	s_waitcnt vmcnt(4)
	v_fma_f64 v[2:3], v[112:113], v[130:131], v[2:3]
	ds_load_b128 v[124:127], v1 offset:592
	ds_load_b128 v[128:131], v1 offset:608
	s_waitcnt lgkmcnt(1)
	v_fma_f64 v[2:3], v[114:115], v[124:125], v[2:3]
	scratch_load_b128 v[112:115], off, off offset:280
	s_waitcnt vmcnt(4)
	v_fma_f64 v[2:3], v[104:105], v[126:127], v[2:3]
	s_waitcnt lgkmcnt(0)
	s_delay_alu instid0(VALU_DEP_1)
	v_fma_f64 v[2:3], v[106:107], v[128:129], v[2:3]
	scratch_load_b128 v[104:107], off, off offset:296
	s_waitcnt vmcnt(4)
	v_fma_f64 v[2:3], v[116:117], v[130:131], v[2:3]
	ds_load_b128 v[124:127], v1 offset:624
	ds_load_b128 v[128:131], v1 offset:640
	s_waitcnt lgkmcnt(1)
	v_fma_f64 v[2:3], v[118:119], v[124:125], v[2:3]
	scratch_load_b128 v[116:119], off, off offset:312
	s_waitcnt vmcnt(4)
	v_fma_f64 v[2:3], v[108:109], v[126:127], v[2:3]
	s_waitcnt lgkmcnt(0)
	s_delay_alu instid0(VALU_DEP_1)
	;; [unrolled: 13-line block ×3, first 2 shown]
	v_fma_f64 v[2:3], v[114:115], v[128:129], v[2:3]
	scratch_load_b128 v[112:115], off, off offset:360
	s_waitcnt vmcnt(4)
	v_fma_f64 v[2:3], v[104:105], v[130:131], v[2:3]
	ds_load_b128 v[124:127], v1 offset:688
	ds_load_b128 v[128:131], v1 offset:704
	s_waitcnt lgkmcnt(1)
	v_fma_f64 v[2:3], v[106:107], v[124:125], v[2:3]
	scratch_load_b64 v[124:125], off, off offset:376
	s_waitcnt vmcnt(4)
	v_fma_f64 v[2:3], v[116:117], v[126:127], v[2:3]
	s_waitcnt lgkmcnt(0)
	s_delay_alu instid0(VALU_DEP_1)
	v_fma_f64 v[2:3], v[118:119], v[128:129], v[2:3]
	ds_load_b128 v[104:107], v1 offset:720
	ds_load_b128 v[116:119], v1 offset:736
	s_waitcnt vmcnt(3)
	v_fma_f64 v[2:3], v[108:109], v[130:131], v[2:3]
	s_waitcnt lgkmcnt(1)
	s_delay_alu instid0(VALU_DEP_1) | instskip(SKIP_1) | instid1(VALU_DEP_1)
	v_fma_f64 v[2:3], v[110:111], v[104:105], v[2:3]
	s_waitcnt vmcnt(2)
	v_fma_f64 v[2:3], v[120:121], v[106:107], v[2:3]
	s_waitcnt lgkmcnt(0)
	s_delay_alu instid0(VALU_DEP_1) | instskip(SKIP_1) | instid1(VALU_DEP_1)
	v_fma_f64 v[2:3], v[122:123], v[116:117], v[2:3]
	s_waitcnt vmcnt(1)
	v_fma_f64 v[104:105], v[112:113], v[118:119], v[2:3]
	ds_load_b128 v[1:4], v1 offset:752
	s_waitcnt lgkmcnt(0)
	v_fma_f64 v[1:2], v[114:115], v[1:2], v[104:105]
	s_waitcnt vmcnt(0)
	s_delay_alu instid0(VALU_DEP_1) | instskip(NEXT) | instid1(VALU_DEP_1)
	v_fma_f64 v[1:2], v[124:125], v[3:4], v[1:2]
	v_add_f64 v[1:2], v[102:103], -v[1:2]
	scratch_store_b64 off, v[1:2], off offset:40
	v_cmpx_lt_u32_e32 4, v0
	s_cbranch_execz .LBB47_289
; %bb.288:
	scratch_load_b64 v[1:2], off, off offset:32
	v_mov_b32_e32 v3, 0
	s_delay_alu instid0(VALU_DEP_1)
	v_mov_b32_e32 v4, v3
	scratch_store_b64 off, v[3:4], off offset:32
	s_waitcnt vmcnt(0)
	ds_store_b64 v5, v[1:2]
.LBB47_289:
	s_or_b32 exec_lo, exec_lo, s0
	s_waitcnt lgkmcnt(0)
	s_waitcnt_vscnt null, 0x0
	s_barrier
	buffer_gl0_inv
	s_clause 0x4
	scratch_load_b128 v[102:105], off, off offset:32
	scratch_load_b128 v[106:109], off, off offset:48
	;; [unrolled: 1-line block ×5, first 2 shown]
	v_mov_b32_e32 v1, 0
	ds_load_2addr_b64 v[122:125], v1 offset0:53 offset1:54
	ds_load_2addr_b64 v[126:129], v1 offset0:55 offset1:56
	scratch_load_b128 v[130:133], off, off offset:112
	s_mov_b32 s0, exec_lo
	s_waitcnt vmcnt(5) lgkmcnt(1)
	v_fma_f64 v[2:3], v[104:105], v[122:123], 0
	s_waitcnt vmcnt(4)
	s_delay_alu instid0(VALU_DEP_1) | instskip(SKIP_4) | instid1(VALU_DEP_1)
	v_fma_f64 v[2:3], v[106:107], v[124:125], v[2:3]
	scratch_load_b128 v[104:107], off, off offset:128
	s_waitcnt lgkmcnt(0)
	v_fma_f64 v[2:3], v[108:109], v[126:127], v[2:3]
	s_waitcnt vmcnt(4)
	v_fma_f64 v[2:3], v[110:111], v[128:129], v[2:3]
	ds_load_2addr_b64 v[108:111], v1 offset0:57 offset1:58
	ds_load_2addr_b64 v[122:125], v1 offset0:59 offset1:60
	scratch_load_b128 v[126:129], off, off offset:144
	s_waitcnt lgkmcnt(1)
	v_fma_f64 v[2:3], v[112:113], v[108:109], v[2:3]
	s_waitcnt vmcnt(4)
	s_delay_alu instid0(VALU_DEP_1) | instskip(SKIP_4) | instid1(VALU_DEP_1)
	v_fma_f64 v[2:3], v[114:115], v[110:111], v[2:3]
	scratch_load_b128 v[108:111], off, off offset:160
	s_waitcnt lgkmcnt(0)
	v_fma_f64 v[2:3], v[116:117], v[122:123], v[2:3]
	s_waitcnt vmcnt(4)
	v_fma_f64 v[2:3], v[118:119], v[124:125], v[2:3]
	ds_load_2addr_b64 v[112:115], v1 offset0:61 offset1:62
	ds_load_2addr_b64 v[116:119], v1 offset0:63 offset1:64
	s_waitcnt lgkmcnt(1)
	v_fma_f64 v[2:3], v[120:121], v[112:113], v[2:3]
	scratch_load_b128 v[120:123], off, off offset:176
	s_waitcnt vmcnt(4)
	v_fma_f64 v[2:3], v[130:131], v[114:115], v[2:3]
	scratch_load_b128 v[112:115], off, off offset:192
	s_waitcnt lgkmcnt(0)
	v_fma_f64 v[2:3], v[132:133], v[116:117], v[2:3]
	s_waitcnt vmcnt(4)
	s_delay_alu instid0(VALU_DEP_1)
	v_fma_f64 v[2:3], v[104:105], v[118:119], v[2:3]
	ds_load_2addr_b64 v[116:119], v1 offset0:65 offset1:66
	ds_load_2addr_b64 v[130:133], v1 offset0:67 offset1:68
	s_waitcnt lgkmcnt(1)
	v_fma_f64 v[2:3], v[106:107], v[116:117], v[2:3]
	scratch_load_b128 v[104:107], off, off offset:208
	s_waitcnt vmcnt(4)
	v_fma_f64 v[2:3], v[126:127], v[118:119], v[2:3]
	scratch_load_b128 v[116:119], off, off offset:224
	s_waitcnt lgkmcnt(0)
	v_fma_f64 v[2:3], v[128:129], v[130:131], v[2:3]
	ds_load_2addr_b64 v[124:127], v1 offset0:69 offset1:70
	ds_load_2addr_b64 v[128:131], v1 offset0:71 offset1:72
	s_waitcnt vmcnt(4)
	v_fma_f64 v[2:3], v[108:109], v[132:133], v[2:3]
	s_waitcnt lgkmcnt(1)
	s_delay_alu instid0(VALU_DEP_1) | instskip(SKIP_4) | instid1(VALU_DEP_1)
	v_fma_f64 v[2:3], v[110:111], v[124:125], v[2:3]
	scratch_load_b128 v[108:111], off, off offset:240
	s_waitcnt vmcnt(4)
	v_fma_f64 v[2:3], v[120:121], v[126:127], v[2:3]
	s_waitcnt lgkmcnt(0)
	v_fma_f64 v[2:3], v[122:123], v[128:129], v[2:3]
	scratch_load_b128 v[120:123], off, off offset:256
	s_waitcnt vmcnt(4)
	v_fma_f64 v[2:3], v[112:113], v[130:131], v[2:3]
	ds_load_2addr_b64 v[124:127], v1 offset0:73 offset1:74
	ds_load_2addr_b64 v[128:131], v1 offset0:75 offset1:76
	s_waitcnt lgkmcnt(1)
	v_fma_f64 v[2:3], v[114:115], v[124:125], v[2:3]
	scratch_load_b128 v[112:115], off, off offset:272
	s_waitcnt vmcnt(4)
	v_fma_f64 v[2:3], v[104:105], v[126:127], v[2:3]
	s_waitcnt lgkmcnt(0)
	s_delay_alu instid0(VALU_DEP_1)
	v_fma_f64 v[2:3], v[106:107], v[128:129], v[2:3]
	scratch_load_b128 v[104:107], off, off offset:288
	s_waitcnt vmcnt(4)
	v_fma_f64 v[2:3], v[116:117], v[130:131], v[2:3]
	ds_load_2addr_b64 v[124:127], v1 offset0:77 offset1:78
	ds_load_2addr_b64 v[128:131], v1 offset0:79 offset1:80
	s_waitcnt lgkmcnt(1)
	v_fma_f64 v[2:3], v[118:119], v[124:125], v[2:3]
	scratch_load_b128 v[116:119], off, off offset:304
	s_waitcnt vmcnt(4)
	v_fma_f64 v[2:3], v[108:109], v[126:127], v[2:3]
	s_waitcnt lgkmcnt(0)
	s_delay_alu instid0(VALU_DEP_1)
	;; [unrolled: 13-line block ×4, first 2 shown]
	v_fma_f64 v[2:3], v[118:119], v[128:129], v[2:3]
	ds_load_2addr_b64 v[116:119], v1 offset0:89 offset1:90
	ds_load_2addr_b64 v[124:127], v1 offset0:91 offset1:92
	s_waitcnt vmcnt(3)
	v_fma_f64 v[2:3], v[108:109], v[130:131], v[2:3]
	s_waitcnt lgkmcnt(1)
	s_delay_alu instid0(VALU_DEP_1) | instskip(SKIP_1) | instid1(VALU_DEP_1)
	v_fma_f64 v[2:3], v[110:111], v[116:117], v[2:3]
	s_waitcnt vmcnt(2)
	v_fma_f64 v[2:3], v[120:121], v[118:119], v[2:3]
	s_waitcnt lgkmcnt(0)
	s_delay_alu instid0(VALU_DEP_1) | instskip(SKIP_1) | instid1(VALU_DEP_1)
	v_fma_f64 v[2:3], v[122:123], v[124:125], v[2:3]
	s_waitcnt vmcnt(1)
	v_fma_f64 v[2:3], v[112:113], v[126:127], v[2:3]
	ds_load_2addr_b64 v[108:111], v1 offset0:93 offset1:94
	ds_load_b64 v[112:113], v1 offset:760
	s_waitcnt lgkmcnt(1)
	v_fma_f64 v[2:3], v[114:115], v[108:109], v[2:3]
	s_waitcnt vmcnt(0)
	s_delay_alu instid0(VALU_DEP_1) | instskip(SKIP_1) | instid1(VALU_DEP_1)
	v_fma_f64 v[2:3], v[104:105], v[110:111], v[2:3]
	s_waitcnt lgkmcnt(0)
	v_fma_f64 v[2:3], v[106:107], v[112:113], v[2:3]
	s_delay_alu instid0(VALU_DEP_1)
	v_add_f64 v[2:3], v[102:103], -v[2:3]
	scratch_store_b64 off, v[2:3], off offset:32
	v_cmpx_lt_u32_e32 3, v0
	s_cbranch_execz .LBB47_291
; %bb.290:
	scratch_load_b64 v[3:4], off, off offset:24
	v_mov_b32_e32 v2, v1
	scratch_store_b64 off, v[1:2], off offset:24
	s_waitcnt vmcnt(0)
	ds_store_b64 v5, v[3:4]
.LBB47_291:
	s_or_b32 exec_lo, exec_lo, s0
	s_waitcnt lgkmcnt(0)
	s_waitcnt_vscnt null, 0x0
	s_barrier
	buffer_gl0_inv
	s_clause 0x4
	scratch_load_b128 v[102:105], off, off offset:24
	scratch_load_b128 v[106:109], off, off offset:40
	;; [unrolled: 1-line block ×5, first 2 shown]
	ds_load_b128 v[122:125], v1 offset:416
	ds_load_b128 v[126:129], v1 offset:432
	scratch_load_b128 v[130:133], off, off offset:104
	s_mov_b32 s0, exec_lo
	s_waitcnt vmcnt(5) lgkmcnt(1)
	v_fma_f64 v[2:3], v[104:105], v[122:123], 0
	s_waitcnt vmcnt(4)
	s_delay_alu instid0(VALU_DEP_1) | instskip(SKIP_4) | instid1(VALU_DEP_1)
	v_fma_f64 v[2:3], v[106:107], v[124:125], v[2:3]
	scratch_load_b128 v[104:107], off, off offset:120
	s_waitcnt lgkmcnt(0)
	v_fma_f64 v[2:3], v[108:109], v[126:127], v[2:3]
	s_waitcnt vmcnt(4)
	v_fma_f64 v[2:3], v[110:111], v[128:129], v[2:3]
	ds_load_b128 v[108:111], v1 offset:448
	ds_load_b128 v[122:125], v1 offset:464
	scratch_load_b128 v[126:129], off, off offset:136
	s_waitcnt lgkmcnt(1)
	v_fma_f64 v[2:3], v[112:113], v[108:109], v[2:3]
	s_waitcnt vmcnt(4)
	s_delay_alu instid0(VALU_DEP_1) | instskip(SKIP_4) | instid1(VALU_DEP_1)
	v_fma_f64 v[2:3], v[114:115], v[110:111], v[2:3]
	scratch_load_b128 v[108:111], off, off offset:152
	s_waitcnt lgkmcnt(0)
	v_fma_f64 v[2:3], v[116:117], v[122:123], v[2:3]
	s_waitcnt vmcnt(4)
	v_fma_f64 v[2:3], v[118:119], v[124:125], v[2:3]
	ds_load_b128 v[112:115], v1 offset:480
	ds_load_b128 v[116:119], v1 offset:496
	s_waitcnt lgkmcnt(1)
	v_fma_f64 v[2:3], v[120:121], v[112:113], v[2:3]
	scratch_load_b128 v[120:123], off, off offset:168
	s_waitcnt vmcnt(4)
	v_fma_f64 v[2:3], v[130:131], v[114:115], v[2:3]
	scratch_load_b128 v[112:115], off, off offset:184
	s_waitcnt lgkmcnt(0)
	v_fma_f64 v[2:3], v[132:133], v[116:117], v[2:3]
	s_waitcnt vmcnt(4)
	s_delay_alu instid0(VALU_DEP_1)
	v_fma_f64 v[2:3], v[104:105], v[118:119], v[2:3]
	ds_load_b128 v[116:119], v1 offset:512
	ds_load_b128 v[130:133], v1 offset:528
	s_waitcnt lgkmcnt(1)
	v_fma_f64 v[2:3], v[106:107], v[116:117], v[2:3]
	scratch_load_b128 v[104:107], off, off offset:200
	s_waitcnt vmcnt(4)
	v_fma_f64 v[2:3], v[126:127], v[118:119], v[2:3]
	scratch_load_b128 v[116:119], off, off offset:216
	s_waitcnt lgkmcnt(0)
	v_fma_f64 v[2:3], v[128:129], v[130:131], v[2:3]
	ds_load_b128 v[124:127], v1 offset:544
	ds_load_b128 v[128:131], v1 offset:560
	s_waitcnt vmcnt(4)
	v_fma_f64 v[2:3], v[108:109], v[132:133], v[2:3]
	s_waitcnt lgkmcnt(1)
	s_delay_alu instid0(VALU_DEP_1) | instskip(SKIP_4) | instid1(VALU_DEP_1)
	v_fma_f64 v[2:3], v[110:111], v[124:125], v[2:3]
	scratch_load_b128 v[108:111], off, off offset:232
	s_waitcnt vmcnt(4)
	v_fma_f64 v[2:3], v[120:121], v[126:127], v[2:3]
	s_waitcnt lgkmcnt(0)
	v_fma_f64 v[2:3], v[122:123], v[128:129], v[2:3]
	scratch_load_b128 v[120:123], off, off offset:248
	s_waitcnt vmcnt(4)
	v_fma_f64 v[2:3], v[112:113], v[130:131], v[2:3]
	ds_load_b128 v[124:127], v1 offset:576
	ds_load_b128 v[128:131], v1 offset:592
	s_waitcnt lgkmcnt(1)
	v_fma_f64 v[2:3], v[114:115], v[124:125], v[2:3]
	scratch_load_b128 v[112:115], off, off offset:264
	s_waitcnt vmcnt(4)
	v_fma_f64 v[2:3], v[104:105], v[126:127], v[2:3]
	s_waitcnt lgkmcnt(0)
	s_delay_alu instid0(VALU_DEP_1)
	v_fma_f64 v[2:3], v[106:107], v[128:129], v[2:3]
	scratch_load_b128 v[104:107], off, off offset:280
	s_waitcnt vmcnt(4)
	v_fma_f64 v[2:3], v[116:117], v[130:131], v[2:3]
	ds_load_b128 v[124:127], v1 offset:608
	ds_load_b128 v[128:131], v1 offset:624
	s_waitcnt lgkmcnt(1)
	v_fma_f64 v[2:3], v[118:119], v[124:125], v[2:3]
	scratch_load_b128 v[116:119], off, off offset:296
	s_waitcnt vmcnt(4)
	v_fma_f64 v[2:3], v[108:109], v[126:127], v[2:3]
	s_waitcnt lgkmcnt(0)
	s_delay_alu instid0(VALU_DEP_1)
	;; [unrolled: 13-line block ×4, first 2 shown]
	v_fma_f64 v[2:3], v[118:119], v[128:129], v[2:3]
	scratch_load_b64 v[128:129], off, off offset:376
	ds_load_b128 v[116:119], v1 offset:704
	ds_load_b128 v[124:127], v1 offset:720
	s_waitcnt vmcnt(4)
	v_fma_f64 v[2:3], v[108:109], v[130:131], v[2:3]
	s_waitcnt lgkmcnt(1)
	s_delay_alu instid0(VALU_DEP_1) | instskip(SKIP_1) | instid1(VALU_DEP_1)
	v_fma_f64 v[2:3], v[110:111], v[116:117], v[2:3]
	s_waitcnt vmcnt(3)
	v_fma_f64 v[2:3], v[120:121], v[118:119], v[2:3]
	s_waitcnt lgkmcnt(0)
	s_delay_alu instid0(VALU_DEP_1) | instskip(SKIP_1) | instid1(VALU_DEP_1)
	v_fma_f64 v[2:3], v[122:123], v[124:125], v[2:3]
	s_waitcnt vmcnt(2)
	v_fma_f64 v[112:113], v[112:113], v[126:127], v[2:3]
	ds_load_b128 v[108:111], v1 offset:736
	ds_load_b128 v[1:4], v1 offset:752
	s_waitcnt lgkmcnt(1)
	v_fma_f64 v[108:109], v[114:115], v[108:109], v[112:113]
	s_waitcnt vmcnt(1)
	s_delay_alu instid0(VALU_DEP_1) | instskip(SKIP_1) | instid1(VALU_DEP_1)
	v_fma_f64 v[104:105], v[104:105], v[110:111], v[108:109]
	s_waitcnt lgkmcnt(0)
	v_fma_f64 v[1:2], v[106:107], v[1:2], v[104:105]
	s_waitcnt vmcnt(0)
	s_delay_alu instid0(VALU_DEP_1) | instskip(NEXT) | instid1(VALU_DEP_1)
	v_fma_f64 v[1:2], v[128:129], v[3:4], v[1:2]
	v_add_f64 v[1:2], v[102:103], -v[1:2]
	scratch_store_b64 off, v[1:2], off offset:24
	v_cmpx_lt_u32_e32 2, v0
	s_cbranch_execz .LBB47_293
; %bb.292:
	scratch_load_b64 v[1:2], off, off offset:16
	v_mov_b32_e32 v3, 0
	s_delay_alu instid0(VALU_DEP_1)
	v_mov_b32_e32 v4, v3
	scratch_store_b64 off, v[3:4], off offset:16
	s_waitcnt vmcnt(0)
	ds_store_b64 v5, v[1:2]
.LBB47_293:
	s_or_b32 exec_lo, exec_lo, s0
	s_waitcnt lgkmcnt(0)
	s_waitcnt_vscnt null, 0x0
	s_barrier
	buffer_gl0_inv
	s_clause 0x4
	scratch_load_b128 v[1:4], off, off offset:16
	scratch_load_b128 v[103:106], off, off offset:32
	scratch_load_b128 v[107:110], off, off offset:48
	scratch_load_b128 v[111:114], off, off offset:64
	scratch_load_b128 v[115:118], off, off offset:80
	v_mov_b32_e32 v102, 0
	ds_load_2addr_b64 v[119:122], v102 offset0:51 offset1:52
	ds_load_2addr_b64 v[123:126], v102 offset0:53 offset1:54
	scratch_load_b128 v[127:130], off, off offset:96
	s_mov_b32 s0, exec_lo
	s_waitcnt vmcnt(5) lgkmcnt(1)
	v_fma_f64 v[3:4], v[3:4], v[119:120], 0
	s_waitcnt vmcnt(4)
	s_delay_alu instid0(VALU_DEP_1) | instskip(SKIP_1) | instid1(VALU_DEP_1)
	v_fma_f64 v[3:4], v[103:104], v[121:122], v[3:4]
	s_waitcnt lgkmcnt(0)
	v_fma_f64 v[3:4], v[105:106], v[123:124], v[3:4]
	scratch_load_b128 v[103:106], off, off offset:112
	s_waitcnt vmcnt(4)
	v_fma_f64 v[3:4], v[107:108], v[125:126], v[3:4]
	ds_load_2addr_b64 v[119:122], v102 offset0:55 offset1:56
	ds_load_2addr_b64 v[123:126], v102 offset0:57 offset1:58
	s_waitcnt lgkmcnt(1)
	v_fma_f64 v[3:4], v[109:110], v[119:120], v[3:4]
	scratch_load_b128 v[107:110], off, off offset:128
	s_waitcnt vmcnt(4)
	v_fma_f64 v[3:4], v[111:112], v[121:122], v[3:4]
	s_waitcnt lgkmcnt(0)
	s_delay_alu instid0(VALU_DEP_1)
	v_fma_f64 v[3:4], v[113:114], v[123:124], v[3:4]
	scratch_load_b128 v[111:114], off, off offset:144
	s_waitcnt vmcnt(4)
	v_fma_f64 v[3:4], v[115:116], v[125:126], v[3:4]
	ds_load_2addr_b64 v[119:122], v102 offset0:59 offset1:60
	ds_load_2addr_b64 v[123:126], v102 offset0:61 offset1:62
	s_waitcnt lgkmcnt(1)
	v_fma_f64 v[3:4], v[117:118], v[119:120], v[3:4]
	scratch_load_b128 v[115:118], off, off offset:160
	s_waitcnt vmcnt(4)
	v_fma_f64 v[3:4], v[127:128], v[121:122], v[3:4]
	scratch_load_b128 v[119:122], off, off offset:176
	s_waitcnt lgkmcnt(0)
	v_fma_f64 v[3:4], v[129:130], v[123:124], v[3:4]
	s_waitcnt vmcnt(4)
	s_delay_alu instid0(VALU_DEP_1)
	v_fma_f64 v[3:4], v[103:104], v[125:126], v[3:4]
	ds_load_2addr_b64 v[123:126], v102 offset0:63 offset1:64
	ds_load_2addr_b64 v[127:130], v102 offset0:65 offset1:66
	s_waitcnt lgkmcnt(1)
	v_fma_f64 v[3:4], v[105:106], v[123:124], v[3:4]
	scratch_load_b128 v[103:106], off, off offset:192
	s_waitcnt vmcnt(4)
	v_fma_f64 v[3:4], v[107:108], v[125:126], v[3:4]
	s_waitcnt lgkmcnt(0)
	s_delay_alu instid0(VALU_DEP_1)
	v_fma_f64 v[3:4], v[109:110], v[127:128], v[3:4]
	scratch_load_b128 v[107:110], off, off offset:208
	s_waitcnt vmcnt(4)
	v_fma_f64 v[3:4], v[111:112], v[129:130], v[3:4]
	ds_load_2addr_b64 v[123:126], v102 offset0:67 offset1:68
	ds_load_2addr_b64 v[127:130], v102 offset0:69 offset1:70
	s_waitcnt lgkmcnt(1)
	v_fma_f64 v[3:4], v[113:114], v[123:124], v[3:4]
	scratch_load_b128 v[111:114], off, off offset:224
	s_waitcnt vmcnt(4)
	v_fma_f64 v[3:4], v[115:116], v[125:126], v[3:4]
	s_waitcnt lgkmcnt(0)
	s_delay_alu instid0(VALU_DEP_1)
	v_fma_f64 v[3:4], v[117:118], v[127:128], v[3:4]
	scratch_load_b128 v[115:118], off, off offset:240
	s_waitcnt vmcnt(4)
	;; [unrolled: 13-line block ×6, first 2 shown]
	v_fma_f64 v[3:4], v[111:112], v[129:130], v[3:4]
	ds_load_2addr_b64 v[123:126], v102 offset0:87 offset1:88
	ds_load_2addr_b64 v[127:130], v102 offset0:89 offset1:90
	s_waitcnt lgkmcnt(1)
	v_fma_f64 v[3:4], v[113:114], v[123:124], v[3:4]
	s_waitcnt vmcnt(3)
	s_delay_alu instid0(VALU_DEP_1) | instskip(SKIP_1) | instid1(VALU_DEP_1)
	v_fma_f64 v[3:4], v[115:116], v[125:126], v[3:4]
	s_waitcnt lgkmcnt(0)
	v_fma_f64 v[3:4], v[117:118], v[127:128], v[3:4]
	ds_load_2addr_b64 v[111:114], v102 offset0:91 offset1:92
	ds_load_2addr_b64 v[115:118], v102 offset0:93 offset1:94
	s_waitcnt vmcnt(2)
	v_fma_f64 v[3:4], v[119:120], v[129:130], v[3:4]
	s_waitcnt lgkmcnt(1)
	s_delay_alu instid0(VALU_DEP_1) | instskip(SKIP_1) | instid1(VALU_DEP_1)
	v_fma_f64 v[3:4], v[121:122], v[111:112], v[3:4]
	s_waitcnt vmcnt(1)
	v_fma_f64 v[3:4], v[103:104], v[113:114], v[3:4]
	ds_load_b64 v[103:104], v102 offset:760
	s_waitcnt lgkmcnt(1)
	v_fma_f64 v[3:4], v[105:106], v[115:116], v[3:4]
	s_waitcnt vmcnt(0)
	s_delay_alu instid0(VALU_DEP_1) | instskip(SKIP_1) | instid1(VALU_DEP_1)
	v_fma_f64 v[3:4], v[107:108], v[117:118], v[3:4]
	s_waitcnt lgkmcnt(0)
	v_fma_f64 v[3:4], v[109:110], v[103:104], v[3:4]
	s_delay_alu instid0(VALU_DEP_1)
	v_add_f64 v[1:2], v[1:2], -v[3:4]
	scratch_store_b64 off, v[1:2], off offset:16
	v_cmpx_lt_u32_e32 1, v0
	s_cbranch_execz .LBB47_295
; %bb.294:
	scratch_load_b64 v[1:2], off, off offset:8
	v_mov_b32_e32 v103, v102
	scratch_store_b64 off, v[102:103], off offset:8
	s_waitcnt vmcnt(0)
	ds_store_b64 v5, v[1:2]
.LBB47_295:
	s_or_b32 exec_lo, exec_lo, s0
	s_waitcnt lgkmcnt(0)
	s_waitcnt_vscnt null, 0x0
	s_barrier
	buffer_gl0_inv
	s_clause 0x4
	scratch_load_b128 v[1:4], off, off offset:8
	scratch_load_b128 v[103:106], off, off offset:24
	;; [unrolled: 1-line block ×5, first 2 shown]
	ds_load_b128 v[119:122], v102 offset:400
	ds_load_b128 v[123:126], v102 offset:416
	scratch_load_b128 v[127:130], off, off offset:88
	s_mov_b32 s0, exec_lo
	s_waitcnt vmcnt(5) lgkmcnt(1)
	v_fma_f64 v[3:4], v[3:4], v[119:120], 0
	s_waitcnt vmcnt(4)
	s_delay_alu instid0(VALU_DEP_1) | instskip(SKIP_1) | instid1(VALU_DEP_1)
	v_fma_f64 v[3:4], v[103:104], v[121:122], v[3:4]
	s_waitcnt lgkmcnt(0)
	v_fma_f64 v[3:4], v[105:106], v[123:124], v[3:4]
	scratch_load_b128 v[103:106], off, off offset:104
	s_waitcnt vmcnt(4)
	v_fma_f64 v[3:4], v[107:108], v[125:126], v[3:4]
	ds_load_b128 v[119:122], v102 offset:432
	ds_load_b128 v[123:126], v102 offset:448
	s_waitcnt lgkmcnt(1)
	v_fma_f64 v[3:4], v[109:110], v[119:120], v[3:4]
	scratch_load_b128 v[107:110], off, off offset:120
	s_waitcnt vmcnt(4)
	v_fma_f64 v[3:4], v[111:112], v[121:122], v[3:4]
	s_waitcnt lgkmcnt(0)
	s_delay_alu instid0(VALU_DEP_1)
	v_fma_f64 v[3:4], v[113:114], v[123:124], v[3:4]
	scratch_load_b128 v[111:114], off, off offset:136
	s_waitcnt vmcnt(4)
	v_fma_f64 v[3:4], v[115:116], v[125:126], v[3:4]
	ds_load_b128 v[119:122], v102 offset:464
	ds_load_b128 v[123:126], v102 offset:480
	s_waitcnt lgkmcnt(1)
	v_fma_f64 v[3:4], v[117:118], v[119:120], v[3:4]
	scratch_load_b128 v[115:118], off, off offset:152
	s_waitcnt vmcnt(4)
	v_fma_f64 v[3:4], v[127:128], v[121:122], v[3:4]
	scratch_load_b128 v[119:122], off, off offset:168
	s_waitcnt lgkmcnt(0)
	v_fma_f64 v[3:4], v[129:130], v[123:124], v[3:4]
	s_waitcnt vmcnt(4)
	s_delay_alu instid0(VALU_DEP_1)
	v_fma_f64 v[3:4], v[103:104], v[125:126], v[3:4]
	ds_load_b128 v[123:126], v102 offset:496
	ds_load_b128 v[127:130], v102 offset:512
	s_waitcnt lgkmcnt(1)
	v_fma_f64 v[3:4], v[105:106], v[123:124], v[3:4]
	scratch_load_b128 v[103:106], off, off offset:184
	s_waitcnt vmcnt(4)
	v_fma_f64 v[3:4], v[107:108], v[125:126], v[3:4]
	s_waitcnt lgkmcnt(0)
	s_delay_alu instid0(VALU_DEP_1)
	v_fma_f64 v[3:4], v[109:110], v[127:128], v[3:4]
	scratch_load_b128 v[107:110], off, off offset:200
	s_waitcnt vmcnt(4)
	v_fma_f64 v[3:4], v[111:112], v[129:130], v[3:4]
	ds_load_b128 v[123:126], v102 offset:528
	ds_load_b128 v[127:130], v102 offset:544
	s_waitcnt lgkmcnt(1)
	v_fma_f64 v[3:4], v[113:114], v[123:124], v[3:4]
	scratch_load_b128 v[111:114], off, off offset:216
	s_waitcnt vmcnt(4)
	v_fma_f64 v[3:4], v[115:116], v[125:126], v[3:4]
	s_waitcnt lgkmcnt(0)
	s_delay_alu instid0(VALU_DEP_1)
	v_fma_f64 v[3:4], v[117:118], v[127:128], v[3:4]
	scratch_load_b128 v[115:118], off, off offset:232
	s_waitcnt vmcnt(4)
	;; [unrolled: 13-line block ×6, first 2 shown]
	v_fma_f64 v[3:4], v[111:112], v[129:130], v[3:4]
	ds_load_b128 v[123:126], v102 offset:688
	ds_load_b128 v[127:130], v102 offset:704
	s_waitcnt lgkmcnt(1)
	v_fma_f64 v[3:4], v[113:114], v[123:124], v[3:4]
	scratch_load_b64 v[123:124], off, off offset:376
	s_waitcnt vmcnt(4)
	v_fma_f64 v[3:4], v[115:116], v[125:126], v[3:4]
	s_waitcnt lgkmcnt(0)
	s_delay_alu instid0(VALU_DEP_1)
	v_fma_f64 v[3:4], v[117:118], v[127:128], v[3:4]
	ds_load_b128 v[111:114], v102 offset:720
	ds_load_b128 v[115:118], v102 offset:736
	s_waitcnt vmcnt(3)
	v_fma_f64 v[3:4], v[119:120], v[129:130], v[3:4]
	s_waitcnt lgkmcnt(1)
	s_delay_alu instid0(VALU_DEP_1) | instskip(SKIP_1) | instid1(VALU_DEP_1)
	v_fma_f64 v[3:4], v[121:122], v[111:112], v[3:4]
	s_waitcnt vmcnt(2)
	v_fma_f64 v[3:4], v[103:104], v[113:114], v[3:4]
	s_waitcnt lgkmcnt(0)
	s_delay_alu instid0(VALU_DEP_1) | instskip(SKIP_4) | instid1(VALU_DEP_1)
	v_fma_f64 v[3:4], v[105:106], v[115:116], v[3:4]
	ds_load_b128 v[102:105], v102 offset:752
	s_waitcnt vmcnt(1)
	v_fma_f64 v[3:4], v[107:108], v[117:118], v[3:4]
	s_waitcnt lgkmcnt(0)
	v_fma_f64 v[3:4], v[109:110], v[102:103], v[3:4]
	s_waitcnt vmcnt(0)
	s_delay_alu instid0(VALU_DEP_1) | instskip(NEXT) | instid1(VALU_DEP_1)
	v_fma_f64 v[3:4], v[123:124], v[104:105], v[3:4]
	v_add_f64 v[1:2], v[1:2], -v[3:4]
	scratch_store_b64 off, v[1:2], off offset:8
	v_cmpx_ne_u32_e32 0, v0
	s_cbranch_execz .LBB47_297
; %bb.296:
	scratch_load_b64 v[0:1], off, off
	v_mov_b32_e32 v2, 0
	s_delay_alu instid0(VALU_DEP_1)
	v_mov_b32_e32 v3, v2
	scratch_store_b64 off, v[2:3], off
	s_waitcnt vmcnt(0)
	ds_store_b64 v5, v[0:1]
.LBB47_297:
	s_or_b32 exec_lo, exec_lo, s0
	s_waitcnt lgkmcnt(0)
	s_waitcnt_vscnt null, 0x0
	s_barrier
	buffer_gl0_inv
	s_clause 0x4
	scratch_load_b128 v[0:3], off, off
	scratch_load_b128 v[102:105], off, off offset:16
	scratch_load_b128 v[106:109], off, off offset:32
	;; [unrolled: 1-line block ×4, first 2 shown]
	v_mov_b32_e32 v130, 0
	ds_load_2addr_b64 v[118:121], v130 offset0:49 offset1:50
	ds_load_2addr_b64 v[122:125], v130 offset0:51 offset1:52
	s_and_b32 vcc_lo, exec_lo, s16
	s_waitcnt vmcnt(4) lgkmcnt(1)
	v_fma_f64 v[118:119], v[2:3], v[118:119], 0
	scratch_load_b128 v[2:5], off, off offset:80
	s_waitcnt vmcnt(4)
	v_fma_f64 v[102:103], v[102:103], v[120:121], v[118:119]
	s_waitcnt lgkmcnt(0)
	s_delay_alu instid0(VALU_DEP_1)
	v_fma_f64 v[118:119], v[104:105], v[122:123], v[102:103]
	scratch_load_b128 v[102:105], off, off offset:96
	s_waitcnt vmcnt(4)
	v_fma_f64 v[106:107], v[106:107], v[124:125], v[118:119]
	ds_load_2addr_b64 v[118:121], v130 offset0:53 offset1:54
	ds_load_2addr_b64 v[122:125], v130 offset0:55 offset1:56
	s_waitcnt lgkmcnt(1)
	v_fma_f64 v[118:119], v[108:109], v[118:119], v[106:107]
	scratch_load_b128 v[106:109], off, off offset:112
	s_waitcnt vmcnt(4)
	v_fma_f64 v[110:111], v[110:111], v[120:121], v[118:119]
	s_waitcnt lgkmcnt(0)
	s_delay_alu instid0(VALU_DEP_1)
	v_fma_f64 v[118:119], v[112:113], v[122:123], v[110:111]
	scratch_load_b128 v[110:113], off, off offset:128
	s_waitcnt vmcnt(4)
	v_fma_f64 v[114:115], v[114:115], v[124:125], v[118:119]
	ds_load_2addr_b64 v[118:121], v130 offset0:57 offset1:58
	ds_load_2addr_b64 v[122:125], v130 offset0:59 offset1:60
	s_waitcnt lgkmcnt(1)
	;; [unrolled: 13-line block ×7, first 2 shown]
	v_fma_f64 v[118:119], v[116:117], v[118:119], v[114:115]
	scratch_load_b128 v[114:117], off, off offset:304
	s_waitcnt vmcnt(4)
	v_fma_f64 v[2:3], v[2:3], v[120:121], v[118:119]
	scratch_load_b128 v[118:121], off, off offset:320
	s_waitcnt lgkmcnt(0)
	v_fma_f64 v[2:3], v[4:5], v[122:123], v[2:3]
	s_waitcnt vmcnt(4)
	s_delay_alu instid0(VALU_DEP_1)
	v_fma_f64 v[102:103], v[102:103], v[124:125], v[2:3]
	ds_load_2addr_b64 v[2:5], v130 offset0:81 offset1:82
	ds_load_2addr_b64 v[122:125], v130 offset0:83 offset1:84
	s_waitcnt lgkmcnt(1)
	v_fma_f64 v[2:3], v[104:105], v[2:3], v[102:103]
	scratch_load_b128 v[102:105], off, off offset:336
	s_waitcnt vmcnt(4)
	v_fma_f64 v[2:3], v[106:107], v[4:5], v[2:3]
	s_waitcnt lgkmcnt(0)
	s_delay_alu instid0(VALU_DEP_1)
	v_fma_f64 v[2:3], v[108:109], v[122:123], v[2:3]
	scratch_load_b128 v[106:109], off, off offset:352
	s_waitcnt vmcnt(4)
	v_fma_f64 v[2:3], v[110:111], v[124:125], v[2:3]
	ds_load_2addr_b64 v[122:125], v130 offset0:85 offset1:86
	ds_load_2addr_b64 v[126:129], v130 offset0:87 offset1:88
	s_waitcnt lgkmcnt(1)
	v_fma_f64 v[110:111], v[112:113], v[122:123], v[2:3]
	scratch_load_b128 v[2:5], off, off offset:368
	s_waitcnt vmcnt(4)
	v_fma_f64 v[110:111], v[114:115], v[124:125], v[110:111]
	s_waitcnt lgkmcnt(0)
	s_delay_alu instid0(VALU_DEP_1) | instskip(SKIP_1) | instid1(VALU_DEP_1)
	v_fma_f64 v[110:111], v[116:117], v[126:127], v[110:111]
	s_waitcnt vmcnt(3)
	v_fma_f64 v[118:119], v[118:119], v[128:129], v[110:111]
	ds_load_2addr_b64 v[110:113], v130 offset0:89 offset1:90
	ds_load_2addr_b64 v[114:117], v130 offset0:91 offset1:92
	s_waitcnt lgkmcnt(1)
	v_fma_f64 v[110:111], v[120:121], v[110:111], v[118:119]
	s_waitcnt vmcnt(2)
	s_delay_alu instid0(VALU_DEP_1) | instskip(SKIP_1) | instid1(VALU_DEP_1)
	v_fma_f64 v[102:103], v[102:103], v[112:113], v[110:111]
	s_waitcnt lgkmcnt(0)
	v_fma_f64 v[102:103], v[104:105], v[114:115], v[102:103]
	s_waitcnt vmcnt(1)
	s_delay_alu instid0(VALU_DEP_1)
	v_fma_f64 v[106:107], v[106:107], v[116:117], v[102:103]
	ds_load_2addr_b64 v[102:105], v130 offset0:93 offset1:94
	ds_load_b64 v[110:111], v130 offset:760
	s_waitcnt lgkmcnt(1)
	v_fma_f64 v[102:103], v[108:109], v[102:103], v[106:107]
	s_waitcnt vmcnt(0)
	s_delay_alu instid0(VALU_DEP_1) | instskip(SKIP_1) | instid1(VALU_DEP_1)
	v_fma_f64 v[102:103], v[2:3], v[104:105], v[102:103]
	s_waitcnt lgkmcnt(0)
	v_fma_f64 v[4:5], v[4:5], v[110:111], v[102:103]
	s_delay_alu instid0(VALU_DEP_1)
	v_add_f64 v[0:1], v[0:1], -v[4:5]
	scratch_store_b64 off, v[0:1], off
	s_cbranch_vccz .LBB47_393
; %bb.298:
	v_dual_mov_b32 v0, s12 :: v_dual_mov_b32 v1, s13
	s_mov_b32 s0, exec_lo
	flat_load_b32 v0, v[0:1] offset:184
	s_waitcnt vmcnt(0) lgkmcnt(0)
	v_cmpx_ne_u32_e32 47, v0
	s_cbranch_execz .LBB47_300
; %bb.299:
	v_lshl_add_u32 v4, v0, 3, 0
	scratch_load_b64 v[0:1], v4, off offset:-8
	s_waitcnt vmcnt(0)
	scratch_store_b64 off, v[0:1], off offset:368
	scratch_store_b64 v4, v[2:3], off offset:-8
.LBB47_300:
	s_or_b32 exec_lo, exec_lo, s0
	v_dual_mov_b32 v0, s12 :: v_dual_mov_b32 v1, s13
	s_mov_b32 s0, exec_lo
	flat_load_b32 v0, v[0:1] offset:180
	s_waitcnt vmcnt(0) lgkmcnt(0)
	v_cmpx_ne_u32_e32 46, v0
	s_cbranch_execz .LBB47_302
; %bb.301:
	v_lshl_add_u32 v4, v0, 3, 0
	scratch_load_b64 v[0:1], v4, off offset:-8
	scratch_load_b64 v[2:3], off, off offset:360
	s_waitcnt vmcnt(1)
	scratch_store_b64 off, v[0:1], off offset:360
	s_waitcnt vmcnt(0)
	scratch_store_b64 v4, v[2:3], off offset:-8
.LBB47_302:
	s_or_b32 exec_lo, exec_lo, s0
	v_dual_mov_b32 v0, s12 :: v_dual_mov_b32 v1, s13
	s_mov_b32 s0, exec_lo
	flat_load_b32 v0, v[0:1] offset:176
	s_waitcnt vmcnt(0) lgkmcnt(0)
	v_cmpx_ne_u32_e32 45, v0
	s_cbranch_execz .LBB47_304
; %bb.303:
	v_lshl_add_u32 v4, v0, 3, 0
	scratch_load_b64 v[0:1], v4, off offset:-8
	scratch_load_b64 v[2:3], off, off offset:352
	s_waitcnt vmcnt(1)
	scratch_store_b64 off, v[0:1], off offset:352
	s_waitcnt vmcnt(0)
	scratch_store_b64 v4, v[2:3], off offset:-8
.LBB47_304:
	;; [unrolled: 16-line block ×45, first 2 shown]
	s_or_b32 exec_lo, exec_lo, s0
	v_dual_mov_b32 v0, s12 :: v_dual_mov_b32 v1, s13
	s_mov_b32 s0, exec_lo
	flat_load_b32 v2, v[0:1]
	scratch_load_b64 v[0:1], off, off
	s_waitcnt vmcnt(1) lgkmcnt(0)
	v_cmpx_ne_u32_e32 1, v2
	s_cbranch_execz .LBB47_392
; %bb.391:
	v_lshl_add_u32 v4, v2, 3, 0
	scratch_load_b64 v[2:3], v4, off offset:-8
	s_waitcnt vmcnt(0)
	scratch_store_b64 off, v[2:3], off
	scratch_store_b64 v4, v[0:1], off offset:-8
	scratch_load_b64 v[0:1], off, off
.LBB47_392:
	s_or_b32 exec_lo, exec_lo, s0
.LBB47_393:
	s_clause 0x9
	scratch_load_b128 v[2:5], off, off offset:8
	scratch_load_b128 v[102:105], off, off offset:24
	scratch_load_b128 v[106:109], off, off offset:40
	scratch_load_b128 v[110:113], off, off offset:56
	scratch_load_b128 v[114:117], off, off offset:72
	scratch_load_b128 v[118:121], off, off offset:88
	scratch_load_b128 v[122:125], off, off offset:104
	scratch_load_b128 v[126:129], off, off offset:120
	scratch_load_b128 v[130:133], off, off offset:136
	scratch_load_b128 v[134:137], off, off offset:152
	s_waitcnt vmcnt(10)
	global_store_b64 v[30:31], v[0:1], off
	s_clause 0x2
	scratch_load_b128 v[138:141], off, off offset:168
	scratch_load_b128 v[142:145], off, off offset:216
	;; [unrolled: 1-line block ×3, first 2 shown]
	s_waitcnt vmcnt(12)
	global_store_b64 v[22:23], v[2:3], off
	scratch_load_b128 v[0:3], off, off offset:184
	global_store_b64 v[20:21], v[4:5], off
	s_waitcnt vmcnt(12)
	s_clause 0x1
	global_store_b64 v[24:25], v[102:103], off
	global_store_b64 v[14:15], v[104:105], off
	s_waitcnt vmcnt(11)
	s_clause 0x1
	global_store_b64 v[8:9], v[106:107], off
	;; [unrolled: 4-line block ×5, first 2 shown]
	global_store_b64 v[28:29], v[120:121], off
	s_clause 0x9
	scratch_load_b128 v[20:23], off, off offset:200
	scratch_load_b128 v[102:105], off, off offset:232
	;; [unrolled: 1-line block ×9, first 2 shown]
	scratch_load_b64 v[12:13], off, off offset:376
	s_waitcnt vmcnt(17)
	s_clause 0x1
	global_store_b64 v[18:19], v[122:123], off
	global_store_b64 v[26:27], v[124:125], off
	s_waitcnt vmcnt(16)
	s_clause 0x1
	global_store_b64 v[34:35], v[126:127], off
	global_store_b64 v[38:39], v[128:129], off
	;; [unrolled: 4-line block ×7, first 2 shown]
	global_store_b64 v[62:63], v[142:143], off
	global_store_b64 v[64:65], v[144:145], off
	s_waitcnt vmcnt(8)
	s_clause 0x3
	global_store_b64 v[66:67], v[102:103], off
	global_store_b64 v[68:69], v[104:105], off
	;; [unrolled: 1-line block ×4, first 2 shown]
	s_waitcnt vmcnt(7)
	s_clause 0x1
	global_store_b64 v[74:75], v[14:15], off
	global_store_b64 v[76:77], v[16:17], off
	s_waitcnt vmcnt(6)
	s_clause 0x1
	global_store_b64 v[78:79], v[8:9], off
	global_store_b64 v[80:81], v[10:11], off
	;; [unrolled: 4-line block ×7, first 2 shown]
	s_waitcnt vmcnt(0)
	global_store_b64 v[40:41], v[12:13], off
	s_endpgm
	.section	.rodata,"a",@progbits
	.p2align	6, 0x0
	.amdhsa_kernel _ZN9rocsolver6v33100L18getri_kernel_smallILi48EdPdEEvT1_iilPiilS4_bb
		.amdhsa_group_segment_fixed_size 776
		.amdhsa_private_segment_fixed_size 400
		.amdhsa_kernarg_size 60
		.amdhsa_user_sgpr_count 15
		.amdhsa_user_sgpr_dispatch_ptr 0
		.amdhsa_user_sgpr_queue_ptr 0
		.amdhsa_user_sgpr_kernarg_segment_ptr 1
		.amdhsa_user_sgpr_dispatch_id 0
		.amdhsa_user_sgpr_private_segment_size 0
		.amdhsa_wavefront_size32 1
		.amdhsa_uses_dynamic_stack 0
		.amdhsa_enable_private_segment 1
		.amdhsa_system_sgpr_workgroup_id_x 1
		.amdhsa_system_sgpr_workgroup_id_y 0
		.amdhsa_system_sgpr_workgroup_id_z 0
		.amdhsa_system_sgpr_workgroup_info 0
		.amdhsa_system_vgpr_workitem_id 0
		.amdhsa_next_free_vgpr 150
		.amdhsa_next_free_sgpr 18
		.amdhsa_reserve_vcc 1
		.amdhsa_float_round_mode_32 0
		.amdhsa_float_round_mode_16_64 0
		.amdhsa_float_denorm_mode_32 3
		.amdhsa_float_denorm_mode_16_64 3
		.amdhsa_dx10_clamp 1
		.amdhsa_ieee_mode 1
		.amdhsa_fp16_overflow 0
		.amdhsa_workgroup_processor_mode 1
		.amdhsa_memory_ordered 1
		.amdhsa_forward_progress 0
		.amdhsa_shared_vgpr_count 0
		.amdhsa_exception_fp_ieee_invalid_op 0
		.amdhsa_exception_fp_denorm_src 0
		.amdhsa_exception_fp_ieee_div_zero 0
		.amdhsa_exception_fp_ieee_overflow 0
		.amdhsa_exception_fp_ieee_underflow 0
		.amdhsa_exception_fp_ieee_inexact 0
		.amdhsa_exception_int_div_zero 0
	.end_amdhsa_kernel
	.section	.text._ZN9rocsolver6v33100L18getri_kernel_smallILi48EdPdEEvT1_iilPiilS4_bb,"axG",@progbits,_ZN9rocsolver6v33100L18getri_kernel_smallILi48EdPdEEvT1_iilPiilS4_bb,comdat
.Lfunc_end47:
	.size	_ZN9rocsolver6v33100L18getri_kernel_smallILi48EdPdEEvT1_iilPiilS4_bb, .Lfunc_end47-_ZN9rocsolver6v33100L18getri_kernel_smallILi48EdPdEEvT1_iilPiilS4_bb
                                        ; -- End function
	.section	.AMDGPU.csdata,"",@progbits
; Kernel info:
; codeLenInByte = 45296
; NumSgprs: 20
; NumVgprs: 150
; ScratchSize: 400
; MemoryBound: 0
; FloatMode: 240
; IeeeMode: 1
; LDSByteSize: 776 bytes/workgroup (compile time only)
; SGPRBlocks: 2
; VGPRBlocks: 18
; NumSGPRsForWavesPerEU: 20
; NumVGPRsForWavesPerEU: 150
; Occupancy: 9
; WaveLimiterHint : 1
; COMPUTE_PGM_RSRC2:SCRATCH_EN: 1
; COMPUTE_PGM_RSRC2:USER_SGPR: 15
; COMPUTE_PGM_RSRC2:TRAP_HANDLER: 0
; COMPUTE_PGM_RSRC2:TGID_X_EN: 1
; COMPUTE_PGM_RSRC2:TGID_Y_EN: 0
; COMPUTE_PGM_RSRC2:TGID_Z_EN: 0
; COMPUTE_PGM_RSRC2:TIDIG_COMP_CNT: 0
	.section	.text._ZN9rocsolver6v33100L18getri_kernel_smallILi49EdPdEEvT1_iilPiilS4_bb,"axG",@progbits,_ZN9rocsolver6v33100L18getri_kernel_smallILi49EdPdEEvT1_iilPiilS4_bb,comdat
	.globl	_ZN9rocsolver6v33100L18getri_kernel_smallILi49EdPdEEvT1_iilPiilS4_bb ; -- Begin function _ZN9rocsolver6v33100L18getri_kernel_smallILi49EdPdEEvT1_iilPiilS4_bb
	.p2align	8
	.type	_ZN9rocsolver6v33100L18getri_kernel_smallILi49EdPdEEvT1_iilPiilS4_bb,@function
_ZN9rocsolver6v33100L18getri_kernel_smallILi49EdPdEEvT1_iilPiilS4_bb: ; @_ZN9rocsolver6v33100L18getri_kernel_smallILi49EdPdEEvT1_iilPiilS4_bb
; %bb.0:
	s_mov_b32 s2, exec_lo
	v_cmpx_gt_u32_e32 49, v0
	s_cbranch_execz .LBB48_206
; %bb.1:
	s_clause 0x2
	s_load_b32 s17, s[0:1], 0x38
	s_load_b128 s[8:11], s[0:1], 0x10
	s_load_b128 s[4:7], s[0:1], 0x28
	s_mov_b32 s14, s15
                                        ; implicit-def: $sgpr12_sgpr13
	s_waitcnt lgkmcnt(0)
	s_bitcmp1_b32 s17, 8
	s_cselect_b32 s16, -1, 0
	s_bfe_u32 s2, s17, 0x10008
	s_ashr_i32 s15, s15, 31
	s_cmp_eq_u32 s2, 0
	s_cbranch_scc1 .LBB48_3
; %bb.2:
	s_load_b32 s2, s[0:1], 0x20
	s_mul_i32 s3, s14, s5
	s_mul_hi_u32 s5, s14, s4
	s_mul_i32 s12, s15, s4
	s_add_i32 s3, s5, s3
	s_mul_i32 s4, s14, s4
	s_add_i32 s5, s3, s12
	s_delay_alu instid0(SALU_CYCLE_1)
	s_lshl_b64 s[4:5], s[4:5], 2
	s_waitcnt lgkmcnt(0)
	s_ashr_i32 s3, s2, 31
	s_add_u32 s4, s10, s4
	s_addc_u32 s5, s11, s5
	s_lshl_b64 s[2:3], s[2:3], 2
	s_delay_alu instid0(SALU_CYCLE_1)
	s_add_u32 s12, s4, s2
	s_addc_u32 s13, s5, s3
.LBB48_3:
	s_load_b128 s[0:3], s[0:1], 0x0
	s_mul_i32 s4, s14, s9
	s_mul_hi_u32 s5, s14, s8
	s_mul_i32 s9, s15, s8
	s_add_i32 s5, s5, s4
	s_mul_i32 s4, s14, s8
	s_add_i32 s5, s5, s9
	v_lshlrev_b32_e32 v111, 3, v0
	s_lshl_b64 s[4:5], s[4:5], 3
	s_waitcnt lgkmcnt(0)
	v_add3_u32 v3, s3, s3, v0
	s_ashr_i32 s9, s2, 31
	s_mov_b32 s8, s2
	s_add_u32 s2, s0, s4
	s_addc_u32 s5, s1, s5
	v_add_nc_u32_e32 v5, s3, v3
	s_lshl_b64 s[0:1], s[8:9], 3
	v_ashrrev_i32_e32 v4, 31, v3
	s_add_u32 s0, s2, s0
	s_addc_u32 s1, s5, s1
	v_add_nc_u32_e32 v7, s3, v5
	v_add_co_u32 v13, s2, s0, v111
	s_mov_b32 s4, s3
	s_ashr_i32 s5, s3, 31
	v_add_co_ci_u32_e64 v14, null, s1, 0, s2
	v_lshlrev_b64 v[3:4], 3, v[3:4]
	s_lshl_b64 s[4:5], s[4:5], 3
	v_add_nc_u32_e32 v9, s3, v7
	v_add_co_u32 v15, vcc_lo, v13, s4
	v_add_co_ci_u32_e32 v16, vcc_lo, s5, v14, vcc_lo
	v_ashrrev_i32_e32 v6, 31, v5
	v_add_co_u32 v17, vcc_lo, s0, v3
	v_add_nc_u32_e32 v3, s3, v9
	v_ashrrev_i32_e32 v8, 31, v7
	s_delay_alu instid0(VALU_DEP_4)
	v_lshlrev_b64 v[5:6], 3, v[5:6]
	v_ashrrev_i32_e32 v10, 31, v9
	v_add_co_ci_u32_e32 v18, vcc_lo, s1, v4, vcc_lo
	v_add_nc_u32_e32 v11, s3, v3
	v_lshlrev_b64 v[7:8], 3, v[7:8]
	v_add_co_u32 v19, vcc_lo, s0, v5
	v_ashrrev_i32_e32 v4, 31, v3
	s_delay_alu instid0(VALU_DEP_4) | instskip(SKIP_3) | instid1(VALU_DEP_4)
	v_add_nc_u32_e32 v27, s3, v11
	v_add_co_ci_u32_e32 v20, vcc_lo, s1, v6, vcc_lo
	v_lshlrev_b64 v[5:6], 3, v[9:10]
	v_ashrrev_i32_e32 v12, 31, v11
	v_add_nc_u32_e32 v33, s3, v27
	v_add_co_u32 v21, vcc_lo, s0, v7
	v_lshlrev_b64 v[25:26], 3, v[3:4]
	v_ashrrev_i32_e32 v28, 31, v27
	v_add_co_ci_u32_e32 v22, vcc_lo, s1, v8, vcc_lo
	v_add_co_u32 v23, vcc_lo, s0, v5
	v_lshlrev_b64 v[29:30], 3, v[11:12]
	v_ashrrev_i32_e32 v34, 31, v33
	v_add_co_ci_u32_e32 v24, vcc_lo, s1, v6, vcc_lo
	v_add_co_u32 v25, vcc_lo, s0, v25
	v_lshlrev_b64 v[31:32], 3, v[27:28]
	v_add_co_ci_u32_e32 v26, vcc_lo, s1, v26, vcc_lo
	v_add_co_u32 v27, vcc_lo, s0, v29
	v_lshlrev_b64 v[34:35], 3, v[33:34]
	v_add_co_ci_u32_e32 v28, vcc_lo, s1, v30, vcc_lo
	v_add_co_u32 v29, vcc_lo, s0, v31
	v_add_co_ci_u32_e32 v30, vcc_lo, s1, v32, vcc_lo
	s_delay_alu instid0(VALU_DEP_4)
	v_add_co_u32 v31, vcc_lo, s0, v34
	s_clause 0x4
	global_load_b64 v[1:2], v111, s[0:1]
	global_load_b64 v[3:4], v[15:16], off
	global_load_b64 v[5:6], v[17:18], off
	;; [unrolled: 1-line block ×4, first 2 shown]
	v_add_co_ci_u32_e32 v32, vcc_lo, s1, v35, vcc_lo
	s_clause 0x4
	global_load_b64 v[11:12], v[23:24], off
	global_load_b64 v[112:113], v[25:26], off
	;; [unrolled: 1-line block ×5, first 2 shown]
	v_add_nc_u32_e32 v33, s3, v33
	s_bitcmp0_b32 s17, 0
	s_delay_alu instid0(VALU_DEP_1) | instskip(SKIP_1) | instid1(VALU_DEP_2)
	v_add_nc_u32_e32 v35, s3, v33
	v_ashrrev_i32_e32 v34, 31, v33
	v_add_nc_u32_e32 v37, s3, v35
	v_ashrrev_i32_e32 v36, 31, v35
	s_delay_alu instid0(VALU_DEP_3) | instskip(NEXT) | instid1(VALU_DEP_3)
	v_lshlrev_b64 v[33:34], 3, v[33:34]
	v_ashrrev_i32_e32 v38, 31, v37
	v_add_nc_u32_e32 v39, s3, v37
	s_delay_alu instid0(VALU_DEP_4) | instskip(NEXT) | instid1(VALU_DEP_4)
	v_lshlrev_b64 v[35:36], 3, v[35:36]
	v_add_co_u32 v53, vcc_lo, s0, v33
	v_add_co_ci_u32_e32 v54, vcc_lo, s1, v34, vcc_lo
	v_lshlrev_b64 v[33:34], 3, v[37:38]
	v_ashrrev_i32_e32 v40, 31, v39
	v_add_nc_u32_e32 v37, s3, v39
	v_add_co_u32 v47, vcc_lo, s0, v35
	v_add_co_ci_u32_e32 v48, vcc_lo, s1, v36, vcc_lo
	s_delay_alu instid0(VALU_DEP_4) | instskip(NEXT) | instid1(VALU_DEP_4)
	v_lshlrev_b64 v[35:36], 3, v[39:40]
	v_add_nc_u32_e32 v39, s3, v37
	v_add_co_u32 v43, vcc_lo, s0, v33
	v_ashrrev_i32_e32 v38, 31, v37
	v_add_co_ci_u32_e32 v44, vcc_lo, s1, v34, vcc_lo
	s_delay_alu instid0(VALU_DEP_4) | instskip(SKIP_3) | instid1(VALU_DEP_4)
	v_ashrrev_i32_e32 v40, 31, v39
	v_add_nc_u32_e32 v45, s3, v39
	v_add_co_u32 v41, vcc_lo, s0, v35
	v_add_co_ci_u32_e32 v42, vcc_lo, s1, v36, vcc_lo
	v_lshlrev_b64 v[35:36], 3, v[39:40]
	s_delay_alu instid0(VALU_DEP_4)
	v_add_nc_u32_e32 v39, s3, v45
	v_lshlrev_b64 v[33:34], 3, v[37:38]
	v_ashrrev_i32_e32 v46, 31, v45
	s_clause 0x2
	global_load_b64 v[120:121], v[53:54], off
	global_load_b64 v[122:123], v[47:48], off
	;; [unrolled: 1-line block ×3, first 2 shown]
	v_add_nc_u32_e32 v49, s3, v39
	v_ashrrev_i32_e32 v40, 31, v39
	v_add_co_u32 v37, vcc_lo, s0, v33
	v_lshlrev_b64 v[45:46], 3, v[45:46]
	v_add_co_ci_u32_e32 v38, vcc_lo, s1, v34, vcc_lo
	v_add_co_u32 v33, vcc_lo, s0, v35
	v_ashrrev_i32_e32 v50, 31, v49
	v_add_nc_u32_e32 v51, s3, v49
	v_add_co_ci_u32_e32 v34, vcc_lo, s1, v36, vcc_lo
	v_add_co_u32 v35, vcc_lo, s0, v45
	v_add_co_ci_u32_e32 v36, vcc_lo, s1, v46, vcc_lo
	v_lshlrev_b64 v[45:46], 3, v[49:50]
	v_add_nc_u32_e32 v49, s3, v51
	v_lshlrev_b64 v[39:40], 3, v[39:40]
	v_ashrrev_i32_e32 v52, 31, v51
	s_clause 0x3
	global_load_b64 v[126:127], v[41:42], off
	global_load_b64 v[128:129], v[37:38], off
	;; [unrolled: 1-line block ×4, first 2 shown]
	v_add_nc_u32_e32 v55, s3, v49
	v_ashrrev_i32_e32 v50, 31, v49
	v_add_co_u32 v39, vcc_lo, s0, v39
	v_lshlrev_b64 v[51:52], 3, v[51:52]
	s_delay_alu instid0(VALU_DEP_4)
	v_add_nc_u32_e32 v59, s3, v55
	v_add_co_ci_u32_e32 v40, vcc_lo, s1, v40, vcc_lo
	v_add_co_u32 v45, vcc_lo, s0, v45
	v_lshlrev_b64 v[57:58], 3, v[49:50]
	v_add_co_ci_u32_e32 v46, vcc_lo, s1, v46, vcc_lo
	v_add_co_u32 v49, vcc_lo, s0, v51
	v_ashrrev_i32_e32 v60, 31, v59
	v_add_nc_u32_e32 v61, s3, v59
	v_add_co_ci_u32_e32 v50, vcc_lo, s1, v52, vcc_lo
	v_ashrrev_i32_e32 v56, 31, v55
	v_add_co_u32 v51, vcc_lo, s0, v57
	v_add_co_ci_u32_e32 v52, vcc_lo, s1, v58, vcc_lo
	v_lshlrev_b64 v[57:58], 3, v[59:60]
	v_add_nc_u32_e32 v59, s3, v61
	v_lshlrev_b64 v[55:56], 3, v[55:56]
	v_ashrrev_i32_e32 v62, 31, v61
	global_load_b64 v[134:135], v[39:40], off
	v_add_nc_u32_e32 v63, s3, v59
	v_ashrrev_i32_e32 v60, 31, v59
	v_add_co_u32 v55, vcc_lo, s0, v55
	v_lshlrev_b64 v[61:62], 3, v[61:62]
	s_delay_alu instid0(VALU_DEP_4)
	v_add_nc_u32_e32 v67, s3, v63
	v_add_co_ci_u32_e32 v56, vcc_lo, s1, v56, vcc_lo
	v_add_co_u32 v57, vcc_lo, s0, v57
	v_lshlrev_b64 v[65:66], 3, v[59:60]
	v_add_co_ci_u32_e32 v58, vcc_lo, s1, v58, vcc_lo
	v_add_co_u32 v59, vcc_lo, s0, v61
	v_ashrrev_i32_e32 v68, 31, v67
	v_add_nc_u32_e32 v69, s3, v67
	v_add_co_ci_u32_e32 v60, vcc_lo, s1, v62, vcc_lo
	v_ashrrev_i32_e32 v64, 31, v63
	v_add_co_u32 v61, vcc_lo, s0, v65
	v_add_co_ci_u32_e32 v62, vcc_lo, s1, v66, vcc_lo
	v_lshlrev_b64 v[65:66], 3, v[67:68]
	v_add_nc_u32_e32 v67, s3, v69
	v_lshlrev_b64 v[63:64], 3, v[63:64]
	v_ashrrev_i32_e32 v70, 31, v69
	s_delay_alu instid0(VALU_DEP_3) | instskip(SKIP_1) | instid1(VALU_DEP_4)
	v_add_nc_u32_e32 v71, s3, v67
	v_ashrrev_i32_e32 v68, 31, v67
	v_add_co_u32 v63, vcc_lo, s0, v63
	s_delay_alu instid0(VALU_DEP_4) | instskip(NEXT) | instid1(VALU_DEP_4)
	v_lshlrev_b64 v[69:70], 3, v[69:70]
	v_add_nc_u32_e32 v75, s3, v71
	v_add_co_ci_u32_e32 v64, vcc_lo, s1, v64, vcc_lo
	v_add_co_u32 v65, vcc_lo, s0, v65
	v_lshlrev_b64 v[73:74], 3, v[67:68]
	v_add_co_ci_u32_e32 v66, vcc_lo, s1, v66, vcc_lo
	v_add_co_u32 v67, vcc_lo, s0, v69
	v_ashrrev_i32_e32 v76, 31, v75
	v_add_nc_u32_e32 v77, s3, v75
	v_add_co_ci_u32_e32 v68, vcc_lo, s1, v70, vcc_lo
	v_ashrrev_i32_e32 v72, 31, v71
	v_add_co_u32 v69, vcc_lo, s0, v73
	v_add_co_ci_u32_e32 v70, vcc_lo, s1, v74, vcc_lo
	v_lshlrev_b64 v[73:74], 3, v[75:76]
	v_add_nc_u32_e32 v75, s3, v77
	v_lshlrev_b64 v[71:72], 3, v[71:72]
	v_ashrrev_i32_e32 v78, 31, v77
	s_delay_alu instid0(VALU_DEP_3) | instskip(SKIP_1) | instid1(VALU_DEP_4)
	v_add_nc_u32_e32 v79, s3, v75
	v_ashrrev_i32_e32 v76, 31, v75
	v_add_co_u32 v71, vcc_lo, s0, v71
	s_delay_alu instid0(VALU_DEP_4) | instskip(NEXT) | instid1(VALU_DEP_4)
	v_lshlrev_b64 v[77:78], 3, v[77:78]
	;; [unrolled: 22-line block ×4, first 2 shown]
	v_add_nc_u32_e32 v99, s3, v95
	v_add_co_ci_u32_e32 v88, vcc_lo, s1, v88, vcc_lo
	v_add_co_u32 v89, vcc_lo, s0, v89
	v_lshlrev_b64 v[97:98], 3, v[91:92]
	v_add_co_ci_u32_e32 v90, vcc_lo, s1, v90, vcc_lo
	v_add_co_u32 v91, vcc_lo, s0, v93
	v_ashrrev_i32_e32 v100, 31, v99
	v_add_nc_u32_e32 v101, s3, v99
	v_add_co_ci_u32_e32 v92, vcc_lo, s1, v94, vcc_lo
	v_add_co_u32 v93, vcc_lo, s0, v97
	v_add_co_ci_u32_e32 v94, vcc_lo, s1, v98, vcc_lo
	v_lshlrev_b64 v[97:98], 3, v[99:100]
	v_add_nc_u32_e32 v99, s3, v101
	v_ashrrev_i32_e32 v96, 31, v95
	v_ashrrev_i32_e32 v102, 31, v101
	s_delay_alu instid0(VALU_DEP_3) | instskip(NEXT) | instid1(VALU_DEP_3)
	v_add_nc_u32_e32 v103, s3, v99
	v_lshlrev_b64 v[95:96], 3, v[95:96]
	v_ashrrev_i32_e32 v100, 31, v99
	s_delay_alu instid0(VALU_DEP_4) | instskip(NEXT) | instid1(VALU_DEP_4)
	v_lshlrev_b64 v[101:102], 3, v[101:102]
	v_add_nc_u32_e32 v107, s3, v103
	v_ashrrev_i32_e32 v104, 31, v103
	v_add_co_u32 v95, vcc_lo, s0, v95
	v_add_co_ci_u32_e32 v96, vcc_lo, s1, v96, vcc_lo
	s_delay_alu instid0(VALU_DEP_4)
	v_add_nc_u32_e32 v109, s3, v107
	v_add_co_u32 v97, vcc_lo, s0, v97
	v_lshlrev_b64 v[105:106], 3, v[99:100]
	v_ashrrev_i32_e32 v108, 31, v107
	v_add_co_ci_u32_e32 v98, vcc_lo, s1, v98, vcc_lo
	v_add_co_u32 v99, vcc_lo, s0, v101
	v_lshlrev_b64 v[103:104], 3, v[103:104]
	v_add_nc_u32_e32 v136, s3, v109
	v_add_co_ci_u32_e32 v100, vcc_lo, s1, v102, vcc_lo
	v_add_co_u32 v101, vcc_lo, s0, v105
	v_lshlrev_b64 v[107:108], 3, v[107:108]
	v_ashrrev_i32_e32 v110, 31, v109
	v_add_co_ci_u32_e32 v102, vcc_lo, s1, v106, vcc_lo
	v_add_co_u32 v105, vcc_lo, s0, v103
	v_ashrrev_i32_e32 v137, 31, v136
	v_add_co_ci_u32_e32 v106, vcc_lo, s1, v104, vcc_lo
	v_lshlrev_b64 v[103:104], 3, v[109:110]
	v_add_co_u32 v109, vcc_lo, s0, v107
	v_add_co_ci_u32_e32 v110, vcc_lo, s1, v108, vcc_lo
	v_lshlrev_b64 v[107:108], 3, v[136:137]
	s_delay_alu instid0(VALU_DEP_4) | instskip(SKIP_1) | instid1(VALU_DEP_3)
	v_add_co_u32 v103, vcc_lo, s0, v103
	v_add_co_ci_u32_e32 v104, vcc_lo, s1, v104, vcc_lo
	v_add_co_u32 v107, vcc_lo, s0, v107
	s_delay_alu instid0(VALU_DEP_4)
	v_add_co_ci_u32_e32 v108, vcc_lo, s1, v108, vcc_lo
	s_mov_b32 s1, -1
	s_waitcnt vmcnt(16)
	scratch_store_b128 off, v[1:4], off
	s_clause 0x3
	global_load_b64 v[1:2], v[45:46], off
	global_load_b64 v[3:4], v[49:50], off
	;; [unrolled: 1-line block ×4, first 2 shown]
	s_waitcnt vmcnt(18)
	scratch_store_b128 off, v[5:8], off offset:16
	s_waitcnt vmcnt(16)
	scratch_store_b128 off, v[9:12], off offset:32
	s_clause 0x3
	global_load_b64 v[5:6], v[57:58], off
	global_load_b64 v[7:8], v[59:60], off
	;; [unrolled: 1-line block ×4, first 2 shown]
	s_waitcnt vmcnt(18)
	scratch_store_b128 off, v[112:115], off offset:48
	s_clause 0x1
	global_load_b64 v[112:113], v[65:66], off
	global_load_b64 v[114:115], v[67:68], off
	s_waitcnt vmcnt(18)
	scratch_store_b128 off, v[116:119], off offset:64
	s_clause 0x1
	global_load_b64 v[116:117], v[69:70], off
	global_load_b64 v[118:119], v[71:72], off
	s_waitcnt vmcnt(18)
	scratch_store_b128 off, v[120:123], off offset:80
	s_waitcnt vmcnt(16)
	scratch_store_b128 off, v[124:127], off offset:96
	s_clause 0x2
	global_load_b64 v[120:121], v[73:74], off
	global_load_b64 v[122:123], v[75:76], off
	global_load_b64 v[124:125], v[77:78], off
	s_waitcnt vmcnt(17)
	scratch_store_b128 off, v[128:131], off offset:112
	s_waitcnt vmcnt(15)
	scratch_store_b128 off, v[132:135], off offset:128
	s_clause 0x3
	global_load_b64 v[126:127], v[79:80], off
	global_load_b64 v[128:129], v[81:82], off
	global_load_b64 v[130:131], v[83:84], off
	global_load_b64 v[132:133], v[85:86], off
	s_waitcnt vmcnt(17)
	scratch_store_b128 off, v[1:4], off offset:144
	s_waitcnt vmcnt(15)
	scratch_store_b128 off, v[136:139], off offset:160
	s_clause 0x3
	global_load_b64 v[134:135], v[87:88], off
	;; [unrolled: 9-line block ×3, first 2 shown]
	global_load_b64 v[5:6], v[97:98], off
	global_load_b64 v[7:8], v[99:100], off
	;; [unrolled: 1-line block ×3, first 2 shown]
	s_waitcnt vmcnt(17)
	scratch_store_b128 off, v[112:115], off offset:208
	s_clause 0x2
	global_load_b64 v[11:12], v[105:106], off
	global_load_b64 v[112:113], v[109:110], off
	global_load_b64 v[114:115], v[103:104], off
	s_waitcnt vmcnt(18)
	scratch_store_b128 off, v[116:119], off offset:224
	global_load_b64 v[116:117], v[107:108], off
	s_waitcnt vmcnt(17)
	scratch_store_b128 off, v[120:123], off offset:240
	s_waitcnt vmcnt(15)
	scratch_store_b128 off, v[124:127], off offset:256
	;; [unrolled: 2-line block ×9, first 2 shown]
	s_waitcnt vmcnt(0)
	scratch_store_b64 off, v[116:117], off offset:384
	s_cbranch_scc1 .LBB48_204
; %bb.4:
	v_cmp_eq_u32_e64 s0, 0, v0
	s_delay_alu instid0(VALU_DEP_1)
	s_and_saveexec_b32 s1, s0
	s_cbranch_execz .LBB48_6
; %bb.5:
	v_mov_b32_e32 v1, 0
	ds_store_b32 v1, v1 offset:392
.LBB48_6:
	s_or_b32 exec_lo, exec_lo, s1
	s_waitcnt lgkmcnt(0)
	s_waitcnt_vscnt null, 0x0
	s_barrier
	buffer_gl0_inv
	scratch_load_b64 v[1:2], v111, off
	s_mov_b32 s2, exec_lo
	s_waitcnt vmcnt(0)
	v_cmpx_eq_f64_e32 0, v[1:2]
	s_cbranch_execz .LBB48_10
; %bb.7:
	v_mov_b32_e32 v1, 0
	s_mov_b32 s3, 0
	ds_load_b32 v2, v1 offset:392
	s_waitcnt lgkmcnt(0)
	v_readfirstlane_b32 s1, v2
	v_add_nc_u32_e32 v2, 1, v0
	s_delay_alu instid0(VALU_DEP_2) | instskip(NEXT) | instid1(VALU_DEP_1)
	s_cmp_eq_u32 s1, 0
	v_cmp_gt_i32_e32 vcc_lo, s1, v2
	s_cselect_b32 s4, -1, 0
	s_delay_alu instid0(SALU_CYCLE_1) | instskip(NEXT) | instid1(SALU_CYCLE_1)
	s_or_b32 s4, s4, vcc_lo
	s_and_b32 exec_lo, exec_lo, s4
	s_cbranch_execz .LBB48_10
; %bb.8:
	v_mov_b32_e32 v3, s1
.LBB48_9:                               ; =>This Inner Loop Header: Depth=1
	ds_cmpstore_rtn_b32 v3, v1, v2, v3 offset:392
	s_waitcnt lgkmcnt(0)
	v_cmp_ne_u32_e32 vcc_lo, 0, v3
	v_cmp_le_i32_e64 s1, v3, v2
	s_delay_alu instid0(VALU_DEP_1) | instskip(NEXT) | instid1(SALU_CYCLE_1)
	s_and_b32 s1, vcc_lo, s1
	s_and_b32 s1, exec_lo, s1
	s_delay_alu instid0(SALU_CYCLE_1) | instskip(NEXT) | instid1(SALU_CYCLE_1)
	s_or_b32 s3, s1, s3
	s_and_not1_b32 exec_lo, exec_lo, s3
	s_cbranch_execnz .LBB48_9
.LBB48_10:
	s_or_b32 exec_lo, exec_lo, s2
	v_mov_b32_e32 v1, 0
	s_barrier
	buffer_gl0_inv
	ds_load_b32 v2, v1 offset:392
	s_and_saveexec_b32 s1, s0
	s_cbranch_execz .LBB48_12
; %bb.11:
	s_lshl_b64 s[2:3], s[14:15], 2
	s_delay_alu instid0(SALU_CYCLE_1)
	s_add_u32 s2, s6, s2
	s_addc_u32 s3, s7, s3
	s_waitcnt lgkmcnt(0)
	global_store_b32 v1, v2, s[2:3]
.LBB48_12:
	s_or_b32 exec_lo, exec_lo, s1
	s_waitcnt lgkmcnt(0)
	v_cmp_ne_u32_e32 vcc_lo, 0, v2
	s_mov_b32 s1, 0
	s_cbranch_vccnz .LBB48_204
; %bb.13:
	v_add_nc_u32_e32 v3, 0, v111
	scratch_load_b64 v[1:2], v3, off
	s_waitcnt vmcnt(0)
	v_div_scale_f64 v[4:5], null, v[1:2], v[1:2], 1.0
	v_div_scale_f64 v[10:11], vcc_lo, 1.0, v[1:2], 1.0
	s_delay_alu instid0(VALU_DEP_2) | instskip(SKIP_2) | instid1(VALU_DEP_1)
	v_rcp_f64_e32 v[6:7], v[4:5]
	s_waitcnt_depctr 0xfff
	v_fma_f64 v[8:9], -v[4:5], v[6:7], 1.0
	v_fma_f64 v[6:7], v[6:7], v[8:9], v[6:7]
	s_delay_alu instid0(VALU_DEP_1) | instskip(NEXT) | instid1(VALU_DEP_1)
	v_fma_f64 v[8:9], -v[4:5], v[6:7], 1.0
	v_fma_f64 v[6:7], v[6:7], v[8:9], v[6:7]
	s_delay_alu instid0(VALU_DEP_1) | instskip(NEXT) | instid1(VALU_DEP_1)
	v_mul_f64 v[8:9], v[10:11], v[6:7]
	v_fma_f64 v[4:5], -v[4:5], v[8:9], v[10:11]
	s_delay_alu instid0(VALU_DEP_1) | instskip(NEXT) | instid1(VALU_DEP_1)
	v_div_fmas_f64 v[4:5], v[4:5], v[6:7], v[8:9]
	v_div_fixup_f64 v[1:2], v[4:5], v[1:2], 1.0
	v_add_nc_u32_e32 v4, 0x190, v111
	scratch_store_b64 v3, v[1:2], off
	scratch_load_b64 v[5:6], off, off offset:8
	v_xor_b32_e32 v2, 0x80000000, v2
	s_waitcnt vmcnt(0)
	ds_store_2addr_b64 v111, v[1:2], v[5:6] offset1:50
	s_waitcnt lgkmcnt(0)
	s_waitcnt_vscnt null, 0x0
	s_barrier
	buffer_gl0_inv
	s_and_saveexec_b32 s1, s0
	s_cbranch_execz .LBB48_15
; %bb.14:
	scratch_load_b64 v[1:2], v3, off
	ds_load_b64 v[5:6], v4
	s_waitcnt vmcnt(0) lgkmcnt(0)
	v_fma_f64 v[1:2], v[1:2], v[5:6], 0
	v_mov_b32_e32 v5, 0
	ds_load_b64 v[5:6], v5 offset:8
	s_waitcnt lgkmcnt(0)
	v_mul_f64 v[1:2], v[1:2], v[5:6]
	scratch_store_b64 off, v[1:2], off offset:8
.LBB48_15:
	s_or_b32 exec_lo, exec_lo, s1
	s_waitcnt_vscnt null, 0x0
	s_barrier
	buffer_gl0_inv
	scratch_load_b64 v[1:2], off, off offset:16
	s_mov_b32 s1, exec_lo
	s_waitcnt vmcnt(0)
	ds_store_b64 v4, v[1:2]
	s_waitcnt lgkmcnt(0)
	s_barrier
	buffer_gl0_inv
	v_cmpx_gt_u32_e32 2, v0
	s_cbranch_execz .LBB48_19
; %bb.16:
	scratch_load_b64 v[1:2], v3, off
	ds_load_b64 v[5:6], v4
	s_waitcnt vmcnt(0) lgkmcnt(0)
	v_fma_f64 v[1:2], v[1:2], v[5:6], 0
	s_and_saveexec_b32 s2, s0
	s_cbranch_execz .LBB48_18
; %bb.17:
	scratch_load_b64 v[5:6], off, off offset:8
	v_mov_b32_e32 v7, 0
	ds_load_b64 v[7:8], v7 offset:408
	s_waitcnt vmcnt(0) lgkmcnt(0)
	v_fma_f64 v[1:2], v[5:6], v[7:8], v[1:2]
.LBB48_18:
	s_or_b32 exec_lo, exec_lo, s2
	v_mov_b32_e32 v5, 0
	ds_load_b64 v[5:6], v5 offset:16
	s_waitcnt lgkmcnt(0)
	v_mul_f64 v[1:2], v[1:2], v[5:6]
	scratch_store_b64 off, v[1:2], off offset:16
.LBB48_19:
	s_or_b32 exec_lo, exec_lo, s1
	s_waitcnt_vscnt null, 0x0
	s_barrier
	buffer_gl0_inv
	scratch_load_b64 v[1:2], off, off offset:24
	v_add_nc_u32_e32 v5, -1, v0
	s_mov_b32 s0, exec_lo
	s_waitcnt vmcnt(0)
	ds_store_b64 v4, v[1:2]
	s_waitcnt lgkmcnt(0)
	s_barrier
	buffer_gl0_inv
	v_cmpx_gt_u32_e32 3, v0
	s_cbranch_execz .LBB48_23
; %bb.20:
	v_dual_mov_b32 v1, 0 :: v_dual_add_nc_u32 v6, -1, v0
	v_dual_mov_b32 v2, 0 :: v_dual_add_nc_u32 v7, 0x190, v111
	v_add_nc_u32_e32 v8, 0, v111
	s_mov_b32 s1, 0
.LBB48_21:                              ; =>This Inner Loop Header: Depth=1
	scratch_load_b64 v[9:10], v8, off
	ds_load_b64 v[11:12], v7
	v_add_nc_u32_e32 v6, 1, v6
	v_add_nc_u32_e32 v7, 8, v7
	v_add_nc_u32_e32 v8, 8, v8
	s_delay_alu instid0(VALU_DEP_3)
	v_cmp_lt_u32_e32 vcc_lo, 1, v6
	s_or_b32 s1, vcc_lo, s1
	s_waitcnt vmcnt(0) lgkmcnt(0)
	v_fma_f64 v[1:2], v[9:10], v[11:12], v[1:2]
	s_and_not1_b32 exec_lo, exec_lo, s1
	s_cbranch_execnz .LBB48_21
; %bb.22:
	s_or_b32 exec_lo, exec_lo, s1
	v_mov_b32_e32 v6, 0
	ds_load_b64 v[6:7], v6 offset:24
	s_waitcnt lgkmcnt(0)
	v_mul_f64 v[1:2], v[1:2], v[6:7]
	scratch_store_b64 off, v[1:2], off offset:24
.LBB48_23:
	s_or_b32 exec_lo, exec_lo, s0
	s_waitcnt_vscnt null, 0x0
	s_barrier
	buffer_gl0_inv
	scratch_load_b64 v[1:2], off, off offset:32
	s_mov_b32 s0, exec_lo
	s_waitcnt vmcnt(0)
	ds_store_b64 v4, v[1:2]
	s_waitcnt lgkmcnt(0)
	s_barrier
	buffer_gl0_inv
	v_cmpx_gt_u32_e32 4, v0
	s_cbranch_execz .LBB48_27
; %bb.24:
	v_dual_mov_b32 v1, 0 :: v_dual_add_nc_u32 v6, -1, v0
	v_dual_mov_b32 v2, 0 :: v_dual_add_nc_u32 v7, 0x190, v111
	v_add_nc_u32_e32 v8, 0, v111
	s_mov_b32 s1, 0
.LBB48_25:                              ; =>This Inner Loop Header: Depth=1
	scratch_load_b64 v[9:10], v8, off
	ds_load_b64 v[11:12], v7
	v_add_nc_u32_e32 v6, 1, v6
	v_add_nc_u32_e32 v7, 8, v7
	v_add_nc_u32_e32 v8, 8, v8
	s_delay_alu instid0(VALU_DEP_3)
	v_cmp_lt_u32_e32 vcc_lo, 2, v6
	s_or_b32 s1, vcc_lo, s1
	s_waitcnt vmcnt(0) lgkmcnt(0)
	v_fma_f64 v[1:2], v[9:10], v[11:12], v[1:2]
	s_and_not1_b32 exec_lo, exec_lo, s1
	s_cbranch_execnz .LBB48_25
; %bb.26:
	s_or_b32 exec_lo, exec_lo, s1
	v_mov_b32_e32 v6, 0
	ds_load_b64 v[6:7], v6 offset:32
	s_waitcnt lgkmcnt(0)
	v_mul_f64 v[1:2], v[1:2], v[6:7]
	scratch_store_b64 off, v[1:2], off offset:32
.LBB48_27:
	s_or_b32 exec_lo, exec_lo, s0
	s_waitcnt_vscnt null, 0x0
	s_barrier
	buffer_gl0_inv
	scratch_load_b64 v[1:2], off, off offset:40
	;; [unrolled: 39-line block ×20, first 2 shown]
	s_mov_b32 s0, exec_lo
	s_waitcnt vmcnt(0)
	ds_store_b64 v4, v[1:2]
	s_waitcnt lgkmcnt(0)
	s_barrier
	buffer_gl0_inv
	v_cmpx_gt_u32_e32 23, v0
	s_cbranch_execz .LBB48_103
; %bb.100:
	v_dual_mov_b32 v1, 0 :: v_dual_add_nc_u32 v6, -1, v0
	v_dual_mov_b32 v2, 0 :: v_dual_add_nc_u32 v7, 0x190, v111
	v_add_nc_u32_e32 v8, 0, v111
	s_mov_b32 s1, 0
.LBB48_101:                             ; =>This Inner Loop Header: Depth=1
	scratch_load_b64 v[9:10], v8, off
	ds_load_b64 v[11:12], v7
	v_add_nc_u32_e32 v6, 1, v6
	v_add_nc_u32_e32 v7, 8, v7
	v_add_nc_u32_e32 v8, 8, v8
	s_delay_alu instid0(VALU_DEP_3)
	v_cmp_lt_u32_e32 vcc_lo, 21, v6
	s_or_b32 s1, vcc_lo, s1
	s_waitcnt vmcnt(0) lgkmcnt(0)
	v_fma_f64 v[1:2], v[9:10], v[11:12], v[1:2]
	s_and_not1_b32 exec_lo, exec_lo, s1
	s_cbranch_execnz .LBB48_101
; %bb.102:
	s_or_b32 exec_lo, exec_lo, s1
	v_mov_b32_e32 v6, 0
	ds_load_b64 v[6:7], v6 offset:184
	s_waitcnt lgkmcnt(0)
	v_mul_f64 v[1:2], v[1:2], v[6:7]
	scratch_store_b64 off, v[1:2], off offset:184
.LBB48_103:
	s_or_b32 exec_lo, exec_lo, s0
	s_waitcnt_vscnt null, 0x0
	s_barrier
	buffer_gl0_inv
	scratch_load_b64 v[1:2], off, off offset:192
	s_mov_b32 s0, exec_lo
	s_waitcnt vmcnt(0)
	ds_store_b64 v4, v[1:2]
	s_waitcnt lgkmcnt(0)
	s_barrier
	buffer_gl0_inv
	v_cmpx_gt_u32_e32 24, v0
	s_cbranch_execz .LBB48_107
; %bb.104:
	v_dual_mov_b32 v1, 0 :: v_dual_add_nc_u32 v6, -1, v0
	v_dual_mov_b32 v2, 0 :: v_dual_add_nc_u32 v7, 0x190, v111
	v_add_nc_u32_e32 v8, 0, v111
	s_mov_b32 s1, 0
.LBB48_105:                             ; =>This Inner Loop Header: Depth=1
	scratch_load_b64 v[9:10], v8, off
	ds_load_b64 v[11:12], v7
	v_add_nc_u32_e32 v6, 1, v6
	v_add_nc_u32_e32 v7, 8, v7
	v_add_nc_u32_e32 v8, 8, v8
	s_delay_alu instid0(VALU_DEP_3)
	v_cmp_lt_u32_e32 vcc_lo, 22, v6
	s_or_b32 s1, vcc_lo, s1
	s_waitcnt vmcnt(0) lgkmcnt(0)
	v_fma_f64 v[1:2], v[9:10], v[11:12], v[1:2]
	s_and_not1_b32 exec_lo, exec_lo, s1
	s_cbranch_execnz .LBB48_105
; %bb.106:
	s_or_b32 exec_lo, exec_lo, s1
	v_mov_b32_e32 v6, 0
	ds_load_b64 v[6:7], v6 offset:192
	s_waitcnt lgkmcnt(0)
	v_mul_f64 v[1:2], v[1:2], v[6:7]
	scratch_store_b64 off, v[1:2], off offset:192
.LBB48_107:
	s_or_b32 exec_lo, exec_lo, s0
	s_waitcnt_vscnt null, 0x0
	s_barrier
	buffer_gl0_inv
	scratch_load_b64 v[1:2], off, off offset:200
	;; [unrolled: 39-line block ×25, first 2 shown]
	s_mov_b32 s0, exec_lo
	s_waitcnt vmcnt(0)
	ds_store_b64 v4, v[1:2]
	s_waitcnt lgkmcnt(0)
	s_barrier
	buffer_gl0_inv
	v_cmpx_ne_u32_e32 48, v0
	s_cbranch_execz .LBB48_203
; %bb.200:
	v_mov_b32_e32 v1, 0
	v_mov_b32_e32 v2, 0
	s_mov_b32 s1, 0
.LBB48_201:                             ; =>This Inner Loop Header: Depth=1
	scratch_load_b64 v[6:7], v3, off
	ds_load_b64 v[8:9], v4
	v_add_nc_u32_e32 v5, 1, v5
	v_add_nc_u32_e32 v4, 8, v4
	;; [unrolled: 1-line block ×3, first 2 shown]
	s_delay_alu instid0(VALU_DEP_3)
	v_cmp_lt_u32_e32 vcc_lo, 46, v5
	s_or_b32 s1, vcc_lo, s1
	s_waitcnt vmcnt(0) lgkmcnt(0)
	v_fma_f64 v[1:2], v[6:7], v[8:9], v[1:2]
	s_and_not1_b32 exec_lo, exec_lo, s1
	s_cbranch_execnz .LBB48_201
; %bb.202:
	s_or_b32 exec_lo, exec_lo, s1
	v_mov_b32_e32 v3, 0
	ds_load_b64 v[3:4], v3 offset:384
	s_waitcnt lgkmcnt(0)
	v_mul_f64 v[1:2], v[1:2], v[3:4]
	scratch_store_b64 off, v[1:2], off offset:384
.LBB48_203:
	s_or_b32 exec_lo, exec_lo, s0
	s_mov_b32 s1, -1
	s_waitcnt_vscnt null, 0x0
	s_barrier
	buffer_gl0_inv
.LBB48_204:
	s_and_b32 vcc_lo, exec_lo, s1
	s_cbranch_vccz .LBB48_206
; %bb.205:
	s_lshl_b64 s[0:1], s[14:15], 2
	v_mov_b32_e32 v1, 0
	s_add_u32 s0, s6, s0
	s_addc_u32 s1, s7, s1
	global_load_b32 v1, v1, s[0:1]
	s_waitcnt vmcnt(0)
	v_cmp_ne_u32_e32 vcc_lo, 0, v1
	s_cbranch_vccz .LBB48_207
.LBB48_206:
	s_endpgm
.LBB48_207:
	v_lshl_add_u32 v8, v0, 3, 0x190
	s_mov_b32 s0, exec_lo
	v_cmpx_eq_u32_e32 48, v0
	s_cbranch_execz .LBB48_209
; %bb.208:
	scratch_load_b64 v[1:2], off, off offset:376
	v_mov_b32_e32 v3, 0
	s_delay_alu instid0(VALU_DEP_1)
	v_mov_b32_e32 v4, v3
	scratch_store_b64 off, v[3:4], off offset:376
	s_waitcnt vmcnt(0)
	ds_store_b64 v8, v[1:2]
.LBB48_209:
	s_or_b32 exec_lo, exec_lo, s0
	s_waitcnt lgkmcnt(0)
	s_waitcnt_vscnt null, 0x0
	s_barrier
	buffer_gl0_inv
	scratch_load_b128 v[2:5], off, off offset:376
	v_mov_b32_e32 v1, 0
	s_mov_b32 s0, exec_lo
	ds_load_b64 v[6:7], v1 offset:784
	s_waitcnt vmcnt(0) lgkmcnt(0)
	v_fma_f64 v[4:5], v[4:5], v[6:7], 0
	s_delay_alu instid0(VALU_DEP_1)
	v_add_f64 v[2:3], v[2:3], -v[4:5]
	scratch_store_b64 off, v[2:3], off offset:376
	v_cmpx_lt_u32_e32 46, v0
	s_cbranch_execz .LBB48_211
; %bb.210:
	scratch_load_b64 v[3:4], off, off offset:368
	v_mov_b32_e32 v2, v1
	scratch_store_b64 off, v[1:2], off offset:368
	s_waitcnt vmcnt(0)
	ds_store_b64 v8, v[3:4]
.LBB48_211:
	s_or_b32 exec_lo, exec_lo, s0
	s_waitcnt lgkmcnt(0)
	s_waitcnt_vscnt null, 0x0
	s_barrier
	buffer_gl0_inv
	s_clause 0x1
	scratch_load_b128 v[2:5], off, off offset:368
	scratch_load_b64 v[6:7], off, off offset:384
	ds_load_2addr_b64 v[9:12], v1 offset0:97 offset1:98
	s_mov_b32 s0, exec_lo
	s_waitcnt vmcnt(1) lgkmcnt(0)
	v_fma_f64 v[4:5], v[4:5], v[9:10], 0
	s_waitcnt vmcnt(0)
	s_delay_alu instid0(VALU_DEP_1) | instskip(NEXT) | instid1(VALU_DEP_1)
	v_fma_f64 v[4:5], v[6:7], v[11:12], v[4:5]
	v_add_f64 v[1:2], v[2:3], -v[4:5]
	scratch_store_b64 off, v[1:2], off offset:368
	v_cmpx_lt_u32_e32 45, v0
	s_cbranch_execz .LBB48_213
; %bb.212:
	scratch_load_b64 v[1:2], off, off offset:360
	v_mov_b32_e32 v3, 0
	s_delay_alu instid0(VALU_DEP_1)
	v_mov_b32_e32 v4, v3
	scratch_store_b64 off, v[3:4], off offset:360
	s_waitcnt vmcnt(0)
	ds_store_b64 v8, v[1:2]
.LBB48_213:
	s_or_b32 exec_lo, exec_lo, s0
	s_waitcnt lgkmcnt(0)
	s_waitcnt_vscnt null, 0x0
	s_barrier
	buffer_gl0_inv
	s_clause 0x1
	scratch_load_b128 v[2:5], off, off offset:360
	scratch_load_b128 v[9:12], off, off offset:376
	v_mov_b32_e32 v1, 0
	ds_load_b128 v[111:114], v1 offset:768
	ds_load_b64 v[6:7], v1 offset:784
	s_mov_b32 s0, exec_lo
	s_waitcnt vmcnt(1) lgkmcnt(1)
	v_fma_f64 v[4:5], v[4:5], v[111:112], 0
	s_waitcnt vmcnt(0)
	s_delay_alu instid0(VALU_DEP_1) | instskip(SKIP_1) | instid1(VALU_DEP_1)
	v_fma_f64 v[4:5], v[9:10], v[113:114], v[4:5]
	s_waitcnt lgkmcnt(0)
	v_fma_f64 v[4:5], v[11:12], v[6:7], v[4:5]
	s_delay_alu instid0(VALU_DEP_1)
	v_add_f64 v[2:3], v[2:3], -v[4:5]
	scratch_store_b64 off, v[2:3], off offset:360
	v_cmpx_lt_u32_e32 44, v0
	s_cbranch_execz .LBB48_215
; %bb.214:
	scratch_load_b64 v[3:4], off, off offset:352
	v_mov_b32_e32 v2, v1
	scratch_store_b64 off, v[1:2], off offset:352
	s_waitcnt vmcnt(0)
	ds_store_b64 v8, v[3:4]
.LBB48_215:
	s_or_b32 exec_lo, exec_lo, s0
	s_waitcnt lgkmcnt(0)
	s_waitcnt_vscnt null, 0x0
	s_barrier
	buffer_gl0_inv
	s_clause 0x2
	scratch_load_b128 v[2:5], off, off offset:352
	scratch_load_b128 v[9:12], off, off offset:368
	scratch_load_b64 v[6:7], off, off offset:384
	ds_load_2addr_b64 v[111:114], v1 offset0:95 offset1:96
	ds_load_2addr_b64 v[115:118], v1 offset0:97 offset1:98
	s_mov_b32 s0, exec_lo
	s_waitcnt vmcnt(2) lgkmcnt(1)
	v_fma_f64 v[4:5], v[4:5], v[111:112], 0
	s_waitcnt vmcnt(1)
	s_delay_alu instid0(VALU_DEP_1) | instskip(SKIP_1) | instid1(VALU_DEP_1)
	v_fma_f64 v[4:5], v[9:10], v[113:114], v[4:5]
	s_waitcnt lgkmcnt(0)
	v_fma_f64 v[4:5], v[11:12], v[115:116], v[4:5]
	s_waitcnt vmcnt(0)
	s_delay_alu instid0(VALU_DEP_1) | instskip(NEXT) | instid1(VALU_DEP_1)
	v_fma_f64 v[4:5], v[6:7], v[117:118], v[4:5]
	v_add_f64 v[1:2], v[2:3], -v[4:5]
	scratch_store_b64 off, v[1:2], off offset:352
	v_cmpx_lt_u32_e32 43, v0
	s_cbranch_execz .LBB48_217
; %bb.216:
	scratch_load_b64 v[1:2], off, off offset:344
	v_mov_b32_e32 v3, 0
	s_delay_alu instid0(VALU_DEP_1)
	v_mov_b32_e32 v4, v3
	scratch_store_b64 off, v[3:4], off offset:344
	s_waitcnt vmcnt(0)
	ds_store_b64 v8, v[1:2]
.LBB48_217:
	s_or_b32 exec_lo, exec_lo, s0
	s_waitcnt lgkmcnt(0)
	s_waitcnt_vscnt null, 0x0
	s_barrier
	buffer_gl0_inv
	s_clause 0x2
	scratch_load_b128 v[2:5], off, off offset:344
	scratch_load_b128 v[9:12], off, off offset:360
	;; [unrolled: 1-line block ×3, first 2 shown]
	v_mov_b32_e32 v1, 0
	s_mov_b32 s0, exec_lo
	ds_load_b128 v[115:118], v1 offset:752
	s_waitcnt vmcnt(2) lgkmcnt(0)
	v_fma_f64 v[4:5], v[4:5], v[115:116], 0
	s_waitcnt vmcnt(1)
	s_delay_alu instid0(VALU_DEP_1) | instskip(SKIP_4) | instid1(VALU_DEP_1)
	v_fma_f64 v[9:10], v[9:10], v[117:118], v[4:5]
	ds_load_b128 v[4:7], v1 offset:768
	s_waitcnt lgkmcnt(0)
	v_fma_f64 v[4:5], v[11:12], v[4:5], v[9:10]
	s_waitcnt vmcnt(0)
	v_fma_f64 v[4:5], v[111:112], v[6:7], v[4:5]
	ds_load_b64 v[6:7], v1 offset:784
	s_waitcnt lgkmcnt(0)
	v_fma_f64 v[4:5], v[113:114], v[6:7], v[4:5]
	s_delay_alu instid0(VALU_DEP_1)
	v_add_f64 v[2:3], v[2:3], -v[4:5]
	scratch_store_b64 off, v[2:3], off offset:344
	v_cmpx_lt_u32_e32 42, v0
	s_cbranch_execz .LBB48_219
; %bb.218:
	scratch_load_b64 v[3:4], off, off offset:336
	v_mov_b32_e32 v2, v1
	scratch_store_b64 off, v[1:2], off offset:336
	s_waitcnt vmcnt(0)
	ds_store_b64 v8, v[3:4]
.LBB48_219:
	s_or_b32 exec_lo, exec_lo, s0
	s_waitcnt lgkmcnt(0)
	s_waitcnt_vscnt null, 0x0
	s_barrier
	buffer_gl0_inv
	s_clause 0x3
	scratch_load_b128 v[2:5], off, off offset:336
	scratch_load_b128 v[9:12], off, off offset:352
	;; [unrolled: 1-line block ×3, first 2 shown]
	scratch_load_b64 v[119:120], off, off offset:384
	ds_load_2addr_b64 v[115:118], v1 offset0:93 offset1:94
	s_mov_b32 s0, exec_lo
	s_waitcnt vmcnt(3) lgkmcnt(0)
	v_fma_f64 v[4:5], v[4:5], v[115:116], 0
	s_waitcnt vmcnt(2)
	s_delay_alu instid0(VALU_DEP_1) | instskip(SKIP_4) | instid1(VALU_DEP_1)
	v_fma_f64 v[9:10], v[9:10], v[117:118], v[4:5]
	ds_load_2addr_b64 v[4:7], v1 offset0:95 offset1:96
	s_waitcnt lgkmcnt(0)
	v_fma_f64 v[4:5], v[11:12], v[4:5], v[9:10]
	s_waitcnt vmcnt(1)
	v_fma_f64 v[9:10], v[111:112], v[6:7], v[4:5]
	ds_load_2addr_b64 v[4:7], v1 offset0:97 offset1:98
	s_waitcnt lgkmcnt(0)
	v_fma_f64 v[4:5], v[113:114], v[4:5], v[9:10]
	s_waitcnt vmcnt(0)
	s_delay_alu instid0(VALU_DEP_1) | instskip(NEXT) | instid1(VALU_DEP_1)
	v_fma_f64 v[4:5], v[119:120], v[6:7], v[4:5]
	v_add_f64 v[1:2], v[2:3], -v[4:5]
	scratch_store_b64 off, v[1:2], off offset:336
	v_cmpx_lt_u32_e32 41, v0
	s_cbranch_execz .LBB48_221
; %bb.220:
	scratch_load_b64 v[1:2], off, off offset:328
	v_mov_b32_e32 v3, 0
	s_delay_alu instid0(VALU_DEP_1)
	v_mov_b32_e32 v4, v3
	scratch_store_b64 off, v[3:4], off offset:328
	s_waitcnt vmcnt(0)
	ds_store_b64 v8, v[1:2]
.LBB48_221:
	s_or_b32 exec_lo, exec_lo, s0
	s_waitcnt lgkmcnt(0)
	s_waitcnt_vscnt null, 0x0
	s_barrier
	buffer_gl0_inv
	s_clause 0x3
	scratch_load_b128 v[2:5], off, off offset:328
	scratch_load_b128 v[9:12], off, off offset:344
	scratch_load_b128 v[111:114], off, off offset:360
	scratch_load_b128 v[115:118], off, off offset:376
	v_mov_b32_e32 v1, 0
	ds_load_b128 v[119:122], v1 offset:736
	ds_load_b128 v[123:126], v1 offset:752
	s_mov_b32 s0, exec_lo
	s_waitcnt vmcnt(3) lgkmcnt(1)
	v_fma_f64 v[4:5], v[4:5], v[119:120], 0
	s_waitcnt vmcnt(2)
	s_delay_alu instid0(VALU_DEP_1) | instskip(SKIP_1) | instid1(VALU_DEP_1)
	v_fma_f64 v[4:5], v[9:10], v[121:122], v[4:5]
	s_waitcnt lgkmcnt(0)
	v_fma_f64 v[4:5], v[11:12], v[123:124], v[4:5]
	s_waitcnt vmcnt(1)
	s_delay_alu instid0(VALU_DEP_1)
	v_fma_f64 v[9:10], v[111:112], v[125:126], v[4:5]
	ds_load_b128 v[4:7], v1 offset:768
	ds_load_b64 v[11:12], v1 offset:784
	s_waitcnt lgkmcnt(1)
	v_fma_f64 v[4:5], v[113:114], v[4:5], v[9:10]
	s_waitcnt vmcnt(0)
	s_delay_alu instid0(VALU_DEP_1) | instskip(SKIP_1) | instid1(VALU_DEP_1)
	v_fma_f64 v[4:5], v[115:116], v[6:7], v[4:5]
	s_waitcnt lgkmcnt(0)
	v_fma_f64 v[4:5], v[117:118], v[11:12], v[4:5]
	s_delay_alu instid0(VALU_DEP_1)
	v_add_f64 v[2:3], v[2:3], -v[4:5]
	scratch_store_b64 off, v[2:3], off offset:328
	v_cmpx_lt_u32_e32 40, v0
	s_cbranch_execz .LBB48_223
; %bb.222:
	scratch_load_b64 v[3:4], off, off offset:320
	v_mov_b32_e32 v2, v1
	scratch_store_b64 off, v[1:2], off offset:320
	s_waitcnt vmcnt(0)
	ds_store_b64 v8, v[3:4]
.LBB48_223:
	s_or_b32 exec_lo, exec_lo, s0
	s_waitcnt lgkmcnt(0)
	s_waitcnt_vscnt null, 0x0
	s_barrier
	buffer_gl0_inv
	s_clause 0x4
	scratch_load_b128 v[2:5], off, off offset:320
	scratch_load_b128 v[9:12], off, off offset:336
	scratch_load_b128 v[111:114], off, off offset:352
	scratch_load_b128 v[115:118], off, off offset:368
	scratch_load_b64 v[127:128], off, off offset:384
	ds_load_2addr_b64 v[119:122], v1 offset0:91 offset1:92
	ds_load_2addr_b64 v[123:126], v1 offset0:93 offset1:94
	s_mov_b32 s0, exec_lo
	s_waitcnt vmcnt(4) lgkmcnt(1)
	v_fma_f64 v[4:5], v[4:5], v[119:120], 0
	s_waitcnt vmcnt(3)
	s_delay_alu instid0(VALU_DEP_1) | instskip(SKIP_1) | instid1(VALU_DEP_1)
	v_fma_f64 v[4:5], v[9:10], v[121:122], v[4:5]
	s_waitcnt lgkmcnt(0)
	v_fma_f64 v[4:5], v[11:12], v[123:124], v[4:5]
	s_waitcnt vmcnt(2)
	s_delay_alu instid0(VALU_DEP_1)
	v_fma_f64 v[111:112], v[111:112], v[125:126], v[4:5]
	ds_load_2addr_b64 v[4:7], v1 offset0:95 offset1:96
	ds_load_2addr_b64 v[9:12], v1 offset0:97 offset1:98
	s_waitcnt lgkmcnt(1)
	v_fma_f64 v[4:5], v[113:114], v[4:5], v[111:112]
	s_waitcnt vmcnt(1)
	s_delay_alu instid0(VALU_DEP_1) | instskip(SKIP_1) | instid1(VALU_DEP_1)
	v_fma_f64 v[4:5], v[115:116], v[6:7], v[4:5]
	s_waitcnt lgkmcnt(0)
	v_fma_f64 v[4:5], v[117:118], v[9:10], v[4:5]
	s_waitcnt vmcnt(0)
	s_delay_alu instid0(VALU_DEP_1) | instskip(NEXT) | instid1(VALU_DEP_1)
	v_fma_f64 v[4:5], v[127:128], v[11:12], v[4:5]
	v_add_f64 v[1:2], v[2:3], -v[4:5]
	scratch_store_b64 off, v[1:2], off offset:320
	v_cmpx_lt_u32_e32 39, v0
	s_cbranch_execz .LBB48_225
; %bb.224:
	scratch_load_b64 v[1:2], off, off offset:312
	v_mov_b32_e32 v3, 0
	s_delay_alu instid0(VALU_DEP_1)
	v_mov_b32_e32 v4, v3
	scratch_store_b64 off, v[3:4], off offset:312
	s_waitcnt vmcnt(0)
	ds_store_b64 v8, v[1:2]
.LBB48_225:
	s_or_b32 exec_lo, exec_lo, s0
	s_waitcnt lgkmcnt(0)
	s_waitcnt_vscnt null, 0x0
	s_barrier
	buffer_gl0_inv
	s_clause 0x4
	scratch_load_b128 v[2:5], off, off offset:312
	scratch_load_b128 v[9:12], off, off offset:328
	;; [unrolled: 1-line block ×5, first 2 shown]
	v_mov_b32_e32 v1, 0
	ds_load_b128 v[123:126], v1 offset:720
	ds_load_b128 v[127:130], v1 offset:736
	s_mov_b32 s0, exec_lo
	s_waitcnt vmcnt(4) lgkmcnt(1)
	v_fma_f64 v[4:5], v[4:5], v[123:124], 0
	s_waitcnt vmcnt(3)
	s_delay_alu instid0(VALU_DEP_1) | instskip(SKIP_1) | instid1(VALU_DEP_1)
	v_fma_f64 v[4:5], v[9:10], v[125:126], v[4:5]
	s_waitcnt lgkmcnt(0)
	v_fma_f64 v[4:5], v[11:12], v[127:128], v[4:5]
	s_waitcnt vmcnt(2)
	s_delay_alu instid0(VALU_DEP_1)
	v_fma_f64 v[111:112], v[111:112], v[129:130], v[4:5]
	ds_load_b128 v[4:7], v1 offset:752
	ds_load_b128 v[9:12], v1 offset:768
	s_waitcnt lgkmcnt(1)
	v_fma_f64 v[4:5], v[113:114], v[4:5], v[111:112]
	s_waitcnt vmcnt(1)
	s_delay_alu instid0(VALU_DEP_1) | instskip(SKIP_4) | instid1(VALU_DEP_1)
	v_fma_f64 v[4:5], v[115:116], v[6:7], v[4:5]
	ds_load_b64 v[6:7], v1 offset:784
	s_waitcnt lgkmcnt(1)
	v_fma_f64 v[4:5], v[117:118], v[9:10], v[4:5]
	s_waitcnt vmcnt(0)
	v_fma_f64 v[4:5], v[119:120], v[11:12], v[4:5]
	s_waitcnt lgkmcnt(0)
	s_delay_alu instid0(VALU_DEP_1) | instskip(NEXT) | instid1(VALU_DEP_1)
	v_fma_f64 v[4:5], v[121:122], v[6:7], v[4:5]
	v_add_f64 v[2:3], v[2:3], -v[4:5]
	scratch_store_b64 off, v[2:3], off offset:312
	v_cmpx_lt_u32_e32 38, v0
	s_cbranch_execz .LBB48_227
; %bb.226:
	scratch_load_b64 v[3:4], off, off offset:304
	v_mov_b32_e32 v2, v1
	scratch_store_b64 off, v[1:2], off offset:304
	s_waitcnt vmcnt(0)
	ds_store_b64 v8, v[3:4]
.LBB48_227:
	s_or_b32 exec_lo, exec_lo, s0
	s_waitcnt lgkmcnt(0)
	s_waitcnt_vscnt null, 0x0
	s_barrier
	buffer_gl0_inv
	s_clause 0x4
	scratch_load_b128 v[2:5], off, off offset:304
	scratch_load_b128 v[9:12], off, off offset:320
	;; [unrolled: 1-line block ×5, first 2 shown]
	ds_load_2addr_b64 v[123:126], v1 offset0:89 offset1:90
	ds_load_2addr_b64 v[127:130], v1 offset0:91 offset1:92
	s_mov_b32 s0, exec_lo
	s_waitcnt vmcnt(4) lgkmcnt(1)
	v_fma_f64 v[4:5], v[4:5], v[123:124], 0
	scratch_load_b64 v[123:124], off, off offset:384
	s_waitcnt vmcnt(4)
	v_fma_f64 v[4:5], v[9:10], v[125:126], v[4:5]
	s_waitcnt lgkmcnt(0)
	s_delay_alu instid0(VALU_DEP_1) | instskip(SKIP_1) | instid1(VALU_DEP_1)
	v_fma_f64 v[4:5], v[11:12], v[127:128], v[4:5]
	s_waitcnt vmcnt(3)
	v_fma_f64 v[111:112], v[111:112], v[129:130], v[4:5]
	ds_load_2addr_b64 v[4:7], v1 offset0:93 offset1:94
	ds_load_2addr_b64 v[9:12], v1 offset0:95 offset1:96
	s_waitcnt lgkmcnt(1)
	v_fma_f64 v[4:5], v[113:114], v[4:5], v[111:112]
	s_waitcnt vmcnt(2)
	s_delay_alu instid0(VALU_DEP_1) | instskip(SKIP_1) | instid1(VALU_DEP_1)
	v_fma_f64 v[4:5], v[115:116], v[6:7], v[4:5]
	s_waitcnt lgkmcnt(0)
	v_fma_f64 v[4:5], v[117:118], v[9:10], v[4:5]
	s_waitcnt vmcnt(1)
	s_delay_alu instid0(VALU_DEP_1) | instskip(SKIP_4) | instid1(VALU_DEP_1)
	v_fma_f64 v[9:10], v[119:120], v[11:12], v[4:5]
	ds_load_2addr_b64 v[4:7], v1 offset0:97 offset1:98
	s_waitcnt lgkmcnt(0)
	v_fma_f64 v[4:5], v[121:122], v[4:5], v[9:10]
	s_waitcnt vmcnt(0)
	v_fma_f64 v[4:5], v[123:124], v[6:7], v[4:5]
	s_delay_alu instid0(VALU_DEP_1)
	v_add_f64 v[1:2], v[2:3], -v[4:5]
	scratch_store_b64 off, v[1:2], off offset:304
	v_cmpx_lt_u32_e32 37, v0
	s_cbranch_execz .LBB48_229
; %bb.228:
	scratch_load_b64 v[1:2], off, off offset:296
	v_mov_b32_e32 v3, 0
	s_delay_alu instid0(VALU_DEP_1)
	v_mov_b32_e32 v4, v3
	scratch_store_b64 off, v[3:4], off offset:296
	s_waitcnt vmcnt(0)
	ds_store_b64 v8, v[1:2]
.LBB48_229:
	s_or_b32 exec_lo, exec_lo, s0
	s_waitcnt lgkmcnt(0)
	s_waitcnt_vscnt null, 0x0
	s_barrier
	buffer_gl0_inv
	s_clause 0x4
	scratch_load_b128 v[2:5], off, off offset:296
	scratch_load_b128 v[9:12], off, off offset:312
	;; [unrolled: 1-line block ×5, first 2 shown]
	v_mov_b32_e32 v1, 0
	ds_load_b128 v[123:126], v1 offset:704
	ds_load_b128 v[127:130], v1 offset:720
	s_mov_b32 s0, exec_lo
	s_waitcnt vmcnt(4) lgkmcnt(1)
	v_fma_f64 v[123:124], v[4:5], v[123:124], 0
	scratch_load_b128 v[4:7], off, off offset:376
	s_waitcnt vmcnt(4)
	v_fma_f64 v[9:10], v[9:10], v[125:126], v[123:124]
	s_waitcnt lgkmcnt(0)
	s_delay_alu instid0(VALU_DEP_1) | instskip(SKIP_1) | instid1(VALU_DEP_1)
	v_fma_f64 v[9:10], v[11:12], v[127:128], v[9:10]
	s_waitcnt vmcnt(3)
	v_fma_f64 v[111:112], v[111:112], v[129:130], v[9:10]
	ds_load_b128 v[9:12], v1 offset:736
	ds_load_b128 v[123:126], v1 offset:752
	s_waitcnt lgkmcnt(1)
	v_fma_f64 v[9:10], v[113:114], v[9:10], v[111:112]
	s_waitcnt vmcnt(2)
	s_delay_alu instid0(VALU_DEP_1) | instskip(SKIP_1) | instid1(VALU_DEP_1)
	v_fma_f64 v[9:10], v[115:116], v[11:12], v[9:10]
	s_waitcnt lgkmcnt(0)
	v_fma_f64 v[9:10], v[117:118], v[123:124], v[9:10]
	s_waitcnt vmcnt(1)
	s_delay_alu instid0(VALU_DEP_1)
	v_fma_f64 v[111:112], v[119:120], v[125:126], v[9:10]
	ds_load_b128 v[9:12], v1 offset:768
	ds_load_b64 v[113:114], v1 offset:784
	s_waitcnt lgkmcnt(1)
	v_fma_f64 v[9:10], v[121:122], v[9:10], v[111:112]
	s_waitcnt vmcnt(0)
	s_delay_alu instid0(VALU_DEP_1) | instskip(SKIP_1) | instid1(VALU_DEP_1)
	v_fma_f64 v[4:5], v[4:5], v[11:12], v[9:10]
	s_waitcnt lgkmcnt(0)
	v_fma_f64 v[4:5], v[6:7], v[113:114], v[4:5]
	s_delay_alu instid0(VALU_DEP_1)
	v_add_f64 v[2:3], v[2:3], -v[4:5]
	scratch_store_b64 off, v[2:3], off offset:296
	v_cmpx_lt_u32_e32 36, v0
	s_cbranch_execz .LBB48_231
; %bb.230:
	scratch_load_b64 v[3:4], off, off offset:288
	v_mov_b32_e32 v2, v1
	scratch_store_b64 off, v[1:2], off offset:288
	s_waitcnt vmcnt(0)
	ds_store_b64 v8, v[3:4]
.LBB48_231:
	s_or_b32 exec_lo, exec_lo, s0
	s_waitcnt lgkmcnt(0)
	s_waitcnt_vscnt null, 0x0
	s_barrier
	buffer_gl0_inv
	s_clause 0x4
	scratch_load_b128 v[2:5], off, off offset:288
	scratch_load_b128 v[9:12], off, off offset:304
	;; [unrolled: 1-line block ×5, first 2 shown]
	ds_load_2addr_b64 v[123:126], v1 offset0:87 offset1:88
	ds_load_2addr_b64 v[127:130], v1 offset0:89 offset1:90
	s_mov_b32 s0, exec_lo
	s_waitcnt vmcnt(4) lgkmcnt(1)
	v_fma_f64 v[123:124], v[4:5], v[123:124], 0
	scratch_load_b128 v[4:7], off, off offset:368
	s_waitcnt vmcnt(4)
	v_fma_f64 v[9:10], v[9:10], v[125:126], v[123:124]
	s_waitcnt lgkmcnt(0)
	s_delay_alu instid0(VALU_DEP_1)
	v_fma_f64 v[9:10], v[11:12], v[127:128], v[9:10]
	scratch_load_b64 v[127:128], off, off offset:384
	s_waitcnt vmcnt(4)
	v_fma_f64 v[111:112], v[111:112], v[129:130], v[9:10]
	ds_load_2addr_b64 v[9:12], v1 offset0:91 offset1:92
	ds_load_2addr_b64 v[123:126], v1 offset0:93 offset1:94
	s_waitcnt lgkmcnt(1)
	v_fma_f64 v[9:10], v[113:114], v[9:10], v[111:112]
	s_waitcnt vmcnt(3)
	s_delay_alu instid0(VALU_DEP_1) | instskip(SKIP_1) | instid1(VALU_DEP_1)
	v_fma_f64 v[9:10], v[115:116], v[11:12], v[9:10]
	s_waitcnt lgkmcnt(0)
	v_fma_f64 v[9:10], v[117:118], v[123:124], v[9:10]
	s_waitcnt vmcnt(2)
	s_delay_alu instid0(VALU_DEP_1)
	v_fma_f64 v[115:116], v[119:120], v[125:126], v[9:10]
	ds_load_2addr_b64 v[9:12], v1 offset0:95 offset1:96
	ds_load_2addr_b64 v[111:114], v1 offset0:97 offset1:98
	s_waitcnt lgkmcnt(1)
	v_fma_f64 v[9:10], v[121:122], v[9:10], v[115:116]
	s_waitcnt vmcnt(1)
	s_delay_alu instid0(VALU_DEP_1) | instskip(SKIP_1) | instid1(VALU_DEP_1)
	v_fma_f64 v[4:5], v[4:5], v[11:12], v[9:10]
	s_waitcnt lgkmcnt(0)
	v_fma_f64 v[4:5], v[6:7], v[111:112], v[4:5]
	s_waitcnt vmcnt(0)
	s_delay_alu instid0(VALU_DEP_1) | instskip(NEXT) | instid1(VALU_DEP_1)
	v_fma_f64 v[4:5], v[127:128], v[113:114], v[4:5]
	v_add_f64 v[1:2], v[2:3], -v[4:5]
	scratch_store_b64 off, v[1:2], off offset:288
	v_cmpx_lt_u32_e32 35, v0
	s_cbranch_execz .LBB48_233
; %bb.232:
	scratch_load_b64 v[1:2], off, off offset:280
	v_mov_b32_e32 v3, 0
	s_delay_alu instid0(VALU_DEP_1)
	v_mov_b32_e32 v4, v3
	scratch_store_b64 off, v[3:4], off offset:280
	s_waitcnt vmcnt(0)
	ds_store_b64 v8, v[1:2]
.LBB48_233:
	s_or_b32 exec_lo, exec_lo, s0
	s_waitcnt lgkmcnt(0)
	s_waitcnt_vscnt null, 0x0
	s_barrier
	buffer_gl0_inv
	s_clause 0x4
	scratch_load_b128 v[2:5], off, off offset:280
	scratch_load_b128 v[9:12], off, off offset:296
	;; [unrolled: 1-line block ×5, first 2 shown]
	v_mov_b32_e32 v1, 0
	ds_load_b128 v[123:126], v1 offset:688
	ds_load_b128 v[127:130], v1 offset:704
	s_mov_b32 s0, exec_lo
	s_waitcnt vmcnt(4) lgkmcnt(1)
	v_fma_f64 v[123:124], v[4:5], v[123:124], 0
	scratch_load_b128 v[4:7], off, off offset:360
	s_waitcnt vmcnt(4)
	v_fma_f64 v[9:10], v[9:10], v[125:126], v[123:124]
	s_waitcnt lgkmcnt(0)
	s_delay_alu instid0(VALU_DEP_1)
	v_fma_f64 v[123:124], v[11:12], v[127:128], v[9:10]
	scratch_load_b128 v[9:12], off, off offset:376
	s_waitcnt vmcnt(4)
	v_fma_f64 v[111:112], v[111:112], v[129:130], v[123:124]
	ds_load_b128 v[123:126], v1 offset:720
	ds_load_b128 v[127:130], v1 offset:736
	s_waitcnt lgkmcnt(1)
	v_fma_f64 v[111:112], v[113:114], v[123:124], v[111:112]
	s_waitcnt vmcnt(3)
	s_delay_alu instid0(VALU_DEP_1) | instskip(SKIP_1) | instid1(VALU_DEP_1)
	v_fma_f64 v[111:112], v[115:116], v[125:126], v[111:112]
	s_waitcnt lgkmcnt(0)
	v_fma_f64 v[111:112], v[117:118], v[127:128], v[111:112]
	s_waitcnt vmcnt(2)
	s_delay_alu instid0(VALU_DEP_1)
	v_fma_f64 v[119:120], v[119:120], v[129:130], v[111:112]
	ds_load_b128 v[111:114], v1 offset:752
	ds_load_b128 v[115:118], v1 offset:768
	s_waitcnt lgkmcnt(1)
	v_fma_f64 v[111:112], v[121:122], v[111:112], v[119:120]
	s_waitcnt vmcnt(1)
	s_delay_alu instid0(VALU_DEP_1) | instskip(SKIP_1) | instid1(VALU_DEP_1)
	v_fma_f64 v[4:5], v[4:5], v[113:114], v[111:112]
	s_waitcnt lgkmcnt(0)
	v_fma_f64 v[4:5], v[6:7], v[115:116], v[4:5]
	ds_load_b64 v[6:7], v1 offset:784
	s_waitcnt vmcnt(0)
	v_fma_f64 v[4:5], v[9:10], v[117:118], v[4:5]
	s_waitcnt lgkmcnt(0)
	s_delay_alu instid0(VALU_DEP_1) | instskip(NEXT) | instid1(VALU_DEP_1)
	v_fma_f64 v[4:5], v[11:12], v[6:7], v[4:5]
	v_add_f64 v[2:3], v[2:3], -v[4:5]
	scratch_store_b64 off, v[2:3], off offset:280
	v_cmpx_lt_u32_e32 34, v0
	s_cbranch_execz .LBB48_235
; %bb.234:
	scratch_load_b64 v[3:4], off, off offset:272
	v_mov_b32_e32 v2, v1
	scratch_store_b64 off, v[1:2], off offset:272
	s_waitcnt vmcnt(0)
	ds_store_b64 v8, v[3:4]
.LBB48_235:
	s_or_b32 exec_lo, exec_lo, s0
	s_waitcnt lgkmcnt(0)
	s_waitcnt_vscnt null, 0x0
	s_barrier
	buffer_gl0_inv
	s_clause 0x4
	scratch_load_b128 v[2:5], off, off offset:272
	scratch_load_b128 v[9:12], off, off offset:288
	;; [unrolled: 1-line block ×5, first 2 shown]
	ds_load_2addr_b64 v[123:126], v1 offset0:85 offset1:86
	ds_load_2addr_b64 v[127:130], v1 offset0:87 offset1:88
	s_mov_b32 s0, exec_lo
	s_waitcnt vmcnt(4) lgkmcnt(1)
	v_fma_f64 v[123:124], v[4:5], v[123:124], 0
	scratch_load_b128 v[4:7], off, off offset:352
	s_waitcnt vmcnt(4)
	v_fma_f64 v[9:10], v[9:10], v[125:126], v[123:124]
	s_waitcnt lgkmcnt(0)
	s_delay_alu instid0(VALU_DEP_1)
	v_fma_f64 v[123:124], v[11:12], v[127:128], v[9:10]
	scratch_load_b128 v[9:12], off, off offset:368
	s_waitcnt vmcnt(4)
	v_fma_f64 v[111:112], v[111:112], v[129:130], v[123:124]
	ds_load_2addr_b64 v[123:126], v1 offset0:89 offset1:90
	ds_load_2addr_b64 v[127:130], v1 offset0:91 offset1:92
	s_waitcnt lgkmcnt(1)
	v_fma_f64 v[111:112], v[113:114], v[123:124], v[111:112]
	scratch_load_b64 v[123:124], off, off offset:384
	s_waitcnt vmcnt(4)
	v_fma_f64 v[111:112], v[115:116], v[125:126], v[111:112]
	s_waitcnt lgkmcnt(0)
	s_delay_alu instid0(VALU_DEP_1) | instskip(SKIP_1) | instid1(VALU_DEP_1)
	v_fma_f64 v[111:112], v[117:118], v[127:128], v[111:112]
	s_waitcnt vmcnt(3)
	v_fma_f64 v[119:120], v[119:120], v[129:130], v[111:112]
	ds_load_2addr_b64 v[111:114], v1 offset0:93 offset1:94
	ds_load_2addr_b64 v[115:118], v1 offset0:95 offset1:96
	s_waitcnt lgkmcnt(1)
	v_fma_f64 v[111:112], v[121:122], v[111:112], v[119:120]
	s_waitcnt vmcnt(2)
	s_delay_alu instid0(VALU_DEP_1) | instskip(SKIP_1) | instid1(VALU_DEP_1)
	v_fma_f64 v[4:5], v[4:5], v[113:114], v[111:112]
	s_waitcnt lgkmcnt(0)
	v_fma_f64 v[4:5], v[6:7], v[115:116], v[4:5]
	s_waitcnt vmcnt(1)
	s_delay_alu instid0(VALU_DEP_1) | instskip(SKIP_4) | instid1(VALU_DEP_1)
	v_fma_f64 v[9:10], v[9:10], v[117:118], v[4:5]
	ds_load_2addr_b64 v[4:7], v1 offset0:97 offset1:98
	s_waitcnt lgkmcnt(0)
	v_fma_f64 v[4:5], v[11:12], v[4:5], v[9:10]
	s_waitcnt vmcnt(0)
	v_fma_f64 v[4:5], v[123:124], v[6:7], v[4:5]
	s_delay_alu instid0(VALU_DEP_1)
	v_add_f64 v[1:2], v[2:3], -v[4:5]
	scratch_store_b64 off, v[1:2], off offset:272
	v_cmpx_lt_u32_e32 33, v0
	s_cbranch_execz .LBB48_237
; %bb.236:
	scratch_load_b64 v[1:2], off, off offset:264
	v_mov_b32_e32 v3, 0
	s_delay_alu instid0(VALU_DEP_1)
	v_mov_b32_e32 v4, v3
	scratch_store_b64 off, v[3:4], off offset:264
	s_waitcnt vmcnt(0)
	ds_store_b64 v8, v[1:2]
.LBB48_237:
	s_or_b32 exec_lo, exec_lo, s0
	s_waitcnt lgkmcnt(0)
	s_waitcnt_vscnt null, 0x0
	s_barrier
	buffer_gl0_inv
	s_clause 0x4
	scratch_load_b128 v[2:5], off, off offset:264
	scratch_load_b128 v[9:12], off, off offset:280
	;; [unrolled: 1-line block ×5, first 2 shown]
	v_mov_b32_e32 v1, 0
	ds_load_b128 v[123:126], v1 offset:672
	ds_load_b128 v[127:130], v1 offset:688
	s_mov_b32 s0, exec_lo
	s_waitcnt vmcnt(4) lgkmcnt(1)
	v_fma_f64 v[123:124], v[4:5], v[123:124], 0
	scratch_load_b128 v[4:7], off, off offset:344
	s_waitcnt vmcnt(4)
	v_fma_f64 v[9:10], v[9:10], v[125:126], v[123:124]
	s_waitcnt lgkmcnt(0)
	s_delay_alu instid0(VALU_DEP_1)
	v_fma_f64 v[123:124], v[11:12], v[127:128], v[9:10]
	scratch_load_b128 v[9:12], off, off offset:360
	s_waitcnt vmcnt(4)
	v_fma_f64 v[111:112], v[111:112], v[129:130], v[123:124]
	ds_load_b128 v[123:126], v1 offset:704
	ds_load_b128 v[127:130], v1 offset:720
	s_waitcnt lgkmcnt(1)
	v_fma_f64 v[123:124], v[113:114], v[123:124], v[111:112]
	scratch_load_b128 v[111:114], off, off offset:376
	s_waitcnt vmcnt(4)
	v_fma_f64 v[115:116], v[115:116], v[125:126], v[123:124]
	s_waitcnt lgkmcnt(0)
	s_delay_alu instid0(VALU_DEP_1) | instskip(SKIP_1) | instid1(VALU_DEP_1)
	v_fma_f64 v[115:116], v[117:118], v[127:128], v[115:116]
	s_waitcnt vmcnt(3)
	v_fma_f64 v[119:120], v[119:120], v[129:130], v[115:116]
	ds_load_b128 v[115:118], v1 offset:736
	ds_load_b128 v[123:126], v1 offset:752
	s_waitcnt lgkmcnt(1)
	v_fma_f64 v[115:116], v[121:122], v[115:116], v[119:120]
	s_waitcnt vmcnt(2)
	s_delay_alu instid0(VALU_DEP_1) | instskip(SKIP_1) | instid1(VALU_DEP_1)
	v_fma_f64 v[4:5], v[4:5], v[117:118], v[115:116]
	s_waitcnt lgkmcnt(0)
	v_fma_f64 v[4:5], v[6:7], v[123:124], v[4:5]
	s_waitcnt vmcnt(1)
	s_delay_alu instid0(VALU_DEP_1)
	v_fma_f64 v[9:10], v[9:10], v[125:126], v[4:5]
	ds_load_b128 v[4:7], v1 offset:768
	ds_load_b64 v[115:116], v1 offset:784
	s_waitcnt lgkmcnt(1)
	v_fma_f64 v[4:5], v[11:12], v[4:5], v[9:10]
	s_waitcnt vmcnt(0)
	s_delay_alu instid0(VALU_DEP_1) | instskip(SKIP_1) | instid1(VALU_DEP_1)
	v_fma_f64 v[4:5], v[111:112], v[6:7], v[4:5]
	s_waitcnt lgkmcnt(0)
	v_fma_f64 v[4:5], v[113:114], v[115:116], v[4:5]
	s_delay_alu instid0(VALU_DEP_1)
	v_add_f64 v[2:3], v[2:3], -v[4:5]
	scratch_store_b64 off, v[2:3], off offset:264
	v_cmpx_lt_u32_e32 32, v0
	s_cbranch_execz .LBB48_239
; %bb.238:
	scratch_load_b64 v[3:4], off, off offset:256
	v_mov_b32_e32 v2, v1
	scratch_store_b64 off, v[1:2], off offset:256
	s_waitcnt vmcnt(0)
	ds_store_b64 v8, v[3:4]
.LBB48_239:
	s_or_b32 exec_lo, exec_lo, s0
	s_waitcnt lgkmcnt(0)
	s_waitcnt_vscnt null, 0x0
	s_barrier
	buffer_gl0_inv
	s_clause 0x4
	scratch_load_b128 v[2:5], off, off offset:256
	scratch_load_b128 v[9:12], off, off offset:272
	;; [unrolled: 1-line block ×5, first 2 shown]
	ds_load_2addr_b64 v[123:126], v1 offset0:83 offset1:84
	ds_load_2addr_b64 v[127:130], v1 offset0:85 offset1:86
	s_mov_b32 s0, exec_lo
	s_waitcnt vmcnt(4) lgkmcnt(1)
	v_fma_f64 v[123:124], v[4:5], v[123:124], 0
	scratch_load_b128 v[4:7], off, off offset:336
	s_waitcnt vmcnt(4)
	v_fma_f64 v[9:10], v[9:10], v[125:126], v[123:124]
	s_waitcnt lgkmcnt(0)
	s_delay_alu instid0(VALU_DEP_1)
	v_fma_f64 v[123:124], v[11:12], v[127:128], v[9:10]
	scratch_load_b128 v[9:12], off, off offset:352
	s_waitcnt vmcnt(4)
	v_fma_f64 v[111:112], v[111:112], v[129:130], v[123:124]
	ds_load_2addr_b64 v[123:126], v1 offset0:87 offset1:88
	ds_load_2addr_b64 v[127:130], v1 offset0:89 offset1:90
	s_waitcnt lgkmcnt(1)
	v_fma_f64 v[123:124], v[113:114], v[123:124], v[111:112]
	scratch_load_b128 v[111:114], off, off offset:368
	s_waitcnt vmcnt(4)
	v_fma_f64 v[115:116], v[115:116], v[125:126], v[123:124]
	s_waitcnt lgkmcnt(0)
	s_delay_alu instid0(VALU_DEP_1)
	v_fma_f64 v[115:116], v[117:118], v[127:128], v[115:116]
	scratch_load_b64 v[127:128], off, off offset:384
	s_waitcnt vmcnt(4)
	v_fma_f64 v[119:120], v[119:120], v[129:130], v[115:116]
	ds_load_2addr_b64 v[115:118], v1 offset0:91 offset1:92
	ds_load_2addr_b64 v[123:126], v1 offset0:93 offset1:94
	s_waitcnt lgkmcnt(1)
	v_fma_f64 v[115:116], v[121:122], v[115:116], v[119:120]
	s_waitcnt vmcnt(3)
	s_delay_alu instid0(VALU_DEP_1) | instskip(SKIP_1) | instid1(VALU_DEP_1)
	v_fma_f64 v[4:5], v[4:5], v[117:118], v[115:116]
	s_waitcnt lgkmcnt(0)
	v_fma_f64 v[4:5], v[6:7], v[123:124], v[4:5]
	s_waitcnt vmcnt(2)
	s_delay_alu instid0(VALU_DEP_1)
	v_fma_f64 v[9:10], v[9:10], v[125:126], v[4:5]
	ds_load_2addr_b64 v[4:7], v1 offset0:95 offset1:96
	ds_load_2addr_b64 v[115:118], v1 offset0:97 offset1:98
	s_waitcnt lgkmcnt(1)
	v_fma_f64 v[4:5], v[11:12], v[4:5], v[9:10]
	s_waitcnt vmcnt(1)
	s_delay_alu instid0(VALU_DEP_1) | instskip(SKIP_1) | instid1(VALU_DEP_1)
	v_fma_f64 v[4:5], v[111:112], v[6:7], v[4:5]
	s_waitcnt lgkmcnt(0)
	v_fma_f64 v[4:5], v[113:114], v[115:116], v[4:5]
	s_waitcnt vmcnt(0)
	s_delay_alu instid0(VALU_DEP_1) | instskip(NEXT) | instid1(VALU_DEP_1)
	v_fma_f64 v[4:5], v[127:128], v[117:118], v[4:5]
	v_add_f64 v[1:2], v[2:3], -v[4:5]
	scratch_store_b64 off, v[1:2], off offset:256
	v_cmpx_lt_u32_e32 31, v0
	s_cbranch_execz .LBB48_241
; %bb.240:
	scratch_load_b64 v[1:2], off, off offset:248
	v_mov_b32_e32 v3, 0
	s_delay_alu instid0(VALU_DEP_1)
	v_mov_b32_e32 v4, v3
	scratch_store_b64 off, v[3:4], off offset:248
	s_waitcnt vmcnt(0)
	ds_store_b64 v8, v[1:2]
.LBB48_241:
	s_or_b32 exec_lo, exec_lo, s0
	s_waitcnt lgkmcnt(0)
	s_waitcnt_vscnt null, 0x0
	s_barrier
	buffer_gl0_inv
	s_clause 0x4
	scratch_load_b128 v[2:5], off, off offset:248
	scratch_load_b128 v[9:12], off, off offset:264
	;; [unrolled: 1-line block ×5, first 2 shown]
	v_mov_b32_e32 v1, 0
	ds_load_b128 v[123:126], v1 offset:656
	ds_load_b128 v[127:130], v1 offset:672
	s_mov_b32 s0, exec_lo
	s_waitcnt vmcnt(4) lgkmcnt(1)
	v_fma_f64 v[123:124], v[4:5], v[123:124], 0
	scratch_load_b128 v[4:7], off, off offset:328
	s_waitcnt vmcnt(4)
	v_fma_f64 v[9:10], v[9:10], v[125:126], v[123:124]
	s_waitcnt lgkmcnt(0)
	s_delay_alu instid0(VALU_DEP_1)
	v_fma_f64 v[123:124], v[11:12], v[127:128], v[9:10]
	scratch_load_b128 v[9:12], off, off offset:344
	s_waitcnt vmcnt(4)
	v_fma_f64 v[111:112], v[111:112], v[129:130], v[123:124]
	ds_load_b128 v[123:126], v1 offset:688
	ds_load_b128 v[127:130], v1 offset:704
	s_waitcnt lgkmcnt(1)
	v_fma_f64 v[123:124], v[113:114], v[123:124], v[111:112]
	scratch_load_b128 v[111:114], off, off offset:360
	s_waitcnt vmcnt(4)
	v_fma_f64 v[115:116], v[115:116], v[125:126], v[123:124]
	s_waitcnt lgkmcnt(0)
	s_delay_alu instid0(VALU_DEP_1)
	v_fma_f64 v[123:124], v[117:118], v[127:128], v[115:116]
	scratch_load_b128 v[115:118], off, off offset:376
	s_waitcnt vmcnt(4)
	v_fma_f64 v[119:120], v[119:120], v[129:130], v[123:124]
	ds_load_b128 v[123:126], v1 offset:720
	ds_load_b128 v[127:130], v1 offset:736
	s_waitcnt lgkmcnt(1)
	v_fma_f64 v[119:120], v[121:122], v[123:124], v[119:120]
	s_waitcnt vmcnt(3)
	s_delay_alu instid0(VALU_DEP_1) | instskip(SKIP_1) | instid1(VALU_DEP_1)
	v_fma_f64 v[4:5], v[4:5], v[125:126], v[119:120]
	s_waitcnt lgkmcnt(0)
	v_fma_f64 v[4:5], v[6:7], v[127:128], v[4:5]
	s_waitcnt vmcnt(2)
	s_delay_alu instid0(VALU_DEP_1)
	v_fma_f64 v[9:10], v[9:10], v[129:130], v[4:5]
	ds_load_b128 v[4:7], v1 offset:752
	ds_load_b128 v[119:122], v1 offset:768
	s_waitcnt lgkmcnt(1)
	v_fma_f64 v[4:5], v[11:12], v[4:5], v[9:10]
	s_waitcnt vmcnt(1)
	s_delay_alu instid0(VALU_DEP_1) | instskip(SKIP_4) | instid1(VALU_DEP_1)
	v_fma_f64 v[4:5], v[111:112], v[6:7], v[4:5]
	ds_load_b64 v[6:7], v1 offset:784
	s_waitcnt lgkmcnt(1)
	v_fma_f64 v[4:5], v[113:114], v[119:120], v[4:5]
	s_waitcnt vmcnt(0)
	v_fma_f64 v[4:5], v[115:116], v[121:122], v[4:5]
	s_waitcnt lgkmcnt(0)
	s_delay_alu instid0(VALU_DEP_1) | instskip(NEXT) | instid1(VALU_DEP_1)
	v_fma_f64 v[4:5], v[117:118], v[6:7], v[4:5]
	v_add_f64 v[2:3], v[2:3], -v[4:5]
	scratch_store_b64 off, v[2:3], off offset:248
	v_cmpx_lt_u32_e32 30, v0
	s_cbranch_execz .LBB48_243
; %bb.242:
	scratch_load_b64 v[3:4], off, off offset:240
	v_mov_b32_e32 v2, v1
	scratch_store_b64 off, v[1:2], off offset:240
	s_waitcnt vmcnt(0)
	ds_store_b64 v8, v[3:4]
.LBB48_243:
	s_or_b32 exec_lo, exec_lo, s0
	s_waitcnt lgkmcnt(0)
	s_waitcnt_vscnt null, 0x0
	s_barrier
	buffer_gl0_inv
	s_clause 0x4
	scratch_load_b128 v[2:5], off, off offset:240
	scratch_load_b128 v[9:12], off, off offset:256
	;; [unrolled: 1-line block ×5, first 2 shown]
	ds_load_2addr_b64 v[123:126], v1 offset0:81 offset1:82
	ds_load_2addr_b64 v[127:130], v1 offset0:83 offset1:84
	s_mov_b32 s0, exec_lo
	s_waitcnt vmcnt(4) lgkmcnt(1)
	v_fma_f64 v[123:124], v[4:5], v[123:124], 0
	scratch_load_b128 v[4:7], off, off offset:320
	s_waitcnt vmcnt(4)
	v_fma_f64 v[9:10], v[9:10], v[125:126], v[123:124]
	s_waitcnt lgkmcnt(0)
	s_delay_alu instid0(VALU_DEP_1)
	v_fma_f64 v[123:124], v[11:12], v[127:128], v[9:10]
	scratch_load_b128 v[9:12], off, off offset:336
	s_waitcnt vmcnt(4)
	v_fma_f64 v[111:112], v[111:112], v[129:130], v[123:124]
	ds_load_2addr_b64 v[123:126], v1 offset0:85 offset1:86
	ds_load_2addr_b64 v[127:130], v1 offset0:87 offset1:88
	s_waitcnt lgkmcnt(1)
	v_fma_f64 v[123:124], v[113:114], v[123:124], v[111:112]
	scratch_load_b128 v[111:114], off, off offset:352
	s_waitcnt vmcnt(4)
	v_fma_f64 v[115:116], v[115:116], v[125:126], v[123:124]
	s_waitcnt lgkmcnt(0)
	s_delay_alu instid0(VALU_DEP_1)
	v_fma_f64 v[123:124], v[117:118], v[127:128], v[115:116]
	scratch_load_b128 v[115:118], off, off offset:368
	s_waitcnt vmcnt(4)
	v_fma_f64 v[119:120], v[119:120], v[129:130], v[123:124]
	ds_load_2addr_b64 v[123:126], v1 offset0:89 offset1:90
	ds_load_2addr_b64 v[127:130], v1 offset0:91 offset1:92
	s_waitcnt lgkmcnt(1)
	v_fma_f64 v[119:120], v[121:122], v[123:124], v[119:120]
	scratch_load_b64 v[123:124], off, off offset:384
	s_waitcnt vmcnt(4)
	v_fma_f64 v[4:5], v[4:5], v[125:126], v[119:120]
	s_waitcnt lgkmcnt(0)
	s_delay_alu instid0(VALU_DEP_1) | instskip(SKIP_1) | instid1(VALU_DEP_1)
	v_fma_f64 v[4:5], v[6:7], v[127:128], v[4:5]
	s_waitcnt vmcnt(3)
	v_fma_f64 v[9:10], v[9:10], v[129:130], v[4:5]
	ds_load_2addr_b64 v[4:7], v1 offset0:93 offset1:94
	ds_load_2addr_b64 v[119:122], v1 offset0:95 offset1:96
	s_waitcnt lgkmcnt(1)
	v_fma_f64 v[4:5], v[11:12], v[4:5], v[9:10]
	s_waitcnt vmcnt(2)
	s_delay_alu instid0(VALU_DEP_1) | instskip(SKIP_1) | instid1(VALU_DEP_1)
	v_fma_f64 v[4:5], v[111:112], v[6:7], v[4:5]
	s_waitcnt lgkmcnt(0)
	v_fma_f64 v[4:5], v[113:114], v[119:120], v[4:5]
	s_waitcnt vmcnt(1)
	s_delay_alu instid0(VALU_DEP_1) | instskip(SKIP_4) | instid1(VALU_DEP_1)
	v_fma_f64 v[9:10], v[115:116], v[121:122], v[4:5]
	ds_load_2addr_b64 v[4:7], v1 offset0:97 offset1:98
	s_waitcnt lgkmcnt(0)
	v_fma_f64 v[4:5], v[117:118], v[4:5], v[9:10]
	s_waitcnt vmcnt(0)
	v_fma_f64 v[4:5], v[123:124], v[6:7], v[4:5]
	s_delay_alu instid0(VALU_DEP_1)
	v_add_f64 v[1:2], v[2:3], -v[4:5]
	scratch_store_b64 off, v[1:2], off offset:240
	v_cmpx_lt_u32_e32 29, v0
	s_cbranch_execz .LBB48_245
; %bb.244:
	scratch_load_b64 v[1:2], off, off offset:232
	v_mov_b32_e32 v3, 0
	s_delay_alu instid0(VALU_DEP_1)
	v_mov_b32_e32 v4, v3
	scratch_store_b64 off, v[3:4], off offset:232
	s_waitcnt vmcnt(0)
	ds_store_b64 v8, v[1:2]
.LBB48_245:
	s_or_b32 exec_lo, exec_lo, s0
	s_waitcnt lgkmcnt(0)
	s_waitcnt_vscnt null, 0x0
	s_barrier
	buffer_gl0_inv
	s_clause 0x4
	scratch_load_b128 v[2:5], off, off offset:232
	scratch_load_b128 v[9:12], off, off offset:248
	;; [unrolled: 1-line block ×5, first 2 shown]
	v_mov_b32_e32 v1, 0
	ds_load_b128 v[123:126], v1 offset:640
	ds_load_b128 v[127:130], v1 offset:656
	s_mov_b32 s0, exec_lo
	s_waitcnt vmcnt(4) lgkmcnt(1)
	v_fma_f64 v[123:124], v[4:5], v[123:124], 0
	scratch_load_b128 v[4:7], off, off offset:312
	s_waitcnt vmcnt(4)
	v_fma_f64 v[9:10], v[9:10], v[125:126], v[123:124]
	s_waitcnt lgkmcnt(0)
	s_delay_alu instid0(VALU_DEP_1)
	v_fma_f64 v[123:124], v[11:12], v[127:128], v[9:10]
	scratch_load_b128 v[9:12], off, off offset:328
	s_waitcnt vmcnt(4)
	v_fma_f64 v[111:112], v[111:112], v[129:130], v[123:124]
	ds_load_b128 v[123:126], v1 offset:672
	ds_load_b128 v[127:130], v1 offset:688
	s_waitcnt lgkmcnt(1)
	v_fma_f64 v[123:124], v[113:114], v[123:124], v[111:112]
	scratch_load_b128 v[111:114], off, off offset:344
	s_waitcnt vmcnt(4)
	v_fma_f64 v[115:116], v[115:116], v[125:126], v[123:124]
	s_waitcnt lgkmcnt(0)
	s_delay_alu instid0(VALU_DEP_1)
	v_fma_f64 v[123:124], v[117:118], v[127:128], v[115:116]
	scratch_load_b128 v[115:118], off, off offset:360
	s_waitcnt vmcnt(4)
	v_fma_f64 v[119:120], v[119:120], v[129:130], v[123:124]
	ds_load_b128 v[123:126], v1 offset:704
	ds_load_b128 v[127:130], v1 offset:720
	s_waitcnt lgkmcnt(1)
	v_fma_f64 v[123:124], v[121:122], v[123:124], v[119:120]
	scratch_load_b128 v[119:122], off, off offset:376
	s_waitcnt vmcnt(4)
	v_fma_f64 v[4:5], v[4:5], v[125:126], v[123:124]
	s_waitcnt lgkmcnt(0)
	s_delay_alu instid0(VALU_DEP_1) | instskip(SKIP_1) | instid1(VALU_DEP_1)
	v_fma_f64 v[4:5], v[6:7], v[127:128], v[4:5]
	s_waitcnt vmcnt(3)
	v_fma_f64 v[9:10], v[9:10], v[129:130], v[4:5]
	ds_load_b128 v[4:7], v1 offset:736
	ds_load_b128 v[123:126], v1 offset:752
	s_waitcnt lgkmcnt(1)
	v_fma_f64 v[4:5], v[11:12], v[4:5], v[9:10]
	s_waitcnt vmcnt(2)
	s_delay_alu instid0(VALU_DEP_1) | instskip(SKIP_1) | instid1(VALU_DEP_1)
	v_fma_f64 v[4:5], v[111:112], v[6:7], v[4:5]
	s_waitcnt lgkmcnt(0)
	v_fma_f64 v[4:5], v[113:114], v[123:124], v[4:5]
	s_waitcnt vmcnt(1)
	s_delay_alu instid0(VALU_DEP_1)
	v_fma_f64 v[9:10], v[115:116], v[125:126], v[4:5]
	ds_load_b128 v[4:7], v1 offset:768
	ds_load_b64 v[11:12], v1 offset:784
	s_waitcnt lgkmcnt(1)
	v_fma_f64 v[4:5], v[117:118], v[4:5], v[9:10]
	s_waitcnt vmcnt(0)
	s_delay_alu instid0(VALU_DEP_1) | instskip(SKIP_1) | instid1(VALU_DEP_1)
	v_fma_f64 v[4:5], v[119:120], v[6:7], v[4:5]
	s_waitcnt lgkmcnt(0)
	v_fma_f64 v[4:5], v[121:122], v[11:12], v[4:5]
	s_delay_alu instid0(VALU_DEP_1)
	v_add_f64 v[2:3], v[2:3], -v[4:5]
	scratch_store_b64 off, v[2:3], off offset:232
	v_cmpx_lt_u32_e32 28, v0
	s_cbranch_execz .LBB48_247
; %bb.246:
	scratch_load_b64 v[3:4], off, off offset:224
	v_mov_b32_e32 v2, v1
	scratch_store_b64 off, v[1:2], off offset:224
	s_waitcnt vmcnt(0)
	ds_store_b64 v8, v[3:4]
.LBB48_247:
	s_or_b32 exec_lo, exec_lo, s0
	s_waitcnt lgkmcnt(0)
	s_waitcnt_vscnt null, 0x0
	s_barrier
	buffer_gl0_inv
	s_clause 0x4
	scratch_load_b128 v[2:5], off, off offset:224
	scratch_load_b128 v[9:12], off, off offset:240
	;; [unrolled: 1-line block ×5, first 2 shown]
	ds_load_2addr_b64 v[123:126], v1 offset0:79 offset1:80
	ds_load_2addr_b64 v[127:130], v1 offset0:81 offset1:82
	s_mov_b32 s0, exec_lo
	s_waitcnt vmcnt(4) lgkmcnt(1)
	v_fma_f64 v[123:124], v[4:5], v[123:124], 0
	scratch_load_b128 v[4:7], off, off offset:304
	s_waitcnt vmcnt(4)
	v_fma_f64 v[9:10], v[9:10], v[125:126], v[123:124]
	s_waitcnt lgkmcnt(0)
	s_delay_alu instid0(VALU_DEP_1)
	v_fma_f64 v[123:124], v[11:12], v[127:128], v[9:10]
	scratch_load_b128 v[9:12], off, off offset:320
	s_waitcnt vmcnt(4)
	v_fma_f64 v[111:112], v[111:112], v[129:130], v[123:124]
	ds_load_2addr_b64 v[123:126], v1 offset0:83 offset1:84
	ds_load_2addr_b64 v[127:130], v1 offset0:85 offset1:86
	s_waitcnt lgkmcnt(1)
	v_fma_f64 v[123:124], v[113:114], v[123:124], v[111:112]
	scratch_load_b128 v[111:114], off, off offset:336
	s_waitcnt vmcnt(4)
	v_fma_f64 v[115:116], v[115:116], v[125:126], v[123:124]
	s_waitcnt lgkmcnt(0)
	s_delay_alu instid0(VALU_DEP_1)
	v_fma_f64 v[123:124], v[117:118], v[127:128], v[115:116]
	scratch_load_b128 v[115:118], off, off offset:352
	s_waitcnt vmcnt(4)
	v_fma_f64 v[119:120], v[119:120], v[129:130], v[123:124]
	ds_load_2addr_b64 v[123:126], v1 offset0:87 offset1:88
	ds_load_2addr_b64 v[127:130], v1 offset0:89 offset1:90
	s_waitcnt lgkmcnt(1)
	v_fma_f64 v[123:124], v[121:122], v[123:124], v[119:120]
	scratch_load_b128 v[119:122], off, off offset:368
	s_waitcnt vmcnt(4)
	v_fma_f64 v[4:5], v[4:5], v[125:126], v[123:124]
	s_waitcnt lgkmcnt(0)
	s_delay_alu instid0(VALU_DEP_1)
	v_fma_f64 v[4:5], v[6:7], v[127:128], v[4:5]
	scratch_load_b64 v[127:128], off, off offset:384
	s_waitcnt vmcnt(4)
	v_fma_f64 v[9:10], v[9:10], v[129:130], v[4:5]
	ds_load_2addr_b64 v[4:7], v1 offset0:91 offset1:92
	ds_load_2addr_b64 v[123:126], v1 offset0:93 offset1:94
	s_waitcnt lgkmcnt(1)
	v_fma_f64 v[4:5], v[11:12], v[4:5], v[9:10]
	s_waitcnt vmcnt(3)
	s_delay_alu instid0(VALU_DEP_1) | instskip(SKIP_1) | instid1(VALU_DEP_1)
	v_fma_f64 v[4:5], v[111:112], v[6:7], v[4:5]
	s_waitcnt lgkmcnt(0)
	v_fma_f64 v[4:5], v[113:114], v[123:124], v[4:5]
	s_waitcnt vmcnt(2)
	s_delay_alu instid0(VALU_DEP_1)
	v_fma_f64 v[111:112], v[115:116], v[125:126], v[4:5]
	ds_load_2addr_b64 v[4:7], v1 offset0:95 offset1:96
	ds_load_2addr_b64 v[9:12], v1 offset0:97 offset1:98
	s_waitcnt lgkmcnt(1)
	v_fma_f64 v[4:5], v[117:118], v[4:5], v[111:112]
	s_waitcnt vmcnt(1)
	s_delay_alu instid0(VALU_DEP_1) | instskip(SKIP_1) | instid1(VALU_DEP_1)
	v_fma_f64 v[4:5], v[119:120], v[6:7], v[4:5]
	s_waitcnt lgkmcnt(0)
	v_fma_f64 v[4:5], v[121:122], v[9:10], v[4:5]
	s_waitcnt vmcnt(0)
	s_delay_alu instid0(VALU_DEP_1) | instskip(NEXT) | instid1(VALU_DEP_1)
	v_fma_f64 v[4:5], v[127:128], v[11:12], v[4:5]
	v_add_f64 v[1:2], v[2:3], -v[4:5]
	scratch_store_b64 off, v[1:2], off offset:224
	v_cmpx_lt_u32_e32 27, v0
	s_cbranch_execz .LBB48_249
; %bb.248:
	scratch_load_b64 v[1:2], off, off offset:216
	v_mov_b32_e32 v3, 0
	s_delay_alu instid0(VALU_DEP_1)
	v_mov_b32_e32 v4, v3
	scratch_store_b64 off, v[3:4], off offset:216
	s_waitcnt vmcnt(0)
	ds_store_b64 v8, v[1:2]
.LBB48_249:
	s_or_b32 exec_lo, exec_lo, s0
	s_waitcnt lgkmcnt(0)
	s_waitcnt_vscnt null, 0x0
	s_barrier
	buffer_gl0_inv
	s_clause 0x4
	scratch_load_b128 v[2:5], off, off offset:216
	scratch_load_b128 v[9:12], off, off offset:232
	;; [unrolled: 1-line block ×5, first 2 shown]
	v_mov_b32_e32 v1, 0
	ds_load_b128 v[123:126], v1 offset:624
	ds_load_b128 v[127:130], v1 offset:640
	s_mov_b32 s0, exec_lo
	s_waitcnt vmcnt(4) lgkmcnt(1)
	v_fma_f64 v[123:124], v[4:5], v[123:124], 0
	scratch_load_b128 v[4:7], off, off offset:296
	s_waitcnt vmcnt(4)
	v_fma_f64 v[9:10], v[9:10], v[125:126], v[123:124]
	s_waitcnt lgkmcnt(0)
	s_delay_alu instid0(VALU_DEP_1)
	v_fma_f64 v[123:124], v[11:12], v[127:128], v[9:10]
	scratch_load_b128 v[9:12], off, off offset:312
	s_waitcnt vmcnt(4)
	v_fma_f64 v[111:112], v[111:112], v[129:130], v[123:124]
	ds_load_b128 v[123:126], v1 offset:656
	ds_load_b128 v[127:130], v1 offset:672
	s_waitcnt lgkmcnt(1)
	v_fma_f64 v[123:124], v[113:114], v[123:124], v[111:112]
	scratch_load_b128 v[111:114], off, off offset:328
	s_waitcnt vmcnt(4)
	v_fma_f64 v[115:116], v[115:116], v[125:126], v[123:124]
	s_waitcnt lgkmcnt(0)
	s_delay_alu instid0(VALU_DEP_1)
	v_fma_f64 v[123:124], v[117:118], v[127:128], v[115:116]
	scratch_load_b128 v[115:118], off, off offset:344
	s_waitcnt vmcnt(4)
	v_fma_f64 v[119:120], v[119:120], v[129:130], v[123:124]
	ds_load_b128 v[123:126], v1 offset:688
	ds_load_b128 v[127:130], v1 offset:704
	s_waitcnt lgkmcnt(1)
	;; [unrolled: 13-line block ×3, first 2 shown]
	v_fma_f64 v[9:10], v[11:12], v[123:124], v[9:10]
	s_waitcnt vmcnt(3)
	s_delay_alu instid0(VALU_DEP_1) | instskip(SKIP_1) | instid1(VALU_DEP_1)
	v_fma_f64 v[9:10], v[111:112], v[125:126], v[9:10]
	s_waitcnt lgkmcnt(0)
	v_fma_f64 v[9:10], v[113:114], v[127:128], v[9:10]
	s_waitcnt vmcnt(2)
	s_delay_alu instid0(VALU_DEP_1)
	v_fma_f64 v[115:116], v[115:116], v[129:130], v[9:10]
	ds_load_b128 v[9:12], v1 offset:752
	ds_load_b128 v[111:114], v1 offset:768
	s_waitcnt lgkmcnt(1)
	v_fma_f64 v[9:10], v[117:118], v[9:10], v[115:116]
	s_waitcnt vmcnt(1)
	s_delay_alu instid0(VALU_DEP_1) | instskip(SKIP_1) | instid1(VALU_DEP_1)
	v_fma_f64 v[9:10], v[119:120], v[11:12], v[9:10]
	s_waitcnt lgkmcnt(0)
	v_fma_f64 v[9:10], v[121:122], v[111:112], v[9:10]
	s_waitcnt vmcnt(0)
	s_delay_alu instid0(VALU_DEP_1) | instskip(SKIP_3) | instid1(VALU_DEP_1)
	v_fma_f64 v[4:5], v[4:5], v[113:114], v[9:10]
	ds_load_b64 v[9:10], v1 offset:784
	s_waitcnt lgkmcnt(0)
	v_fma_f64 v[4:5], v[6:7], v[9:10], v[4:5]
	v_add_f64 v[2:3], v[2:3], -v[4:5]
	scratch_store_b64 off, v[2:3], off offset:216
	v_cmpx_lt_u32_e32 26, v0
	s_cbranch_execz .LBB48_251
; %bb.250:
	scratch_load_b64 v[3:4], off, off offset:208
	v_mov_b32_e32 v2, v1
	scratch_store_b64 off, v[1:2], off offset:208
	s_waitcnt vmcnt(0)
	ds_store_b64 v8, v[3:4]
.LBB48_251:
	s_or_b32 exec_lo, exec_lo, s0
	s_waitcnt lgkmcnt(0)
	s_waitcnt_vscnt null, 0x0
	s_barrier
	buffer_gl0_inv
	s_clause 0x4
	scratch_load_b128 v[2:5], off, off offset:208
	scratch_load_b128 v[9:12], off, off offset:224
	scratch_load_b128 v[111:114], off, off offset:240
	scratch_load_b128 v[115:118], off, off offset:256
	scratch_load_b128 v[119:122], off, off offset:272
	ds_load_2addr_b64 v[123:126], v1 offset0:77 offset1:78
	ds_load_2addr_b64 v[127:130], v1 offset0:79 offset1:80
	s_mov_b32 s0, exec_lo
	s_waitcnt vmcnt(4) lgkmcnt(1)
	v_fma_f64 v[123:124], v[4:5], v[123:124], 0
	scratch_load_b128 v[4:7], off, off offset:288
	s_waitcnt vmcnt(4)
	v_fma_f64 v[9:10], v[9:10], v[125:126], v[123:124]
	s_waitcnt lgkmcnt(0)
	s_delay_alu instid0(VALU_DEP_1)
	v_fma_f64 v[123:124], v[11:12], v[127:128], v[9:10]
	scratch_load_b128 v[9:12], off, off offset:304
	s_waitcnt vmcnt(4)
	v_fma_f64 v[111:112], v[111:112], v[129:130], v[123:124]
	ds_load_2addr_b64 v[123:126], v1 offset0:81 offset1:82
	ds_load_2addr_b64 v[127:130], v1 offset0:83 offset1:84
	s_waitcnt lgkmcnt(1)
	v_fma_f64 v[123:124], v[113:114], v[123:124], v[111:112]
	scratch_load_b128 v[111:114], off, off offset:320
	s_waitcnt vmcnt(4)
	v_fma_f64 v[115:116], v[115:116], v[125:126], v[123:124]
	s_waitcnt lgkmcnt(0)
	s_delay_alu instid0(VALU_DEP_1)
	v_fma_f64 v[123:124], v[117:118], v[127:128], v[115:116]
	scratch_load_b128 v[115:118], off, off offset:336
	s_waitcnt vmcnt(4)
	v_fma_f64 v[119:120], v[119:120], v[129:130], v[123:124]
	ds_load_2addr_b64 v[123:126], v1 offset0:85 offset1:86
	ds_load_2addr_b64 v[127:130], v1 offset0:87 offset1:88
	s_waitcnt lgkmcnt(1)
	;; [unrolled: 13-line block ×3, first 2 shown]
	v_fma_f64 v[9:10], v[11:12], v[123:124], v[9:10]
	scratch_load_b64 v[123:124], off, off offset:384
	s_waitcnt vmcnt(4)
	v_fma_f64 v[9:10], v[111:112], v[125:126], v[9:10]
	s_waitcnt lgkmcnt(0)
	s_delay_alu instid0(VALU_DEP_1) | instskip(SKIP_1) | instid1(VALU_DEP_1)
	v_fma_f64 v[9:10], v[113:114], v[127:128], v[9:10]
	s_waitcnt vmcnt(3)
	v_fma_f64 v[115:116], v[115:116], v[129:130], v[9:10]
	ds_load_2addr_b64 v[9:12], v1 offset0:93 offset1:94
	ds_load_2addr_b64 v[111:114], v1 offset0:95 offset1:96
	s_waitcnt lgkmcnt(1)
	v_fma_f64 v[9:10], v[117:118], v[9:10], v[115:116]
	s_waitcnt vmcnt(2)
	s_delay_alu instid0(VALU_DEP_1) | instskip(SKIP_1) | instid1(VALU_DEP_1)
	v_fma_f64 v[9:10], v[119:120], v[11:12], v[9:10]
	s_waitcnt lgkmcnt(0)
	v_fma_f64 v[9:10], v[121:122], v[111:112], v[9:10]
	s_waitcnt vmcnt(1)
	s_delay_alu instid0(VALU_DEP_1) | instskip(SKIP_4) | instid1(VALU_DEP_1)
	v_fma_f64 v[4:5], v[4:5], v[113:114], v[9:10]
	ds_load_2addr_b64 v[9:12], v1 offset0:97 offset1:98
	s_waitcnt lgkmcnt(0)
	v_fma_f64 v[4:5], v[6:7], v[9:10], v[4:5]
	s_waitcnt vmcnt(0)
	v_fma_f64 v[4:5], v[123:124], v[11:12], v[4:5]
	s_delay_alu instid0(VALU_DEP_1)
	v_add_f64 v[1:2], v[2:3], -v[4:5]
	scratch_store_b64 off, v[1:2], off offset:208
	v_cmpx_lt_u32_e32 25, v0
	s_cbranch_execz .LBB48_253
; %bb.252:
	scratch_load_b64 v[1:2], off, off offset:200
	v_mov_b32_e32 v3, 0
	s_delay_alu instid0(VALU_DEP_1)
	v_mov_b32_e32 v4, v3
	scratch_store_b64 off, v[3:4], off offset:200
	s_waitcnt vmcnt(0)
	ds_store_b64 v8, v[1:2]
.LBB48_253:
	s_or_b32 exec_lo, exec_lo, s0
	s_waitcnt lgkmcnt(0)
	s_waitcnt_vscnt null, 0x0
	s_barrier
	buffer_gl0_inv
	s_clause 0x4
	scratch_load_b128 v[2:5], off, off offset:200
	scratch_load_b128 v[9:12], off, off offset:216
	;; [unrolled: 1-line block ×5, first 2 shown]
	v_mov_b32_e32 v1, 0
	ds_load_b128 v[123:126], v1 offset:608
	ds_load_b128 v[127:130], v1 offset:624
	s_mov_b32 s0, exec_lo
	s_waitcnt vmcnt(4) lgkmcnt(1)
	v_fma_f64 v[123:124], v[4:5], v[123:124], 0
	scratch_load_b128 v[4:7], off, off offset:280
	s_waitcnt vmcnt(4)
	v_fma_f64 v[9:10], v[9:10], v[125:126], v[123:124]
	s_waitcnt lgkmcnt(0)
	s_delay_alu instid0(VALU_DEP_1)
	v_fma_f64 v[123:124], v[11:12], v[127:128], v[9:10]
	scratch_load_b128 v[9:12], off, off offset:296
	s_waitcnt vmcnt(4)
	v_fma_f64 v[111:112], v[111:112], v[129:130], v[123:124]
	ds_load_b128 v[123:126], v1 offset:640
	ds_load_b128 v[127:130], v1 offset:656
	s_waitcnt lgkmcnt(1)
	v_fma_f64 v[123:124], v[113:114], v[123:124], v[111:112]
	scratch_load_b128 v[111:114], off, off offset:312
	s_waitcnt vmcnt(4)
	v_fma_f64 v[115:116], v[115:116], v[125:126], v[123:124]
	s_waitcnt lgkmcnt(0)
	s_delay_alu instid0(VALU_DEP_1)
	v_fma_f64 v[123:124], v[117:118], v[127:128], v[115:116]
	scratch_load_b128 v[115:118], off, off offset:328
	s_waitcnt vmcnt(4)
	v_fma_f64 v[119:120], v[119:120], v[129:130], v[123:124]
	ds_load_b128 v[123:126], v1 offset:672
	ds_load_b128 v[127:130], v1 offset:688
	s_waitcnt lgkmcnt(1)
	;; [unrolled: 13-line block ×3, first 2 shown]
	v_fma_f64 v[123:124], v[11:12], v[123:124], v[9:10]
	scratch_load_b128 v[9:12], off, off offset:376
	s_waitcnt vmcnt(4)
	v_fma_f64 v[111:112], v[111:112], v[125:126], v[123:124]
	s_waitcnt lgkmcnt(0)
	s_delay_alu instid0(VALU_DEP_1) | instskip(SKIP_1) | instid1(VALU_DEP_1)
	v_fma_f64 v[111:112], v[113:114], v[127:128], v[111:112]
	s_waitcnt vmcnt(3)
	v_fma_f64 v[115:116], v[115:116], v[129:130], v[111:112]
	ds_load_b128 v[111:114], v1 offset:736
	ds_load_b128 v[123:126], v1 offset:752
	s_waitcnt lgkmcnt(1)
	v_fma_f64 v[111:112], v[117:118], v[111:112], v[115:116]
	s_waitcnt vmcnt(2)
	s_delay_alu instid0(VALU_DEP_1) | instskip(SKIP_1) | instid1(VALU_DEP_1)
	v_fma_f64 v[111:112], v[119:120], v[113:114], v[111:112]
	s_waitcnt lgkmcnt(0)
	v_fma_f64 v[111:112], v[121:122], v[123:124], v[111:112]
	s_waitcnt vmcnt(1)
	s_delay_alu instid0(VALU_DEP_1)
	v_fma_f64 v[4:5], v[4:5], v[125:126], v[111:112]
	ds_load_b128 v[111:114], v1 offset:768
	ds_load_b64 v[115:116], v1 offset:784
	s_waitcnt lgkmcnt(1)
	v_fma_f64 v[4:5], v[6:7], v[111:112], v[4:5]
	s_waitcnt vmcnt(0)
	s_delay_alu instid0(VALU_DEP_1) | instskip(SKIP_1) | instid1(VALU_DEP_1)
	v_fma_f64 v[4:5], v[9:10], v[113:114], v[4:5]
	s_waitcnt lgkmcnt(0)
	v_fma_f64 v[4:5], v[11:12], v[115:116], v[4:5]
	s_delay_alu instid0(VALU_DEP_1)
	v_add_f64 v[2:3], v[2:3], -v[4:5]
	scratch_store_b64 off, v[2:3], off offset:200
	v_cmpx_lt_u32_e32 24, v0
	s_cbranch_execz .LBB48_255
; %bb.254:
	scratch_load_b64 v[3:4], off, off offset:192
	v_mov_b32_e32 v2, v1
	scratch_store_b64 off, v[1:2], off offset:192
	s_waitcnt vmcnt(0)
	ds_store_b64 v8, v[3:4]
.LBB48_255:
	s_or_b32 exec_lo, exec_lo, s0
	s_waitcnt lgkmcnt(0)
	s_waitcnt_vscnt null, 0x0
	s_barrier
	buffer_gl0_inv
	s_clause 0x4
	scratch_load_b128 v[2:5], off, off offset:192
	scratch_load_b128 v[9:12], off, off offset:208
	;; [unrolled: 1-line block ×5, first 2 shown]
	ds_load_2addr_b64 v[123:126], v1 offset0:75 offset1:76
	ds_load_2addr_b64 v[127:130], v1 offset0:77 offset1:78
	s_mov_b32 s0, exec_lo
	s_waitcnt vmcnt(4) lgkmcnt(1)
	v_fma_f64 v[123:124], v[4:5], v[123:124], 0
	scratch_load_b128 v[4:7], off, off offset:272
	s_waitcnt vmcnt(4)
	v_fma_f64 v[9:10], v[9:10], v[125:126], v[123:124]
	s_waitcnt lgkmcnt(0)
	s_delay_alu instid0(VALU_DEP_1)
	v_fma_f64 v[123:124], v[11:12], v[127:128], v[9:10]
	scratch_load_b128 v[9:12], off, off offset:288
	s_waitcnt vmcnt(4)
	v_fma_f64 v[111:112], v[111:112], v[129:130], v[123:124]
	ds_load_2addr_b64 v[123:126], v1 offset0:79 offset1:80
	ds_load_2addr_b64 v[127:130], v1 offset0:81 offset1:82
	s_waitcnt lgkmcnt(1)
	v_fma_f64 v[123:124], v[113:114], v[123:124], v[111:112]
	scratch_load_b128 v[111:114], off, off offset:304
	s_waitcnt vmcnt(4)
	v_fma_f64 v[115:116], v[115:116], v[125:126], v[123:124]
	s_waitcnt lgkmcnt(0)
	s_delay_alu instid0(VALU_DEP_1)
	v_fma_f64 v[123:124], v[117:118], v[127:128], v[115:116]
	scratch_load_b128 v[115:118], off, off offset:320
	s_waitcnt vmcnt(4)
	v_fma_f64 v[119:120], v[119:120], v[129:130], v[123:124]
	ds_load_2addr_b64 v[123:126], v1 offset0:83 offset1:84
	ds_load_2addr_b64 v[127:130], v1 offset0:85 offset1:86
	s_waitcnt lgkmcnt(1)
	;; [unrolled: 13-line block ×3, first 2 shown]
	v_fma_f64 v[123:124], v[11:12], v[123:124], v[9:10]
	scratch_load_b128 v[9:12], off, off offset:368
	s_waitcnt vmcnt(4)
	v_fma_f64 v[111:112], v[111:112], v[125:126], v[123:124]
	s_waitcnt lgkmcnt(0)
	s_delay_alu instid0(VALU_DEP_1)
	v_fma_f64 v[111:112], v[113:114], v[127:128], v[111:112]
	scratch_load_b64 v[127:128], off, off offset:384
	s_waitcnt vmcnt(4)
	v_fma_f64 v[115:116], v[115:116], v[129:130], v[111:112]
	ds_load_2addr_b64 v[111:114], v1 offset0:91 offset1:92
	ds_load_2addr_b64 v[123:126], v1 offset0:93 offset1:94
	s_waitcnt lgkmcnt(1)
	v_fma_f64 v[111:112], v[117:118], v[111:112], v[115:116]
	s_waitcnt vmcnt(3)
	s_delay_alu instid0(VALU_DEP_1) | instskip(SKIP_1) | instid1(VALU_DEP_1)
	v_fma_f64 v[111:112], v[119:120], v[113:114], v[111:112]
	s_waitcnt lgkmcnt(0)
	v_fma_f64 v[111:112], v[121:122], v[123:124], v[111:112]
	s_waitcnt vmcnt(2)
	s_delay_alu instid0(VALU_DEP_1)
	v_fma_f64 v[4:5], v[4:5], v[125:126], v[111:112]
	ds_load_2addr_b64 v[111:114], v1 offset0:95 offset1:96
	ds_load_2addr_b64 v[115:118], v1 offset0:97 offset1:98
	s_waitcnt lgkmcnt(1)
	v_fma_f64 v[4:5], v[6:7], v[111:112], v[4:5]
	s_waitcnt vmcnt(1)
	s_delay_alu instid0(VALU_DEP_1) | instskip(SKIP_1) | instid1(VALU_DEP_1)
	v_fma_f64 v[4:5], v[9:10], v[113:114], v[4:5]
	s_waitcnt lgkmcnt(0)
	v_fma_f64 v[4:5], v[11:12], v[115:116], v[4:5]
	s_waitcnt vmcnt(0)
	s_delay_alu instid0(VALU_DEP_1) | instskip(NEXT) | instid1(VALU_DEP_1)
	v_fma_f64 v[4:5], v[127:128], v[117:118], v[4:5]
	v_add_f64 v[1:2], v[2:3], -v[4:5]
	scratch_store_b64 off, v[1:2], off offset:192
	v_cmpx_lt_u32_e32 23, v0
	s_cbranch_execz .LBB48_257
; %bb.256:
	scratch_load_b64 v[1:2], off, off offset:184
	v_mov_b32_e32 v3, 0
	s_delay_alu instid0(VALU_DEP_1)
	v_mov_b32_e32 v4, v3
	scratch_store_b64 off, v[3:4], off offset:184
	s_waitcnt vmcnt(0)
	ds_store_b64 v8, v[1:2]
.LBB48_257:
	s_or_b32 exec_lo, exec_lo, s0
	s_waitcnt lgkmcnt(0)
	s_waitcnt_vscnt null, 0x0
	s_barrier
	buffer_gl0_inv
	s_clause 0x4
	scratch_load_b128 v[2:5], off, off offset:184
	scratch_load_b128 v[9:12], off, off offset:200
	;; [unrolled: 1-line block ×5, first 2 shown]
	v_mov_b32_e32 v1, 0
	ds_load_b128 v[123:126], v1 offset:592
	ds_load_b128 v[127:130], v1 offset:608
	s_mov_b32 s0, exec_lo
	s_waitcnt vmcnt(4) lgkmcnt(1)
	v_fma_f64 v[123:124], v[4:5], v[123:124], 0
	scratch_load_b128 v[4:7], off, off offset:264
	s_waitcnt vmcnt(4)
	v_fma_f64 v[9:10], v[9:10], v[125:126], v[123:124]
	s_waitcnt lgkmcnt(0)
	s_delay_alu instid0(VALU_DEP_1)
	v_fma_f64 v[123:124], v[11:12], v[127:128], v[9:10]
	scratch_load_b128 v[9:12], off, off offset:280
	s_waitcnt vmcnt(4)
	v_fma_f64 v[111:112], v[111:112], v[129:130], v[123:124]
	ds_load_b128 v[123:126], v1 offset:624
	ds_load_b128 v[127:130], v1 offset:640
	s_waitcnt lgkmcnt(1)
	v_fma_f64 v[123:124], v[113:114], v[123:124], v[111:112]
	scratch_load_b128 v[111:114], off, off offset:296
	s_waitcnt vmcnt(4)
	v_fma_f64 v[115:116], v[115:116], v[125:126], v[123:124]
	s_waitcnt lgkmcnt(0)
	s_delay_alu instid0(VALU_DEP_1)
	v_fma_f64 v[123:124], v[117:118], v[127:128], v[115:116]
	scratch_load_b128 v[115:118], off, off offset:312
	s_waitcnt vmcnt(4)
	v_fma_f64 v[119:120], v[119:120], v[129:130], v[123:124]
	ds_load_b128 v[123:126], v1 offset:656
	ds_load_b128 v[127:130], v1 offset:672
	s_waitcnt lgkmcnt(1)
	;; [unrolled: 13-line block ×4, first 2 shown]
	v_fma_f64 v[115:116], v[117:118], v[123:124], v[115:116]
	s_waitcnt vmcnt(3)
	s_delay_alu instid0(VALU_DEP_1) | instskip(SKIP_1) | instid1(VALU_DEP_1)
	v_fma_f64 v[115:116], v[119:120], v[125:126], v[115:116]
	s_waitcnt lgkmcnt(0)
	v_fma_f64 v[115:116], v[121:122], v[127:128], v[115:116]
	s_waitcnt vmcnt(2)
	s_delay_alu instid0(VALU_DEP_1)
	v_fma_f64 v[4:5], v[4:5], v[129:130], v[115:116]
	ds_load_b128 v[115:118], v1 offset:752
	ds_load_b128 v[119:122], v1 offset:768
	s_waitcnt lgkmcnt(1)
	v_fma_f64 v[4:5], v[6:7], v[115:116], v[4:5]
	ds_load_b64 v[6:7], v1 offset:784
	s_waitcnt vmcnt(1)
	v_fma_f64 v[4:5], v[9:10], v[117:118], v[4:5]
	s_waitcnt lgkmcnt(1)
	s_delay_alu instid0(VALU_DEP_1) | instskip(SKIP_1) | instid1(VALU_DEP_1)
	v_fma_f64 v[4:5], v[11:12], v[119:120], v[4:5]
	s_waitcnt vmcnt(0)
	v_fma_f64 v[4:5], v[111:112], v[121:122], v[4:5]
	s_waitcnt lgkmcnt(0)
	s_delay_alu instid0(VALU_DEP_1) | instskip(NEXT) | instid1(VALU_DEP_1)
	v_fma_f64 v[4:5], v[113:114], v[6:7], v[4:5]
	v_add_f64 v[2:3], v[2:3], -v[4:5]
	scratch_store_b64 off, v[2:3], off offset:184
	v_cmpx_lt_u32_e32 22, v0
	s_cbranch_execz .LBB48_259
; %bb.258:
	scratch_load_b64 v[3:4], off, off offset:176
	v_mov_b32_e32 v2, v1
	scratch_store_b64 off, v[1:2], off offset:176
	s_waitcnt vmcnt(0)
	ds_store_b64 v8, v[3:4]
.LBB48_259:
	s_or_b32 exec_lo, exec_lo, s0
	s_waitcnt lgkmcnt(0)
	s_waitcnt_vscnt null, 0x0
	s_barrier
	buffer_gl0_inv
	s_clause 0x4
	scratch_load_b128 v[2:5], off, off offset:176
	scratch_load_b128 v[9:12], off, off offset:192
	;; [unrolled: 1-line block ×5, first 2 shown]
	ds_load_2addr_b64 v[123:126], v1 offset0:73 offset1:74
	ds_load_2addr_b64 v[127:130], v1 offset0:75 offset1:76
	s_mov_b32 s0, exec_lo
	s_waitcnt vmcnt(4) lgkmcnt(1)
	v_fma_f64 v[123:124], v[4:5], v[123:124], 0
	scratch_load_b128 v[4:7], off, off offset:256
	s_waitcnt vmcnt(4)
	v_fma_f64 v[9:10], v[9:10], v[125:126], v[123:124]
	s_waitcnt lgkmcnt(0)
	s_delay_alu instid0(VALU_DEP_1)
	v_fma_f64 v[123:124], v[11:12], v[127:128], v[9:10]
	scratch_load_b128 v[9:12], off, off offset:272
	s_waitcnt vmcnt(4)
	v_fma_f64 v[111:112], v[111:112], v[129:130], v[123:124]
	ds_load_2addr_b64 v[123:126], v1 offset0:77 offset1:78
	ds_load_2addr_b64 v[127:130], v1 offset0:79 offset1:80
	s_waitcnt lgkmcnt(1)
	v_fma_f64 v[123:124], v[113:114], v[123:124], v[111:112]
	scratch_load_b128 v[111:114], off, off offset:288
	s_waitcnt vmcnt(4)
	v_fma_f64 v[115:116], v[115:116], v[125:126], v[123:124]
	s_waitcnt lgkmcnt(0)
	s_delay_alu instid0(VALU_DEP_1)
	v_fma_f64 v[123:124], v[117:118], v[127:128], v[115:116]
	scratch_load_b128 v[115:118], off, off offset:304
	s_waitcnt vmcnt(4)
	v_fma_f64 v[119:120], v[119:120], v[129:130], v[123:124]
	ds_load_2addr_b64 v[123:126], v1 offset0:81 offset1:82
	ds_load_2addr_b64 v[127:130], v1 offset0:83 offset1:84
	s_waitcnt lgkmcnt(1)
	;; [unrolled: 13-line block ×4, first 2 shown]
	v_fma_f64 v[115:116], v[117:118], v[123:124], v[115:116]
	scratch_load_b64 v[123:124], off, off offset:384
	s_waitcnt vmcnt(4)
	v_fma_f64 v[115:116], v[119:120], v[125:126], v[115:116]
	s_waitcnt lgkmcnt(0)
	s_delay_alu instid0(VALU_DEP_1) | instskip(SKIP_1) | instid1(VALU_DEP_1)
	v_fma_f64 v[115:116], v[121:122], v[127:128], v[115:116]
	s_waitcnt vmcnt(3)
	v_fma_f64 v[4:5], v[4:5], v[129:130], v[115:116]
	ds_load_2addr_b64 v[115:118], v1 offset0:93 offset1:94
	ds_load_2addr_b64 v[119:122], v1 offset0:95 offset1:96
	s_waitcnt lgkmcnt(1)
	v_fma_f64 v[4:5], v[6:7], v[115:116], v[4:5]
	s_waitcnt vmcnt(2)
	s_delay_alu instid0(VALU_DEP_1) | instskip(SKIP_1) | instid1(VALU_DEP_1)
	v_fma_f64 v[4:5], v[9:10], v[117:118], v[4:5]
	s_waitcnt lgkmcnt(0)
	v_fma_f64 v[4:5], v[11:12], v[119:120], v[4:5]
	s_waitcnt vmcnt(1)
	s_delay_alu instid0(VALU_DEP_1) | instskip(SKIP_4) | instid1(VALU_DEP_1)
	v_fma_f64 v[9:10], v[111:112], v[121:122], v[4:5]
	ds_load_2addr_b64 v[4:7], v1 offset0:97 offset1:98
	s_waitcnt lgkmcnt(0)
	v_fma_f64 v[4:5], v[113:114], v[4:5], v[9:10]
	s_waitcnt vmcnt(0)
	v_fma_f64 v[4:5], v[123:124], v[6:7], v[4:5]
	s_delay_alu instid0(VALU_DEP_1)
	v_add_f64 v[1:2], v[2:3], -v[4:5]
	scratch_store_b64 off, v[1:2], off offset:176
	v_cmpx_lt_u32_e32 21, v0
	s_cbranch_execz .LBB48_261
; %bb.260:
	scratch_load_b64 v[1:2], off, off offset:168
	v_mov_b32_e32 v3, 0
	s_delay_alu instid0(VALU_DEP_1)
	v_mov_b32_e32 v4, v3
	scratch_store_b64 off, v[3:4], off offset:168
	s_waitcnt vmcnt(0)
	ds_store_b64 v8, v[1:2]
.LBB48_261:
	s_or_b32 exec_lo, exec_lo, s0
	s_waitcnt lgkmcnt(0)
	s_waitcnt_vscnt null, 0x0
	s_barrier
	buffer_gl0_inv
	s_clause 0x4
	scratch_load_b128 v[2:5], off, off offset:168
	scratch_load_b128 v[9:12], off, off offset:184
	scratch_load_b128 v[111:114], off, off offset:200
	scratch_load_b128 v[115:118], off, off offset:216
	scratch_load_b128 v[119:122], off, off offset:232
	v_mov_b32_e32 v1, 0
	ds_load_b128 v[123:126], v1 offset:576
	ds_load_b128 v[127:130], v1 offset:592
	s_mov_b32 s0, exec_lo
	s_waitcnt vmcnt(4) lgkmcnt(1)
	v_fma_f64 v[123:124], v[4:5], v[123:124], 0
	scratch_load_b128 v[4:7], off, off offset:248
	s_waitcnt vmcnt(4)
	v_fma_f64 v[9:10], v[9:10], v[125:126], v[123:124]
	s_waitcnt lgkmcnt(0)
	s_delay_alu instid0(VALU_DEP_1)
	v_fma_f64 v[123:124], v[11:12], v[127:128], v[9:10]
	scratch_load_b128 v[9:12], off, off offset:264
	s_waitcnt vmcnt(4)
	v_fma_f64 v[111:112], v[111:112], v[129:130], v[123:124]
	ds_load_b128 v[123:126], v1 offset:608
	ds_load_b128 v[127:130], v1 offset:624
	s_waitcnt lgkmcnt(1)
	v_fma_f64 v[123:124], v[113:114], v[123:124], v[111:112]
	scratch_load_b128 v[111:114], off, off offset:280
	s_waitcnt vmcnt(4)
	v_fma_f64 v[115:116], v[115:116], v[125:126], v[123:124]
	s_waitcnt lgkmcnt(0)
	s_delay_alu instid0(VALU_DEP_1)
	v_fma_f64 v[123:124], v[117:118], v[127:128], v[115:116]
	scratch_load_b128 v[115:118], off, off offset:296
	s_waitcnt vmcnt(4)
	v_fma_f64 v[119:120], v[119:120], v[129:130], v[123:124]
	ds_load_b128 v[123:126], v1 offset:640
	ds_load_b128 v[127:130], v1 offset:656
	s_waitcnt lgkmcnt(1)
	;; [unrolled: 13-line block ×4, first 2 shown]
	v_fma_f64 v[123:124], v[117:118], v[123:124], v[115:116]
	scratch_load_b128 v[115:118], off, off offset:376
	s_waitcnt vmcnt(4)
	v_fma_f64 v[119:120], v[119:120], v[125:126], v[123:124]
	s_waitcnt lgkmcnt(0)
	s_delay_alu instid0(VALU_DEP_1) | instskip(SKIP_1) | instid1(VALU_DEP_1)
	v_fma_f64 v[119:120], v[121:122], v[127:128], v[119:120]
	s_waitcnt vmcnt(3)
	v_fma_f64 v[4:5], v[4:5], v[129:130], v[119:120]
	ds_load_b128 v[119:122], v1 offset:736
	ds_load_b128 v[123:126], v1 offset:752
	s_waitcnt lgkmcnt(1)
	v_fma_f64 v[4:5], v[6:7], v[119:120], v[4:5]
	s_waitcnt vmcnt(2)
	s_delay_alu instid0(VALU_DEP_1) | instskip(SKIP_1) | instid1(VALU_DEP_1)
	v_fma_f64 v[4:5], v[9:10], v[121:122], v[4:5]
	s_waitcnt lgkmcnt(0)
	v_fma_f64 v[4:5], v[11:12], v[123:124], v[4:5]
	s_waitcnt vmcnt(1)
	s_delay_alu instid0(VALU_DEP_1)
	v_fma_f64 v[9:10], v[111:112], v[125:126], v[4:5]
	ds_load_b128 v[4:7], v1 offset:768
	ds_load_b64 v[11:12], v1 offset:784
	s_waitcnt lgkmcnt(1)
	v_fma_f64 v[4:5], v[113:114], v[4:5], v[9:10]
	s_waitcnt vmcnt(0)
	s_delay_alu instid0(VALU_DEP_1) | instskip(SKIP_1) | instid1(VALU_DEP_1)
	v_fma_f64 v[4:5], v[115:116], v[6:7], v[4:5]
	s_waitcnt lgkmcnt(0)
	v_fma_f64 v[4:5], v[117:118], v[11:12], v[4:5]
	s_delay_alu instid0(VALU_DEP_1)
	v_add_f64 v[2:3], v[2:3], -v[4:5]
	scratch_store_b64 off, v[2:3], off offset:168
	v_cmpx_lt_u32_e32 20, v0
	s_cbranch_execz .LBB48_263
; %bb.262:
	scratch_load_b64 v[3:4], off, off offset:160
	v_mov_b32_e32 v2, v1
	scratch_store_b64 off, v[1:2], off offset:160
	s_waitcnt vmcnt(0)
	ds_store_b64 v8, v[3:4]
.LBB48_263:
	s_or_b32 exec_lo, exec_lo, s0
	s_waitcnt lgkmcnt(0)
	s_waitcnt_vscnt null, 0x0
	s_barrier
	buffer_gl0_inv
	s_clause 0x4
	scratch_load_b128 v[2:5], off, off offset:160
	scratch_load_b128 v[9:12], off, off offset:176
	;; [unrolled: 1-line block ×5, first 2 shown]
	ds_load_2addr_b64 v[123:126], v1 offset0:71 offset1:72
	ds_load_2addr_b64 v[127:130], v1 offset0:73 offset1:74
	s_mov_b32 s0, exec_lo
	s_waitcnt vmcnt(4) lgkmcnt(1)
	v_fma_f64 v[123:124], v[4:5], v[123:124], 0
	scratch_load_b128 v[4:7], off, off offset:240
	s_waitcnt vmcnt(4)
	v_fma_f64 v[9:10], v[9:10], v[125:126], v[123:124]
	s_waitcnt lgkmcnt(0)
	s_delay_alu instid0(VALU_DEP_1)
	v_fma_f64 v[123:124], v[11:12], v[127:128], v[9:10]
	scratch_load_b128 v[9:12], off, off offset:256
	s_waitcnt vmcnt(4)
	v_fma_f64 v[111:112], v[111:112], v[129:130], v[123:124]
	ds_load_2addr_b64 v[123:126], v1 offset0:75 offset1:76
	ds_load_2addr_b64 v[127:130], v1 offset0:77 offset1:78
	s_waitcnt lgkmcnt(1)
	v_fma_f64 v[123:124], v[113:114], v[123:124], v[111:112]
	scratch_load_b128 v[111:114], off, off offset:272
	s_waitcnt vmcnt(4)
	v_fma_f64 v[115:116], v[115:116], v[125:126], v[123:124]
	s_waitcnt lgkmcnt(0)
	s_delay_alu instid0(VALU_DEP_1)
	v_fma_f64 v[123:124], v[117:118], v[127:128], v[115:116]
	scratch_load_b128 v[115:118], off, off offset:288
	s_waitcnt vmcnt(4)
	v_fma_f64 v[119:120], v[119:120], v[129:130], v[123:124]
	ds_load_2addr_b64 v[123:126], v1 offset0:79 offset1:80
	ds_load_2addr_b64 v[127:130], v1 offset0:81 offset1:82
	s_waitcnt lgkmcnt(1)
	;; [unrolled: 13-line block ×4, first 2 shown]
	v_fma_f64 v[123:124], v[117:118], v[123:124], v[115:116]
	scratch_load_b128 v[115:118], off, off offset:368
	s_waitcnt vmcnt(4)
	v_fma_f64 v[119:120], v[119:120], v[125:126], v[123:124]
	s_waitcnt lgkmcnt(0)
	s_delay_alu instid0(VALU_DEP_1)
	v_fma_f64 v[119:120], v[121:122], v[127:128], v[119:120]
	scratch_load_b64 v[127:128], off, off offset:384
	s_waitcnt vmcnt(4)
	v_fma_f64 v[4:5], v[4:5], v[129:130], v[119:120]
	ds_load_2addr_b64 v[119:122], v1 offset0:91 offset1:92
	ds_load_2addr_b64 v[123:126], v1 offset0:93 offset1:94
	s_waitcnt lgkmcnt(1)
	v_fma_f64 v[4:5], v[6:7], v[119:120], v[4:5]
	s_waitcnt vmcnt(3)
	s_delay_alu instid0(VALU_DEP_1) | instskip(SKIP_1) | instid1(VALU_DEP_1)
	v_fma_f64 v[4:5], v[9:10], v[121:122], v[4:5]
	s_waitcnt lgkmcnt(0)
	v_fma_f64 v[4:5], v[11:12], v[123:124], v[4:5]
	s_waitcnt vmcnt(2)
	s_delay_alu instid0(VALU_DEP_1)
	v_fma_f64 v[111:112], v[111:112], v[125:126], v[4:5]
	ds_load_2addr_b64 v[4:7], v1 offset0:95 offset1:96
	ds_load_2addr_b64 v[9:12], v1 offset0:97 offset1:98
	s_waitcnt lgkmcnt(1)
	v_fma_f64 v[4:5], v[113:114], v[4:5], v[111:112]
	s_waitcnt vmcnt(1)
	s_delay_alu instid0(VALU_DEP_1) | instskip(SKIP_1) | instid1(VALU_DEP_1)
	v_fma_f64 v[4:5], v[115:116], v[6:7], v[4:5]
	s_waitcnt lgkmcnt(0)
	v_fma_f64 v[4:5], v[117:118], v[9:10], v[4:5]
	s_waitcnt vmcnt(0)
	s_delay_alu instid0(VALU_DEP_1) | instskip(NEXT) | instid1(VALU_DEP_1)
	v_fma_f64 v[4:5], v[127:128], v[11:12], v[4:5]
	v_add_f64 v[1:2], v[2:3], -v[4:5]
	scratch_store_b64 off, v[1:2], off offset:160
	v_cmpx_lt_u32_e32 19, v0
	s_cbranch_execz .LBB48_265
; %bb.264:
	scratch_load_b64 v[1:2], off, off offset:152
	v_mov_b32_e32 v3, 0
	s_delay_alu instid0(VALU_DEP_1)
	v_mov_b32_e32 v4, v3
	scratch_store_b64 off, v[3:4], off offset:152
	s_waitcnt vmcnt(0)
	ds_store_b64 v8, v[1:2]
.LBB48_265:
	s_or_b32 exec_lo, exec_lo, s0
	s_waitcnt lgkmcnt(0)
	s_waitcnt_vscnt null, 0x0
	s_barrier
	buffer_gl0_inv
	s_clause 0x4
	scratch_load_b128 v[2:5], off, off offset:152
	scratch_load_b128 v[9:12], off, off offset:168
	;; [unrolled: 1-line block ×5, first 2 shown]
	v_mov_b32_e32 v1, 0
	ds_load_b128 v[123:126], v1 offset:560
	ds_load_b128 v[127:130], v1 offset:576
	s_mov_b32 s0, exec_lo
	s_waitcnt vmcnt(4) lgkmcnt(1)
	v_fma_f64 v[123:124], v[4:5], v[123:124], 0
	scratch_load_b128 v[4:7], off, off offset:232
	s_waitcnt vmcnt(4)
	v_fma_f64 v[9:10], v[9:10], v[125:126], v[123:124]
	s_waitcnt lgkmcnt(0)
	s_delay_alu instid0(VALU_DEP_1)
	v_fma_f64 v[123:124], v[11:12], v[127:128], v[9:10]
	scratch_load_b128 v[9:12], off, off offset:248
	s_waitcnt vmcnt(4)
	v_fma_f64 v[111:112], v[111:112], v[129:130], v[123:124]
	ds_load_b128 v[123:126], v1 offset:592
	ds_load_b128 v[127:130], v1 offset:608
	s_waitcnt lgkmcnt(1)
	v_fma_f64 v[123:124], v[113:114], v[123:124], v[111:112]
	scratch_load_b128 v[111:114], off, off offset:264
	s_waitcnt vmcnt(4)
	v_fma_f64 v[115:116], v[115:116], v[125:126], v[123:124]
	s_waitcnt lgkmcnt(0)
	s_delay_alu instid0(VALU_DEP_1)
	v_fma_f64 v[123:124], v[117:118], v[127:128], v[115:116]
	scratch_load_b128 v[115:118], off, off offset:280
	s_waitcnt vmcnt(4)
	v_fma_f64 v[119:120], v[119:120], v[129:130], v[123:124]
	ds_load_b128 v[123:126], v1 offset:624
	ds_load_b128 v[127:130], v1 offset:640
	s_waitcnt lgkmcnt(1)
	;; [unrolled: 13-line block ×5, first 2 shown]
	v_fma_f64 v[4:5], v[6:7], v[123:124], v[4:5]
	s_waitcnt vmcnt(3)
	s_delay_alu instid0(VALU_DEP_1) | instskip(SKIP_1) | instid1(VALU_DEP_1)
	v_fma_f64 v[4:5], v[9:10], v[125:126], v[4:5]
	s_waitcnt lgkmcnt(0)
	v_fma_f64 v[4:5], v[11:12], v[127:128], v[4:5]
	s_waitcnt vmcnt(2)
	s_delay_alu instid0(VALU_DEP_1)
	v_fma_f64 v[111:112], v[111:112], v[129:130], v[4:5]
	ds_load_b128 v[4:7], v1 offset:752
	ds_load_b128 v[9:12], v1 offset:768
	s_waitcnt lgkmcnt(1)
	v_fma_f64 v[4:5], v[113:114], v[4:5], v[111:112]
	s_waitcnt vmcnt(1)
	s_delay_alu instid0(VALU_DEP_1) | instskip(SKIP_4) | instid1(VALU_DEP_1)
	v_fma_f64 v[4:5], v[115:116], v[6:7], v[4:5]
	ds_load_b64 v[6:7], v1 offset:784
	s_waitcnt lgkmcnt(1)
	v_fma_f64 v[4:5], v[117:118], v[9:10], v[4:5]
	s_waitcnt vmcnt(0)
	v_fma_f64 v[4:5], v[119:120], v[11:12], v[4:5]
	s_waitcnt lgkmcnt(0)
	s_delay_alu instid0(VALU_DEP_1) | instskip(NEXT) | instid1(VALU_DEP_1)
	v_fma_f64 v[4:5], v[121:122], v[6:7], v[4:5]
	v_add_f64 v[2:3], v[2:3], -v[4:5]
	scratch_store_b64 off, v[2:3], off offset:152
	v_cmpx_lt_u32_e32 18, v0
	s_cbranch_execz .LBB48_267
; %bb.266:
	scratch_load_b64 v[3:4], off, off offset:144
	v_mov_b32_e32 v2, v1
	scratch_store_b64 off, v[1:2], off offset:144
	s_waitcnt vmcnt(0)
	ds_store_b64 v8, v[3:4]
.LBB48_267:
	s_or_b32 exec_lo, exec_lo, s0
	s_waitcnt lgkmcnt(0)
	s_waitcnt_vscnt null, 0x0
	s_barrier
	buffer_gl0_inv
	s_clause 0x4
	scratch_load_b128 v[2:5], off, off offset:144
	scratch_load_b128 v[9:12], off, off offset:160
	;; [unrolled: 1-line block ×5, first 2 shown]
	ds_load_2addr_b64 v[123:126], v1 offset0:69 offset1:70
	ds_load_2addr_b64 v[127:130], v1 offset0:71 offset1:72
	s_mov_b32 s0, exec_lo
	s_waitcnt vmcnt(4) lgkmcnt(1)
	v_fma_f64 v[123:124], v[4:5], v[123:124], 0
	scratch_load_b128 v[4:7], off, off offset:224
	s_waitcnt vmcnt(4)
	v_fma_f64 v[9:10], v[9:10], v[125:126], v[123:124]
	s_waitcnt lgkmcnt(0)
	s_delay_alu instid0(VALU_DEP_1)
	v_fma_f64 v[123:124], v[11:12], v[127:128], v[9:10]
	scratch_load_b128 v[9:12], off, off offset:240
	s_waitcnt vmcnt(4)
	v_fma_f64 v[111:112], v[111:112], v[129:130], v[123:124]
	ds_load_2addr_b64 v[123:126], v1 offset0:73 offset1:74
	ds_load_2addr_b64 v[127:130], v1 offset0:75 offset1:76
	s_waitcnt lgkmcnt(1)
	v_fma_f64 v[123:124], v[113:114], v[123:124], v[111:112]
	scratch_load_b128 v[111:114], off, off offset:256
	s_waitcnt vmcnt(4)
	v_fma_f64 v[115:116], v[115:116], v[125:126], v[123:124]
	s_waitcnt lgkmcnt(0)
	s_delay_alu instid0(VALU_DEP_1)
	v_fma_f64 v[123:124], v[117:118], v[127:128], v[115:116]
	scratch_load_b128 v[115:118], off, off offset:272
	s_waitcnt vmcnt(4)
	v_fma_f64 v[119:120], v[119:120], v[129:130], v[123:124]
	ds_load_2addr_b64 v[123:126], v1 offset0:77 offset1:78
	ds_load_2addr_b64 v[127:130], v1 offset0:79 offset1:80
	s_waitcnt lgkmcnt(1)
	;; [unrolled: 13-line block ×5, first 2 shown]
	v_fma_f64 v[4:5], v[6:7], v[123:124], v[4:5]
	scratch_load_b64 v[123:124], off, off offset:384
	s_waitcnt vmcnt(4)
	v_fma_f64 v[4:5], v[9:10], v[125:126], v[4:5]
	s_waitcnt lgkmcnt(0)
	s_delay_alu instid0(VALU_DEP_1) | instskip(SKIP_1) | instid1(VALU_DEP_1)
	v_fma_f64 v[4:5], v[11:12], v[127:128], v[4:5]
	s_waitcnt vmcnt(3)
	v_fma_f64 v[111:112], v[111:112], v[129:130], v[4:5]
	ds_load_2addr_b64 v[4:7], v1 offset0:93 offset1:94
	ds_load_2addr_b64 v[9:12], v1 offset0:95 offset1:96
	s_waitcnt lgkmcnt(1)
	v_fma_f64 v[4:5], v[113:114], v[4:5], v[111:112]
	s_waitcnt vmcnt(2)
	s_delay_alu instid0(VALU_DEP_1) | instskip(SKIP_1) | instid1(VALU_DEP_1)
	v_fma_f64 v[4:5], v[115:116], v[6:7], v[4:5]
	s_waitcnt lgkmcnt(0)
	v_fma_f64 v[4:5], v[117:118], v[9:10], v[4:5]
	s_waitcnt vmcnt(1)
	s_delay_alu instid0(VALU_DEP_1) | instskip(SKIP_4) | instid1(VALU_DEP_1)
	v_fma_f64 v[9:10], v[119:120], v[11:12], v[4:5]
	ds_load_2addr_b64 v[4:7], v1 offset0:97 offset1:98
	s_waitcnt lgkmcnt(0)
	v_fma_f64 v[4:5], v[121:122], v[4:5], v[9:10]
	s_waitcnt vmcnt(0)
	v_fma_f64 v[4:5], v[123:124], v[6:7], v[4:5]
	s_delay_alu instid0(VALU_DEP_1)
	v_add_f64 v[1:2], v[2:3], -v[4:5]
	scratch_store_b64 off, v[1:2], off offset:144
	v_cmpx_lt_u32_e32 17, v0
	s_cbranch_execz .LBB48_269
; %bb.268:
	scratch_load_b64 v[1:2], off, off offset:136
	v_mov_b32_e32 v3, 0
	s_delay_alu instid0(VALU_DEP_1)
	v_mov_b32_e32 v4, v3
	scratch_store_b64 off, v[3:4], off offset:136
	s_waitcnt vmcnt(0)
	ds_store_b64 v8, v[1:2]
.LBB48_269:
	s_or_b32 exec_lo, exec_lo, s0
	s_waitcnt lgkmcnt(0)
	s_waitcnt_vscnt null, 0x0
	s_barrier
	buffer_gl0_inv
	s_clause 0x4
	scratch_load_b128 v[2:5], off, off offset:136
	scratch_load_b128 v[9:12], off, off offset:152
	;; [unrolled: 1-line block ×5, first 2 shown]
	v_mov_b32_e32 v1, 0
	ds_load_b128 v[123:126], v1 offset:544
	ds_load_b128 v[127:130], v1 offset:560
	s_mov_b32 s0, exec_lo
	s_waitcnt vmcnt(4) lgkmcnt(1)
	v_fma_f64 v[123:124], v[4:5], v[123:124], 0
	scratch_load_b128 v[4:7], off, off offset:216
	s_waitcnt vmcnt(4)
	v_fma_f64 v[9:10], v[9:10], v[125:126], v[123:124]
	s_waitcnt lgkmcnt(0)
	s_delay_alu instid0(VALU_DEP_1)
	v_fma_f64 v[123:124], v[11:12], v[127:128], v[9:10]
	scratch_load_b128 v[9:12], off, off offset:232
	s_waitcnt vmcnt(4)
	v_fma_f64 v[111:112], v[111:112], v[129:130], v[123:124]
	ds_load_b128 v[123:126], v1 offset:576
	ds_load_b128 v[127:130], v1 offset:592
	s_waitcnt lgkmcnt(1)
	v_fma_f64 v[123:124], v[113:114], v[123:124], v[111:112]
	scratch_load_b128 v[111:114], off, off offset:248
	s_waitcnt vmcnt(4)
	v_fma_f64 v[115:116], v[115:116], v[125:126], v[123:124]
	s_waitcnt lgkmcnt(0)
	s_delay_alu instid0(VALU_DEP_1)
	v_fma_f64 v[123:124], v[117:118], v[127:128], v[115:116]
	scratch_load_b128 v[115:118], off, off offset:264
	s_waitcnt vmcnt(4)
	v_fma_f64 v[119:120], v[119:120], v[129:130], v[123:124]
	ds_load_b128 v[123:126], v1 offset:608
	ds_load_b128 v[127:130], v1 offset:624
	s_waitcnt lgkmcnt(1)
	;; [unrolled: 13-line block ×5, first 2 shown]
	v_fma_f64 v[123:124], v[6:7], v[123:124], v[4:5]
	scratch_load_b128 v[4:7], off, off offset:376
	s_waitcnt vmcnt(4)
	v_fma_f64 v[9:10], v[9:10], v[125:126], v[123:124]
	s_waitcnt lgkmcnt(0)
	s_delay_alu instid0(VALU_DEP_1) | instskip(SKIP_1) | instid1(VALU_DEP_1)
	v_fma_f64 v[9:10], v[11:12], v[127:128], v[9:10]
	s_waitcnt vmcnt(3)
	v_fma_f64 v[111:112], v[111:112], v[129:130], v[9:10]
	ds_load_b128 v[9:12], v1 offset:736
	ds_load_b128 v[123:126], v1 offset:752
	s_waitcnt lgkmcnt(1)
	v_fma_f64 v[9:10], v[113:114], v[9:10], v[111:112]
	s_waitcnt vmcnt(2)
	s_delay_alu instid0(VALU_DEP_1) | instskip(SKIP_1) | instid1(VALU_DEP_1)
	v_fma_f64 v[9:10], v[115:116], v[11:12], v[9:10]
	s_waitcnt lgkmcnt(0)
	v_fma_f64 v[9:10], v[117:118], v[123:124], v[9:10]
	s_waitcnt vmcnt(1)
	s_delay_alu instid0(VALU_DEP_1)
	v_fma_f64 v[111:112], v[119:120], v[125:126], v[9:10]
	ds_load_b128 v[9:12], v1 offset:768
	ds_load_b64 v[113:114], v1 offset:784
	s_waitcnt lgkmcnt(1)
	v_fma_f64 v[9:10], v[121:122], v[9:10], v[111:112]
	s_waitcnt vmcnt(0)
	s_delay_alu instid0(VALU_DEP_1) | instskip(SKIP_1) | instid1(VALU_DEP_1)
	v_fma_f64 v[4:5], v[4:5], v[11:12], v[9:10]
	s_waitcnt lgkmcnt(0)
	v_fma_f64 v[4:5], v[6:7], v[113:114], v[4:5]
	s_delay_alu instid0(VALU_DEP_1)
	v_add_f64 v[2:3], v[2:3], -v[4:5]
	scratch_store_b64 off, v[2:3], off offset:136
	v_cmpx_lt_u32_e32 16, v0
	s_cbranch_execz .LBB48_271
; %bb.270:
	scratch_load_b64 v[3:4], off, off offset:128
	v_mov_b32_e32 v2, v1
	scratch_store_b64 off, v[1:2], off offset:128
	s_waitcnt vmcnt(0)
	ds_store_b64 v8, v[3:4]
.LBB48_271:
	s_or_b32 exec_lo, exec_lo, s0
	s_waitcnt lgkmcnt(0)
	s_waitcnt_vscnt null, 0x0
	s_barrier
	buffer_gl0_inv
	s_clause 0x4
	scratch_load_b128 v[2:5], off, off offset:128
	scratch_load_b128 v[9:12], off, off offset:144
	;; [unrolled: 1-line block ×5, first 2 shown]
	ds_load_2addr_b64 v[123:126], v1 offset0:67 offset1:68
	ds_load_2addr_b64 v[127:130], v1 offset0:69 offset1:70
	s_mov_b32 s0, exec_lo
	s_waitcnt vmcnt(4) lgkmcnt(1)
	v_fma_f64 v[123:124], v[4:5], v[123:124], 0
	scratch_load_b128 v[4:7], off, off offset:208
	s_waitcnt vmcnt(4)
	v_fma_f64 v[9:10], v[9:10], v[125:126], v[123:124]
	s_waitcnt lgkmcnt(0)
	s_delay_alu instid0(VALU_DEP_1)
	v_fma_f64 v[123:124], v[11:12], v[127:128], v[9:10]
	scratch_load_b128 v[9:12], off, off offset:224
	s_waitcnt vmcnt(4)
	v_fma_f64 v[111:112], v[111:112], v[129:130], v[123:124]
	ds_load_2addr_b64 v[123:126], v1 offset0:71 offset1:72
	ds_load_2addr_b64 v[127:130], v1 offset0:73 offset1:74
	s_waitcnt lgkmcnt(1)
	v_fma_f64 v[123:124], v[113:114], v[123:124], v[111:112]
	scratch_load_b128 v[111:114], off, off offset:240
	s_waitcnt vmcnt(4)
	v_fma_f64 v[115:116], v[115:116], v[125:126], v[123:124]
	s_waitcnt lgkmcnt(0)
	s_delay_alu instid0(VALU_DEP_1)
	v_fma_f64 v[123:124], v[117:118], v[127:128], v[115:116]
	scratch_load_b128 v[115:118], off, off offset:256
	s_waitcnt vmcnt(4)
	v_fma_f64 v[119:120], v[119:120], v[129:130], v[123:124]
	ds_load_2addr_b64 v[123:126], v1 offset0:75 offset1:76
	ds_load_2addr_b64 v[127:130], v1 offset0:77 offset1:78
	s_waitcnt lgkmcnt(1)
	v_fma_f64 v[123:124], v[121:122], v[123:124], v[119:120]
	scratch_load_b128 v[119:122], off, off offset:272
	s_waitcnt vmcnt(4)
	v_fma_f64 v[4:5], v[4:5], v[125:126], v[123:124]
	s_waitcnt lgkmcnt(0)
	s_delay_alu instid0(VALU_DEP_1)
	v_fma_f64 v[123:124], v[6:7], v[127:128], v[4:5]
	scratch_load_b128 v[4:7], off, off offset:288
	s_waitcnt vmcnt(4)
	v_fma_f64 v[9:10], v[9:10], v[129:130], v[123:124]
	ds_load_2addr_b64 v[123:126], v1 offset0:79 offset1:80
	ds_load_2addr_b64 v[127:130], v1 offset0:81 offset1:82
	s_waitcnt lgkmcnt(1)
	v_fma_f64 v[123:124], v[11:12], v[123:124], v[9:10]
	scratch_load_b128 v[9:12], off, off offset:304
	s_waitcnt vmcnt(4)
	v_fma_f64 v[111:112], v[111:112], v[125:126], v[123:124]
	s_waitcnt lgkmcnt(0)
	s_delay_alu instid0(VALU_DEP_1)
	v_fma_f64 v[123:124], v[113:114], v[127:128], v[111:112]
	scratch_load_b128 v[111:114], off, off offset:320
	s_waitcnt vmcnt(4)
	v_fma_f64 v[115:116], v[115:116], v[129:130], v[123:124]
	ds_load_2addr_b64 v[123:126], v1 offset0:83 offset1:84
	ds_load_2addr_b64 v[127:130], v1 offset0:85 offset1:86
	s_waitcnt lgkmcnt(1)
	v_fma_f64 v[123:124], v[117:118], v[123:124], v[115:116]
	scratch_load_b128 v[115:118], off, off offset:336
	s_waitcnt vmcnt(4)
	v_fma_f64 v[119:120], v[119:120], v[125:126], v[123:124]
	s_waitcnt lgkmcnt(0)
	s_delay_alu instid0(VALU_DEP_1)
	v_fma_f64 v[123:124], v[121:122], v[127:128], v[119:120]
	scratch_load_b128 v[119:122], off, off offset:352
	s_waitcnt vmcnt(4)
	v_fma_f64 v[4:5], v[4:5], v[129:130], v[123:124]
	ds_load_2addr_b64 v[123:126], v1 offset0:87 offset1:88
	ds_load_2addr_b64 v[127:130], v1 offset0:89 offset1:90
	s_waitcnt lgkmcnt(1)
	v_fma_f64 v[123:124], v[6:7], v[123:124], v[4:5]
	scratch_load_b128 v[4:7], off, off offset:368
	s_waitcnt vmcnt(4)
	v_fma_f64 v[9:10], v[9:10], v[125:126], v[123:124]
	s_waitcnt lgkmcnt(0)
	s_delay_alu instid0(VALU_DEP_1)
	v_fma_f64 v[9:10], v[11:12], v[127:128], v[9:10]
	scratch_load_b64 v[127:128], off, off offset:384
	s_waitcnt vmcnt(4)
	v_fma_f64 v[111:112], v[111:112], v[129:130], v[9:10]
	ds_load_2addr_b64 v[9:12], v1 offset0:91 offset1:92
	ds_load_2addr_b64 v[123:126], v1 offset0:93 offset1:94
	s_waitcnt lgkmcnt(1)
	v_fma_f64 v[9:10], v[113:114], v[9:10], v[111:112]
	s_waitcnt vmcnt(3)
	s_delay_alu instid0(VALU_DEP_1) | instskip(SKIP_1) | instid1(VALU_DEP_1)
	v_fma_f64 v[9:10], v[115:116], v[11:12], v[9:10]
	s_waitcnt lgkmcnt(0)
	v_fma_f64 v[9:10], v[117:118], v[123:124], v[9:10]
	s_waitcnt vmcnt(2)
	s_delay_alu instid0(VALU_DEP_1)
	v_fma_f64 v[115:116], v[119:120], v[125:126], v[9:10]
	ds_load_2addr_b64 v[9:12], v1 offset0:95 offset1:96
	ds_load_2addr_b64 v[111:114], v1 offset0:97 offset1:98
	s_waitcnt lgkmcnt(1)
	v_fma_f64 v[9:10], v[121:122], v[9:10], v[115:116]
	s_waitcnt vmcnt(1)
	s_delay_alu instid0(VALU_DEP_1) | instskip(SKIP_1) | instid1(VALU_DEP_1)
	v_fma_f64 v[4:5], v[4:5], v[11:12], v[9:10]
	s_waitcnt lgkmcnt(0)
	v_fma_f64 v[4:5], v[6:7], v[111:112], v[4:5]
	s_waitcnt vmcnt(0)
	s_delay_alu instid0(VALU_DEP_1) | instskip(NEXT) | instid1(VALU_DEP_1)
	v_fma_f64 v[4:5], v[127:128], v[113:114], v[4:5]
	v_add_f64 v[1:2], v[2:3], -v[4:5]
	scratch_store_b64 off, v[1:2], off offset:128
	v_cmpx_lt_u32_e32 15, v0
	s_cbranch_execz .LBB48_273
; %bb.272:
	scratch_load_b64 v[1:2], off, off offset:120
	v_mov_b32_e32 v3, 0
	s_delay_alu instid0(VALU_DEP_1)
	v_mov_b32_e32 v4, v3
	scratch_store_b64 off, v[3:4], off offset:120
	s_waitcnt vmcnt(0)
	ds_store_b64 v8, v[1:2]
.LBB48_273:
	s_or_b32 exec_lo, exec_lo, s0
	s_waitcnt lgkmcnt(0)
	s_waitcnt_vscnt null, 0x0
	s_barrier
	buffer_gl0_inv
	s_clause 0x4
	scratch_load_b128 v[2:5], off, off offset:120
	scratch_load_b128 v[9:12], off, off offset:136
	;; [unrolled: 1-line block ×5, first 2 shown]
	v_mov_b32_e32 v1, 0
	ds_load_b128 v[123:126], v1 offset:528
	ds_load_b128 v[127:130], v1 offset:544
	s_mov_b32 s0, exec_lo
	s_waitcnt vmcnt(4) lgkmcnt(1)
	v_fma_f64 v[123:124], v[4:5], v[123:124], 0
	scratch_load_b128 v[4:7], off, off offset:200
	s_waitcnt vmcnt(4)
	v_fma_f64 v[9:10], v[9:10], v[125:126], v[123:124]
	s_waitcnt lgkmcnt(0)
	s_delay_alu instid0(VALU_DEP_1)
	v_fma_f64 v[123:124], v[11:12], v[127:128], v[9:10]
	scratch_load_b128 v[9:12], off, off offset:216
	s_waitcnt vmcnt(4)
	v_fma_f64 v[111:112], v[111:112], v[129:130], v[123:124]
	ds_load_b128 v[123:126], v1 offset:560
	ds_load_b128 v[127:130], v1 offset:576
	s_waitcnt lgkmcnt(1)
	v_fma_f64 v[123:124], v[113:114], v[123:124], v[111:112]
	scratch_load_b128 v[111:114], off, off offset:232
	s_waitcnt vmcnt(4)
	v_fma_f64 v[115:116], v[115:116], v[125:126], v[123:124]
	s_waitcnt lgkmcnt(0)
	s_delay_alu instid0(VALU_DEP_1)
	v_fma_f64 v[123:124], v[117:118], v[127:128], v[115:116]
	scratch_load_b128 v[115:118], off, off offset:248
	s_waitcnt vmcnt(4)
	v_fma_f64 v[119:120], v[119:120], v[129:130], v[123:124]
	ds_load_b128 v[123:126], v1 offset:592
	ds_load_b128 v[127:130], v1 offset:608
	s_waitcnt lgkmcnt(1)
	;; [unrolled: 13-line block ×6, first 2 shown]
	v_fma_f64 v[111:112], v[113:114], v[123:124], v[111:112]
	s_waitcnt vmcnt(3)
	s_delay_alu instid0(VALU_DEP_1) | instskip(SKIP_1) | instid1(VALU_DEP_1)
	v_fma_f64 v[111:112], v[115:116], v[125:126], v[111:112]
	s_waitcnt lgkmcnt(0)
	v_fma_f64 v[111:112], v[117:118], v[127:128], v[111:112]
	s_waitcnt vmcnt(2)
	s_delay_alu instid0(VALU_DEP_1)
	v_fma_f64 v[119:120], v[119:120], v[129:130], v[111:112]
	ds_load_b128 v[111:114], v1 offset:752
	ds_load_b128 v[115:118], v1 offset:768
	s_waitcnt lgkmcnt(1)
	v_fma_f64 v[111:112], v[121:122], v[111:112], v[119:120]
	s_waitcnt vmcnt(1)
	s_delay_alu instid0(VALU_DEP_1) | instskip(SKIP_1) | instid1(VALU_DEP_1)
	v_fma_f64 v[4:5], v[4:5], v[113:114], v[111:112]
	s_waitcnt lgkmcnt(0)
	v_fma_f64 v[4:5], v[6:7], v[115:116], v[4:5]
	ds_load_b64 v[6:7], v1 offset:784
	s_waitcnt vmcnt(0)
	v_fma_f64 v[4:5], v[9:10], v[117:118], v[4:5]
	s_waitcnt lgkmcnt(0)
	s_delay_alu instid0(VALU_DEP_1) | instskip(NEXT) | instid1(VALU_DEP_1)
	v_fma_f64 v[4:5], v[11:12], v[6:7], v[4:5]
	v_add_f64 v[2:3], v[2:3], -v[4:5]
	scratch_store_b64 off, v[2:3], off offset:120
	v_cmpx_lt_u32_e32 14, v0
	s_cbranch_execz .LBB48_275
; %bb.274:
	scratch_load_b64 v[3:4], off, off offset:112
	v_mov_b32_e32 v2, v1
	scratch_store_b64 off, v[1:2], off offset:112
	s_waitcnt vmcnt(0)
	ds_store_b64 v8, v[3:4]
.LBB48_275:
	s_or_b32 exec_lo, exec_lo, s0
	s_waitcnt lgkmcnt(0)
	s_waitcnt_vscnt null, 0x0
	s_barrier
	buffer_gl0_inv
	s_clause 0x4
	scratch_load_b128 v[2:5], off, off offset:112
	scratch_load_b128 v[9:12], off, off offset:128
	;; [unrolled: 1-line block ×5, first 2 shown]
	ds_load_2addr_b64 v[123:126], v1 offset0:65 offset1:66
	ds_load_2addr_b64 v[127:130], v1 offset0:67 offset1:68
	s_mov_b32 s0, exec_lo
	s_waitcnt vmcnt(4) lgkmcnt(1)
	v_fma_f64 v[123:124], v[4:5], v[123:124], 0
	scratch_load_b128 v[4:7], off, off offset:192
	s_waitcnt vmcnt(4)
	v_fma_f64 v[9:10], v[9:10], v[125:126], v[123:124]
	s_waitcnt lgkmcnt(0)
	s_delay_alu instid0(VALU_DEP_1)
	v_fma_f64 v[123:124], v[11:12], v[127:128], v[9:10]
	scratch_load_b128 v[9:12], off, off offset:208
	s_waitcnt vmcnt(4)
	v_fma_f64 v[111:112], v[111:112], v[129:130], v[123:124]
	ds_load_2addr_b64 v[123:126], v1 offset0:69 offset1:70
	ds_load_2addr_b64 v[127:130], v1 offset0:71 offset1:72
	s_waitcnt lgkmcnt(1)
	v_fma_f64 v[123:124], v[113:114], v[123:124], v[111:112]
	scratch_load_b128 v[111:114], off, off offset:224
	s_waitcnt vmcnt(4)
	v_fma_f64 v[115:116], v[115:116], v[125:126], v[123:124]
	s_waitcnt lgkmcnt(0)
	s_delay_alu instid0(VALU_DEP_1)
	v_fma_f64 v[123:124], v[117:118], v[127:128], v[115:116]
	scratch_load_b128 v[115:118], off, off offset:240
	s_waitcnt vmcnt(4)
	v_fma_f64 v[119:120], v[119:120], v[129:130], v[123:124]
	ds_load_2addr_b64 v[123:126], v1 offset0:73 offset1:74
	ds_load_2addr_b64 v[127:130], v1 offset0:75 offset1:76
	s_waitcnt lgkmcnt(1)
	;; [unrolled: 13-line block ×6, first 2 shown]
	v_fma_f64 v[111:112], v[113:114], v[123:124], v[111:112]
	scratch_load_b64 v[123:124], off, off offset:384
	s_waitcnt vmcnt(4)
	v_fma_f64 v[111:112], v[115:116], v[125:126], v[111:112]
	s_waitcnt lgkmcnt(0)
	s_delay_alu instid0(VALU_DEP_1) | instskip(SKIP_1) | instid1(VALU_DEP_1)
	v_fma_f64 v[111:112], v[117:118], v[127:128], v[111:112]
	s_waitcnt vmcnt(3)
	v_fma_f64 v[119:120], v[119:120], v[129:130], v[111:112]
	ds_load_2addr_b64 v[111:114], v1 offset0:93 offset1:94
	ds_load_2addr_b64 v[115:118], v1 offset0:95 offset1:96
	s_waitcnt lgkmcnt(1)
	v_fma_f64 v[111:112], v[121:122], v[111:112], v[119:120]
	s_waitcnt vmcnt(2)
	s_delay_alu instid0(VALU_DEP_1) | instskip(SKIP_1) | instid1(VALU_DEP_1)
	v_fma_f64 v[4:5], v[4:5], v[113:114], v[111:112]
	s_waitcnt lgkmcnt(0)
	v_fma_f64 v[4:5], v[6:7], v[115:116], v[4:5]
	s_waitcnt vmcnt(1)
	s_delay_alu instid0(VALU_DEP_1) | instskip(SKIP_4) | instid1(VALU_DEP_1)
	v_fma_f64 v[9:10], v[9:10], v[117:118], v[4:5]
	ds_load_2addr_b64 v[4:7], v1 offset0:97 offset1:98
	s_waitcnt lgkmcnt(0)
	v_fma_f64 v[4:5], v[11:12], v[4:5], v[9:10]
	s_waitcnt vmcnt(0)
	v_fma_f64 v[4:5], v[123:124], v[6:7], v[4:5]
	s_delay_alu instid0(VALU_DEP_1)
	v_add_f64 v[1:2], v[2:3], -v[4:5]
	scratch_store_b64 off, v[1:2], off offset:112
	v_cmpx_lt_u32_e32 13, v0
	s_cbranch_execz .LBB48_277
; %bb.276:
	scratch_load_b64 v[1:2], off, off offset:104
	v_mov_b32_e32 v3, 0
	s_delay_alu instid0(VALU_DEP_1)
	v_mov_b32_e32 v4, v3
	scratch_store_b64 off, v[3:4], off offset:104
	s_waitcnt vmcnt(0)
	ds_store_b64 v8, v[1:2]
.LBB48_277:
	s_or_b32 exec_lo, exec_lo, s0
	s_waitcnt lgkmcnt(0)
	s_waitcnt_vscnt null, 0x0
	s_barrier
	buffer_gl0_inv
	s_clause 0x4
	scratch_load_b128 v[2:5], off, off offset:104
	scratch_load_b128 v[9:12], off, off offset:120
	;; [unrolled: 1-line block ×5, first 2 shown]
	v_mov_b32_e32 v1, 0
	ds_load_b128 v[123:126], v1 offset:512
	ds_load_b128 v[127:130], v1 offset:528
	s_mov_b32 s0, exec_lo
	s_waitcnt vmcnt(4) lgkmcnt(1)
	v_fma_f64 v[123:124], v[4:5], v[123:124], 0
	scratch_load_b128 v[4:7], off, off offset:184
	s_waitcnt vmcnt(4)
	v_fma_f64 v[9:10], v[9:10], v[125:126], v[123:124]
	s_waitcnt lgkmcnt(0)
	s_delay_alu instid0(VALU_DEP_1)
	v_fma_f64 v[123:124], v[11:12], v[127:128], v[9:10]
	scratch_load_b128 v[9:12], off, off offset:200
	s_waitcnt vmcnt(4)
	v_fma_f64 v[111:112], v[111:112], v[129:130], v[123:124]
	ds_load_b128 v[123:126], v1 offset:544
	ds_load_b128 v[127:130], v1 offset:560
	s_waitcnt lgkmcnt(1)
	v_fma_f64 v[123:124], v[113:114], v[123:124], v[111:112]
	scratch_load_b128 v[111:114], off, off offset:216
	s_waitcnt vmcnt(4)
	v_fma_f64 v[115:116], v[115:116], v[125:126], v[123:124]
	s_waitcnt lgkmcnt(0)
	s_delay_alu instid0(VALU_DEP_1)
	v_fma_f64 v[123:124], v[117:118], v[127:128], v[115:116]
	scratch_load_b128 v[115:118], off, off offset:232
	s_waitcnt vmcnt(4)
	v_fma_f64 v[119:120], v[119:120], v[129:130], v[123:124]
	ds_load_b128 v[123:126], v1 offset:576
	ds_load_b128 v[127:130], v1 offset:592
	s_waitcnt lgkmcnt(1)
	;; [unrolled: 13-line block ×6, first 2 shown]
	v_fma_f64 v[123:124], v[113:114], v[123:124], v[111:112]
	scratch_load_b128 v[111:114], off, off offset:376
	s_waitcnt vmcnt(4)
	v_fma_f64 v[115:116], v[115:116], v[125:126], v[123:124]
	s_waitcnt lgkmcnt(0)
	s_delay_alu instid0(VALU_DEP_1) | instskip(SKIP_1) | instid1(VALU_DEP_1)
	v_fma_f64 v[115:116], v[117:118], v[127:128], v[115:116]
	s_waitcnt vmcnt(3)
	v_fma_f64 v[119:120], v[119:120], v[129:130], v[115:116]
	ds_load_b128 v[115:118], v1 offset:736
	ds_load_b128 v[123:126], v1 offset:752
	s_waitcnt lgkmcnt(1)
	v_fma_f64 v[115:116], v[121:122], v[115:116], v[119:120]
	s_waitcnt vmcnt(2)
	s_delay_alu instid0(VALU_DEP_1) | instskip(SKIP_1) | instid1(VALU_DEP_1)
	v_fma_f64 v[4:5], v[4:5], v[117:118], v[115:116]
	s_waitcnt lgkmcnt(0)
	v_fma_f64 v[4:5], v[6:7], v[123:124], v[4:5]
	s_waitcnt vmcnt(1)
	s_delay_alu instid0(VALU_DEP_1)
	v_fma_f64 v[9:10], v[9:10], v[125:126], v[4:5]
	ds_load_b128 v[4:7], v1 offset:768
	ds_load_b64 v[115:116], v1 offset:784
	s_waitcnt lgkmcnt(1)
	v_fma_f64 v[4:5], v[11:12], v[4:5], v[9:10]
	s_waitcnt vmcnt(0)
	s_delay_alu instid0(VALU_DEP_1) | instskip(SKIP_1) | instid1(VALU_DEP_1)
	v_fma_f64 v[4:5], v[111:112], v[6:7], v[4:5]
	s_waitcnt lgkmcnt(0)
	v_fma_f64 v[4:5], v[113:114], v[115:116], v[4:5]
	s_delay_alu instid0(VALU_DEP_1)
	v_add_f64 v[2:3], v[2:3], -v[4:5]
	scratch_store_b64 off, v[2:3], off offset:104
	v_cmpx_lt_u32_e32 12, v0
	s_cbranch_execz .LBB48_279
; %bb.278:
	scratch_load_b64 v[3:4], off, off offset:96
	v_mov_b32_e32 v2, v1
	scratch_store_b64 off, v[1:2], off offset:96
	s_waitcnt vmcnt(0)
	ds_store_b64 v8, v[3:4]
.LBB48_279:
	s_or_b32 exec_lo, exec_lo, s0
	s_waitcnt lgkmcnt(0)
	s_waitcnt_vscnt null, 0x0
	s_barrier
	buffer_gl0_inv
	s_clause 0x4
	scratch_load_b128 v[2:5], off, off offset:96
	scratch_load_b128 v[9:12], off, off offset:112
	;; [unrolled: 1-line block ×5, first 2 shown]
	ds_load_2addr_b64 v[123:126], v1 offset0:63 offset1:64
	ds_load_2addr_b64 v[127:130], v1 offset0:65 offset1:66
	s_mov_b32 s0, exec_lo
	s_waitcnt vmcnt(4) lgkmcnt(1)
	v_fma_f64 v[123:124], v[4:5], v[123:124], 0
	scratch_load_b128 v[4:7], off, off offset:176
	s_waitcnt vmcnt(4)
	v_fma_f64 v[9:10], v[9:10], v[125:126], v[123:124]
	s_waitcnt lgkmcnt(0)
	s_delay_alu instid0(VALU_DEP_1)
	v_fma_f64 v[123:124], v[11:12], v[127:128], v[9:10]
	scratch_load_b128 v[9:12], off, off offset:192
	s_waitcnt vmcnt(4)
	v_fma_f64 v[111:112], v[111:112], v[129:130], v[123:124]
	ds_load_2addr_b64 v[123:126], v1 offset0:67 offset1:68
	ds_load_2addr_b64 v[127:130], v1 offset0:69 offset1:70
	s_waitcnt lgkmcnt(1)
	v_fma_f64 v[123:124], v[113:114], v[123:124], v[111:112]
	scratch_load_b128 v[111:114], off, off offset:208
	s_waitcnt vmcnt(4)
	v_fma_f64 v[115:116], v[115:116], v[125:126], v[123:124]
	s_waitcnt lgkmcnt(0)
	s_delay_alu instid0(VALU_DEP_1)
	v_fma_f64 v[123:124], v[117:118], v[127:128], v[115:116]
	scratch_load_b128 v[115:118], off, off offset:224
	s_waitcnt vmcnt(4)
	v_fma_f64 v[119:120], v[119:120], v[129:130], v[123:124]
	ds_load_2addr_b64 v[123:126], v1 offset0:71 offset1:72
	ds_load_2addr_b64 v[127:130], v1 offset0:73 offset1:74
	s_waitcnt lgkmcnt(1)
	;; [unrolled: 13-line block ×6, first 2 shown]
	v_fma_f64 v[123:124], v[113:114], v[123:124], v[111:112]
	scratch_load_b128 v[111:114], off, off offset:368
	s_waitcnt vmcnt(4)
	v_fma_f64 v[115:116], v[115:116], v[125:126], v[123:124]
	s_waitcnt lgkmcnt(0)
	s_delay_alu instid0(VALU_DEP_1)
	v_fma_f64 v[115:116], v[117:118], v[127:128], v[115:116]
	scratch_load_b64 v[127:128], off, off offset:384
	s_waitcnt vmcnt(4)
	v_fma_f64 v[119:120], v[119:120], v[129:130], v[115:116]
	ds_load_2addr_b64 v[115:118], v1 offset0:91 offset1:92
	ds_load_2addr_b64 v[123:126], v1 offset0:93 offset1:94
	s_waitcnt lgkmcnt(1)
	v_fma_f64 v[115:116], v[121:122], v[115:116], v[119:120]
	s_waitcnt vmcnt(3)
	s_delay_alu instid0(VALU_DEP_1) | instskip(SKIP_1) | instid1(VALU_DEP_1)
	v_fma_f64 v[4:5], v[4:5], v[117:118], v[115:116]
	s_waitcnt lgkmcnt(0)
	v_fma_f64 v[4:5], v[6:7], v[123:124], v[4:5]
	s_waitcnt vmcnt(2)
	s_delay_alu instid0(VALU_DEP_1)
	v_fma_f64 v[9:10], v[9:10], v[125:126], v[4:5]
	ds_load_2addr_b64 v[4:7], v1 offset0:95 offset1:96
	ds_load_2addr_b64 v[115:118], v1 offset0:97 offset1:98
	s_waitcnt lgkmcnt(1)
	v_fma_f64 v[4:5], v[11:12], v[4:5], v[9:10]
	s_waitcnt vmcnt(1)
	s_delay_alu instid0(VALU_DEP_1) | instskip(SKIP_1) | instid1(VALU_DEP_1)
	v_fma_f64 v[4:5], v[111:112], v[6:7], v[4:5]
	s_waitcnt lgkmcnt(0)
	v_fma_f64 v[4:5], v[113:114], v[115:116], v[4:5]
	s_waitcnt vmcnt(0)
	s_delay_alu instid0(VALU_DEP_1) | instskip(NEXT) | instid1(VALU_DEP_1)
	v_fma_f64 v[4:5], v[127:128], v[117:118], v[4:5]
	v_add_f64 v[1:2], v[2:3], -v[4:5]
	scratch_store_b64 off, v[1:2], off offset:96
	v_cmpx_lt_u32_e32 11, v0
	s_cbranch_execz .LBB48_281
; %bb.280:
	scratch_load_b64 v[1:2], off, off offset:88
	v_mov_b32_e32 v3, 0
	s_delay_alu instid0(VALU_DEP_1)
	v_mov_b32_e32 v4, v3
	scratch_store_b64 off, v[3:4], off offset:88
	s_waitcnt vmcnt(0)
	ds_store_b64 v8, v[1:2]
.LBB48_281:
	s_or_b32 exec_lo, exec_lo, s0
	s_waitcnt lgkmcnt(0)
	s_waitcnt_vscnt null, 0x0
	s_barrier
	buffer_gl0_inv
	s_clause 0x4
	scratch_load_b128 v[2:5], off, off offset:88
	scratch_load_b128 v[9:12], off, off offset:104
	;; [unrolled: 1-line block ×5, first 2 shown]
	v_mov_b32_e32 v1, 0
	ds_load_b128 v[123:126], v1 offset:496
	ds_load_b128 v[127:130], v1 offset:512
	s_mov_b32 s0, exec_lo
	s_waitcnt vmcnt(4) lgkmcnt(1)
	v_fma_f64 v[123:124], v[4:5], v[123:124], 0
	scratch_load_b128 v[4:7], off, off offset:168
	s_waitcnt vmcnt(4)
	v_fma_f64 v[9:10], v[9:10], v[125:126], v[123:124]
	s_waitcnt lgkmcnt(0)
	s_delay_alu instid0(VALU_DEP_1)
	v_fma_f64 v[123:124], v[11:12], v[127:128], v[9:10]
	scratch_load_b128 v[9:12], off, off offset:184
	s_waitcnt vmcnt(4)
	v_fma_f64 v[111:112], v[111:112], v[129:130], v[123:124]
	ds_load_b128 v[123:126], v1 offset:528
	ds_load_b128 v[127:130], v1 offset:544
	s_waitcnt lgkmcnt(1)
	v_fma_f64 v[123:124], v[113:114], v[123:124], v[111:112]
	scratch_load_b128 v[111:114], off, off offset:200
	s_waitcnt vmcnt(4)
	v_fma_f64 v[115:116], v[115:116], v[125:126], v[123:124]
	s_waitcnt lgkmcnt(0)
	s_delay_alu instid0(VALU_DEP_1)
	v_fma_f64 v[123:124], v[117:118], v[127:128], v[115:116]
	scratch_load_b128 v[115:118], off, off offset:216
	s_waitcnt vmcnt(4)
	v_fma_f64 v[119:120], v[119:120], v[129:130], v[123:124]
	ds_load_b128 v[123:126], v1 offset:560
	ds_load_b128 v[127:130], v1 offset:576
	s_waitcnt lgkmcnt(1)
	;; [unrolled: 13-line block ×7, first 2 shown]
	v_fma_f64 v[119:120], v[121:122], v[123:124], v[119:120]
	s_waitcnt vmcnt(3)
	s_delay_alu instid0(VALU_DEP_1) | instskip(SKIP_1) | instid1(VALU_DEP_1)
	v_fma_f64 v[4:5], v[4:5], v[125:126], v[119:120]
	s_waitcnt lgkmcnt(0)
	v_fma_f64 v[4:5], v[6:7], v[127:128], v[4:5]
	s_waitcnt vmcnt(2)
	s_delay_alu instid0(VALU_DEP_1)
	v_fma_f64 v[9:10], v[9:10], v[129:130], v[4:5]
	ds_load_b128 v[4:7], v1 offset:752
	ds_load_b128 v[119:122], v1 offset:768
	s_waitcnt lgkmcnt(1)
	v_fma_f64 v[4:5], v[11:12], v[4:5], v[9:10]
	s_waitcnt vmcnt(1)
	s_delay_alu instid0(VALU_DEP_1) | instskip(SKIP_4) | instid1(VALU_DEP_1)
	v_fma_f64 v[4:5], v[111:112], v[6:7], v[4:5]
	ds_load_b64 v[6:7], v1 offset:784
	s_waitcnt lgkmcnt(1)
	v_fma_f64 v[4:5], v[113:114], v[119:120], v[4:5]
	s_waitcnt vmcnt(0)
	v_fma_f64 v[4:5], v[115:116], v[121:122], v[4:5]
	s_waitcnt lgkmcnt(0)
	s_delay_alu instid0(VALU_DEP_1) | instskip(NEXT) | instid1(VALU_DEP_1)
	v_fma_f64 v[4:5], v[117:118], v[6:7], v[4:5]
	v_add_f64 v[2:3], v[2:3], -v[4:5]
	scratch_store_b64 off, v[2:3], off offset:88
	v_cmpx_lt_u32_e32 10, v0
	s_cbranch_execz .LBB48_283
; %bb.282:
	scratch_load_b64 v[3:4], off, off offset:80
	v_mov_b32_e32 v2, v1
	scratch_store_b64 off, v[1:2], off offset:80
	s_waitcnt vmcnt(0)
	ds_store_b64 v8, v[3:4]
.LBB48_283:
	s_or_b32 exec_lo, exec_lo, s0
	s_waitcnt lgkmcnt(0)
	s_waitcnt_vscnt null, 0x0
	s_barrier
	buffer_gl0_inv
	s_clause 0x4
	scratch_load_b128 v[2:5], off, off offset:80
	scratch_load_b128 v[9:12], off, off offset:96
	;; [unrolled: 1-line block ×5, first 2 shown]
	ds_load_2addr_b64 v[123:126], v1 offset0:61 offset1:62
	ds_load_2addr_b64 v[127:130], v1 offset0:63 offset1:64
	s_mov_b32 s0, exec_lo
	s_waitcnt vmcnt(4) lgkmcnt(1)
	v_fma_f64 v[123:124], v[4:5], v[123:124], 0
	scratch_load_b128 v[4:7], off, off offset:160
	s_waitcnt vmcnt(4)
	v_fma_f64 v[9:10], v[9:10], v[125:126], v[123:124]
	s_waitcnt lgkmcnt(0)
	s_delay_alu instid0(VALU_DEP_1)
	v_fma_f64 v[123:124], v[11:12], v[127:128], v[9:10]
	scratch_load_b128 v[9:12], off, off offset:176
	s_waitcnt vmcnt(4)
	v_fma_f64 v[111:112], v[111:112], v[129:130], v[123:124]
	ds_load_2addr_b64 v[123:126], v1 offset0:65 offset1:66
	ds_load_2addr_b64 v[127:130], v1 offset0:67 offset1:68
	s_waitcnt lgkmcnt(1)
	v_fma_f64 v[123:124], v[113:114], v[123:124], v[111:112]
	scratch_load_b128 v[111:114], off, off offset:192
	s_waitcnt vmcnt(4)
	v_fma_f64 v[115:116], v[115:116], v[125:126], v[123:124]
	s_waitcnt lgkmcnt(0)
	s_delay_alu instid0(VALU_DEP_1)
	v_fma_f64 v[123:124], v[117:118], v[127:128], v[115:116]
	scratch_load_b128 v[115:118], off, off offset:208
	s_waitcnt vmcnt(4)
	v_fma_f64 v[119:120], v[119:120], v[129:130], v[123:124]
	ds_load_2addr_b64 v[123:126], v1 offset0:69 offset1:70
	ds_load_2addr_b64 v[127:130], v1 offset0:71 offset1:72
	s_waitcnt lgkmcnt(1)
	;; [unrolled: 13-line block ×7, first 2 shown]
	v_fma_f64 v[119:120], v[121:122], v[123:124], v[119:120]
	scratch_load_b64 v[123:124], off, off offset:384
	s_waitcnt vmcnt(4)
	v_fma_f64 v[4:5], v[4:5], v[125:126], v[119:120]
	s_waitcnt lgkmcnt(0)
	s_delay_alu instid0(VALU_DEP_1) | instskip(SKIP_1) | instid1(VALU_DEP_1)
	v_fma_f64 v[4:5], v[6:7], v[127:128], v[4:5]
	s_waitcnt vmcnt(3)
	v_fma_f64 v[9:10], v[9:10], v[129:130], v[4:5]
	ds_load_2addr_b64 v[4:7], v1 offset0:93 offset1:94
	ds_load_2addr_b64 v[119:122], v1 offset0:95 offset1:96
	s_waitcnt lgkmcnt(1)
	v_fma_f64 v[4:5], v[11:12], v[4:5], v[9:10]
	s_waitcnt vmcnt(2)
	s_delay_alu instid0(VALU_DEP_1) | instskip(SKIP_1) | instid1(VALU_DEP_1)
	v_fma_f64 v[4:5], v[111:112], v[6:7], v[4:5]
	s_waitcnt lgkmcnt(0)
	v_fma_f64 v[4:5], v[113:114], v[119:120], v[4:5]
	s_waitcnt vmcnt(1)
	s_delay_alu instid0(VALU_DEP_1) | instskip(SKIP_4) | instid1(VALU_DEP_1)
	v_fma_f64 v[9:10], v[115:116], v[121:122], v[4:5]
	ds_load_2addr_b64 v[4:7], v1 offset0:97 offset1:98
	s_waitcnt lgkmcnt(0)
	v_fma_f64 v[4:5], v[117:118], v[4:5], v[9:10]
	s_waitcnt vmcnt(0)
	v_fma_f64 v[4:5], v[123:124], v[6:7], v[4:5]
	s_delay_alu instid0(VALU_DEP_1)
	v_add_f64 v[1:2], v[2:3], -v[4:5]
	scratch_store_b64 off, v[1:2], off offset:80
	v_cmpx_lt_u32_e32 9, v0
	s_cbranch_execz .LBB48_285
; %bb.284:
	scratch_load_b64 v[1:2], off, off offset:72
	v_mov_b32_e32 v3, 0
	s_delay_alu instid0(VALU_DEP_1)
	v_mov_b32_e32 v4, v3
	scratch_store_b64 off, v[3:4], off offset:72
	s_waitcnt vmcnt(0)
	ds_store_b64 v8, v[1:2]
.LBB48_285:
	s_or_b32 exec_lo, exec_lo, s0
	s_waitcnt lgkmcnt(0)
	s_waitcnt_vscnt null, 0x0
	s_barrier
	buffer_gl0_inv
	s_clause 0x4
	scratch_load_b128 v[2:5], off, off offset:72
	scratch_load_b128 v[9:12], off, off offset:88
	;; [unrolled: 1-line block ×5, first 2 shown]
	v_mov_b32_e32 v1, 0
	ds_load_b128 v[123:126], v1 offset:480
	ds_load_b128 v[127:130], v1 offset:496
	s_mov_b32 s0, exec_lo
	s_waitcnt vmcnt(4) lgkmcnt(1)
	v_fma_f64 v[123:124], v[4:5], v[123:124], 0
	scratch_load_b128 v[4:7], off, off offset:152
	s_waitcnt vmcnt(4)
	v_fma_f64 v[9:10], v[9:10], v[125:126], v[123:124]
	s_waitcnt lgkmcnt(0)
	s_delay_alu instid0(VALU_DEP_1)
	v_fma_f64 v[123:124], v[11:12], v[127:128], v[9:10]
	scratch_load_b128 v[9:12], off, off offset:168
	s_waitcnt vmcnt(4)
	v_fma_f64 v[111:112], v[111:112], v[129:130], v[123:124]
	ds_load_b128 v[123:126], v1 offset:512
	ds_load_b128 v[127:130], v1 offset:528
	s_waitcnt lgkmcnt(1)
	v_fma_f64 v[123:124], v[113:114], v[123:124], v[111:112]
	scratch_load_b128 v[111:114], off, off offset:184
	s_waitcnt vmcnt(4)
	v_fma_f64 v[115:116], v[115:116], v[125:126], v[123:124]
	s_waitcnt lgkmcnt(0)
	s_delay_alu instid0(VALU_DEP_1)
	v_fma_f64 v[123:124], v[117:118], v[127:128], v[115:116]
	scratch_load_b128 v[115:118], off, off offset:200
	s_waitcnt vmcnt(4)
	v_fma_f64 v[119:120], v[119:120], v[129:130], v[123:124]
	ds_load_b128 v[123:126], v1 offset:544
	ds_load_b128 v[127:130], v1 offset:560
	s_waitcnt lgkmcnt(1)
	;; [unrolled: 13-line block ×7, first 2 shown]
	v_fma_f64 v[123:124], v[121:122], v[123:124], v[119:120]
	scratch_load_b128 v[119:122], off, off offset:376
	s_waitcnt vmcnt(4)
	v_fma_f64 v[4:5], v[4:5], v[125:126], v[123:124]
	s_waitcnt lgkmcnt(0)
	s_delay_alu instid0(VALU_DEP_1) | instskip(SKIP_1) | instid1(VALU_DEP_1)
	v_fma_f64 v[4:5], v[6:7], v[127:128], v[4:5]
	s_waitcnt vmcnt(3)
	v_fma_f64 v[9:10], v[9:10], v[129:130], v[4:5]
	ds_load_b128 v[4:7], v1 offset:736
	ds_load_b128 v[123:126], v1 offset:752
	s_waitcnt lgkmcnt(1)
	v_fma_f64 v[4:5], v[11:12], v[4:5], v[9:10]
	s_waitcnt vmcnt(2)
	s_delay_alu instid0(VALU_DEP_1) | instskip(SKIP_1) | instid1(VALU_DEP_1)
	v_fma_f64 v[4:5], v[111:112], v[6:7], v[4:5]
	s_waitcnt lgkmcnt(0)
	v_fma_f64 v[4:5], v[113:114], v[123:124], v[4:5]
	s_waitcnt vmcnt(1)
	s_delay_alu instid0(VALU_DEP_1)
	v_fma_f64 v[9:10], v[115:116], v[125:126], v[4:5]
	ds_load_b128 v[4:7], v1 offset:768
	ds_load_b64 v[11:12], v1 offset:784
	s_waitcnt lgkmcnt(1)
	v_fma_f64 v[4:5], v[117:118], v[4:5], v[9:10]
	s_waitcnt vmcnt(0)
	s_delay_alu instid0(VALU_DEP_1) | instskip(SKIP_1) | instid1(VALU_DEP_1)
	v_fma_f64 v[4:5], v[119:120], v[6:7], v[4:5]
	s_waitcnt lgkmcnt(0)
	v_fma_f64 v[4:5], v[121:122], v[11:12], v[4:5]
	s_delay_alu instid0(VALU_DEP_1)
	v_add_f64 v[2:3], v[2:3], -v[4:5]
	scratch_store_b64 off, v[2:3], off offset:72
	v_cmpx_lt_u32_e32 8, v0
	s_cbranch_execz .LBB48_287
; %bb.286:
	scratch_load_b64 v[3:4], off, off offset:64
	v_mov_b32_e32 v2, v1
	scratch_store_b64 off, v[1:2], off offset:64
	s_waitcnt vmcnt(0)
	ds_store_b64 v8, v[3:4]
.LBB48_287:
	s_or_b32 exec_lo, exec_lo, s0
	s_waitcnt lgkmcnt(0)
	s_waitcnt_vscnt null, 0x0
	s_barrier
	buffer_gl0_inv
	s_clause 0x4
	scratch_load_b128 v[2:5], off, off offset:64
	scratch_load_b128 v[9:12], off, off offset:80
	;; [unrolled: 1-line block ×5, first 2 shown]
	ds_load_2addr_b64 v[123:126], v1 offset0:59 offset1:60
	ds_load_2addr_b64 v[127:130], v1 offset0:61 offset1:62
	s_mov_b32 s0, exec_lo
	s_waitcnt vmcnt(4) lgkmcnt(1)
	v_fma_f64 v[123:124], v[4:5], v[123:124], 0
	scratch_load_b128 v[4:7], off, off offset:144
	s_waitcnt vmcnt(4)
	v_fma_f64 v[9:10], v[9:10], v[125:126], v[123:124]
	s_waitcnt lgkmcnt(0)
	s_delay_alu instid0(VALU_DEP_1)
	v_fma_f64 v[123:124], v[11:12], v[127:128], v[9:10]
	scratch_load_b128 v[9:12], off, off offset:160
	s_waitcnt vmcnt(4)
	v_fma_f64 v[111:112], v[111:112], v[129:130], v[123:124]
	ds_load_2addr_b64 v[123:126], v1 offset0:63 offset1:64
	ds_load_2addr_b64 v[127:130], v1 offset0:65 offset1:66
	s_waitcnt lgkmcnt(1)
	v_fma_f64 v[123:124], v[113:114], v[123:124], v[111:112]
	scratch_load_b128 v[111:114], off, off offset:176
	s_waitcnt vmcnt(4)
	v_fma_f64 v[115:116], v[115:116], v[125:126], v[123:124]
	s_waitcnt lgkmcnt(0)
	s_delay_alu instid0(VALU_DEP_1)
	v_fma_f64 v[123:124], v[117:118], v[127:128], v[115:116]
	scratch_load_b128 v[115:118], off, off offset:192
	s_waitcnt vmcnt(4)
	v_fma_f64 v[119:120], v[119:120], v[129:130], v[123:124]
	ds_load_2addr_b64 v[123:126], v1 offset0:67 offset1:68
	ds_load_2addr_b64 v[127:130], v1 offset0:69 offset1:70
	s_waitcnt lgkmcnt(1)
	;; [unrolled: 13-line block ×7, first 2 shown]
	v_fma_f64 v[123:124], v[121:122], v[123:124], v[119:120]
	scratch_load_b128 v[119:122], off, off offset:368
	s_waitcnt vmcnt(4)
	v_fma_f64 v[4:5], v[4:5], v[125:126], v[123:124]
	s_waitcnt lgkmcnt(0)
	s_delay_alu instid0(VALU_DEP_1)
	v_fma_f64 v[4:5], v[6:7], v[127:128], v[4:5]
	scratch_load_b64 v[127:128], off, off offset:384
	s_waitcnt vmcnt(4)
	v_fma_f64 v[9:10], v[9:10], v[129:130], v[4:5]
	ds_load_2addr_b64 v[4:7], v1 offset0:91 offset1:92
	ds_load_2addr_b64 v[123:126], v1 offset0:93 offset1:94
	s_waitcnt lgkmcnt(1)
	v_fma_f64 v[4:5], v[11:12], v[4:5], v[9:10]
	s_waitcnt vmcnt(3)
	s_delay_alu instid0(VALU_DEP_1) | instskip(SKIP_1) | instid1(VALU_DEP_1)
	v_fma_f64 v[4:5], v[111:112], v[6:7], v[4:5]
	s_waitcnt lgkmcnt(0)
	v_fma_f64 v[4:5], v[113:114], v[123:124], v[4:5]
	s_waitcnt vmcnt(2)
	s_delay_alu instid0(VALU_DEP_1)
	v_fma_f64 v[111:112], v[115:116], v[125:126], v[4:5]
	ds_load_2addr_b64 v[4:7], v1 offset0:95 offset1:96
	ds_load_2addr_b64 v[9:12], v1 offset0:97 offset1:98
	s_waitcnt lgkmcnt(1)
	v_fma_f64 v[4:5], v[117:118], v[4:5], v[111:112]
	s_waitcnt vmcnt(1)
	s_delay_alu instid0(VALU_DEP_1) | instskip(SKIP_1) | instid1(VALU_DEP_1)
	v_fma_f64 v[4:5], v[119:120], v[6:7], v[4:5]
	s_waitcnt lgkmcnt(0)
	v_fma_f64 v[4:5], v[121:122], v[9:10], v[4:5]
	s_waitcnt vmcnt(0)
	s_delay_alu instid0(VALU_DEP_1) | instskip(NEXT) | instid1(VALU_DEP_1)
	v_fma_f64 v[4:5], v[127:128], v[11:12], v[4:5]
	v_add_f64 v[1:2], v[2:3], -v[4:5]
	scratch_store_b64 off, v[1:2], off offset:64
	v_cmpx_lt_u32_e32 7, v0
	s_cbranch_execz .LBB48_289
; %bb.288:
	scratch_load_b64 v[1:2], off, off offset:56
	v_mov_b32_e32 v3, 0
	s_delay_alu instid0(VALU_DEP_1)
	v_mov_b32_e32 v4, v3
	scratch_store_b64 off, v[3:4], off offset:56
	s_waitcnt vmcnt(0)
	ds_store_b64 v8, v[1:2]
.LBB48_289:
	s_or_b32 exec_lo, exec_lo, s0
	s_waitcnt lgkmcnt(0)
	s_waitcnt_vscnt null, 0x0
	s_barrier
	buffer_gl0_inv
	s_clause 0x4
	scratch_load_b128 v[2:5], off, off offset:56
	scratch_load_b128 v[9:12], off, off offset:72
	;; [unrolled: 1-line block ×5, first 2 shown]
	v_mov_b32_e32 v1, 0
	ds_load_b128 v[123:126], v1 offset:464
	ds_load_b128 v[127:130], v1 offset:480
	s_mov_b32 s0, exec_lo
	s_waitcnt vmcnt(4) lgkmcnt(1)
	v_fma_f64 v[123:124], v[4:5], v[123:124], 0
	scratch_load_b128 v[4:7], off, off offset:136
	s_waitcnt vmcnt(4)
	v_fma_f64 v[9:10], v[9:10], v[125:126], v[123:124]
	s_waitcnt lgkmcnt(0)
	s_delay_alu instid0(VALU_DEP_1)
	v_fma_f64 v[123:124], v[11:12], v[127:128], v[9:10]
	scratch_load_b128 v[9:12], off, off offset:152
	s_waitcnt vmcnt(4)
	v_fma_f64 v[111:112], v[111:112], v[129:130], v[123:124]
	ds_load_b128 v[123:126], v1 offset:496
	ds_load_b128 v[127:130], v1 offset:512
	s_waitcnt lgkmcnt(1)
	v_fma_f64 v[123:124], v[113:114], v[123:124], v[111:112]
	scratch_load_b128 v[111:114], off, off offset:168
	s_waitcnt vmcnt(4)
	v_fma_f64 v[115:116], v[115:116], v[125:126], v[123:124]
	s_waitcnt lgkmcnt(0)
	s_delay_alu instid0(VALU_DEP_1)
	v_fma_f64 v[123:124], v[117:118], v[127:128], v[115:116]
	scratch_load_b128 v[115:118], off, off offset:184
	s_waitcnt vmcnt(4)
	v_fma_f64 v[119:120], v[119:120], v[129:130], v[123:124]
	ds_load_b128 v[123:126], v1 offset:528
	ds_load_b128 v[127:130], v1 offset:544
	s_waitcnt lgkmcnt(1)
	;; [unrolled: 13-line block ×8, first 2 shown]
	v_fma_f64 v[9:10], v[11:12], v[123:124], v[9:10]
	s_waitcnt vmcnt(3)
	s_delay_alu instid0(VALU_DEP_1) | instskip(SKIP_1) | instid1(VALU_DEP_1)
	v_fma_f64 v[9:10], v[111:112], v[125:126], v[9:10]
	s_waitcnt lgkmcnt(0)
	v_fma_f64 v[9:10], v[113:114], v[127:128], v[9:10]
	s_waitcnt vmcnt(2)
	s_delay_alu instid0(VALU_DEP_1)
	v_fma_f64 v[115:116], v[115:116], v[129:130], v[9:10]
	ds_load_b128 v[9:12], v1 offset:752
	ds_load_b128 v[111:114], v1 offset:768
	s_waitcnt lgkmcnt(1)
	v_fma_f64 v[9:10], v[117:118], v[9:10], v[115:116]
	s_waitcnt vmcnt(1)
	s_delay_alu instid0(VALU_DEP_1) | instskip(SKIP_1) | instid1(VALU_DEP_1)
	v_fma_f64 v[9:10], v[119:120], v[11:12], v[9:10]
	s_waitcnt lgkmcnt(0)
	v_fma_f64 v[9:10], v[121:122], v[111:112], v[9:10]
	s_waitcnt vmcnt(0)
	s_delay_alu instid0(VALU_DEP_1) | instskip(SKIP_3) | instid1(VALU_DEP_1)
	v_fma_f64 v[4:5], v[4:5], v[113:114], v[9:10]
	ds_load_b64 v[9:10], v1 offset:784
	s_waitcnt lgkmcnt(0)
	v_fma_f64 v[4:5], v[6:7], v[9:10], v[4:5]
	v_add_f64 v[2:3], v[2:3], -v[4:5]
	scratch_store_b64 off, v[2:3], off offset:56
	v_cmpx_lt_u32_e32 6, v0
	s_cbranch_execz .LBB48_291
; %bb.290:
	scratch_load_b64 v[3:4], off, off offset:48
	v_mov_b32_e32 v2, v1
	scratch_store_b64 off, v[1:2], off offset:48
	s_waitcnt vmcnt(0)
	ds_store_b64 v8, v[3:4]
.LBB48_291:
	s_or_b32 exec_lo, exec_lo, s0
	s_waitcnt lgkmcnt(0)
	s_waitcnt_vscnt null, 0x0
	s_barrier
	buffer_gl0_inv
	s_clause 0x4
	scratch_load_b128 v[2:5], off, off offset:48
	scratch_load_b128 v[9:12], off, off offset:64
	;; [unrolled: 1-line block ×5, first 2 shown]
	ds_load_2addr_b64 v[123:126], v1 offset0:57 offset1:58
	ds_load_2addr_b64 v[127:130], v1 offset0:59 offset1:60
	s_mov_b32 s0, exec_lo
	s_waitcnt vmcnt(4) lgkmcnt(1)
	v_fma_f64 v[123:124], v[4:5], v[123:124], 0
	scratch_load_b128 v[4:7], off, off offset:128
	s_waitcnt vmcnt(4)
	v_fma_f64 v[9:10], v[9:10], v[125:126], v[123:124]
	s_waitcnt lgkmcnt(0)
	s_delay_alu instid0(VALU_DEP_1)
	v_fma_f64 v[123:124], v[11:12], v[127:128], v[9:10]
	scratch_load_b128 v[9:12], off, off offset:144
	s_waitcnt vmcnt(4)
	v_fma_f64 v[111:112], v[111:112], v[129:130], v[123:124]
	ds_load_2addr_b64 v[123:126], v1 offset0:61 offset1:62
	ds_load_2addr_b64 v[127:130], v1 offset0:63 offset1:64
	s_waitcnt lgkmcnt(1)
	v_fma_f64 v[123:124], v[113:114], v[123:124], v[111:112]
	scratch_load_b128 v[111:114], off, off offset:160
	s_waitcnt vmcnt(4)
	v_fma_f64 v[115:116], v[115:116], v[125:126], v[123:124]
	s_waitcnt lgkmcnt(0)
	s_delay_alu instid0(VALU_DEP_1)
	v_fma_f64 v[123:124], v[117:118], v[127:128], v[115:116]
	scratch_load_b128 v[115:118], off, off offset:176
	s_waitcnt vmcnt(4)
	v_fma_f64 v[119:120], v[119:120], v[129:130], v[123:124]
	ds_load_2addr_b64 v[123:126], v1 offset0:65 offset1:66
	ds_load_2addr_b64 v[127:130], v1 offset0:67 offset1:68
	s_waitcnt lgkmcnt(1)
	;; [unrolled: 13-line block ×8, first 2 shown]
	v_fma_f64 v[9:10], v[11:12], v[123:124], v[9:10]
	scratch_load_b64 v[123:124], off, off offset:384
	s_waitcnt vmcnt(4)
	v_fma_f64 v[9:10], v[111:112], v[125:126], v[9:10]
	s_waitcnt lgkmcnt(0)
	s_delay_alu instid0(VALU_DEP_1) | instskip(SKIP_1) | instid1(VALU_DEP_1)
	v_fma_f64 v[9:10], v[113:114], v[127:128], v[9:10]
	s_waitcnt vmcnt(3)
	v_fma_f64 v[115:116], v[115:116], v[129:130], v[9:10]
	ds_load_2addr_b64 v[9:12], v1 offset0:93 offset1:94
	ds_load_2addr_b64 v[111:114], v1 offset0:95 offset1:96
	s_waitcnt lgkmcnt(1)
	v_fma_f64 v[9:10], v[117:118], v[9:10], v[115:116]
	s_waitcnt vmcnt(2)
	s_delay_alu instid0(VALU_DEP_1) | instskip(SKIP_1) | instid1(VALU_DEP_1)
	v_fma_f64 v[9:10], v[119:120], v[11:12], v[9:10]
	s_waitcnt lgkmcnt(0)
	v_fma_f64 v[9:10], v[121:122], v[111:112], v[9:10]
	s_waitcnt vmcnt(1)
	s_delay_alu instid0(VALU_DEP_1) | instskip(SKIP_4) | instid1(VALU_DEP_1)
	v_fma_f64 v[4:5], v[4:5], v[113:114], v[9:10]
	ds_load_2addr_b64 v[9:12], v1 offset0:97 offset1:98
	s_waitcnt lgkmcnt(0)
	v_fma_f64 v[4:5], v[6:7], v[9:10], v[4:5]
	s_waitcnt vmcnt(0)
	v_fma_f64 v[4:5], v[123:124], v[11:12], v[4:5]
	s_delay_alu instid0(VALU_DEP_1)
	v_add_f64 v[1:2], v[2:3], -v[4:5]
	scratch_store_b64 off, v[1:2], off offset:48
	v_cmpx_lt_u32_e32 5, v0
	s_cbranch_execz .LBB48_293
; %bb.292:
	scratch_load_b64 v[1:2], off, off offset:40
	v_mov_b32_e32 v3, 0
	s_delay_alu instid0(VALU_DEP_1)
	v_mov_b32_e32 v4, v3
	scratch_store_b64 off, v[3:4], off offset:40
	s_waitcnt vmcnt(0)
	ds_store_b64 v8, v[1:2]
.LBB48_293:
	s_or_b32 exec_lo, exec_lo, s0
	s_waitcnt lgkmcnt(0)
	s_waitcnt_vscnt null, 0x0
	s_barrier
	buffer_gl0_inv
	s_clause 0x4
	scratch_load_b128 v[2:5], off, off offset:40
	scratch_load_b128 v[9:12], off, off offset:56
	;; [unrolled: 1-line block ×5, first 2 shown]
	v_mov_b32_e32 v1, 0
	ds_load_b128 v[123:126], v1 offset:448
	ds_load_b128 v[127:130], v1 offset:464
	s_mov_b32 s0, exec_lo
	s_waitcnt vmcnt(4) lgkmcnt(1)
	v_fma_f64 v[123:124], v[4:5], v[123:124], 0
	scratch_load_b128 v[4:7], off, off offset:120
	s_waitcnt vmcnt(4)
	v_fma_f64 v[9:10], v[9:10], v[125:126], v[123:124]
	s_waitcnt lgkmcnt(0)
	s_delay_alu instid0(VALU_DEP_1)
	v_fma_f64 v[123:124], v[11:12], v[127:128], v[9:10]
	scratch_load_b128 v[9:12], off, off offset:136
	s_waitcnt vmcnt(4)
	v_fma_f64 v[111:112], v[111:112], v[129:130], v[123:124]
	ds_load_b128 v[123:126], v1 offset:480
	ds_load_b128 v[127:130], v1 offset:496
	s_waitcnt lgkmcnt(1)
	v_fma_f64 v[123:124], v[113:114], v[123:124], v[111:112]
	scratch_load_b128 v[111:114], off, off offset:152
	s_waitcnt vmcnt(4)
	v_fma_f64 v[115:116], v[115:116], v[125:126], v[123:124]
	s_waitcnt lgkmcnt(0)
	s_delay_alu instid0(VALU_DEP_1)
	v_fma_f64 v[123:124], v[117:118], v[127:128], v[115:116]
	scratch_load_b128 v[115:118], off, off offset:168
	s_waitcnt vmcnt(4)
	v_fma_f64 v[119:120], v[119:120], v[129:130], v[123:124]
	ds_load_b128 v[123:126], v1 offset:512
	ds_load_b128 v[127:130], v1 offset:528
	s_waitcnt lgkmcnt(1)
	;; [unrolled: 13-line block ×8, first 2 shown]
	v_fma_f64 v[123:124], v[11:12], v[123:124], v[9:10]
	scratch_load_b128 v[9:12], off, off offset:376
	s_waitcnt vmcnt(4)
	v_fma_f64 v[111:112], v[111:112], v[125:126], v[123:124]
	s_waitcnt lgkmcnt(0)
	s_delay_alu instid0(VALU_DEP_1) | instskip(SKIP_1) | instid1(VALU_DEP_1)
	v_fma_f64 v[111:112], v[113:114], v[127:128], v[111:112]
	s_waitcnt vmcnt(3)
	v_fma_f64 v[115:116], v[115:116], v[129:130], v[111:112]
	ds_load_b128 v[111:114], v1 offset:736
	ds_load_b128 v[123:126], v1 offset:752
	s_waitcnt lgkmcnt(1)
	v_fma_f64 v[111:112], v[117:118], v[111:112], v[115:116]
	s_waitcnt vmcnt(2)
	s_delay_alu instid0(VALU_DEP_1) | instskip(SKIP_1) | instid1(VALU_DEP_1)
	v_fma_f64 v[111:112], v[119:120], v[113:114], v[111:112]
	s_waitcnt lgkmcnt(0)
	v_fma_f64 v[111:112], v[121:122], v[123:124], v[111:112]
	s_waitcnt vmcnt(1)
	s_delay_alu instid0(VALU_DEP_1)
	v_fma_f64 v[4:5], v[4:5], v[125:126], v[111:112]
	ds_load_b128 v[111:114], v1 offset:768
	ds_load_b64 v[115:116], v1 offset:784
	s_waitcnt lgkmcnt(1)
	v_fma_f64 v[4:5], v[6:7], v[111:112], v[4:5]
	s_waitcnt vmcnt(0)
	s_delay_alu instid0(VALU_DEP_1) | instskip(SKIP_1) | instid1(VALU_DEP_1)
	v_fma_f64 v[4:5], v[9:10], v[113:114], v[4:5]
	s_waitcnt lgkmcnt(0)
	v_fma_f64 v[4:5], v[11:12], v[115:116], v[4:5]
	s_delay_alu instid0(VALU_DEP_1)
	v_add_f64 v[2:3], v[2:3], -v[4:5]
	scratch_store_b64 off, v[2:3], off offset:40
	v_cmpx_lt_u32_e32 4, v0
	s_cbranch_execz .LBB48_295
; %bb.294:
	scratch_load_b64 v[3:4], off, off offset:32
	v_mov_b32_e32 v2, v1
	scratch_store_b64 off, v[1:2], off offset:32
	s_waitcnt vmcnt(0)
	ds_store_b64 v8, v[3:4]
.LBB48_295:
	s_or_b32 exec_lo, exec_lo, s0
	s_waitcnt lgkmcnt(0)
	s_waitcnt_vscnt null, 0x0
	s_barrier
	buffer_gl0_inv
	s_clause 0x4
	scratch_load_b128 v[2:5], off, off offset:32
	scratch_load_b128 v[9:12], off, off offset:48
	;; [unrolled: 1-line block ×5, first 2 shown]
	ds_load_2addr_b64 v[123:126], v1 offset0:55 offset1:56
	ds_load_2addr_b64 v[127:130], v1 offset0:57 offset1:58
	s_mov_b32 s0, exec_lo
	s_waitcnt vmcnt(4) lgkmcnt(1)
	v_fma_f64 v[123:124], v[4:5], v[123:124], 0
	scratch_load_b128 v[4:7], off, off offset:112
	s_waitcnt vmcnt(4)
	v_fma_f64 v[9:10], v[9:10], v[125:126], v[123:124]
	s_waitcnt lgkmcnt(0)
	s_delay_alu instid0(VALU_DEP_1)
	v_fma_f64 v[123:124], v[11:12], v[127:128], v[9:10]
	scratch_load_b128 v[9:12], off, off offset:128
	s_waitcnt vmcnt(4)
	v_fma_f64 v[111:112], v[111:112], v[129:130], v[123:124]
	ds_load_2addr_b64 v[123:126], v1 offset0:59 offset1:60
	ds_load_2addr_b64 v[127:130], v1 offset0:61 offset1:62
	s_waitcnt lgkmcnt(1)
	v_fma_f64 v[123:124], v[113:114], v[123:124], v[111:112]
	scratch_load_b128 v[111:114], off, off offset:144
	s_waitcnt vmcnt(4)
	v_fma_f64 v[115:116], v[115:116], v[125:126], v[123:124]
	s_waitcnt lgkmcnt(0)
	s_delay_alu instid0(VALU_DEP_1)
	v_fma_f64 v[123:124], v[117:118], v[127:128], v[115:116]
	scratch_load_b128 v[115:118], off, off offset:160
	s_waitcnt vmcnt(4)
	v_fma_f64 v[119:120], v[119:120], v[129:130], v[123:124]
	ds_load_2addr_b64 v[123:126], v1 offset0:63 offset1:64
	ds_load_2addr_b64 v[127:130], v1 offset0:65 offset1:66
	s_waitcnt lgkmcnt(1)
	;; [unrolled: 13-line block ×8, first 2 shown]
	v_fma_f64 v[123:124], v[11:12], v[123:124], v[9:10]
	scratch_load_b128 v[9:12], off, off offset:368
	s_waitcnt vmcnt(4)
	v_fma_f64 v[111:112], v[111:112], v[125:126], v[123:124]
	s_waitcnt lgkmcnt(0)
	s_delay_alu instid0(VALU_DEP_1)
	v_fma_f64 v[111:112], v[113:114], v[127:128], v[111:112]
	scratch_load_b64 v[127:128], off, off offset:384
	s_waitcnt vmcnt(4)
	v_fma_f64 v[115:116], v[115:116], v[129:130], v[111:112]
	ds_load_2addr_b64 v[111:114], v1 offset0:91 offset1:92
	ds_load_2addr_b64 v[123:126], v1 offset0:93 offset1:94
	s_waitcnt lgkmcnt(1)
	v_fma_f64 v[111:112], v[117:118], v[111:112], v[115:116]
	s_waitcnt vmcnt(3)
	s_delay_alu instid0(VALU_DEP_1) | instskip(SKIP_1) | instid1(VALU_DEP_1)
	v_fma_f64 v[111:112], v[119:120], v[113:114], v[111:112]
	s_waitcnt lgkmcnt(0)
	v_fma_f64 v[111:112], v[121:122], v[123:124], v[111:112]
	s_waitcnt vmcnt(2)
	s_delay_alu instid0(VALU_DEP_1)
	v_fma_f64 v[4:5], v[4:5], v[125:126], v[111:112]
	ds_load_2addr_b64 v[111:114], v1 offset0:95 offset1:96
	ds_load_2addr_b64 v[115:118], v1 offset0:97 offset1:98
	s_waitcnt lgkmcnt(1)
	v_fma_f64 v[4:5], v[6:7], v[111:112], v[4:5]
	s_waitcnt vmcnt(1)
	s_delay_alu instid0(VALU_DEP_1) | instskip(SKIP_1) | instid1(VALU_DEP_1)
	v_fma_f64 v[4:5], v[9:10], v[113:114], v[4:5]
	s_waitcnt lgkmcnt(0)
	v_fma_f64 v[4:5], v[11:12], v[115:116], v[4:5]
	s_waitcnt vmcnt(0)
	s_delay_alu instid0(VALU_DEP_1) | instskip(NEXT) | instid1(VALU_DEP_1)
	v_fma_f64 v[4:5], v[127:128], v[117:118], v[4:5]
	v_add_f64 v[1:2], v[2:3], -v[4:5]
	scratch_store_b64 off, v[1:2], off offset:32
	v_cmpx_lt_u32_e32 3, v0
	s_cbranch_execz .LBB48_297
; %bb.296:
	scratch_load_b64 v[1:2], off, off offset:24
	v_mov_b32_e32 v3, 0
	s_delay_alu instid0(VALU_DEP_1)
	v_mov_b32_e32 v4, v3
	scratch_store_b64 off, v[3:4], off offset:24
	s_waitcnt vmcnt(0)
	ds_store_b64 v8, v[1:2]
.LBB48_297:
	s_or_b32 exec_lo, exec_lo, s0
	s_waitcnt lgkmcnt(0)
	s_waitcnt_vscnt null, 0x0
	s_barrier
	buffer_gl0_inv
	s_clause 0x4
	scratch_load_b128 v[1:4], off, off offset:24
	scratch_load_b128 v[9:12], off, off offset:40
	;; [unrolled: 1-line block ×5, first 2 shown]
	v_mov_b32_e32 v5, 0
	ds_load_b128 v[123:126], v5 offset:432
	ds_load_b128 v[127:130], v5 offset:448
	scratch_load_b128 v[131:134], off, off offset:104
	s_mov_b32 s0, exec_lo
	s_waitcnt vmcnt(5) lgkmcnt(1)
	v_fma_f64 v[3:4], v[3:4], v[123:124], 0
	s_waitcnt vmcnt(4)
	s_delay_alu instid0(VALU_DEP_1) | instskip(SKIP_1) | instid1(VALU_DEP_1)
	v_fma_f64 v[3:4], v[9:10], v[125:126], v[3:4]
	s_waitcnt lgkmcnt(0)
	v_fma_f64 v[3:4], v[11:12], v[127:128], v[3:4]
	scratch_load_b128 v[9:12], off, off offset:120
	s_waitcnt vmcnt(4)
	v_fma_f64 v[3:4], v[111:112], v[129:130], v[3:4]
	ds_load_b128 v[123:126], v5 offset:464
	ds_load_b128 v[127:130], v5 offset:480
	s_waitcnt lgkmcnt(1)
	v_fma_f64 v[3:4], v[113:114], v[123:124], v[3:4]
	scratch_load_b128 v[111:114], off, off offset:136
	s_waitcnt vmcnt(4)
	v_fma_f64 v[3:4], v[115:116], v[125:126], v[3:4]
	s_waitcnt lgkmcnt(0)
	s_delay_alu instid0(VALU_DEP_1)
	v_fma_f64 v[3:4], v[117:118], v[127:128], v[3:4]
	scratch_load_b128 v[115:118], off, off offset:152
	s_waitcnt vmcnt(4)
	v_fma_f64 v[3:4], v[119:120], v[129:130], v[3:4]
	ds_load_b128 v[123:126], v5 offset:496
	ds_load_b128 v[127:130], v5 offset:512
	s_waitcnt lgkmcnt(1)
	v_fma_f64 v[3:4], v[121:122], v[123:124], v[3:4]
	scratch_load_b128 v[119:122], off, off offset:168
	s_waitcnt vmcnt(4)
	v_fma_f64 v[3:4], v[131:132], v[125:126], v[3:4]
	scratch_load_b128 v[123:126], off, off offset:184
	s_waitcnt lgkmcnt(0)
	v_fma_f64 v[3:4], v[133:134], v[127:128], v[3:4]
	s_waitcnt vmcnt(4)
	s_delay_alu instid0(VALU_DEP_1)
	v_fma_f64 v[3:4], v[9:10], v[129:130], v[3:4]
	ds_load_b128 v[127:130], v5 offset:528
	ds_load_b128 v[131:134], v5 offset:544
	s_waitcnt lgkmcnt(1)
	v_fma_f64 v[3:4], v[11:12], v[127:128], v[3:4]
	scratch_load_b128 v[9:12], off, off offset:200
	s_waitcnt vmcnt(4)
	v_fma_f64 v[3:4], v[111:112], v[129:130], v[3:4]
	s_waitcnt lgkmcnt(0)
	s_delay_alu instid0(VALU_DEP_1)
	v_fma_f64 v[3:4], v[113:114], v[131:132], v[3:4]
	scratch_load_b128 v[111:114], off, off offset:216
	s_waitcnt vmcnt(4)
	v_fma_f64 v[3:4], v[115:116], v[133:134], v[3:4]
	ds_load_b128 v[127:130], v5 offset:560
	ds_load_b128 v[131:134], v5 offset:576
	s_waitcnt lgkmcnt(1)
	v_fma_f64 v[3:4], v[117:118], v[127:128], v[3:4]
	scratch_load_b128 v[115:118], off, off offset:232
	s_waitcnt vmcnt(4)
	v_fma_f64 v[3:4], v[119:120], v[129:130], v[3:4]
	s_waitcnt lgkmcnt(0)
	s_delay_alu instid0(VALU_DEP_1)
	v_fma_f64 v[3:4], v[121:122], v[131:132], v[3:4]
	scratch_load_b128 v[119:122], off, off offset:248
	s_waitcnt vmcnt(4)
	;; [unrolled: 13-line block ×6, first 2 shown]
	v_fma_f64 v[3:4], v[115:116], v[133:134], v[3:4]
	ds_load_b128 v[127:130], v5 offset:720
	ds_load_b128 v[131:134], v5 offset:736
	s_waitcnt lgkmcnt(1)
	v_fma_f64 v[3:4], v[117:118], v[127:128], v[3:4]
	s_waitcnt vmcnt(3)
	s_delay_alu instid0(VALU_DEP_1) | instskip(SKIP_1) | instid1(VALU_DEP_1)
	v_fma_f64 v[3:4], v[119:120], v[129:130], v[3:4]
	s_waitcnt lgkmcnt(0)
	v_fma_f64 v[3:4], v[121:122], v[131:132], v[3:4]
	ds_load_b128 v[115:118], v5 offset:752
	ds_load_b128 v[119:122], v5 offset:768
	ds_load_b64 v[6:7], v5 offset:784
	s_waitcnt vmcnt(2)
	v_fma_f64 v[3:4], v[123:124], v[133:134], v[3:4]
	s_waitcnt lgkmcnt(2)
	s_delay_alu instid0(VALU_DEP_1) | instskip(SKIP_1) | instid1(VALU_DEP_1)
	v_fma_f64 v[3:4], v[125:126], v[115:116], v[3:4]
	s_waitcnt vmcnt(1)
	v_fma_f64 v[3:4], v[9:10], v[117:118], v[3:4]
	s_waitcnt lgkmcnt(1)
	s_delay_alu instid0(VALU_DEP_1) | instskip(SKIP_1) | instid1(VALU_DEP_1)
	v_fma_f64 v[3:4], v[11:12], v[119:120], v[3:4]
	s_waitcnt vmcnt(0)
	v_fma_f64 v[3:4], v[111:112], v[121:122], v[3:4]
	s_waitcnt lgkmcnt(0)
	s_delay_alu instid0(VALU_DEP_1) | instskip(NEXT) | instid1(VALU_DEP_1)
	v_fma_f64 v[3:4], v[113:114], v[6:7], v[3:4]
	v_add_f64 v[1:2], v[1:2], -v[3:4]
	scratch_store_b64 off, v[1:2], off offset:24
	v_cmpx_lt_u32_e32 2, v0
	s_cbranch_execz .LBB48_299
; %bb.298:
	scratch_load_b64 v[1:2], off, off offset:16
	v_mov_b32_e32 v6, v5
	scratch_store_b64 off, v[5:6], off offset:16
	s_waitcnt vmcnt(0)
	ds_store_b64 v8, v[1:2]
.LBB48_299:
	s_or_b32 exec_lo, exec_lo, s0
	s_waitcnt lgkmcnt(0)
	s_waitcnt_vscnt null, 0x0
	s_barrier
	buffer_gl0_inv
	s_clause 0x4
	scratch_load_b128 v[1:4], off, off offset:16
	scratch_load_b128 v[9:12], off, off offset:32
	;; [unrolled: 1-line block ×5, first 2 shown]
	ds_load_2addr_b64 v[123:126], v5 offset0:53 offset1:54
	ds_load_2addr_b64 v[127:130], v5 offset0:55 offset1:56
	scratch_load_b128 v[131:134], off, off offset:96
	s_mov_b32 s0, exec_lo
	s_waitcnt vmcnt(5) lgkmcnt(1)
	v_fma_f64 v[3:4], v[3:4], v[123:124], 0
	s_waitcnt vmcnt(4)
	s_delay_alu instid0(VALU_DEP_1) | instskip(SKIP_1) | instid1(VALU_DEP_1)
	v_fma_f64 v[3:4], v[9:10], v[125:126], v[3:4]
	s_waitcnt lgkmcnt(0)
	v_fma_f64 v[3:4], v[11:12], v[127:128], v[3:4]
	scratch_load_b128 v[9:12], off, off offset:112
	s_waitcnt vmcnt(4)
	v_fma_f64 v[3:4], v[111:112], v[129:130], v[3:4]
	ds_load_2addr_b64 v[123:126], v5 offset0:57 offset1:58
	ds_load_2addr_b64 v[127:130], v5 offset0:59 offset1:60
	s_waitcnt lgkmcnt(1)
	v_fma_f64 v[3:4], v[113:114], v[123:124], v[3:4]
	scratch_load_b128 v[111:114], off, off offset:128
	s_waitcnt vmcnt(4)
	v_fma_f64 v[3:4], v[115:116], v[125:126], v[3:4]
	s_waitcnt lgkmcnt(0)
	s_delay_alu instid0(VALU_DEP_1)
	v_fma_f64 v[3:4], v[117:118], v[127:128], v[3:4]
	scratch_load_b128 v[115:118], off, off offset:144
	s_waitcnt vmcnt(4)
	v_fma_f64 v[3:4], v[119:120], v[129:130], v[3:4]
	ds_load_2addr_b64 v[123:126], v5 offset0:61 offset1:62
	ds_load_2addr_b64 v[127:130], v5 offset0:63 offset1:64
	s_waitcnt lgkmcnt(1)
	v_fma_f64 v[3:4], v[121:122], v[123:124], v[3:4]
	scratch_load_b128 v[119:122], off, off offset:160
	s_waitcnt vmcnt(4)
	v_fma_f64 v[3:4], v[131:132], v[125:126], v[3:4]
	scratch_load_b128 v[123:126], off, off offset:176
	s_waitcnt lgkmcnt(0)
	v_fma_f64 v[3:4], v[133:134], v[127:128], v[3:4]
	s_waitcnt vmcnt(4)
	s_delay_alu instid0(VALU_DEP_1)
	v_fma_f64 v[3:4], v[9:10], v[129:130], v[3:4]
	ds_load_2addr_b64 v[127:130], v5 offset0:65 offset1:66
	ds_load_2addr_b64 v[131:134], v5 offset0:67 offset1:68
	s_waitcnt lgkmcnt(1)
	v_fma_f64 v[3:4], v[11:12], v[127:128], v[3:4]
	scratch_load_b128 v[9:12], off, off offset:192
	s_waitcnt vmcnt(4)
	v_fma_f64 v[3:4], v[111:112], v[129:130], v[3:4]
	s_waitcnt lgkmcnt(0)
	s_delay_alu instid0(VALU_DEP_1)
	v_fma_f64 v[3:4], v[113:114], v[131:132], v[3:4]
	scratch_load_b128 v[111:114], off, off offset:208
	s_waitcnt vmcnt(4)
	v_fma_f64 v[3:4], v[115:116], v[133:134], v[3:4]
	ds_load_2addr_b64 v[127:130], v5 offset0:69 offset1:70
	ds_load_2addr_b64 v[131:134], v5 offset0:71 offset1:72
	s_waitcnt lgkmcnt(1)
	v_fma_f64 v[3:4], v[117:118], v[127:128], v[3:4]
	scratch_load_b128 v[115:118], off, off offset:224
	s_waitcnt vmcnt(4)
	v_fma_f64 v[3:4], v[119:120], v[129:130], v[3:4]
	s_waitcnt lgkmcnt(0)
	s_delay_alu instid0(VALU_DEP_1)
	v_fma_f64 v[3:4], v[121:122], v[131:132], v[3:4]
	scratch_load_b128 v[119:122], off, off offset:240
	s_waitcnt vmcnt(4)
	;; [unrolled: 13-line block ×6, first 2 shown]
	v_fma_f64 v[3:4], v[115:116], v[133:134], v[3:4]
	ds_load_2addr_b64 v[127:130], v5 offset0:89 offset1:90
	ds_load_2addr_b64 v[131:134], v5 offset0:91 offset1:92
	s_waitcnt lgkmcnt(1)
	v_fma_f64 v[3:4], v[117:118], v[127:128], v[3:4]
	scratch_load_b64 v[127:128], off, off offset:384
	s_waitcnt vmcnt(4)
	v_fma_f64 v[3:4], v[119:120], v[129:130], v[3:4]
	s_waitcnt lgkmcnt(0)
	s_delay_alu instid0(VALU_DEP_1)
	v_fma_f64 v[3:4], v[121:122], v[131:132], v[3:4]
	ds_load_2addr_b64 v[115:118], v5 offset0:93 offset1:94
	ds_load_2addr_b64 v[119:122], v5 offset0:95 offset1:96
	s_waitcnt vmcnt(3)
	v_fma_f64 v[3:4], v[123:124], v[133:134], v[3:4]
	s_waitcnt lgkmcnt(1)
	s_delay_alu instid0(VALU_DEP_1) | instskip(SKIP_1) | instid1(VALU_DEP_1)
	v_fma_f64 v[3:4], v[125:126], v[115:116], v[3:4]
	s_waitcnt vmcnt(2)
	v_fma_f64 v[3:4], v[9:10], v[117:118], v[3:4]
	s_waitcnt lgkmcnt(0)
	s_delay_alu instid0(VALU_DEP_1) | instskip(SKIP_1) | instid1(VALU_DEP_1)
	v_fma_f64 v[3:4], v[11:12], v[119:120], v[3:4]
	s_waitcnt vmcnt(1)
	v_fma_f64 v[9:10], v[111:112], v[121:122], v[3:4]
	ds_load_2addr_b64 v[3:6], v5 offset0:97 offset1:98
	s_waitcnt lgkmcnt(0)
	v_fma_f64 v[3:4], v[113:114], v[3:4], v[9:10]
	s_waitcnt vmcnt(0)
	s_delay_alu instid0(VALU_DEP_1) | instskip(NEXT) | instid1(VALU_DEP_1)
	v_fma_f64 v[3:4], v[127:128], v[5:6], v[3:4]
	v_add_f64 v[1:2], v[1:2], -v[3:4]
	scratch_store_b64 off, v[1:2], off offset:16
	v_cmpx_lt_u32_e32 1, v0
	s_cbranch_execz .LBB48_301
; %bb.300:
	scratch_load_b64 v[1:2], off, off offset:8
	v_mov_b32_e32 v3, 0
	s_delay_alu instid0(VALU_DEP_1)
	v_mov_b32_e32 v4, v3
	scratch_store_b64 off, v[3:4], off offset:8
	s_waitcnt vmcnt(0)
	ds_store_b64 v8, v[1:2]
.LBB48_301:
	s_or_b32 exec_lo, exec_lo, s0
	s_waitcnt lgkmcnt(0)
	s_waitcnt_vscnt null, 0x0
	s_barrier
	buffer_gl0_inv
	s_clause 0x4
	scratch_load_b128 v[1:4], off, off offset:8
	scratch_load_b128 v[9:12], off, off offset:24
	;; [unrolled: 1-line block ×5, first 2 shown]
	v_mov_b32_e32 v6, 0
	ds_load_b128 v[123:126], v6 offset:416
	ds_load_b128 v[127:130], v6 offset:432
	scratch_load_b128 v[131:134], off, off offset:88
	s_mov_b32 s0, exec_lo
	s_waitcnt vmcnt(5) lgkmcnt(1)
	v_fma_f64 v[3:4], v[3:4], v[123:124], 0
	s_waitcnt vmcnt(4)
	s_delay_alu instid0(VALU_DEP_1) | instskip(SKIP_1) | instid1(VALU_DEP_1)
	v_fma_f64 v[3:4], v[9:10], v[125:126], v[3:4]
	s_waitcnt lgkmcnt(0)
	v_fma_f64 v[3:4], v[11:12], v[127:128], v[3:4]
	scratch_load_b128 v[9:12], off, off offset:104
	s_waitcnt vmcnt(4)
	v_fma_f64 v[3:4], v[111:112], v[129:130], v[3:4]
	ds_load_b128 v[123:126], v6 offset:448
	ds_load_b128 v[127:130], v6 offset:464
	s_waitcnt lgkmcnt(1)
	v_fma_f64 v[3:4], v[113:114], v[123:124], v[3:4]
	scratch_load_b128 v[111:114], off, off offset:120
	s_waitcnt vmcnt(4)
	v_fma_f64 v[3:4], v[115:116], v[125:126], v[3:4]
	s_waitcnt lgkmcnt(0)
	s_delay_alu instid0(VALU_DEP_1)
	v_fma_f64 v[3:4], v[117:118], v[127:128], v[3:4]
	scratch_load_b128 v[115:118], off, off offset:136
	s_waitcnt vmcnt(4)
	v_fma_f64 v[3:4], v[119:120], v[129:130], v[3:4]
	ds_load_b128 v[123:126], v6 offset:480
	ds_load_b128 v[127:130], v6 offset:496
	s_waitcnt lgkmcnt(1)
	v_fma_f64 v[3:4], v[121:122], v[123:124], v[3:4]
	scratch_load_b128 v[119:122], off, off offset:152
	s_waitcnt vmcnt(4)
	v_fma_f64 v[3:4], v[131:132], v[125:126], v[3:4]
	scratch_load_b128 v[123:126], off, off offset:168
	s_waitcnt lgkmcnt(0)
	v_fma_f64 v[3:4], v[133:134], v[127:128], v[3:4]
	s_waitcnt vmcnt(4)
	s_delay_alu instid0(VALU_DEP_1)
	v_fma_f64 v[3:4], v[9:10], v[129:130], v[3:4]
	ds_load_b128 v[127:130], v6 offset:512
	ds_load_b128 v[131:134], v6 offset:528
	s_waitcnt lgkmcnt(1)
	v_fma_f64 v[3:4], v[11:12], v[127:128], v[3:4]
	scratch_load_b128 v[9:12], off, off offset:184
	s_waitcnt vmcnt(4)
	v_fma_f64 v[3:4], v[111:112], v[129:130], v[3:4]
	s_waitcnt lgkmcnt(0)
	s_delay_alu instid0(VALU_DEP_1)
	v_fma_f64 v[3:4], v[113:114], v[131:132], v[3:4]
	scratch_load_b128 v[111:114], off, off offset:200
	s_waitcnt vmcnt(4)
	v_fma_f64 v[3:4], v[115:116], v[133:134], v[3:4]
	ds_load_b128 v[127:130], v6 offset:544
	ds_load_b128 v[131:134], v6 offset:560
	s_waitcnt lgkmcnt(1)
	v_fma_f64 v[3:4], v[117:118], v[127:128], v[3:4]
	scratch_load_b128 v[115:118], off, off offset:216
	s_waitcnt vmcnt(4)
	v_fma_f64 v[3:4], v[119:120], v[129:130], v[3:4]
	s_waitcnt lgkmcnt(0)
	s_delay_alu instid0(VALU_DEP_1)
	v_fma_f64 v[3:4], v[121:122], v[131:132], v[3:4]
	scratch_load_b128 v[119:122], off, off offset:232
	s_waitcnt vmcnt(4)
	;; [unrolled: 13-line block ×6, first 2 shown]
	v_fma_f64 v[3:4], v[115:116], v[133:134], v[3:4]
	ds_load_b128 v[127:130], v6 offset:704
	ds_load_b128 v[131:134], v6 offset:720
	s_waitcnt lgkmcnt(1)
	v_fma_f64 v[3:4], v[117:118], v[127:128], v[3:4]
	scratch_load_b128 v[115:118], off, off offset:376
	s_waitcnt vmcnt(4)
	v_fma_f64 v[3:4], v[119:120], v[129:130], v[3:4]
	s_waitcnt lgkmcnt(0)
	s_delay_alu instid0(VALU_DEP_1)
	v_fma_f64 v[3:4], v[121:122], v[131:132], v[3:4]
	ds_load_b128 v[119:122], v6 offset:736
	ds_load_b128 v[127:130], v6 offset:752
	s_waitcnt vmcnt(3)
	v_fma_f64 v[3:4], v[123:124], v[133:134], v[3:4]
	s_waitcnt lgkmcnt(1)
	s_delay_alu instid0(VALU_DEP_1) | instskip(SKIP_1) | instid1(VALU_DEP_1)
	v_fma_f64 v[3:4], v[125:126], v[119:120], v[3:4]
	s_waitcnt vmcnt(2)
	v_fma_f64 v[3:4], v[9:10], v[121:122], v[3:4]
	s_waitcnt lgkmcnt(0)
	s_delay_alu instid0(VALU_DEP_1) | instskip(SKIP_1) | instid1(VALU_DEP_1)
	v_fma_f64 v[3:4], v[11:12], v[127:128], v[3:4]
	s_waitcnt vmcnt(1)
	v_fma_f64 v[3:4], v[111:112], v[129:130], v[3:4]
	ds_load_b128 v[9:12], v6 offset:768
	ds_load_b64 v[111:112], v6 offset:784
	s_waitcnt lgkmcnt(1)
	v_fma_f64 v[3:4], v[113:114], v[9:10], v[3:4]
	s_waitcnt vmcnt(0)
	s_delay_alu instid0(VALU_DEP_1) | instskip(SKIP_1) | instid1(VALU_DEP_1)
	v_fma_f64 v[3:4], v[115:116], v[11:12], v[3:4]
	s_waitcnt lgkmcnt(0)
	v_fma_f64 v[3:4], v[117:118], v[111:112], v[3:4]
	s_delay_alu instid0(VALU_DEP_1)
	v_add_f64 v[1:2], v[1:2], -v[3:4]
	scratch_store_b64 off, v[1:2], off offset:8
	v_cmpx_ne_u32_e32 0, v0
	s_cbranch_execz .LBB48_303
; %bb.302:
	scratch_load_b64 v[0:1], off, off
	v_mov_b32_e32 v7, v6
	scratch_store_b64 off, v[6:7], off
	s_waitcnt vmcnt(0)
	ds_store_b64 v8, v[0:1]
.LBB48_303:
	s_or_b32 exec_lo, exec_lo, s0
	s_waitcnt lgkmcnt(0)
	s_waitcnt_vscnt null, 0x0
	s_barrier
	buffer_gl0_inv
	s_clause 0x4
	scratch_load_b128 v[0:3], off, off
	scratch_load_b128 v[7:10], off, off offset:16
	scratch_load_b128 v[111:114], off, off offset:32
	;; [unrolled: 1-line block ×4, first 2 shown]
	ds_load_2addr_b64 v[123:126], v6 offset0:51 offset1:52
	ds_load_2addr_b64 v[127:130], v6 offset0:53 offset1:54
	s_and_b32 vcc_lo, exec_lo, s16
	s_waitcnt vmcnt(4) lgkmcnt(1)
	v_fma_f64 v[11:12], v[2:3], v[123:124], 0
	scratch_load_b128 v[2:5], off, off offset:80
	s_waitcnt vmcnt(4)
	v_fma_f64 v[7:8], v[7:8], v[125:126], v[11:12]
	s_waitcnt lgkmcnt(0)
	s_delay_alu instid0(VALU_DEP_1)
	v_fma_f64 v[11:12], v[9:10], v[127:128], v[7:8]
	scratch_load_b128 v[7:10], off, off offset:96
	s_waitcnt vmcnt(4)
	v_fma_f64 v[11:12], v[111:112], v[129:130], v[11:12]
	ds_load_2addr_b64 v[123:126], v6 offset0:55 offset1:56
	ds_load_2addr_b64 v[127:130], v6 offset0:57 offset1:58
	s_waitcnt lgkmcnt(1)
	v_fma_f64 v[11:12], v[113:114], v[123:124], v[11:12]
	scratch_load_b128 v[111:114], off, off offset:112
	s_waitcnt vmcnt(4)
	v_fma_f64 v[11:12], v[115:116], v[125:126], v[11:12]
	s_waitcnt lgkmcnt(0)
	s_delay_alu instid0(VALU_DEP_1)
	v_fma_f64 v[11:12], v[117:118], v[127:128], v[11:12]
	scratch_load_b128 v[115:118], off, off offset:128
	s_waitcnt vmcnt(4)
	v_fma_f64 v[11:12], v[119:120], v[129:130], v[11:12]
	ds_load_2addr_b64 v[123:126], v6 offset0:59 offset1:60
	ds_load_2addr_b64 v[127:130], v6 offset0:61 offset1:62
	s_waitcnt lgkmcnt(1)
	;; [unrolled: 13-line block ×7, first 2 shown]
	v_fma_f64 v[11:12], v[121:122], v[123:124], v[11:12]
	scratch_load_b128 v[119:122], off, off offset:304
	s_waitcnt vmcnt(4)
	v_fma_f64 v[2:3], v[2:3], v[125:126], v[11:12]
	scratch_load_b128 v[123:126], off, off offset:320
	s_waitcnt lgkmcnt(0)
	v_fma_f64 v[2:3], v[4:5], v[127:128], v[2:3]
	s_waitcnt vmcnt(4)
	s_delay_alu instid0(VALU_DEP_1)
	v_fma_f64 v[7:8], v[7:8], v[129:130], v[2:3]
	ds_load_2addr_b64 v[2:5], v6 offset0:83 offset1:84
	ds_load_2addr_b64 v[127:130], v6 offset0:85 offset1:86
	s_waitcnt lgkmcnt(1)
	v_fma_f64 v[2:3], v[9:10], v[2:3], v[7:8]
	scratch_load_b128 v[7:10], off, off offset:336
	s_waitcnt vmcnt(4)
	v_fma_f64 v[2:3], v[111:112], v[4:5], v[2:3]
	s_waitcnt lgkmcnt(0)
	s_delay_alu instid0(VALU_DEP_1)
	v_fma_f64 v[2:3], v[113:114], v[127:128], v[2:3]
	scratch_load_b128 v[111:114], off, off offset:352
	s_waitcnt vmcnt(4)
	v_fma_f64 v[2:3], v[115:116], v[129:130], v[2:3]
	ds_load_2addr_b64 v[127:130], v6 offset0:87 offset1:88
	ds_load_2addr_b64 v[131:134], v6 offset0:89 offset1:90
	s_waitcnt lgkmcnt(1)
	v_fma_f64 v[11:12], v[117:118], v[127:128], v[2:3]
	s_clause 0x1
	scratch_load_b128 v[2:5], off, off offset:368
	scratch_load_b64 v[127:128], off, off offset:384
	s_waitcnt vmcnt(5)
	v_fma_f64 v[11:12], v[119:120], v[129:130], v[11:12]
	s_waitcnt lgkmcnt(0)
	s_delay_alu instid0(VALU_DEP_1)
	v_fma_f64 v[11:12], v[121:122], v[131:132], v[11:12]
	ds_load_2addr_b64 v[115:118], v6 offset0:91 offset1:92
	ds_load_2addr_b64 v[119:122], v6 offset0:93 offset1:94
	s_waitcnt vmcnt(4)
	v_fma_f64 v[11:12], v[123:124], v[133:134], v[11:12]
	s_waitcnt lgkmcnt(1)
	s_delay_alu instid0(VALU_DEP_1) | instskip(SKIP_1) | instid1(VALU_DEP_1)
	v_fma_f64 v[11:12], v[125:126], v[115:116], v[11:12]
	s_waitcnt vmcnt(3)
	v_fma_f64 v[7:8], v[7:8], v[117:118], v[11:12]
	s_waitcnt lgkmcnt(0)
	s_delay_alu instid0(VALU_DEP_1) | instskip(SKIP_1) | instid1(VALU_DEP_1)
	v_fma_f64 v[7:8], v[9:10], v[119:120], v[7:8]
	s_waitcnt vmcnt(2)
	v_fma_f64 v[11:12], v[111:112], v[121:122], v[7:8]
	ds_load_2addr_b64 v[7:10], v6 offset0:95 offset1:96
	ds_load_2addr_b64 v[115:118], v6 offset0:97 offset1:98
	s_waitcnt lgkmcnt(1)
	v_fma_f64 v[6:7], v[113:114], v[7:8], v[11:12]
	s_waitcnt vmcnt(1)
	s_delay_alu instid0(VALU_DEP_1) | instskip(SKIP_1) | instid1(VALU_DEP_1)
	v_fma_f64 v[2:3], v[2:3], v[9:10], v[6:7]
	s_waitcnt lgkmcnt(0)
	v_fma_f64 v[2:3], v[4:5], v[115:116], v[2:3]
	s_waitcnt vmcnt(0)
	s_delay_alu instid0(VALU_DEP_1) | instskip(NEXT) | instid1(VALU_DEP_1)
	v_fma_f64 v[2:3], v[127:128], v[117:118], v[2:3]
	v_add_f64 v[0:1], v[0:1], -v[2:3]
	scratch_store_b64 off, v[0:1], off
	s_cbranch_vccz .LBB48_401
; %bb.304:
	v_dual_mov_b32 v0, s12 :: v_dual_mov_b32 v1, s13
	s_mov_b32 s0, exec_lo
	flat_load_b32 v0, v[0:1] offset:188
	s_waitcnt vmcnt(0) lgkmcnt(0)
	v_cmpx_ne_u32_e32 48, v0
	s_cbranch_execz .LBB48_306
; %bb.305:
	v_lshl_add_u32 v2, v0, 3, 0
	scratch_load_b64 v[0:1], v2, off offset:-8
	s_waitcnt vmcnt(0)
	scratch_store_b64 off, v[0:1], off offset:376
	scratch_store_b64 v2, v[4:5], off offset:-8
.LBB48_306:
	s_or_b32 exec_lo, exec_lo, s0
	v_dual_mov_b32 v0, s12 :: v_dual_mov_b32 v1, s13
	s_mov_b32 s0, exec_lo
	flat_load_b32 v0, v[0:1] offset:184
	s_waitcnt vmcnt(0) lgkmcnt(0)
	v_cmpx_ne_u32_e32 47, v0
	s_cbranch_execz .LBB48_308
; %bb.307:
	v_lshl_add_u32 v4, v0, 3, 0
	scratch_load_b64 v[0:1], v4, off offset:-8
	scratch_load_b64 v[2:3], off, off offset:368
	s_waitcnt vmcnt(1)
	scratch_store_b64 off, v[0:1], off offset:368
	s_waitcnt vmcnt(0)
	scratch_store_b64 v4, v[2:3], off offset:-8
.LBB48_308:
	s_or_b32 exec_lo, exec_lo, s0
	v_dual_mov_b32 v0, s12 :: v_dual_mov_b32 v1, s13
	s_mov_b32 s0, exec_lo
	flat_load_b32 v0, v[0:1] offset:180
	s_waitcnt vmcnt(0) lgkmcnt(0)
	v_cmpx_ne_u32_e32 46, v0
	s_cbranch_execz .LBB48_310
; %bb.309:
	v_lshl_add_u32 v4, v0, 3, 0
	scratch_load_b64 v[0:1], v4, off offset:-8
	scratch_load_b64 v[2:3], off, off offset:360
	s_waitcnt vmcnt(1)
	scratch_store_b64 off, v[0:1], off offset:360
	s_waitcnt vmcnt(0)
	scratch_store_b64 v4, v[2:3], off offset:-8
.LBB48_310:
	;; [unrolled: 16-line block ×46, first 2 shown]
	s_or_b32 exec_lo, exec_lo, s0
	v_dual_mov_b32 v0, s12 :: v_dual_mov_b32 v1, s13
	s_mov_b32 s0, exec_lo
	flat_load_b32 v2, v[0:1]
	scratch_load_b64 v[0:1], off, off
	s_waitcnt vmcnt(1) lgkmcnt(0)
	v_cmpx_ne_u32_e32 1, v2
	s_cbranch_execz .LBB48_400
; %bb.399:
	v_lshl_add_u32 v4, v2, 3, 0
	scratch_load_b64 v[2:3], v4, off offset:-8
	s_waitcnt vmcnt(0)
	scratch_store_b64 off, v[2:3], off
	scratch_store_b64 v4, v[0:1], off offset:-8
	scratch_load_b64 v[0:1], off, off
.LBB48_400:
	s_or_b32 exec_lo, exec_lo, s0
.LBB48_401:
	s_clause 0x8
	scratch_load_b128 v[2:5], off, off offset:8
	scratch_load_b128 v[6:9], off, off offset:24
	;; [unrolled: 1-line block ×9, first 2 shown]
	s_waitcnt vmcnt(9)
	global_store_b64 v[13:14], v[0:1], off
	s_clause 0x2
	scratch_load_b128 v[10:13], off, off offset:152
	scratch_load_b128 v[139:142], off, off offset:232
	;; [unrolled: 1-line block ×3, first 2 shown]
	s_waitcnt vmcnt(11)
	global_store_b64 v[15:16], v[2:3], off
	scratch_load_b128 v[0:3], off, off offset:168
	global_store_b64 v[17:18], v[4:5], off
	scratch_load_b128 v[14:17], off, off offset:184
	s_waitcnt vmcnt(12)
	global_store_b64 v[19:20], v[6:7], off
	scratch_load_b128 v[4:7], off, off offset:200
	global_store_b64 v[21:22], v[8:9], off
	scratch_load_b128 v[18:21], off, off offset:216
	s_waitcnt vmcnt(13)
	s_clause 0x1
	global_store_b64 v[23:24], v[111:112], off
	global_store_b64 v[25:26], v[113:114], off
	s_clause 0x1
	scratch_load_b128 v[22:25], off, off offset:248
	scratch_load_b128 v[111:114], off, off offset:264
	s_waitcnt vmcnt(14)
	s_clause 0x1
	global_store_b64 v[27:28], v[115:116], off
	global_store_b64 v[29:30], v[117:118], off
	s_clause 0x1
	scratch_load_b128 v[26:29], off, off offset:280
	scratch_load_b128 v[115:118], off, off offset:296
	s_waitcnt vmcnt(15)
	s_clause 0x1
	global_store_b64 v[31:32], v[119:120], off
	global_store_b64 v[53:54], v[121:122], off
	scratch_load_b128 v[119:122], off, off offset:312
	s_waitcnt vmcnt(15)
	s_clause 0x1
	global_store_b64 v[47:48], v[123:124], off
	global_store_b64 v[43:44], v[125:126], off
	scratch_load_b128 v[123:126], off, off offset:344
	s_waitcnt vmcnt(15)
	global_store_b64 v[41:42], v[127:128], off
	scratch_load_b128 v[41:44], off, off offset:360
	global_store_b64 v[37:38], v[129:130], off
	scratch_load_b128 v[127:130], off, off offset:376
	s_waitcnt vmcnt(16)
	s_clause 0x1
	global_store_b64 v[33:34], v[131:132], off
	global_store_b64 v[35:36], v[133:134], off
	s_waitcnt vmcnt(15)
	s_clause 0x1
	global_store_b64 v[39:40], v[135:136], off
	global_store_b64 v[45:46], v[137:138], off
	;; [unrolled: 4-line block ×7, first 2 shown]
	global_store_b64 v[71:72], v[139:140], off
	global_store_b64 v[73:74], v[141:142], off
	s_waitcnt vmcnt(7)
	s_clause 0x1
	global_store_b64 v[75:76], v[22:23], off
	global_store_b64 v[77:78], v[24:25], off
	s_waitcnt vmcnt(6)
	s_clause 0x1
	;; [unrolled: 4-line block ×5, first 2 shown]
	global_store_b64 v[91:92], v[119:120], off
	global_store_b64 v[93:94], v[121:122], off
	;; [unrolled: 1-line block ×4, first 2 shown]
	s_waitcnt vmcnt(2)
	s_clause 0x1
	global_store_b64 v[99:100], v[123:124], off
	global_store_b64 v[101:102], v[125:126], off
	s_waitcnt vmcnt(1)
	s_clause 0x1
	global_store_b64 v[105:106], v[41:42], off
	global_store_b64 v[109:110], v[43:44], off
	s_waitcnt vmcnt(0)
	s_clause 0x1
	global_store_b64 v[103:104], v[127:128], off
	global_store_b64 v[107:108], v[129:130], off
	s_endpgm
	.section	.rodata,"a",@progbits
	.p2align	6, 0x0
	.amdhsa_kernel _ZN9rocsolver6v33100L18getri_kernel_smallILi49EdPdEEvT1_iilPiilS4_bb
		.amdhsa_group_segment_fixed_size 792
		.amdhsa_private_segment_fixed_size 400
		.amdhsa_kernarg_size 60
		.amdhsa_user_sgpr_count 15
		.amdhsa_user_sgpr_dispatch_ptr 0
		.amdhsa_user_sgpr_queue_ptr 0
		.amdhsa_user_sgpr_kernarg_segment_ptr 1
		.amdhsa_user_sgpr_dispatch_id 0
		.amdhsa_user_sgpr_private_segment_size 0
		.amdhsa_wavefront_size32 1
		.amdhsa_uses_dynamic_stack 0
		.amdhsa_enable_private_segment 1
		.amdhsa_system_sgpr_workgroup_id_x 1
		.amdhsa_system_sgpr_workgroup_id_y 0
		.amdhsa_system_sgpr_workgroup_id_z 0
		.amdhsa_system_sgpr_workgroup_info 0
		.amdhsa_system_vgpr_workitem_id 0
		.amdhsa_next_free_vgpr 147
		.amdhsa_next_free_sgpr 18
		.amdhsa_reserve_vcc 1
		.amdhsa_float_round_mode_32 0
		.amdhsa_float_round_mode_16_64 0
		.amdhsa_float_denorm_mode_32 3
		.amdhsa_float_denorm_mode_16_64 3
		.amdhsa_dx10_clamp 1
		.amdhsa_ieee_mode 1
		.amdhsa_fp16_overflow 0
		.amdhsa_workgroup_processor_mode 1
		.amdhsa_memory_ordered 1
		.amdhsa_forward_progress 0
		.amdhsa_shared_vgpr_count 0
		.amdhsa_exception_fp_ieee_invalid_op 0
		.amdhsa_exception_fp_denorm_src 0
		.amdhsa_exception_fp_ieee_div_zero 0
		.amdhsa_exception_fp_ieee_overflow 0
		.amdhsa_exception_fp_ieee_underflow 0
		.amdhsa_exception_fp_ieee_inexact 0
		.amdhsa_exception_int_div_zero 0
	.end_amdhsa_kernel
	.section	.text._ZN9rocsolver6v33100L18getri_kernel_smallILi49EdPdEEvT1_iilPiilS4_bb,"axG",@progbits,_ZN9rocsolver6v33100L18getri_kernel_smallILi49EdPdEEvT1_iilPiilS4_bb,comdat
.Lfunc_end48:
	.size	_ZN9rocsolver6v33100L18getri_kernel_smallILi49EdPdEEvT1_iilPiilS4_bb, .Lfunc_end48-_ZN9rocsolver6v33100L18getri_kernel_smallILi49EdPdEEvT1_iilPiilS4_bb
                                        ; -- End function
	.section	.AMDGPU.csdata,"",@progbits
; Kernel info:
; codeLenInByte = 46772
; NumSgprs: 20
; NumVgprs: 147
; ScratchSize: 400
; MemoryBound: 0
; FloatMode: 240
; IeeeMode: 1
; LDSByteSize: 792 bytes/workgroup (compile time only)
; SGPRBlocks: 2
; VGPRBlocks: 18
; NumSGPRsForWavesPerEU: 20
; NumVGPRsForWavesPerEU: 147
; Occupancy: 9
; WaveLimiterHint : 1
; COMPUTE_PGM_RSRC2:SCRATCH_EN: 1
; COMPUTE_PGM_RSRC2:USER_SGPR: 15
; COMPUTE_PGM_RSRC2:TRAP_HANDLER: 0
; COMPUTE_PGM_RSRC2:TGID_X_EN: 1
; COMPUTE_PGM_RSRC2:TGID_Y_EN: 0
; COMPUTE_PGM_RSRC2:TGID_Z_EN: 0
; COMPUTE_PGM_RSRC2:TIDIG_COMP_CNT: 0
	.section	.text._ZN9rocsolver6v33100L18getri_kernel_smallILi50EdPdEEvT1_iilPiilS4_bb,"axG",@progbits,_ZN9rocsolver6v33100L18getri_kernel_smallILi50EdPdEEvT1_iilPiilS4_bb,comdat
	.globl	_ZN9rocsolver6v33100L18getri_kernel_smallILi50EdPdEEvT1_iilPiilS4_bb ; -- Begin function _ZN9rocsolver6v33100L18getri_kernel_smallILi50EdPdEEvT1_iilPiilS4_bb
	.p2align	8
	.type	_ZN9rocsolver6v33100L18getri_kernel_smallILi50EdPdEEvT1_iilPiilS4_bb,@function
_ZN9rocsolver6v33100L18getri_kernel_smallILi50EdPdEEvT1_iilPiilS4_bb: ; @_ZN9rocsolver6v33100L18getri_kernel_smallILi50EdPdEEvT1_iilPiilS4_bb
; %bb.0:
	s_mov_b32 s2, exec_lo
	v_cmpx_gt_u32_e32 50, v0
	s_cbranch_execz .LBB49_210
; %bb.1:
	s_clause 0x2
	s_load_b32 s17, s[0:1], 0x38
	s_load_b128 s[8:11], s[0:1], 0x10
	s_load_b128 s[4:7], s[0:1], 0x28
	s_mov_b32 s14, s15
                                        ; implicit-def: $sgpr12_sgpr13
	s_waitcnt lgkmcnt(0)
	s_bitcmp1_b32 s17, 8
	s_cselect_b32 s16, -1, 0
	s_bfe_u32 s2, s17, 0x10008
	s_ashr_i32 s15, s15, 31
	s_cmp_eq_u32 s2, 0
	s_cbranch_scc1 .LBB49_3
; %bb.2:
	s_load_b32 s2, s[0:1], 0x20
	s_mul_i32 s3, s14, s5
	s_mul_hi_u32 s5, s14, s4
	s_mul_i32 s12, s15, s4
	s_add_i32 s3, s5, s3
	s_mul_i32 s4, s14, s4
	s_add_i32 s5, s3, s12
	s_delay_alu instid0(SALU_CYCLE_1)
	s_lshl_b64 s[4:5], s[4:5], 2
	s_waitcnt lgkmcnt(0)
	s_ashr_i32 s3, s2, 31
	s_add_u32 s4, s10, s4
	s_addc_u32 s5, s11, s5
	s_lshl_b64 s[2:3], s[2:3], 2
	s_delay_alu instid0(SALU_CYCLE_1)
	s_add_u32 s12, s4, s2
	s_addc_u32 s13, s5, s3
.LBB49_3:
	s_load_b128 s[0:3], s[0:1], 0x0
	s_mul_i32 s4, s14, s9
	s_mul_hi_u32 s5, s14, s8
	s_mul_i32 s9, s15, s8
	s_add_i32 s5, s5, s4
	s_mul_i32 s4, s14, s8
	s_add_i32 s5, s5, s9
	v_lshlrev_b32_e32 v3, 3, v0
	s_lshl_b64 s[4:5], s[4:5], 3
	s_waitcnt lgkmcnt(0)
	v_add3_u32 v1, s3, s3, v0
	s_ashr_i32 s9, s2, 31
	s_mov_b32 s8, s2
	s_add_u32 s2, s0, s4
	s_addc_u32 s4, s1, s5
	v_add_nc_u32_e32 v4, s3, v1
	s_lshl_b64 s[0:1], s[8:9], 3
	v_ashrrev_i32_e32 v2, 31, v1
	s_add_u32 s0, s2, s0
	s_addc_u32 s1, s4, s1
	v_add_nc_u32_e32 v6, s3, v4
	v_add_co_u32 v40, s2, s0, v3
	s_mov_b32 s10, s3
	s_ashr_i32 s11, s3, 31
	s_delay_alu instid0(VALU_DEP_2) | instskip(SKIP_3) | instid1(VALU_DEP_4)
	v_add_nc_u32_e32 v8, s3, v6
	v_add_co_ci_u32_e64 v41, null, s1, 0, s2
	v_ashrrev_i32_e32 v5, 31, v4
	v_lshlrev_b64 v[1:2], 3, v[1:2]
	v_add_nc_u32_e32 v10, s3, v8
	s_lshl_b64 s[4:5], s[10:11], 3
	v_ashrrev_i32_e32 v7, 31, v6
	v_add_co_u32 v38, vcc_lo, v40, s4
	s_delay_alu instid0(VALU_DEP_3)
	v_add_nc_u32_e32 v12, s3, v10
	v_add_co_ci_u32_e32 v39, vcc_lo, s5, v41, vcc_lo
	v_lshlrev_b64 v[4:5], 3, v[4:5]
	v_add_co_u32 v32, vcc_lo, s0, v1
	v_add_co_ci_u32_e32 v33, vcc_lo, s1, v2, vcc_lo
	v_lshlrev_b64 v[1:2], 3, v[6:7]
	v_ashrrev_i32_e32 v9, 31, v8
	v_add_nc_u32_e32 v6, s3, v12
	v_add_co_u32 v34, vcc_lo, s0, v4
	v_ashrrev_i32_e32 v11, 31, v10
	v_add_co_ci_u32_e32 v35, vcc_lo, s1, v5, vcc_lo
	v_lshlrev_b64 v[4:5], 3, v[8:9]
	v_add_nc_u32_e32 v8, s3, v6
	s_clause 0x1
	global_load_b64 v[44:45], v3, s[0:1]
	global_load_b64 v[46:47], v[38:39], off
	v_add_co_u32 v28, vcc_lo, s0, v1
	v_ashrrev_i32_e32 v13, 31, v12
	v_lshlrev_b64 v[9:10], 3, v[10:11]
	v_add_co_ci_u32_e32 v29, vcc_lo, s1, v2, vcc_lo
	v_add_nc_u32_e32 v1, s3, v8
	v_add_co_u32 v24, vcc_lo, s0, v4
	v_ashrrev_i32_e32 v7, 31, v6
	v_add_co_ci_u32_e32 v25, vcc_lo, s1, v5, vcc_lo
	v_lshlrev_b64 v[11:12], 3, v[12:13]
	v_add_co_u32 v30, vcc_lo, s0, v9
	v_ashrrev_i32_e32 v9, 31, v8
	v_add_nc_u32_e32 v4, s3, v1
	v_lshlrev_b64 v[5:6], 3, v[6:7]
	v_ashrrev_i32_e32 v2, 31, v1
	v_add_co_ci_u32_e32 v31, vcc_lo, s1, v10, vcc_lo
	v_add_co_u32 v26, vcc_lo, s0, v11
	v_lshlrev_b64 v[7:8], 3, v[8:9]
	s_clause 0x2
	global_load_b64 v[52:53], v[32:33], off
	global_load_b64 v[54:55], v[34:35], off
	;; [unrolled: 1-line block ×3, first 2 shown]
	v_add_nc_u32_e32 v14, s3, v4
	global_load_b64 v[58:59], v[24:25], off
	v_add_co_ci_u32_e32 v27, vcc_lo, s1, v12, vcc_lo
	v_add_co_u32 v20, vcc_lo, s0, v5
	v_ashrrev_i32_e32 v5, 31, v4
	v_lshlrev_b64 v[1:2], 3, v[1:2]
	v_add_co_ci_u32_e32 v21, vcc_lo, s1, v6, vcc_lo
	v_add_co_u32 v12, vcc_lo, s0, v7
	v_add_nc_u32_e32 v6, s3, v14
	v_ashrrev_i32_e32 v15, 31, v14
	v_add_co_ci_u32_e32 v13, vcc_lo, s1, v8, vcc_lo
	v_lshlrev_b64 v[4:5], 3, v[4:5]
	v_add_co_u32 v22, vcc_lo, s0, v1
	v_add_co_ci_u32_e32 v23, vcc_lo, s1, v2, vcc_lo
	v_lshlrev_b64 v[1:2], 3, v[14:15]
	v_ashrrev_i32_e32 v7, 31, v6
	v_add_co_u32 v18, vcc_lo, s0, v4
	v_add_co_ci_u32_e32 v19, vcc_lo, s1, v5, vcc_lo
	s_delay_alu instid0(VALU_DEP_3)
	v_lshlrev_b64 v[4:5], 3, v[6:7]
	s_clause 0x2
	global_load_b64 v[60:61], v[30:31], off
	global_load_b64 v[62:63], v[26:27], off
	;; [unrolled: 1-line block ×3, first 2 shown]
	v_add_co_u32 v10, vcc_lo, s0, v1
	v_add_nc_u32_e32 v1, s3, v6
	global_load_b64 v[66:67], v[12:13], off
	v_add_co_ci_u32_e32 v11, vcc_lo, s1, v2, vcc_lo
	v_add_co_u32 v8, vcc_lo, s0, v4
	v_add_nc_u32_e32 v4, s3, v1
	v_ashrrev_i32_e32 v2, 31, v1
	v_add_co_ci_u32_e32 v9, vcc_lo, s1, v5, vcc_lo
	s_clause 0x3
	global_load_b64 v[68:69], v[22:23], off
	global_load_b64 v[70:71], v[18:19], off
	;; [unrolled: 1-line block ×4, first 2 shown]
	v_ashrrev_i32_e32 v5, 31, v4
	v_lshlrev_b64 v[1:2], 3, v[1:2]
	s_bitcmp0_b32 s17, 0
	s_delay_alu instid0(VALU_DEP_2) | instskip(NEXT) | instid1(VALU_DEP_2)
	v_lshlrev_b64 v[6:7], 3, v[4:5]
	v_add_co_u32 v14, vcc_lo, s0, v1
	s_delay_alu instid0(VALU_DEP_3) | instskip(NEXT) | instid1(VALU_DEP_3)
	v_add_co_ci_u32_e32 v15, vcc_lo, s1, v2, vcc_lo
	v_add_co_u32 v6, vcc_lo, s0, v6
	s_delay_alu instid0(VALU_DEP_4) | instskip(SKIP_4) | instid1(VALU_DEP_1)
	v_add_co_ci_u32_e32 v7, vcc_lo, s1, v7, vcc_lo
	s_clause 0x1
	global_load_b64 v[76:77], v[14:15], off
	global_load_b64 v[78:79], v[6:7], off
	v_add_nc_u32_e32 v1, s3, v4
	v_add_nc_u32_e32 v4, s3, v1
	v_ashrrev_i32_e32 v2, 31, v1
	s_delay_alu instid0(VALU_DEP_2) | instskip(NEXT) | instid1(VALU_DEP_2)
	v_add_nc_u32_e32 v16, s3, v4
	v_lshlrev_b64 v[1:2], 3, v[1:2]
	v_ashrrev_i32_e32 v5, 31, v4
	s_delay_alu instid0(VALU_DEP_3) | instskip(SKIP_1) | instid1(VALU_DEP_3)
	v_add_nc_u32_e32 v48, s3, v16
	v_ashrrev_i32_e32 v17, 31, v16
	v_lshlrev_b64 v[4:5], 3, v[4:5]
	s_delay_alu instid0(VALU_DEP_3) | instskip(SKIP_1) | instid1(VALU_DEP_2)
	v_add_nc_u32_e32 v50, s3, v48
	v_ashrrev_i32_e32 v49, 31, v48
	v_add_nc_u32_e32 v84, s3, v50
	v_ashrrev_i32_e32 v51, 31, v50
	s_delay_alu instid0(VALU_DEP_2) | instskip(SKIP_1) | instid1(VALU_DEP_2)
	v_add_nc_u32_e32 v86, s3, v84
	v_ashrrev_i32_e32 v85, 31, v84
	v_add_nc_u32_e32 v92, s3, v86
	v_ashrrev_i32_e32 v87, 31, v86
	s_delay_alu instid0(VALU_DEP_2) | instskip(SKIP_1) | instid1(VALU_DEP_2)
	;; [unrolled: 5-line block ×14, first 2 shown]
	v_add_nc_u32_e32 v146, s3, v144
	v_ashrrev_i32_e32 v145, 31, v144
	v_add_nc_u32_e32 v36, s3, v146
	v_ashrrev_i32_e32 v147, 31, v146
	s_delay_alu instid0(VALU_DEP_2) | instskip(NEXT) | instid1(VALU_DEP_1)
	v_ashrrev_i32_e32 v37, 31, v36
	v_lshlrev_b64 v[42:43], 3, v[36:37]
	v_add_co_u32 v36, vcc_lo, s0, v1
	v_add_co_ci_u32_e32 v37, vcc_lo, s1, v2, vcc_lo
	v_lshlrev_b64 v[1:2], 3, v[16:17]
	s_delay_alu instid0(VALU_DEP_4)
	v_add_co_u32 v16, vcc_lo, s0, v42
	v_add_co_ci_u32_e32 v17, vcc_lo, s1, v43, vcc_lo
	v_add_co_u32 v42, vcc_lo, s0, v4
	v_add_co_ci_u32_e32 v43, vcc_lo, s1, v5, vcc_lo
	v_lshlrev_b64 v[4:5], 3, v[48:49]
	s_clause 0x2
	global_load_b64 v[108:109], v[16:17], off
	global_load_b64 v[80:81], v[36:37], off
	;; [unrolled: 1-line block ×3, first 2 shown]
	s_waitcnt vmcnt(17)
	scratch_store_b128 off, v[44:47], off
	v_add_co_u32 v44, vcc_lo, s0, v1
	v_add_co_ci_u32_e32 v45, vcc_lo, s1, v2, vcc_lo
	v_lshlrev_b64 v[1:2], 3, v[50:51]
	v_add_co_u32 v46, vcc_lo, s0, v4
	v_add_co_ci_u32_e32 v47, vcc_lo, s1, v5, vcc_lo
	v_lshlrev_b64 v[4:5], 3, v[84:85]
	s_delay_alu instid0(VALU_DEP_4) | instskip(SKIP_2) | instid1(VALU_DEP_4)
	v_add_co_u32 v48, vcc_lo, s0, v1
	v_add_co_ci_u32_e32 v49, vcc_lo, s1, v2, vcc_lo
	v_lshlrev_b64 v[1:2], 3, v[86:87]
	v_add_co_u32 v50, vcc_lo, s0, v4
	v_add_co_ci_u32_e32 v51, vcc_lo, s1, v5, vcc_lo
	v_lshlrev_b64 v[4:5], 3, v[92:93]
	s_waitcnt vmcnt(15)
	scratch_store_b128 off, v[52:55], off offset:16
	s_waitcnt vmcnt(13)
	scratch_store_b128 off, v[56:59], off offset:32
	s_clause 0x3
	global_load_b64 v[84:85], v[44:45], off
	global_load_b64 v[86:87], v[46:47], off
	;; [unrolled: 1-line block ×4, first 2 shown]
	v_add_co_u32 v52, vcc_lo, s0, v1
	v_add_co_ci_u32_e32 v53, vcc_lo, s1, v2, vcc_lo
	v_lshlrev_b64 v[1:2], 3, v[94:95]
	v_add_co_u32 v54, vcc_lo, s0, v4
	v_add_co_ci_u32_e32 v55, vcc_lo, s1, v5, vcc_lo
	v_lshlrev_b64 v[4:5], 3, v[96:97]
	s_delay_alu instid0(VALU_DEP_4) | instskip(SKIP_2) | instid1(VALU_DEP_4)
	v_add_co_u32 v56, vcc_lo, s0, v1
	v_add_co_ci_u32_e32 v57, vcc_lo, s1, v2, vcc_lo
	v_lshlrev_b64 v[1:2], 3, v[100:101]
	v_add_co_u32 v58, vcc_lo, s0, v4
	v_add_co_ci_u32_e32 v59, vcc_lo, s1, v5, vcc_lo
	v_lshlrev_b64 v[4:5], 3, v[102:103]
	s_waitcnt vmcnt(15)
	scratch_store_b128 off, v[60:63], off offset:48
	s_waitcnt vmcnt(13)
	scratch_store_b128 off, v[64:67], off offset:64
	s_clause 0x3
	global_load_b64 v[92:93], v[52:53], off
	global_load_b64 v[94:95], v[54:55], off
	;; [unrolled: 1-line block ×4, first 2 shown]
	v_add_co_u32 v60, vcc_lo, s0, v1
	v_add_co_ci_u32_e32 v61, vcc_lo, s1, v2, vcc_lo
	v_lshlrev_b64 v[1:2], 3, v[104:105]
	v_add_co_u32 v62, vcc_lo, s0, v4
	v_add_co_ci_u32_e32 v63, vcc_lo, s1, v5, vcc_lo
	v_lshlrev_b64 v[4:5], 3, v[106:107]
	s_delay_alu instid0(VALU_DEP_4) | instskip(SKIP_2) | instid1(VALU_DEP_4)
	v_add_co_u32 v64, vcc_lo, s0, v1
	v_add_co_ci_u32_e32 v65, vcc_lo, s1, v2, vcc_lo
	v_lshlrev_b64 v[1:2], 3, v[110:111]
	v_add_co_u32 v66, vcc_lo, s0, v4
	v_add_co_ci_u32_e32 v67, vcc_lo, s1, v5, vcc_lo
	s_waitcnt vmcnt(15)
	scratch_store_b128 off, v[68:71], off offset:80
	s_waitcnt vmcnt(13)
	scratch_store_b128 off, v[72:75], off offset:96
	v_lshlrev_b64 v[4:5], 3, v[112:113]
	s_clause 0x3
	global_load_b64 v[100:101], v[60:61], off
	global_load_b64 v[102:103], v[62:63], off
	;; [unrolled: 1-line block ×4, first 2 shown]
	v_add_co_u32 v68, vcc_lo, s0, v1
	v_add_co_ci_u32_e32 v69, vcc_lo, s1, v2, vcc_lo
	v_add_co_u32 v70, vcc_lo, s0, v4
	v_add_co_ci_u32_e32 v71, vcc_lo, s1, v5, vcc_lo
	s_waitcnt vmcnt(15)
	scratch_store_b128 off, v[76:79], off offset:112
	s_clause 0x1
	global_load_b64 v[110:111], v[68:69], off
	global_load_b64 v[112:113], v[70:71], off
	v_lshlrev_b64 v[1:2], 3, v[114:115]
	v_lshlrev_b64 v[4:5], 3, v[118:119]
	s_delay_alu instid0(VALU_DEP_2) | instskip(NEXT) | instid1(VALU_DEP_3)
	v_add_co_u32 v72, vcc_lo, s0, v1
	v_add_co_ci_u32_e32 v73, vcc_lo, s1, v2, vcc_lo
	v_lshlrev_b64 v[1:2], 3, v[116:117]
	global_load_b64 v[114:115], v[72:73], off
	v_add_co_u32 v74, vcc_lo, s0, v1
	v_add_co_ci_u32_e32 v75, vcc_lo, s1, v2, vcc_lo
	v_lshlrev_b64 v[1:2], 3, v[120:121]
	v_add_co_u32 v76, vcc_lo, s0, v4
	v_add_co_ci_u32_e32 v77, vcc_lo, s1, v5, vcc_lo
	v_lshlrev_b64 v[4:5], 3, v[122:123]
	s_delay_alu instid0(VALU_DEP_4)
	v_add_co_u32 v78, vcc_lo, s0, v1
	v_add_co_ci_u32_e32 v79, vcc_lo, s1, v2, vcc_lo
	v_lshlrev_b64 v[1:2], 3, v[124:125]
	s_waitcnt vmcnt(15)
	scratch_store_b128 off, v[80:83], off offset:128
	v_add_co_u32 v80, vcc_lo, s0, v4
	v_add_co_ci_u32_e32 v81, vcc_lo, s1, v5, vcc_lo
	v_lshlrev_b64 v[4:5], 3, v[126:127]
	v_add_co_u32 v82, vcc_lo, s0, v1
	v_add_co_ci_u32_e32 v83, vcc_lo, s1, v2, vcc_lo
	v_lshlrev_b64 v[1:2], 3, v[128:129]
	s_waitcnt vmcnt(13)
	scratch_store_b128 off, v[84:87], off offset:144
	s_waitcnt vmcnt(11)
	scratch_store_b128 off, v[88:91], off offset:160
	v_add_co_u32 v84, vcc_lo, s0, v4
	v_add_co_ci_u32_e32 v85, vcc_lo, s1, v5, vcc_lo
	v_lshlrev_b64 v[4:5], 3, v[130:131]
	v_add_co_u32 v86, vcc_lo, s0, v1
	v_add_co_ci_u32_e32 v87, vcc_lo, s1, v2, vcc_lo
	v_lshlrev_b64 v[1:2], 3, v[132:133]
	s_delay_alu instid0(VALU_DEP_4) | instskip(SKIP_2) | instid1(VALU_DEP_4)
	v_add_co_u32 v88, vcc_lo, s0, v4
	v_add_co_ci_u32_e32 v89, vcc_lo, s1, v5, vcc_lo
	v_lshlrev_b64 v[4:5], 3, v[134:135]
	v_add_co_u32 v90, vcc_lo, s0, v1
	v_add_co_ci_u32_e32 v91, vcc_lo, s1, v2, vcc_lo
	v_lshlrev_b64 v[1:2], 3, v[136:137]
	s_clause 0x3
	global_load_b64 v[116:117], v[74:75], off
	global_load_b64 v[118:119], v[76:77], off
	;; [unrolled: 1-line block ×4, first 2 shown]
	s_waitcnt vmcnt(13)
	scratch_store_b128 off, v[92:95], off offset:176
	s_waitcnt vmcnt(11)
	scratch_store_b128 off, v[96:99], off offset:192
	v_add_co_u32 v92, vcc_lo, s0, v4
	v_add_co_ci_u32_e32 v93, vcc_lo, s1, v5, vcc_lo
	v_lshlrev_b64 v[4:5], 3, v[138:139]
	v_add_co_u32 v94, vcc_lo, s0, v1
	v_add_co_ci_u32_e32 v95, vcc_lo, s1, v2, vcc_lo
	v_lshlrev_b64 v[1:2], 3, v[140:141]
	s_delay_alu instid0(VALU_DEP_4) | instskip(SKIP_2) | instid1(VALU_DEP_4)
	v_add_co_u32 v96, vcc_lo, s0, v4
	v_add_co_ci_u32_e32 v97, vcc_lo, s1, v5, vcc_lo
	v_lshlrev_b64 v[4:5], 3, v[142:143]
	v_add_co_u32 v98, vcc_lo, s0, v1
	v_add_co_ci_u32_e32 v99, vcc_lo, s1, v2, vcc_lo
	v_lshlrev_b64 v[1:2], 3, v[144:145]
	s_clause 0x3
	global_load_b64 v[124:125], v[82:83], off
	global_load_b64 v[126:127], v[84:85], off
	;; [unrolled: 1-line block ×4, first 2 shown]
	s_waitcnt vmcnt(13)
	scratch_store_b128 off, v[100:103], off offset:208
	s_waitcnt vmcnt(11)
	scratch_store_b128 off, v[104:107], off offset:224
	v_add_co_u32 v100, vcc_lo, s0, v4
	v_add_co_ci_u32_e32 v101, vcc_lo, s1, v5, vcc_lo
	v_lshlrev_b64 v[4:5], 3, v[146:147]
	v_add_co_u32 v102, vcc_lo, s0, v1
	v_add_co_ci_u32_e32 v103, vcc_lo, s1, v2, vcc_lo
	s_clause 0x3
	global_load_b64 v[132:133], v[90:91], off
	global_load_b64 v[134:135], v[92:93], off
	;; [unrolled: 1-line block ×4, first 2 shown]
	v_add_co_u32 v104, vcc_lo, s0, v4
	v_add_co_ci_u32_e32 v105, vcc_lo, s1, v5, vcc_lo
	s_waitcnt vmcnt(13)
	scratch_store_b128 off, v[110:113], off offset:240
	s_clause 0x3
	global_load_b64 v[140:141], v[98:99], off
	global_load_b64 v[110:111], v[100:101], off
	;; [unrolled: 1-line block ×4, first 2 shown]
	s_mov_b32 s1, -1
	s_waitcnt vmcnt(15)
	scratch_store_b128 off, v[114:117], off offset:256
	s_waitcnt vmcnt(13)
	scratch_store_b128 off, v[118:121], off offset:272
	;; [unrolled: 2-line block ×9, first 2 shown]
	s_cbranch_scc1 .LBB49_208
; %bb.4:
	v_cmp_eq_u32_e64 s0, 0, v0
	s_delay_alu instid0(VALU_DEP_1)
	s_and_saveexec_b32 s1, s0
	s_cbranch_execz .LBB49_6
; %bb.5:
	v_mov_b32_e32 v1, 0
	ds_store_b32 v1, v1 offset:800
.LBB49_6:
	s_or_b32 exec_lo, exec_lo, s1
	s_waitcnt lgkmcnt(0)
	s_waitcnt_vscnt null, 0x0
	s_barrier
	buffer_gl0_inv
	scratch_load_b64 v[1:2], v3, off
	s_mov_b32 s2, exec_lo
	s_waitcnt vmcnt(0)
	v_cmpx_eq_f64_e32 0, v[1:2]
	s_cbranch_execz .LBB49_10
; %bb.7:
	v_mov_b32_e32 v1, 0
	s_mov_b32 s3, 0
	ds_load_b32 v2, v1 offset:800
	s_waitcnt lgkmcnt(0)
	v_readfirstlane_b32 s1, v2
	v_add_nc_u32_e32 v2, 1, v0
	s_delay_alu instid0(VALU_DEP_2) | instskip(NEXT) | instid1(VALU_DEP_1)
	s_cmp_eq_u32 s1, 0
	v_cmp_gt_i32_e32 vcc_lo, s1, v2
	s_cselect_b32 s4, -1, 0
	s_delay_alu instid0(SALU_CYCLE_1) | instskip(NEXT) | instid1(SALU_CYCLE_1)
	s_or_b32 s4, s4, vcc_lo
	s_and_b32 exec_lo, exec_lo, s4
	s_cbranch_execz .LBB49_10
; %bb.8:
	v_mov_b32_e32 v4, s1
.LBB49_9:                               ; =>This Inner Loop Header: Depth=1
	ds_cmpstore_rtn_b32 v4, v1, v2, v4 offset:800
	s_waitcnt lgkmcnt(0)
	v_cmp_ne_u32_e32 vcc_lo, 0, v4
	v_cmp_le_i32_e64 s1, v4, v2
	s_delay_alu instid0(VALU_DEP_1) | instskip(NEXT) | instid1(SALU_CYCLE_1)
	s_and_b32 s1, vcc_lo, s1
	s_and_b32 s1, exec_lo, s1
	s_delay_alu instid0(SALU_CYCLE_1) | instskip(NEXT) | instid1(SALU_CYCLE_1)
	s_or_b32 s3, s1, s3
	s_and_not1_b32 exec_lo, exec_lo, s3
	s_cbranch_execnz .LBB49_9
.LBB49_10:
	s_or_b32 exec_lo, exec_lo, s2
	v_mov_b32_e32 v1, 0
	s_barrier
	buffer_gl0_inv
	ds_load_b32 v2, v1 offset:800
	s_and_saveexec_b32 s1, s0
	s_cbranch_execz .LBB49_12
; %bb.11:
	s_lshl_b64 s[2:3], s[14:15], 2
	s_delay_alu instid0(SALU_CYCLE_1)
	s_add_u32 s2, s6, s2
	s_addc_u32 s3, s7, s3
	s_waitcnt lgkmcnt(0)
	global_store_b32 v1, v2, s[2:3]
.LBB49_12:
	s_or_b32 exec_lo, exec_lo, s1
	s_waitcnt lgkmcnt(0)
	v_cmp_ne_u32_e32 vcc_lo, 0, v2
	s_mov_b32 s1, 0
	s_cbranch_vccnz .LBB49_208
; %bb.13:
	v_add_nc_u32_e32 v4, 0, v3
	v_add_nc_u32_e32 v5, 0x190, v3
	scratch_load_b64 v[1:2], v4, off
	s_waitcnt vmcnt(0)
	v_div_scale_f64 v[106:107], null, v[1:2], v[1:2], 1.0
	v_div_scale_f64 v[112:113], vcc_lo, 1.0, v[1:2], 1.0
	s_delay_alu instid0(VALU_DEP_2) | instskip(SKIP_2) | instid1(VALU_DEP_1)
	v_rcp_f64_e32 v[108:109], v[106:107]
	s_waitcnt_depctr 0xfff
	v_fma_f64 v[110:111], -v[106:107], v[108:109], 1.0
	v_fma_f64 v[108:109], v[108:109], v[110:111], v[108:109]
	s_delay_alu instid0(VALU_DEP_1) | instskip(NEXT) | instid1(VALU_DEP_1)
	v_fma_f64 v[110:111], -v[106:107], v[108:109], 1.0
	v_fma_f64 v[108:109], v[108:109], v[110:111], v[108:109]
	s_delay_alu instid0(VALU_DEP_1) | instskip(NEXT) | instid1(VALU_DEP_1)
	v_mul_f64 v[110:111], v[112:113], v[108:109]
	v_fma_f64 v[106:107], -v[106:107], v[110:111], v[112:113]
	s_delay_alu instid0(VALU_DEP_1) | instskip(NEXT) | instid1(VALU_DEP_1)
	v_div_fmas_f64 v[106:107], v[106:107], v[108:109], v[110:111]
	v_div_fixup_f64 v[1:2], v[106:107], v[1:2], 1.0
	scratch_store_b64 v4, v[1:2], off
	scratch_load_b64 v[106:107], off, off offset:8
	v_xor_b32_e32 v2, 0x80000000, v2
	s_waitcnt vmcnt(0)
	ds_store_2addr_b64 v3, v[1:2], v[106:107] offset1:50
	s_waitcnt lgkmcnt(0)
	s_waitcnt_vscnt null, 0x0
	s_barrier
	buffer_gl0_inv
	s_and_saveexec_b32 s1, s0
	s_cbranch_execz .LBB49_15
; %bb.14:
	scratch_load_b64 v[1:2], v4, off
	ds_load_b64 v[106:107], v5
	s_waitcnt vmcnt(0) lgkmcnt(0)
	v_fma_f64 v[1:2], v[1:2], v[106:107], 0
	v_mov_b32_e32 v106, 0
	ds_load_b64 v[106:107], v106 offset:8
	s_waitcnt lgkmcnt(0)
	v_mul_f64 v[1:2], v[1:2], v[106:107]
	scratch_store_b64 off, v[1:2], off offset:8
.LBB49_15:
	s_or_b32 exec_lo, exec_lo, s1
	s_waitcnt_vscnt null, 0x0
	s_barrier
	buffer_gl0_inv
	scratch_load_b64 v[1:2], off, off offset:16
	s_mov_b32 s1, exec_lo
	s_waitcnt vmcnt(0)
	ds_store_b64 v5, v[1:2]
	s_waitcnt lgkmcnt(0)
	s_barrier
	buffer_gl0_inv
	v_cmpx_gt_u32_e32 2, v0
	s_cbranch_execz .LBB49_19
; %bb.16:
	scratch_load_b64 v[1:2], v4, off
	ds_load_b64 v[106:107], v5
	s_waitcnt vmcnt(0) lgkmcnt(0)
	v_fma_f64 v[1:2], v[1:2], v[106:107], 0
	s_and_saveexec_b32 s2, s0
	s_cbranch_execz .LBB49_18
; %bb.17:
	scratch_load_b64 v[106:107], off, off offset:8
	v_mov_b32_e32 v108, 0
	ds_load_b64 v[108:109], v108 offset:408
	s_waitcnt vmcnt(0) lgkmcnt(0)
	v_fma_f64 v[1:2], v[106:107], v[108:109], v[1:2]
.LBB49_18:
	s_or_b32 exec_lo, exec_lo, s2
	v_mov_b32_e32 v106, 0
	ds_load_b64 v[106:107], v106 offset:16
	s_waitcnt lgkmcnt(0)
	v_mul_f64 v[1:2], v[1:2], v[106:107]
	scratch_store_b64 off, v[1:2], off offset:16
.LBB49_19:
	s_or_b32 exec_lo, exec_lo, s1
	s_waitcnt_vscnt null, 0x0
	s_barrier
	buffer_gl0_inv
	scratch_load_b64 v[1:2], off, off offset:24
	v_add_nc_u32_e32 v106, -1, v0
	s_mov_b32 s0, exec_lo
	s_waitcnt vmcnt(0)
	ds_store_b64 v5, v[1:2]
	s_waitcnt lgkmcnt(0)
	s_barrier
	buffer_gl0_inv
	v_cmpx_gt_u32_e32 3, v0
	s_cbranch_execz .LBB49_23
; %bb.20:
	v_dual_mov_b32 v1, 0 :: v_dual_add_nc_u32 v108, 0x190, v3
	v_dual_mov_b32 v2, 0 :: v_dual_add_nc_u32 v107, -1, v0
	v_add_nc_u32_e32 v109, 0, v3
	s_mov_b32 s1, 0
.LBB49_21:                              ; =>This Inner Loop Header: Depth=1
	scratch_load_b64 v[110:111], v109, off
	ds_load_b64 v[112:113], v108
	v_add_nc_u32_e32 v107, 1, v107
	v_add_nc_u32_e32 v108, 8, v108
	v_add_nc_u32_e32 v109, 8, v109
	s_delay_alu instid0(VALU_DEP_3)
	v_cmp_lt_u32_e32 vcc_lo, 1, v107
	s_or_b32 s1, vcc_lo, s1
	s_waitcnt vmcnt(0) lgkmcnt(0)
	v_fma_f64 v[1:2], v[110:111], v[112:113], v[1:2]
	s_and_not1_b32 exec_lo, exec_lo, s1
	s_cbranch_execnz .LBB49_21
; %bb.22:
	s_or_b32 exec_lo, exec_lo, s1
	v_mov_b32_e32 v107, 0
	ds_load_b64 v[107:108], v107 offset:24
	s_waitcnt lgkmcnt(0)
	v_mul_f64 v[1:2], v[1:2], v[107:108]
	scratch_store_b64 off, v[1:2], off offset:24
.LBB49_23:
	s_or_b32 exec_lo, exec_lo, s0
	s_waitcnt_vscnt null, 0x0
	s_barrier
	buffer_gl0_inv
	scratch_load_b64 v[1:2], off, off offset:32
	s_mov_b32 s0, exec_lo
	s_waitcnt vmcnt(0)
	ds_store_b64 v5, v[1:2]
	s_waitcnt lgkmcnt(0)
	s_barrier
	buffer_gl0_inv
	v_cmpx_gt_u32_e32 4, v0
	s_cbranch_execz .LBB49_27
; %bb.24:
	v_dual_mov_b32 v1, 0 :: v_dual_add_nc_u32 v108, 0x190, v3
	v_dual_mov_b32 v2, 0 :: v_dual_add_nc_u32 v107, -1, v0
	v_add_nc_u32_e32 v109, 0, v3
	s_mov_b32 s1, 0
.LBB49_25:                              ; =>This Inner Loop Header: Depth=1
	scratch_load_b64 v[110:111], v109, off
	ds_load_b64 v[112:113], v108
	v_add_nc_u32_e32 v107, 1, v107
	v_add_nc_u32_e32 v108, 8, v108
	v_add_nc_u32_e32 v109, 8, v109
	s_delay_alu instid0(VALU_DEP_3)
	v_cmp_lt_u32_e32 vcc_lo, 2, v107
	s_or_b32 s1, vcc_lo, s1
	s_waitcnt vmcnt(0) lgkmcnt(0)
	v_fma_f64 v[1:2], v[110:111], v[112:113], v[1:2]
	s_and_not1_b32 exec_lo, exec_lo, s1
	s_cbranch_execnz .LBB49_25
; %bb.26:
	s_or_b32 exec_lo, exec_lo, s1
	v_mov_b32_e32 v107, 0
	ds_load_b64 v[107:108], v107 offset:32
	s_waitcnt lgkmcnt(0)
	v_mul_f64 v[1:2], v[1:2], v[107:108]
	scratch_store_b64 off, v[1:2], off offset:32
.LBB49_27:
	s_or_b32 exec_lo, exec_lo, s0
	s_waitcnt_vscnt null, 0x0
	s_barrier
	buffer_gl0_inv
	scratch_load_b64 v[1:2], off, off offset:40
	;; [unrolled: 39-line block ×20, first 2 shown]
	s_mov_b32 s0, exec_lo
	s_waitcnt vmcnt(0)
	ds_store_b64 v5, v[1:2]
	s_waitcnt lgkmcnt(0)
	s_barrier
	buffer_gl0_inv
	v_cmpx_gt_u32_e32 23, v0
	s_cbranch_execz .LBB49_103
; %bb.100:
	v_dual_mov_b32 v1, 0 :: v_dual_add_nc_u32 v108, 0x190, v3
	v_dual_mov_b32 v2, 0 :: v_dual_add_nc_u32 v107, -1, v0
	v_add_nc_u32_e32 v109, 0, v3
	s_mov_b32 s1, 0
.LBB49_101:                             ; =>This Inner Loop Header: Depth=1
	scratch_load_b64 v[110:111], v109, off
	ds_load_b64 v[112:113], v108
	v_add_nc_u32_e32 v107, 1, v107
	v_add_nc_u32_e32 v108, 8, v108
	v_add_nc_u32_e32 v109, 8, v109
	s_delay_alu instid0(VALU_DEP_3)
	v_cmp_lt_u32_e32 vcc_lo, 21, v107
	s_or_b32 s1, vcc_lo, s1
	s_waitcnt vmcnt(0) lgkmcnt(0)
	v_fma_f64 v[1:2], v[110:111], v[112:113], v[1:2]
	s_and_not1_b32 exec_lo, exec_lo, s1
	s_cbranch_execnz .LBB49_101
; %bb.102:
	s_or_b32 exec_lo, exec_lo, s1
	v_mov_b32_e32 v107, 0
	ds_load_b64 v[107:108], v107 offset:184
	s_waitcnt lgkmcnt(0)
	v_mul_f64 v[1:2], v[1:2], v[107:108]
	scratch_store_b64 off, v[1:2], off offset:184
.LBB49_103:
	s_or_b32 exec_lo, exec_lo, s0
	s_waitcnt_vscnt null, 0x0
	s_barrier
	buffer_gl0_inv
	scratch_load_b64 v[1:2], off, off offset:192
	s_mov_b32 s0, exec_lo
	s_waitcnt vmcnt(0)
	ds_store_b64 v5, v[1:2]
	s_waitcnt lgkmcnt(0)
	s_barrier
	buffer_gl0_inv
	v_cmpx_gt_u32_e32 24, v0
	s_cbranch_execz .LBB49_107
; %bb.104:
	v_dual_mov_b32 v1, 0 :: v_dual_add_nc_u32 v108, 0x190, v3
	v_dual_mov_b32 v2, 0 :: v_dual_add_nc_u32 v107, -1, v0
	v_add_nc_u32_e32 v109, 0, v3
	s_mov_b32 s1, 0
.LBB49_105:                             ; =>This Inner Loop Header: Depth=1
	scratch_load_b64 v[110:111], v109, off
	ds_load_b64 v[112:113], v108
	v_add_nc_u32_e32 v107, 1, v107
	v_add_nc_u32_e32 v108, 8, v108
	v_add_nc_u32_e32 v109, 8, v109
	s_delay_alu instid0(VALU_DEP_3)
	v_cmp_lt_u32_e32 vcc_lo, 22, v107
	s_or_b32 s1, vcc_lo, s1
	s_waitcnt vmcnt(0) lgkmcnt(0)
	v_fma_f64 v[1:2], v[110:111], v[112:113], v[1:2]
	s_and_not1_b32 exec_lo, exec_lo, s1
	s_cbranch_execnz .LBB49_105
; %bb.106:
	s_or_b32 exec_lo, exec_lo, s1
	v_mov_b32_e32 v107, 0
	ds_load_b64 v[107:108], v107 offset:192
	s_waitcnt lgkmcnt(0)
	v_mul_f64 v[1:2], v[1:2], v[107:108]
	scratch_store_b64 off, v[1:2], off offset:192
.LBB49_107:
	s_or_b32 exec_lo, exec_lo, s0
	s_waitcnt_vscnt null, 0x0
	s_barrier
	buffer_gl0_inv
	scratch_load_b64 v[1:2], off, off offset:200
	;; [unrolled: 39-line block ×26, first 2 shown]
	s_mov_b32 s0, exec_lo
	s_waitcnt vmcnt(0)
	ds_store_b64 v5, v[1:2]
	s_waitcnt lgkmcnt(0)
	s_barrier
	buffer_gl0_inv
	v_cmpx_ne_u32_e32 49, v0
	s_cbranch_execz .LBB49_207
; %bb.204:
	v_mov_b32_e32 v1, 0
	v_mov_b32_e32 v2, 0
	s_mov_b32 s1, 0
.LBB49_205:                             ; =>This Inner Loop Header: Depth=1
	scratch_load_b64 v[107:108], v4, off
	ds_load_b64 v[109:110], v5
	v_add_nc_u32_e32 v106, 1, v106
	v_add_nc_u32_e32 v5, 8, v5
	;; [unrolled: 1-line block ×3, first 2 shown]
	s_delay_alu instid0(VALU_DEP_3)
	v_cmp_lt_u32_e32 vcc_lo, 47, v106
	s_or_b32 s1, vcc_lo, s1
	s_waitcnt vmcnt(0) lgkmcnt(0)
	v_fma_f64 v[1:2], v[107:108], v[109:110], v[1:2]
	s_and_not1_b32 exec_lo, exec_lo, s1
	s_cbranch_execnz .LBB49_205
; %bb.206:
	s_or_b32 exec_lo, exec_lo, s1
	v_mov_b32_e32 v3, 0
	ds_load_b64 v[3:4], v3 offset:392
	s_waitcnt lgkmcnt(0)
	v_mul_f64 v[1:2], v[1:2], v[3:4]
	scratch_store_b64 off, v[1:2], off offset:392
.LBB49_207:
	s_or_b32 exec_lo, exec_lo, s0
	s_mov_b32 s1, -1
	s_waitcnt_vscnt null, 0x0
	s_barrier
	buffer_gl0_inv
.LBB49_208:
	s_and_b32 vcc_lo, exec_lo, s1
	s_cbranch_vccz .LBB49_210
; %bb.209:
	s_lshl_b64 s[0:1], s[14:15], 2
	v_mov_b32_e32 v1, 0
	s_add_u32 s0, s6, s0
	s_addc_u32 s1, s7, s1
	global_load_b32 v1, v1, s[0:1]
	s_waitcnt vmcnt(0)
	v_cmp_ne_u32_e32 vcc_lo, 0, v1
	s_cbranch_vccz .LBB49_211
.LBB49_210:
	s_endpgm
.LBB49_211:
	v_lshl_add_u32 v5, v0, 3, 0x190
	s_mov_b32 s0, exec_lo
	v_cmpx_eq_u32_e32 49, v0
	s_cbranch_execz .LBB49_213
; %bb.212:
	scratch_load_b64 v[1:2], off, off offset:384
	v_mov_b32_e32 v3, 0
	s_delay_alu instid0(VALU_DEP_1)
	v_mov_b32_e32 v4, v3
	scratch_store_b64 off, v[3:4], off offset:384
	s_waitcnt vmcnt(0)
	ds_store_b64 v5, v[1:2]
.LBB49_213:
	s_or_b32 exec_lo, exec_lo, s0
	s_waitcnt lgkmcnt(0)
	s_waitcnt_vscnt null, 0x0
	s_barrier
	buffer_gl0_inv
	scratch_load_b128 v[106:109], off, off offset:384
	v_mov_b32_e32 v1, 0
	s_mov_b32 s0, exec_lo
	ds_load_b64 v[2:3], v1 offset:792
	s_waitcnt vmcnt(0) lgkmcnt(0)
	v_fma_f64 v[2:3], v[108:109], v[2:3], 0
	s_delay_alu instid0(VALU_DEP_1)
	v_add_f64 v[2:3], v[106:107], -v[2:3]
	scratch_store_b64 off, v[2:3], off offset:384
	v_cmpx_lt_u32_e32 47, v0
	s_cbranch_execz .LBB49_215
; %bb.214:
	scratch_load_b64 v[3:4], off, off offset:376
	v_mov_b32_e32 v2, v1
	scratch_store_b64 off, v[1:2], off offset:376
	s_waitcnt vmcnt(0)
	ds_store_b64 v5, v[3:4]
.LBB49_215:
	s_or_b32 exec_lo, exec_lo, s0
	s_waitcnt lgkmcnt(0)
	s_waitcnt_vscnt null, 0x0
	s_barrier
	buffer_gl0_inv
	s_clause 0x1
	scratch_load_b128 v[106:109], off, off offset:376
	scratch_load_b64 v[110:111], off, off offset:392
	ds_load_b128 v[1:4], v1 offset:784
	s_mov_b32 s0, exec_lo
	s_waitcnt vmcnt(1) lgkmcnt(0)
	v_fma_f64 v[1:2], v[108:109], v[1:2], 0
	s_waitcnt vmcnt(0)
	s_delay_alu instid0(VALU_DEP_1) | instskip(NEXT) | instid1(VALU_DEP_1)
	v_fma_f64 v[1:2], v[110:111], v[3:4], v[1:2]
	v_add_f64 v[1:2], v[106:107], -v[1:2]
	scratch_store_b64 off, v[1:2], off offset:376
	v_cmpx_lt_u32_e32 46, v0
	s_cbranch_execz .LBB49_217
; %bb.216:
	scratch_load_b64 v[1:2], off, off offset:368
	v_mov_b32_e32 v3, 0
	s_delay_alu instid0(VALU_DEP_1)
	v_mov_b32_e32 v4, v3
	scratch_store_b64 off, v[3:4], off offset:368
	s_waitcnt vmcnt(0)
	ds_store_b64 v5, v[1:2]
.LBB49_217:
	s_or_b32 exec_lo, exec_lo, s0
	s_waitcnt lgkmcnt(0)
	s_waitcnt_vscnt null, 0x0
	s_barrier
	buffer_gl0_inv
	s_clause 0x1
	scratch_load_b128 v[106:109], off, off offset:368
	scratch_load_b128 v[110:113], off, off offset:384
	v_mov_b32_e32 v1, 0
	ds_load_2addr_b64 v[114:117], v1 offset0:97 offset1:98
	ds_load_b64 v[2:3], v1 offset:792
	s_mov_b32 s0, exec_lo
	s_waitcnt vmcnt(1) lgkmcnt(1)
	v_fma_f64 v[108:109], v[108:109], v[114:115], 0
	s_waitcnt vmcnt(0)
	s_delay_alu instid0(VALU_DEP_1) | instskip(SKIP_1) | instid1(VALU_DEP_1)
	v_fma_f64 v[108:109], v[110:111], v[116:117], v[108:109]
	s_waitcnt lgkmcnt(0)
	v_fma_f64 v[2:3], v[112:113], v[2:3], v[108:109]
	s_delay_alu instid0(VALU_DEP_1)
	v_add_f64 v[2:3], v[106:107], -v[2:3]
	scratch_store_b64 off, v[2:3], off offset:368
	v_cmpx_lt_u32_e32 45, v0
	s_cbranch_execz .LBB49_219
; %bb.218:
	scratch_load_b64 v[3:4], off, off offset:360
	v_mov_b32_e32 v2, v1
	scratch_store_b64 off, v[1:2], off offset:360
	s_waitcnt vmcnt(0)
	ds_store_b64 v5, v[3:4]
.LBB49_219:
	s_or_b32 exec_lo, exec_lo, s0
	s_waitcnt lgkmcnt(0)
	s_waitcnt_vscnt null, 0x0
	s_barrier
	buffer_gl0_inv
	s_clause 0x2
	scratch_load_b128 v[106:109], off, off offset:360
	scratch_load_b128 v[110:113], off, off offset:376
	scratch_load_b64 v[118:119], off, off offset:392
	ds_load_b128 v[114:117], v1 offset:768
	s_mov_b32 s0, exec_lo
	s_waitcnt vmcnt(2) lgkmcnt(0)
	v_fma_f64 v[2:3], v[108:109], v[114:115], 0
	s_waitcnt vmcnt(1)
	s_delay_alu instid0(VALU_DEP_1) | instskip(SKIP_4) | instid1(VALU_DEP_1)
	v_fma_f64 v[108:109], v[110:111], v[116:117], v[2:3]
	ds_load_b128 v[1:4], v1 offset:784
	s_waitcnt lgkmcnt(0)
	v_fma_f64 v[1:2], v[112:113], v[1:2], v[108:109]
	s_waitcnt vmcnt(0)
	v_fma_f64 v[1:2], v[118:119], v[3:4], v[1:2]
	s_delay_alu instid0(VALU_DEP_1)
	v_add_f64 v[1:2], v[106:107], -v[1:2]
	scratch_store_b64 off, v[1:2], off offset:360
	v_cmpx_lt_u32_e32 44, v0
	s_cbranch_execz .LBB49_221
; %bb.220:
	scratch_load_b64 v[1:2], off, off offset:352
	v_mov_b32_e32 v3, 0
	s_delay_alu instid0(VALU_DEP_1)
	v_mov_b32_e32 v4, v3
	scratch_store_b64 off, v[3:4], off offset:352
	s_waitcnt vmcnt(0)
	ds_store_b64 v5, v[1:2]
.LBB49_221:
	s_or_b32 exec_lo, exec_lo, s0
	s_waitcnt lgkmcnt(0)
	s_waitcnt_vscnt null, 0x0
	s_barrier
	buffer_gl0_inv
	s_clause 0x2
	scratch_load_b128 v[106:109], off, off offset:352
	scratch_load_b128 v[110:113], off, off offset:368
	;; [unrolled: 1-line block ×3, first 2 shown]
	v_mov_b32_e32 v1, 0
	s_mov_b32 s0, exec_lo
	ds_load_2addr_b64 v[118:121], v1 offset0:95 offset1:96
	s_waitcnt vmcnt(2) lgkmcnt(0)
	v_fma_f64 v[2:3], v[108:109], v[118:119], 0
	s_waitcnt vmcnt(1)
	s_delay_alu instid0(VALU_DEP_1)
	v_fma_f64 v[2:3], v[110:111], v[120:121], v[2:3]
	ds_load_2addr_b64 v[108:111], v1 offset0:97 offset1:98
	s_waitcnt lgkmcnt(0)
	v_fma_f64 v[2:3], v[112:113], v[108:109], v[2:3]
	ds_load_b64 v[108:109], v1 offset:792
	s_waitcnt vmcnt(0)
	v_fma_f64 v[2:3], v[114:115], v[110:111], v[2:3]
	s_waitcnt lgkmcnt(0)
	s_delay_alu instid0(VALU_DEP_1) | instskip(NEXT) | instid1(VALU_DEP_1)
	v_fma_f64 v[2:3], v[116:117], v[108:109], v[2:3]
	v_add_f64 v[2:3], v[106:107], -v[2:3]
	scratch_store_b64 off, v[2:3], off offset:352
	v_cmpx_lt_u32_e32 43, v0
	s_cbranch_execz .LBB49_223
; %bb.222:
	scratch_load_b64 v[3:4], off, off offset:344
	v_mov_b32_e32 v2, v1
	scratch_store_b64 off, v[1:2], off offset:344
	s_waitcnt vmcnt(0)
	ds_store_b64 v5, v[3:4]
.LBB49_223:
	s_or_b32 exec_lo, exec_lo, s0
	s_waitcnt lgkmcnt(0)
	s_waitcnt_vscnt null, 0x0
	s_barrier
	buffer_gl0_inv
	s_clause 0x3
	scratch_load_b128 v[106:109], off, off offset:344
	scratch_load_b128 v[110:113], off, off offset:360
	;; [unrolled: 1-line block ×3, first 2 shown]
	scratch_load_b64 v[126:127], off, off offset:392
	ds_load_b128 v[118:121], v1 offset:752
	ds_load_b128 v[122:125], v1 offset:768
	s_mov_b32 s0, exec_lo
	s_waitcnt vmcnt(3) lgkmcnt(1)
	v_fma_f64 v[2:3], v[108:109], v[118:119], 0
	s_waitcnt vmcnt(2)
	s_delay_alu instid0(VALU_DEP_1) | instskip(SKIP_1) | instid1(VALU_DEP_1)
	v_fma_f64 v[2:3], v[110:111], v[120:121], v[2:3]
	s_waitcnt lgkmcnt(0)
	v_fma_f64 v[2:3], v[112:113], v[122:123], v[2:3]
	s_waitcnt vmcnt(1)
	s_delay_alu instid0(VALU_DEP_1) | instskip(SKIP_4) | instid1(VALU_DEP_1)
	v_fma_f64 v[108:109], v[114:115], v[124:125], v[2:3]
	ds_load_b128 v[1:4], v1 offset:784
	s_waitcnt lgkmcnt(0)
	v_fma_f64 v[1:2], v[116:117], v[1:2], v[108:109]
	s_waitcnt vmcnt(0)
	v_fma_f64 v[1:2], v[126:127], v[3:4], v[1:2]
	s_delay_alu instid0(VALU_DEP_1)
	v_add_f64 v[1:2], v[106:107], -v[1:2]
	scratch_store_b64 off, v[1:2], off offset:344
	v_cmpx_lt_u32_e32 42, v0
	s_cbranch_execz .LBB49_225
; %bb.224:
	scratch_load_b64 v[1:2], off, off offset:336
	v_mov_b32_e32 v3, 0
	s_delay_alu instid0(VALU_DEP_1)
	v_mov_b32_e32 v4, v3
	scratch_store_b64 off, v[3:4], off offset:336
	s_waitcnt vmcnt(0)
	ds_store_b64 v5, v[1:2]
.LBB49_225:
	s_or_b32 exec_lo, exec_lo, s0
	s_waitcnt lgkmcnt(0)
	s_waitcnt_vscnt null, 0x0
	s_barrier
	buffer_gl0_inv
	s_clause 0x3
	scratch_load_b128 v[106:109], off, off offset:336
	scratch_load_b128 v[110:113], off, off offset:352
	;; [unrolled: 1-line block ×4, first 2 shown]
	v_mov_b32_e32 v1, 0
	ds_load_2addr_b64 v[122:125], v1 offset0:93 offset1:94
	ds_load_2addr_b64 v[126:129], v1 offset0:95 offset1:96
	s_mov_b32 s0, exec_lo
	s_waitcnt vmcnt(3) lgkmcnt(1)
	v_fma_f64 v[2:3], v[108:109], v[122:123], 0
	s_waitcnt vmcnt(2)
	s_delay_alu instid0(VALU_DEP_1) | instskip(SKIP_1) | instid1(VALU_DEP_1)
	v_fma_f64 v[2:3], v[110:111], v[124:125], v[2:3]
	s_waitcnt lgkmcnt(0)
	v_fma_f64 v[2:3], v[112:113], v[126:127], v[2:3]
	ds_load_2addr_b64 v[108:111], v1 offset0:97 offset1:98
	ds_load_b64 v[112:113], v1 offset:792
	s_waitcnt vmcnt(1)
	v_fma_f64 v[2:3], v[114:115], v[128:129], v[2:3]
	s_waitcnt lgkmcnt(1)
	s_delay_alu instid0(VALU_DEP_1) | instskip(SKIP_1) | instid1(VALU_DEP_1)
	v_fma_f64 v[2:3], v[116:117], v[108:109], v[2:3]
	s_waitcnt vmcnt(0)
	v_fma_f64 v[2:3], v[118:119], v[110:111], v[2:3]
	s_waitcnt lgkmcnt(0)
	s_delay_alu instid0(VALU_DEP_1) | instskip(NEXT) | instid1(VALU_DEP_1)
	v_fma_f64 v[2:3], v[120:121], v[112:113], v[2:3]
	v_add_f64 v[2:3], v[106:107], -v[2:3]
	scratch_store_b64 off, v[2:3], off offset:336
	v_cmpx_lt_u32_e32 41, v0
	s_cbranch_execz .LBB49_227
; %bb.226:
	scratch_load_b64 v[3:4], off, off offset:328
	v_mov_b32_e32 v2, v1
	scratch_store_b64 off, v[1:2], off offset:328
	s_waitcnt vmcnt(0)
	ds_store_b64 v5, v[3:4]
.LBB49_227:
	s_or_b32 exec_lo, exec_lo, s0
	s_waitcnt lgkmcnt(0)
	s_waitcnt_vscnt null, 0x0
	s_barrier
	buffer_gl0_inv
	s_clause 0x4
	scratch_load_b128 v[106:109], off, off offset:328
	scratch_load_b128 v[110:113], off, off offset:344
	;; [unrolled: 1-line block ×4, first 2 shown]
	scratch_load_b64 v[130:131], off, off offset:392
	ds_load_b128 v[122:125], v1 offset:736
	ds_load_b128 v[126:129], v1 offset:752
	s_mov_b32 s0, exec_lo
	s_waitcnt vmcnt(4) lgkmcnt(1)
	v_fma_f64 v[2:3], v[108:109], v[122:123], 0
	s_waitcnt vmcnt(3)
	s_delay_alu instid0(VALU_DEP_1) | instskip(SKIP_1) | instid1(VALU_DEP_1)
	v_fma_f64 v[2:3], v[110:111], v[124:125], v[2:3]
	s_waitcnt lgkmcnt(0)
	v_fma_f64 v[2:3], v[112:113], v[126:127], v[2:3]
	s_waitcnt vmcnt(2)
	s_delay_alu instid0(VALU_DEP_1)
	v_fma_f64 v[112:113], v[114:115], v[128:129], v[2:3]
	ds_load_b128 v[108:111], v1 offset:768
	ds_load_b128 v[1:4], v1 offset:784
	s_waitcnt lgkmcnt(1)
	v_fma_f64 v[108:109], v[116:117], v[108:109], v[112:113]
	s_waitcnt vmcnt(1)
	s_delay_alu instid0(VALU_DEP_1) | instskip(SKIP_1) | instid1(VALU_DEP_1)
	v_fma_f64 v[108:109], v[118:119], v[110:111], v[108:109]
	s_waitcnt lgkmcnt(0)
	v_fma_f64 v[1:2], v[120:121], v[1:2], v[108:109]
	s_waitcnt vmcnt(0)
	s_delay_alu instid0(VALU_DEP_1) | instskip(NEXT) | instid1(VALU_DEP_1)
	v_fma_f64 v[1:2], v[130:131], v[3:4], v[1:2]
	v_add_f64 v[1:2], v[106:107], -v[1:2]
	scratch_store_b64 off, v[1:2], off offset:328
	v_cmpx_lt_u32_e32 40, v0
	s_cbranch_execz .LBB49_229
; %bb.228:
	scratch_load_b64 v[1:2], off, off offset:320
	v_mov_b32_e32 v3, 0
	s_delay_alu instid0(VALU_DEP_1)
	v_mov_b32_e32 v4, v3
	scratch_store_b64 off, v[3:4], off offset:320
	s_waitcnt vmcnt(0)
	ds_store_b64 v5, v[1:2]
.LBB49_229:
	s_or_b32 exec_lo, exec_lo, s0
	s_waitcnt lgkmcnt(0)
	s_waitcnt_vscnt null, 0x0
	s_barrier
	buffer_gl0_inv
	s_clause 0x4
	scratch_load_b128 v[106:109], off, off offset:320
	scratch_load_b128 v[110:113], off, off offset:336
	;; [unrolled: 1-line block ×5, first 2 shown]
	v_mov_b32_e32 v1, 0
	ds_load_2addr_b64 v[126:129], v1 offset0:91 offset1:92
	ds_load_2addr_b64 v[130:133], v1 offset0:93 offset1:94
	s_mov_b32 s0, exec_lo
	s_waitcnt vmcnt(4) lgkmcnt(1)
	v_fma_f64 v[2:3], v[108:109], v[126:127], 0
	s_waitcnt vmcnt(3)
	s_delay_alu instid0(VALU_DEP_1) | instskip(SKIP_1) | instid1(VALU_DEP_1)
	v_fma_f64 v[2:3], v[110:111], v[128:129], v[2:3]
	s_waitcnt lgkmcnt(0)
	v_fma_f64 v[2:3], v[112:113], v[130:131], v[2:3]
	s_waitcnt vmcnt(2)
	s_delay_alu instid0(VALU_DEP_1)
	v_fma_f64 v[2:3], v[114:115], v[132:133], v[2:3]
	ds_load_2addr_b64 v[108:111], v1 offset0:95 offset1:96
	ds_load_2addr_b64 v[112:115], v1 offset0:97 offset1:98
	s_waitcnt lgkmcnt(1)
	v_fma_f64 v[2:3], v[116:117], v[108:109], v[2:3]
	ds_load_b64 v[108:109], v1 offset:792
	s_waitcnt vmcnt(1)
	v_fma_f64 v[2:3], v[118:119], v[110:111], v[2:3]
	s_waitcnt lgkmcnt(1)
	s_delay_alu instid0(VALU_DEP_1) | instskip(SKIP_1) | instid1(VALU_DEP_1)
	v_fma_f64 v[2:3], v[120:121], v[112:113], v[2:3]
	s_waitcnt vmcnt(0)
	v_fma_f64 v[2:3], v[122:123], v[114:115], v[2:3]
	s_waitcnt lgkmcnt(0)
	s_delay_alu instid0(VALU_DEP_1) | instskip(NEXT) | instid1(VALU_DEP_1)
	v_fma_f64 v[2:3], v[124:125], v[108:109], v[2:3]
	v_add_f64 v[2:3], v[106:107], -v[2:3]
	scratch_store_b64 off, v[2:3], off offset:320
	v_cmpx_lt_u32_e32 39, v0
	s_cbranch_execz .LBB49_231
; %bb.230:
	scratch_load_b64 v[3:4], off, off offset:312
	v_mov_b32_e32 v2, v1
	scratch_store_b64 off, v[1:2], off offset:312
	s_waitcnt vmcnt(0)
	ds_store_b64 v5, v[3:4]
.LBB49_231:
	s_or_b32 exec_lo, exec_lo, s0
	s_waitcnt lgkmcnt(0)
	s_waitcnt_vscnt null, 0x0
	s_barrier
	buffer_gl0_inv
	s_clause 0x4
	scratch_load_b128 v[106:109], off, off offset:312
	scratch_load_b128 v[110:113], off, off offset:328
	;; [unrolled: 1-line block ×5, first 2 shown]
	ds_load_b128 v[126:129], v1 offset:720
	ds_load_b128 v[130:133], v1 offset:736
	s_mov_b32 s0, exec_lo
	s_waitcnt vmcnt(4) lgkmcnt(1)
	v_fma_f64 v[2:3], v[108:109], v[126:127], 0
	scratch_load_b64 v[126:127], off, off offset:392
	s_waitcnt vmcnt(4)
	v_fma_f64 v[2:3], v[110:111], v[128:129], v[2:3]
	s_waitcnt lgkmcnt(0)
	s_delay_alu instid0(VALU_DEP_1) | instskip(SKIP_1) | instid1(VALU_DEP_1)
	v_fma_f64 v[2:3], v[112:113], v[130:131], v[2:3]
	s_waitcnt vmcnt(3)
	v_fma_f64 v[2:3], v[114:115], v[132:133], v[2:3]
	ds_load_b128 v[108:111], v1 offset:752
	ds_load_b128 v[112:115], v1 offset:768
	s_waitcnt lgkmcnt(1)
	v_fma_f64 v[2:3], v[116:117], v[108:109], v[2:3]
	s_waitcnt vmcnt(2)
	s_delay_alu instid0(VALU_DEP_1) | instskip(SKIP_1) | instid1(VALU_DEP_1)
	v_fma_f64 v[2:3], v[118:119], v[110:111], v[2:3]
	s_waitcnt lgkmcnt(0)
	v_fma_f64 v[2:3], v[120:121], v[112:113], v[2:3]
	s_waitcnt vmcnt(1)
	s_delay_alu instid0(VALU_DEP_1) | instskip(SKIP_4) | instid1(VALU_DEP_1)
	v_fma_f64 v[108:109], v[122:123], v[114:115], v[2:3]
	ds_load_b128 v[1:4], v1 offset:784
	s_waitcnt lgkmcnt(0)
	v_fma_f64 v[1:2], v[124:125], v[1:2], v[108:109]
	s_waitcnt vmcnt(0)
	v_fma_f64 v[1:2], v[126:127], v[3:4], v[1:2]
	s_delay_alu instid0(VALU_DEP_1)
	v_add_f64 v[1:2], v[106:107], -v[1:2]
	scratch_store_b64 off, v[1:2], off offset:312
	v_cmpx_lt_u32_e32 38, v0
	s_cbranch_execz .LBB49_233
; %bb.232:
	scratch_load_b64 v[1:2], off, off offset:304
	v_mov_b32_e32 v3, 0
	s_delay_alu instid0(VALU_DEP_1)
	v_mov_b32_e32 v4, v3
	scratch_store_b64 off, v[3:4], off offset:304
	s_waitcnt vmcnt(0)
	ds_store_b64 v5, v[1:2]
.LBB49_233:
	s_or_b32 exec_lo, exec_lo, s0
	s_waitcnt lgkmcnt(0)
	s_waitcnt_vscnt null, 0x0
	s_barrier
	buffer_gl0_inv
	s_clause 0x4
	scratch_load_b128 v[106:109], off, off offset:304
	scratch_load_b128 v[110:113], off, off offset:320
	;; [unrolled: 1-line block ×5, first 2 shown]
	v_mov_b32_e32 v1, 0
	ds_load_2addr_b64 v[126:129], v1 offset0:89 offset1:90
	ds_load_2addr_b64 v[130:133], v1 offset0:91 offset1:92
	scratch_load_b128 v[134:137], off, off offset:384
	s_mov_b32 s0, exec_lo
	s_waitcnt vmcnt(5) lgkmcnt(1)
	v_fma_f64 v[2:3], v[108:109], v[126:127], 0
	s_waitcnt vmcnt(4)
	s_delay_alu instid0(VALU_DEP_1) | instskip(SKIP_1) | instid1(VALU_DEP_1)
	v_fma_f64 v[2:3], v[110:111], v[128:129], v[2:3]
	s_waitcnt lgkmcnt(0)
	v_fma_f64 v[2:3], v[112:113], v[130:131], v[2:3]
	s_waitcnt vmcnt(3)
	s_delay_alu instid0(VALU_DEP_1)
	v_fma_f64 v[2:3], v[114:115], v[132:133], v[2:3]
	ds_load_2addr_b64 v[108:111], v1 offset0:93 offset1:94
	ds_load_2addr_b64 v[112:115], v1 offset0:95 offset1:96
	s_waitcnt lgkmcnt(1)
	v_fma_f64 v[2:3], v[116:117], v[108:109], v[2:3]
	s_waitcnt vmcnt(2)
	s_delay_alu instid0(VALU_DEP_1) | instskip(SKIP_1) | instid1(VALU_DEP_1)
	v_fma_f64 v[2:3], v[118:119], v[110:111], v[2:3]
	s_waitcnt lgkmcnt(0)
	v_fma_f64 v[2:3], v[120:121], v[112:113], v[2:3]
	ds_load_2addr_b64 v[108:111], v1 offset0:97 offset1:98
	ds_load_b64 v[112:113], v1 offset:792
	s_waitcnt vmcnt(1)
	v_fma_f64 v[2:3], v[122:123], v[114:115], v[2:3]
	s_waitcnt lgkmcnt(1)
	s_delay_alu instid0(VALU_DEP_1) | instskip(SKIP_1) | instid1(VALU_DEP_1)
	v_fma_f64 v[2:3], v[124:125], v[108:109], v[2:3]
	s_waitcnt vmcnt(0)
	v_fma_f64 v[2:3], v[134:135], v[110:111], v[2:3]
	s_waitcnt lgkmcnt(0)
	s_delay_alu instid0(VALU_DEP_1) | instskip(NEXT) | instid1(VALU_DEP_1)
	v_fma_f64 v[2:3], v[136:137], v[112:113], v[2:3]
	v_add_f64 v[2:3], v[106:107], -v[2:3]
	scratch_store_b64 off, v[2:3], off offset:304
	v_cmpx_lt_u32_e32 37, v0
	s_cbranch_execz .LBB49_235
; %bb.234:
	scratch_load_b64 v[3:4], off, off offset:296
	v_mov_b32_e32 v2, v1
	scratch_store_b64 off, v[1:2], off offset:296
	s_waitcnt vmcnt(0)
	ds_store_b64 v5, v[3:4]
.LBB49_235:
	s_or_b32 exec_lo, exec_lo, s0
	s_waitcnt lgkmcnt(0)
	s_waitcnt_vscnt null, 0x0
	s_barrier
	buffer_gl0_inv
	s_clause 0x4
	scratch_load_b128 v[106:109], off, off offset:296
	scratch_load_b128 v[110:113], off, off offset:312
	;; [unrolled: 1-line block ×5, first 2 shown]
	ds_load_b128 v[126:129], v1 offset:704
	ds_load_b128 v[130:133], v1 offset:720
	scratch_load_b128 v[134:137], off, off offset:376
	s_mov_b32 s0, exec_lo
	s_waitcnt vmcnt(5) lgkmcnt(1)
	v_fma_f64 v[2:3], v[108:109], v[126:127], 0
	scratch_load_b64 v[126:127], off, off offset:392
	s_waitcnt vmcnt(5)
	v_fma_f64 v[2:3], v[110:111], v[128:129], v[2:3]
	s_waitcnt lgkmcnt(0)
	s_delay_alu instid0(VALU_DEP_1) | instskip(SKIP_1) | instid1(VALU_DEP_1)
	v_fma_f64 v[2:3], v[112:113], v[130:131], v[2:3]
	s_waitcnt vmcnt(4)
	v_fma_f64 v[2:3], v[114:115], v[132:133], v[2:3]
	ds_load_b128 v[108:111], v1 offset:736
	ds_load_b128 v[112:115], v1 offset:752
	s_waitcnt lgkmcnt(1)
	v_fma_f64 v[2:3], v[116:117], v[108:109], v[2:3]
	s_waitcnt vmcnt(3)
	s_delay_alu instid0(VALU_DEP_1) | instskip(SKIP_1) | instid1(VALU_DEP_1)
	v_fma_f64 v[2:3], v[118:119], v[110:111], v[2:3]
	s_waitcnt lgkmcnt(0)
	v_fma_f64 v[2:3], v[120:121], v[112:113], v[2:3]
	s_waitcnt vmcnt(2)
	s_delay_alu instid0(VALU_DEP_1)
	v_fma_f64 v[112:113], v[122:123], v[114:115], v[2:3]
	ds_load_b128 v[108:111], v1 offset:768
	ds_load_b128 v[1:4], v1 offset:784
	s_waitcnt lgkmcnt(1)
	v_fma_f64 v[108:109], v[124:125], v[108:109], v[112:113]
	s_waitcnt vmcnt(1)
	s_delay_alu instid0(VALU_DEP_1) | instskip(SKIP_1) | instid1(VALU_DEP_1)
	v_fma_f64 v[108:109], v[134:135], v[110:111], v[108:109]
	s_waitcnt lgkmcnt(0)
	v_fma_f64 v[1:2], v[136:137], v[1:2], v[108:109]
	s_waitcnt vmcnt(0)
	s_delay_alu instid0(VALU_DEP_1) | instskip(NEXT) | instid1(VALU_DEP_1)
	v_fma_f64 v[1:2], v[126:127], v[3:4], v[1:2]
	v_add_f64 v[1:2], v[106:107], -v[1:2]
	scratch_store_b64 off, v[1:2], off offset:296
	v_cmpx_lt_u32_e32 36, v0
	s_cbranch_execz .LBB49_237
; %bb.236:
	scratch_load_b64 v[1:2], off, off offset:288
	v_mov_b32_e32 v3, 0
	s_delay_alu instid0(VALU_DEP_1)
	v_mov_b32_e32 v4, v3
	scratch_store_b64 off, v[3:4], off offset:288
	s_waitcnt vmcnt(0)
	ds_store_b64 v5, v[1:2]
.LBB49_237:
	s_or_b32 exec_lo, exec_lo, s0
	s_waitcnt lgkmcnt(0)
	s_waitcnt_vscnt null, 0x0
	s_barrier
	buffer_gl0_inv
	s_clause 0x4
	scratch_load_b128 v[106:109], off, off offset:288
	scratch_load_b128 v[110:113], off, off offset:304
	;; [unrolled: 1-line block ×5, first 2 shown]
	v_mov_b32_e32 v1, 0
	ds_load_2addr_b64 v[126:129], v1 offset0:87 offset1:88
	ds_load_2addr_b64 v[130:133], v1 offset0:89 offset1:90
	scratch_load_b128 v[134:137], off, off offset:368
	s_mov_b32 s0, exec_lo
	s_waitcnt vmcnt(5) lgkmcnt(1)
	v_fma_f64 v[2:3], v[108:109], v[126:127], 0
	s_waitcnt vmcnt(4)
	s_delay_alu instid0(VALU_DEP_1) | instskip(SKIP_4) | instid1(VALU_DEP_1)
	v_fma_f64 v[2:3], v[110:111], v[128:129], v[2:3]
	scratch_load_b128 v[108:111], off, off offset:384
	s_waitcnt lgkmcnt(0)
	v_fma_f64 v[2:3], v[112:113], v[130:131], v[2:3]
	s_waitcnt vmcnt(4)
	v_fma_f64 v[2:3], v[114:115], v[132:133], v[2:3]
	ds_load_2addr_b64 v[112:115], v1 offset0:91 offset1:92
	ds_load_2addr_b64 v[126:129], v1 offset0:93 offset1:94
	s_waitcnt lgkmcnt(1)
	v_fma_f64 v[2:3], v[116:117], v[112:113], v[2:3]
	s_waitcnt vmcnt(3)
	s_delay_alu instid0(VALU_DEP_1)
	v_fma_f64 v[2:3], v[118:119], v[114:115], v[2:3]
	ds_load_2addr_b64 v[112:115], v1 offset0:95 offset1:96
	ds_load_2addr_b64 v[116:119], v1 offset0:97 offset1:98
	s_waitcnt lgkmcnt(2)
	v_fma_f64 v[2:3], v[120:121], v[126:127], v[2:3]
	s_waitcnt vmcnt(2)
	s_delay_alu instid0(VALU_DEP_1) | instskip(SKIP_1) | instid1(VALU_DEP_1)
	v_fma_f64 v[2:3], v[122:123], v[128:129], v[2:3]
	s_waitcnt lgkmcnt(1)
	v_fma_f64 v[2:3], v[124:125], v[112:113], v[2:3]
	s_waitcnt vmcnt(1)
	s_delay_alu instid0(VALU_DEP_1) | instskip(SKIP_1) | instid1(VALU_DEP_1)
	v_fma_f64 v[2:3], v[134:135], v[114:115], v[2:3]
	s_waitcnt lgkmcnt(0)
	v_fma_f64 v[2:3], v[136:137], v[116:117], v[2:3]
	s_waitcnt vmcnt(0)
	s_delay_alu instid0(VALU_DEP_1) | instskip(SKIP_3) | instid1(VALU_DEP_1)
	v_fma_f64 v[2:3], v[108:109], v[118:119], v[2:3]
	ds_load_b64 v[108:109], v1 offset:792
	s_waitcnt lgkmcnt(0)
	v_fma_f64 v[2:3], v[110:111], v[108:109], v[2:3]
	v_add_f64 v[2:3], v[106:107], -v[2:3]
	scratch_store_b64 off, v[2:3], off offset:288
	v_cmpx_lt_u32_e32 35, v0
	s_cbranch_execz .LBB49_239
; %bb.238:
	scratch_load_b64 v[3:4], off, off offset:280
	v_mov_b32_e32 v2, v1
	scratch_store_b64 off, v[1:2], off offset:280
	s_waitcnt vmcnt(0)
	ds_store_b64 v5, v[3:4]
.LBB49_239:
	s_or_b32 exec_lo, exec_lo, s0
	s_waitcnt lgkmcnt(0)
	s_waitcnt_vscnt null, 0x0
	s_barrier
	buffer_gl0_inv
	s_clause 0x4
	scratch_load_b128 v[106:109], off, off offset:280
	scratch_load_b128 v[110:113], off, off offset:296
	scratch_load_b128 v[114:117], off, off offset:312
	scratch_load_b128 v[118:121], off, off offset:328
	scratch_load_b128 v[122:125], off, off offset:344
	ds_load_b128 v[126:129], v1 offset:688
	ds_load_b128 v[130:133], v1 offset:704
	scratch_load_b128 v[134:137], off, off offset:360
	s_mov_b32 s0, exec_lo
	s_waitcnt vmcnt(5) lgkmcnt(1)
	v_fma_f64 v[2:3], v[108:109], v[126:127], 0
	s_waitcnt vmcnt(4)
	s_delay_alu instid0(VALU_DEP_1) | instskip(SKIP_4) | instid1(VALU_DEP_1)
	v_fma_f64 v[2:3], v[110:111], v[128:129], v[2:3]
	scratch_load_b128 v[108:111], off, off offset:376
	s_waitcnt lgkmcnt(0)
	v_fma_f64 v[2:3], v[112:113], v[130:131], v[2:3]
	s_waitcnt vmcnt(4)
	v_fma_f64 v[2:3], v[114:115], v[132:133], v[2:3]
	ds_load_b128 v[112:115], v1 offset:720
	ds_load_b128 v[126:129], v1 offset:736
	scratch_load_b64 v[130:131], off, off offset:392
	s_waitcnt lgkmcnt(1)
	v_fma_f64 v[2:3], v[116:117], v[112:113], v[2:3]
	s_waitcnt vmcnt(4)
	s_delay_alu instid0(VALU_DEP_1)
	v_fma_f64 v[2:3], v[118:119], v[114:115], v[2:3]
	ds_load_b128 v[112:115], v1 offset:752
	ds_load_b128 v[116:119], v1 offset:768
	s_waitcnt lgkmcnt(2)
	v_fma_f64 v[2:3], v[120:121], v[126:127], v[2:3]
	s_waitcnt vmcnt(3)
	s_delay_alu instid0(VALU_DEP_1) | instskip(SKIP_1) | instid1(VALU_DEP_1)
	v_fma_f64 v[2:3], v[122:123], v[128:129], v[2:3]
	s_waitcnt lgkmcnt(1)
	v_fma_f64 v[2:3], v[124:125], v[112:113], v[2:3]
	s_waitcnt vmcnt(2)
	s_delay_alu instid0(VALU_DEP_1) | instskip(SKIP_1) | instid1(VALU_DEP_1)
	v_fma_f64 v[2:3], v[134:135], v[114:115], v[2:3]
	s_waitcnt lgkmcnt(0)
	v_fma_f64 v[2:3], v[136:137], v[116:117], v[2:3]
	s_waitcnt vmcnt(1)
	s_delay_alu instid0(VALU_DEP_1) | instskip(SKIP_4) | instid1(VALU_DEP_1)
	v_fma_f64 v[108:109], v[108:109], v[118:119], v[2:3]
	ds_load_b128 v[1:4], v1 offset:784
	s_waitcnt lgkmcnt(0)
	v_fma_f64 v[1:2], v[110:111], v[1:2], v[108:109]
	s_waitcnt vmcnt(0)
	v_fma_f64 v[1:2], v[130:131], v[3:4], v[1:2]
	s_delay_alu instid0(VALU_DEP_1)
	v_add_f64 v[1:2], v[106:107], -v[1:2]
	scratch_store_b64 off, v[1:2], off offset:280
	v_cmpx_lt_u32_e32 34, v0
	s_cbranch_execz .LBB49_241
; %bb.240:
	scratch_load_b64 v[1:2], off, off offset:272
	v_mov_b32_e32 v3, 0
	s_delay_alu instid0(VALU_DEP_1)
	v_mov_b32_e32 v4, v3
	scratch_store_b64 off, v[3:4], off offset:272
	s_waitcnt vmcnt(0)
	ds_store_b64 v5, v[1:2]
.LBB49_241:
	s_or_b32 exec_lo, exec_lo, s0
	s_waitcnt lgkmcnt(0)
	s_waitcnt_vscnt null, 0x0
	s_barrier
	buffer_gl0_inv
	s_clause 0x4
	scratch_load_b128 v[106:109], off, off offset:272
	scratch_load_b128 v[110:113], off, off offset:288
	;; [unrolled: 1-line block ×5, first 2 shown]
	v_mov_b32_e32 v1, 0
	ds_load_2addr_b64 v[126:129], v1 offset0:85 offset1:86
	ds_load_2addr_b64 v[130:133], v1 offset0:87 offset1:88
	scratch_load_b128 v[134:137], off, off offset:352
	s_mov_b32 s0, exec_lo
	s_waitcnt vmcnt(5) lgkmcnt(1)
	v_fma_f64 v[2:3], v[108:109], v[126:127], 0
	s_waitcnt vmcnt(4)
	s_delay_alu instid0(VALU_DEP_1) | instskip(SKIP_4) | instid1(VALU_DEP_1)
	v_fma_f64 v[2:3], v[110:111], v[128:129], v[2:3]
	scratch_load_b128 v[108:111], off, off offset:368
	s_waitcnt lgkmcnt(0)
	v_fma_f64 v[2:3], v[112:113], v[130:131], v[2:3]
	s_waitcnt vmcnt(4)
	v_fma_f64 v[2:3], v[114:115], v[132:133], v[2:3]
	ds_load_2addr_b64 v[112:115], v1 offset0:89 offset1:90
	ds_load_2addr_b64 v[126:129], v1 offset0:91 offset1:92
	scratch_load_b128 v[130:133], off, off offset:384
	s_waitcnt lgkmcnt(1)
	v_fma_f64 v[2:3], v[116:117], v[112:113], v[2:3]
	s_waitcnt vmcnt(4)
	s_delay_alu instid0(VALU_DEP_1)
	v_fma_f64 v[2:3], v[118:119], v[114:115], v[2:3]
	ds_load_2addr_b64 v[112:115], v1 offset0:93 offset1:94
	ds_load_2addr_b64 v[116:119], v1 offset0:95 offset1:96
	s_waitcnt lgkmcnt(2)
	v_fma_f64 v[2:3], v[120:121], v[126:127], v[2:3]
	s_waitcnt vmcnt(3)
	s_delay_alu instid0(VALU_DEP_1) | instskip(SKIP_1) | instid1(VALU_DEP_1)
	v_fma_f64 v[2:3], v[122:123], v[128:129], v[2:3]
	s_waitcnt lgkmcnt(1)
	v_fma_f64 v[2:3], v[124:125], v[112:113], v[2:3]
	s_waitcnt vmcnt(2)
	s_delay_alu instid0(VALU_DEP_1) | instskip(SKIP_1) | instid1(VALU_DEP_1)
	v_fma_f64 v[2:3], v[134:135], v[114:115], v[2:3]
	s_waitcnt lgkmcnt(0)
	v_fma_f64 v[2:3], v[136:137], v[116:117], v[2:3]
	s_waitcnt vmcnt(1)
	s_delay_alu instid0(VALU_DEP_1)
	v_fma_f64 v[2:3], v[108:109], v[118:119], v[2:3]
	ds_load_2addr_b64 v[112:115], v1 offset0:97 offset1:98
	ds_load_b64 v[108:109], v1 offset:792
	s_waitcnt lgkmcnt(1)
	v_fma_f64 v[2:3], v[110:111], v[112:113], v[2:3]
	s_waitcnt vmcnt(0)
	s_delay_alu instid0(VALU_DEP_1) | instskip(SKIP_1) | instid1(VALU_DEP_1)
	v_fma_f64 v[2:3], v[130:131], v[114:115], v[2:3]
	s_waitcnt lgkmcnt(0)
	v_fma_f64 v[2:3], v[132:133], v[108:109], v[2:3]
	s_delay_alu instid0(VALU_DEP_1)
	v_add_f64 v[2:3], v[106:107], -v[2:3]
	scratch_store_b64 off, v[2:3], off offset:272
	v_cmpx_lt_u32_e32 33, v0
	s_cbranch_execz .LBB49_243
; %bb.242:
	scratch_load_b64 v[3:4], off, off offset:264
	v_mov_b32_e32 v2, v1
	scratch_store_b64 off, v[1:2], off offset:264
	s_waitcnt vmcnt(0)
	ds_store_b64 v5, v[3:4]
.LBB49_243:
	s_or_b32 exec_lo, exec_lo, s0
	s_waitcnt lgkmcnt(0)
	s_waitcnt_vscnt null, 0x0
	s_barrier
	buffer_gl0_inv
	s_clause 0x4
	scratch_load_b128 v[106:109], off, off offset:264
	scratch_load_b128 v[110:113], off, off offset:280
	;; [unrolled: 1-line block ×5, first 2 shown]
	ds_load_b128 v[126:129], v1 offset:672
	ds_load_b128 v[130:133], v1 offset:688
	scratch_load_b128 v[134:137], off, off offset:344
	s_mov_b32 s0, exec_lo
	s_waitcnt vmcnt(5) lgkmcnt(1)
	v_fma_f64 v[2:3], v[108:109], v[126:127], 0
	s_waitcnt vmcnt(4)
	s_delay_alu instid0(VALU_DEP_1) | instskip(SKIP_4) | instid1(VALU_DEP_1)
	v_fma_f64 v[2:3], v[110:111], v[128:129], v[2:3]
	scratch_load_b128 v[108:111], off, off offset:360
	s_waitcnt lgkmcnt(0)
	v_fma_f64 v[2:3], v[112:113], v[130:131], v[2:3]
	s_waitcnt vmcnt(4)
	v_fma_f64 v[2:3], v[114:115], v[132:133], v[2:3]
	ds_load_b128 v[112:115], v1 offset:704
	ds_load_b128 v[126:129], v1 offset:720
	scratch_load_b128 v[130:133], off, off offset:376
	s_waitcnt lgkmcnt(1)
	v_fma_f64 v[2:3], v[116:117], v[112:113], v[2:3]
	s_waitcnt vmcnt(4)
	s_delay_alu instid0(VALU_DEP_1) | instskip(SKIP_1) | instid1(VALU_DEP_1)
	v_fma_f64 v[2:3], v[118:119], v[114:115], v[2:3]
	s_waitcnt lgkmcnt(0)
	v_fma_f64 v[2:3], v[120:121], v[126:127], v[2:3]
	scratch_load_b64 v[120:121], off, off offset:392
	ds_load_b128 v[112:115], v1 offset:736
	ds_load_b128 v[116:119], v1 offset:752
	s_waitcnt vmcnt(4)
	v_fma_f64 v[2:3], v[122:123], v[128:129], v[2:3]
	s_waitcnt lgkmcnt(1)
	s_delay_alu instid0(VALU_DEP_1) | instskip(SKIP_1) | instid1(VALU_DEP_1)
	v_fma_f64 v[2:3], v[124:125], v[112:113], v[2:3]
	s_waitcnt vmcnt(3)
	v_fma_f64 v[2:3], v[134:135], v[114:115], v[2:3]
	s_waitcnt lgkmcnt(0)
	s_delay_alu instid0(VALU_DEP_1) | instskip(SKIP_1) | instid1(VALU_DEP_1)
	v_fma_f64 v[2:3], v[136:137], v[116:117], v[2:3]
	s_waitcnt vmcnt(2)
	v_fma_f64 v[108:109], v[108:109], v[118:119], v[2:3]
	ds_load_b128 v[112:115], v1 offset:768
	ds_load_b128 v[1:4], v1 offset:784
	s_waitcnt lgkmcnt(1)
	v_fma_f64 v[108:109], v[110:111], v[112:113], v[108:109]
	s_waitcnt vmcnt(1)
	s_delay_alu instid0(VALU_DEP_1) | instskip(SKIP_1) | instid1(VALU_DEP_1)
	v_fma_f64 v[108:109], v[130:131], v[114:115], v[108:109]
	s_waitcnt lgkmcnt(0)
	v_fma_f64 v[1:2], v[132:133], v[1:2], v[108:109]
	s_waitcnt vmcnt(0)
	s_delay_alu instid0(VALU_DEP_1) | instskip(NEXT) | instid1(VALU_DEP_1)
	v_fma_f64 v[1:2], v[120:121], v[3:4], v[1:2]
	v_add_f64 v[1:2], v[106:107], -v[1:2]
	scratch_store_b64 off, v[1:2], off offset:264
	v_cmpx_lt_u32_e32 32, v0
	s_cbranch_execz .LBB49_245
; %bb.244:
	scratch_load_b64 v[1:2], off, off offset:256
	v_mov_b32_e32 v3, 0
	s_delay_alu instid0(VALU_DEP_1)
	v_mov_b32_e32 v4, v3
	scratch_store_b64 off, v[3:4], off offset:256
	s_waitcnt vmcnt(0)
	ds_store_b64 v5, v[1:2]
.LBB49_245:
	s_or_b32 exec_lo, exec_lo, s0
	s_waitcnt lgkmcnt(0)
	s_waitcnt_vscnt null, 0x0
	s_barrier
	buffer_gl0_inv
	s_clause 0x4
	scratch_load_b128 v[106:109], off, off offset:256
	scratch_load_b128 v[110:113], off, off offset:272
	scratch_load_b128 v[114:117], off, off offset:288
	scratch_load_b128 v[118:121], off, off offset:304
	scratch_load_b128 v[122:125], off, off offset:320
	v_mov_b32_e32 v1, 0
	ds_load_2addr_b64 v[126:129], v1 offset0:83 offset1:84
	ds_load_2addr_b64 v[130:133], v1 offset0:85 offset1:86
	scratch_load_b128 v[134:137], off, off offset:336
	s_mov_b32 s0, exec_lo
	s_waitcnt vmcnt(5) lgkmcnt(1)
	v_fma_f64 v[2:3], v[108:109], v[126:127], 0
	s_waitcnt vmcnt(4)
	s_delay_alu instid0(VALU_DEP_1) | instskip(SKIP_4) | instid1(VALU_DEP_1)
	v_fma_f64 v[2:3], v[110:111], v[128:129], v[2:3]
	scratch_load_b128 v[108:111], off, off offset:352
	s_waitcnt lgkmcnt(0)
	v_fma_f64 v[2:3], v[112:113], v[130:131], v[2:3]
	s_waitcnt vmcnt(4)
	v_fma_f64 v[2:3], v[114:115], v[132:133], v[2:3]
	ds_load_2addr_b64 v[112:115], v1 offset0:87 offset1:88
	ds_load_2addr_b64 v[126:129], v1 offset0:89 offset1:90
	scratch_load_b128 v[130:133], off, off offset:368
	s_waitcnt lgkmcnt(1)
	v_fma_f64 v[2:3], v[116:117], v[112:113], v[2:3]
	s_waitcnt vmcnt(4)
	s_delay_alu instid0(VALU_DEP_1) | instskip(SKIP_4) | instid1(VALU_DEP_1)
	v_fma_f64 v[2:3], v[118:119], v[114:115], v[2:3]
	scratch_load_b128 v[112:115], off, off offset:384
	s_waitcnt lgkmcnt(0)
	v_fma_f64 v[2:3], v[120:121], v[126:127], v[2:3]
	s_waitcnt vmcnt(4)
	v_fma_f64 v[2:3], v[122:123], v[128:129], v[2:3]
	ds_load_2addr_b64 v[116:119], v1 offset0:91 offset1:92
	ds_load_2addr_b64 v[120:123], v1 offset0:93 offset1:94
	s_waitcnt lgkmcnt(1)
	v_fma_f64 v[2:3], v[124:125], v[116:117], v[2:3]
	s_waitcnt vmcnt(3)
	s_delay_alu instid0(VALU_DEP_1) | instskip(SKIP_1) | instid1(VALU_DEP_1)
	v_fma_f64 v[2:3], v[134:135], v[118:119], v[2:3]
	s_waitcnt lgkmcnt(0)
	v_fma_f64 v[2:3], v[136:137], v[120:121], v[2:3]
	s_waitcnt vmcnt(2)
	s_delay_alu instid0(VALU_DEP_1)
	v_fma_f64 v[2:3], v[108:109], v[122:123], v[2:3]
	ds_load_2addr_b64 v[116:119], v1 offset0:95 offset1:96
	ds_load_2addr_b64 v[120:123], v1 offset0:97 offset1:98
	ds_load_b64 v[108:109], v1 offset:792
	s_waitcnt lgkmcnt(2)
	v_fma_f64 v[2:3], v[110:111], v[116:117], v[2:3]
	s_waitcnt vmcnt(1)
	s_delay_alu instid0(VALU_DEP_1) | instskip(SKIP_1) | instid1(VALU_DEP_1)
	v_fma_f64 v[2:3], v[130:131], v[118:119], v[2:3]
	s_waitcnt lgkmcnt(1)
	v_fma_f64 v[2:3], v[132:133], v[120:121], v[2:3]
	s_waitcnt vmcnt(0)
	s_delay_alu instid0(VALU_DEP_1) | instskip(SKIP_1) | instid1(VALU_DEP_1)
	v_fma_f64 v[2:3], v[112:113], v[122:123], v[2:3]
	s_waitcnt lgkmcnt(0)
	v_fma_f64 v[2:3], v[114:115], v[108:109], v[2:3]
	s_delay_alu instid0(VALU_DEP_1)
	v_add_f64 v[2:3], v[106:107], -v[2:3]
	scratch_store_b64 off, v[2:3], off offset:256
	v_cmpx_lt_u32_e32 31, v0
	s_cbranch_execz .LBB49_247
; %bb.246:
	scratch_load_b64 v[3:4], off, off offset:248
	v_mov_b32_e32 v2, v1
	scratch_store_b64 off, v[1:2], off offset:248
	s_waitcnt vmcnt(0)
	ds_store_b64 v5, v[3:4]
.LBB49_247:
	s_or_b32 exec_lo, exec_lo, s0
	s_waitcnt lgkmcnt(0)
	s_waitcnt_vscnt null, 0x0
	s_barrier
	buffer_gl0_inv
	s_clause 0x4
	scratch_load_b128 v[106:109], off, off offset:248
	scratch_load_b128 v[110:113], off, off offset:264
	;; [unrolled: 1-line block ×5, first 2 shown]
	ds_load_b128 v[126:129], v1 offset:656
	ds_load_b128 v[130:133], v1 offset:672
	scratch_load_b128 v[134:137], off, off offset:328
	s_mov_b32 s0, exec_lo
	s_waitcnt vmcnt(5) lgkmcnt(1)
	v_fma_f64 v[2:3], v[108:109], v[126:127], 0
	s_waitcnt vmcnt(4)
	s_delay_alu instid0(VALU_DEP_1) | instskip(SKIP_4) | instid1(VALU_DEP_1)
	v_fma_f64 v[2:3], v[110:111], v[128:129], v[2:3]
	scratch_load_b128 v[108:111], off, off offset:344
	s_waitcnt lgkmcnt(0)
	v_fma_f64 v[2:3], v[112:113], v[130:131], v[2:3]
	s_waitcnt vmcnt(4)
	v_fma_f64 v[2:3], v[114:115], v[132:133], v[2:3]
	ds_load_b128 v[112:115], v1 offset:688
	ds_load_b128 v[126:129], v1 offset:704
	scratch_load_b128 v[130:133], off, off offset:360
	s_waitcnt lgkmcnt(1)
	v_fma_f64 v[2:3], v[116:117], v[112:113], v[2:3]
	s_waitcnt vmcnt(4)
	s_delay_alu instid0(VALU_DEP_1) | instskip(SKIP_4) | instid1(VALU_DEP_1)
	v_fma_f64 v[2:3], v[118:119], v[114:115], v[2:3]
	scratch_load_b128 v[112:115], off, off offset:376
	s_waitcnt lgkmcnt(0)
	v_fma_f64 v[2:3], v[120:121], v[126:127], v[2:3]
	s_waitcnt vmcnt(4)
	v_fma_f64 v[2:3], v[122:123], v[128:129], v[2:3]
	ds_load_b128 v[116:119], v1 offset:720
	ds_load_b128 v[120:123], v1 offset:736
	s_waitcnt lgkmcnt(1)
	v_fma_f64 v[2:3], v[124:125], v[116:117], v[2:3]
	scratch_load_b64 v[124:125], off, off offset:392
	s_waitcnt vmcnt(4)
	v_fma_f64 v[2:3], v[134:135], v[118:119], v[2:3]
	s_waitcnt lgkmcnt(0)
	s_delay_alu instid0(VALU_DEP_1) | instskip(SKIP_1) | instid1(VALU_DEP_1)
	v_fma_f64 v[2:3], v[136:137], v[120:121], v[2:3]
	s_waitcnt vmcnt(3)
	v_fma_f64 v[2:3], v[108:109], v[122:123], v[2:3]
	ds_load_b128 v[116:119], v1 offset:752
	ds_load_b128 v[120:123], v1 offset:768
	s_waitcnt lgkmcnt(1)
	v_fma_f64 v[2:3], v[110:111], v[116:117], v[2:3]
	s_waitcnt vmcnt(2)
	s_delay_alu instid0(VALU_DEP_1) | instskip(SKIP_1) | instid1(VALU_DEP_1)
	v_fma_f64 v[2:3], v[130:131], v[118:119], v[2:3]
	s_waitcnt lgkmcnt(0)
	v_fma_f64 v[2:3], v[132:133], v[120:121], v[2:3]
	s_waitcnt vmcnt(1)
	s_delay_alu instid0(VALU_DEP_1) | instskip(SKIP_4) | instid1(VALU_DEP_1)
	v_fma_f64 v[108:109], v[112:113], v[122:123], v[2:3]
	ds_load_b128 v[1:4], v1 offset:784
	s_waitcnt lgkmcnt(0)
	v_fma_f64 v[1:2], v[114:115], v[1:2], v[108:109]
	s_waitcnt vmcnt(0)
	v_fma_f64 v[1:2], v[124:125], v[3:4], v[1:2]
	s_delay_alu instid0(VALU_DEP_1)
	v_add_f64 v[1:2], v[106:107], -v[1:2]
	scratch_store_b64 off, v[1:2], off offset:248
	v_cmpx_lt_u32_e32 30, v0
	s_cbranch_execz .LBB49_249
; %bb.248:
	scratch_load_b64 v[1:2], off, off offset:240
	v_mov_b32_e32 v3, 0
	s_delay_alu instid0(VALU_DEP_1)
	v_mov_b32_e32 v4, v3
	scratch_store_b64 off, v[3:4], off offset:240
	s_waitcnt vmcnt(0)
	ds_store_b64 v5, v[1:2]
.LBB49_249:
	s_or_b32 exec_lo, exec_lo, s0
	s_waitcnt lgkmcnt(0)
	s_waitcnt_vscnt null, 0x0
	s_barrier
	buffer_gl0_inv
	s_clause 0x4
	scratch_load_b128 v[106:109], off, off offset:240
	scratch_load_b128 v[110:113], off, off offset:256
	;; [unrolled: 1-line block ×5, first 2 shown]
	v_mov_b32_e32 v1, 0
	ds_load_2addr_b64 v[126:129], v1 offset0:81 offset1:82
	ds_load_2addr_b64 v[130:133], v1 offset0:83 offset1:84
	scratch_load_b128 v[134:137], off, off offset:320
	s_mov_b32 s0, exec_lo
	s_waitcnt vmcnt(5) lgkmcnt(1)
	v_fma_f64 v[2:3], v[108:109], v[126:127], 0
	s_waitcnt vmcnt(4)
	s_delay_alu instid0(VALU_DEP_1) | instskip(SKIP_4) | instid1(VALU_DEP_1)
	v_fma_f64 v[2:3], v[110:111], v[128:129], v[2:3]
	scratch_load_b128 v[108:111], off, off offset:336
	s_waitcnt lgkmcnt(0)
	v_fma_f64 v[2:3], v[112:113], v[130:131], v[2:3]
	s_waitcnt vmcnt(4)
	v_fma_f64 v[2:3], v[114:115], v[132:133], v[2:3]
	ds_load_2addr_b64 v[112:115], v1 offset0:85 offset1:86
	ds_load_2addr_b64 v[126:129], v1 offset0:87 offset1:88
	scratch_load_b128 v[130:133], off, off offset:352
	s_waitcnt lgkmcnt(1)
	v_fma_f64 v[2:3], v[116:117], v[112:113], v[2:3]
	s_waitcnt vmcnt(4)
	s_delay_alu instid0(VALU_DEP_1) | instskip(SKIP_4) | instid1(VALU_DEP_1)
	v_fma_f64 v[2:3], v[118:119], v[114:115], v[2:3]
	scratch_load_b128 v[112:115], off, off offset:368
	s_waitcnt lgkmcnt(0)
	v_fma_f64 v[2:3], v[120:121], v[126:127], v[2:3]
	s_waitcnt vmcnt(4)
	v_fma_f64 v[2:3], v[122:123], v[128:129], v[2:3]
	ds_load_2addr_b64 v[116:119], v1 offset0:89 offset1:90
	ds_load_2addr_b64 v[120:123], v1 offset0:91 offset1:92
	s_waitcnt lgkmcnt(1)
	v_fma_f64 v[2:3], v[124:125], v[116:117], v[2:3]
	scratch_load_b128 v[124:127], off, off offset:384
	s_waitcnt vmcnt(4)
	v_fma_f64 v[2:3], v[134:135], v[118:119], v[2:3]
	s_waitcnt lgkmcnt(0)
	s_delay_alu instid0(VALU_DEP_1) | instskip(SKIP_1) | instid1(VALU_DEP_1)
	v_fma_f64 v[2:3], v[136:137], v[120:121], v[2:3]
	s_waitcnt vmcnt(3)
	v_fma_f64 v[2:3], v[108:109], v[122:123], v[2:3]
	ds_load_2addr_b64 v[116:119], v1 offset0:93 offset1:94
	ds_load_2addr_b64 v[120:123], v1 offset0:95 offset1:96
	s_waitcnt lgkmcnt(1)
	v_fma_f64 v[2:3], v[110:111], v[116:117], v[2:3]
	s_waitcnt vmcnt(2)
	s_delay_alu instid0(VALU_DEP_1) | instskip(SKIP_1) | instid1(VALU_DEP_1)
	v_fma_f64 v[2:3], v[130:131], v[118:119], v[2:3]
	s_waitcnt lgkmcnt(0)
	v_fma_f64 v[2:3], v[132:133], v[120:121], v[2:3]
	s_waitcnt vmcnt(1)
	s_delay_alu instid0(VALU_DEP_1)
	v_fma_f64 v[2:3], v[112:113], v[122:123], v[2:3]
	ds_load_2addr_b64 v[108:111], v1 offset0:97 offset1:98
	ds_load_b64 v[112:113], v1 offset:792
	s_waitcnt lgkmcnt(1)
	v_fma_f64 v[2:3], v[114:115], v[108:109], v[2:3]
	s_waitcnt vmcnt(0)
	s_delay_alu instid0(VALU_DEP_1) | instskip(SKIP_1) | instid1(VALU_DEP_1)
	v_fma_f64 v[2:3], v[124:125], v[110:111], v[2:3]
	s_waitcnt lgkmcnt(0)
	v_fma_f64 v[2:3], v[126:127], v[112:113], v[2:3]
	s_delay_alu instid0(VALU_DEP_1)
	v_add_f64 v[2:3], v[106:107], -v[2:3]
	scratch_store_b64 off, v[2:3], off offset:240
	v_cmpx_lt_u32_e32 29, v0
	s_cbranch_execz .LBB49_251
; %bb.250:
	scratch_load_b64 v[3:4], off, off offset:232
	v_mov_b32_e32 v2, v1
	scratch_store_b64 off, v[1:2], off offset:232
	s_waitcnt vmcnt(0)
	ds_store_b64 v5, v[3:4]
.LBB49_251:
	s_or_b32 exec_lo, exec_lo, s0
	s_waitcnt lgkmcnt(0)
	s_waitcnt_vscnt null, 0x0
	s_barrier
	buffer_gl0_inv
	s_clause 0x4
	scratch_load_b128 v[106:109], off, off offset:232
	scratch_load_b128 v[110:113], off, off offset:248
	scratch_load_b128 v[114:117], off, off offset:264
	scratch_load_b128 v[118:121], off, off offset:280
	scratch_load_b128 v[122:125], off, off offset:296
	ds_load_b128 v[126:129], v1 offset:640
	ds_load_b128 v[130:133], v1 offset:656
	scratch_load_b128 v[134:137], off, off offset:312
	s_mov_b32 s0, exec_lo
	s_waitcnt vmcnt(5) lgkmcnt(1)
	v_fma_f64 v[2:3], v[108:109], v[126:127], 0
	s_waitcnt vmcnt(4)
	s_delay_alu instid0(VALU_DEP_1) | instskip(SKIP_4) | instid1(VALU_DEP_1)
	v_fma_f64 v[2:3], v[110:111], v[128:129], v[2:3]
	scratch_load_b128 v[108:111], off, off offset:328
	s_waitcnt lgkmcnt(0)
	v_fma_f64 v[2:3], v[112:113], v[130:131], v[2:3]
	s_waitcnt vmcnt(4)
	v_fma_f64 v[2:3], v[114:115], v[132:133], v[2:3]
	ds_load_b128 v[112:115], v1 offset:672
	ds_load_b128 v[126:129], v1 offset:688
	scratch_load_b128 v[130:133], off, off offset:344
	s_waitcnt lgkmcnt(1)
	v_fma_f64 v[2:3], v[116:117], v[112:113], v[2:3]
	s_waitcnt vmcnt(4)
	s_delay_alu instid0(VALU_DEP_1) | instskip(SKIP_4) | instid1(VALU_DEP_1)
	v_fma_f64 v[2:3], v[118:119], v[114:115], v[2:3]
	scratch_load_b128 v[112:115], off, off offset:360
	s_waitcnt lgkmcnt(0)
	v_fma_f64 v[2:3], v[120:121], v[126:127], v[2:3]
	s_waitcnt vmcnt(4)
	v_fma_f64 v[2:3], v[122:123], v[128:129], v[2:3]
	ds_load_b128 v[116:119], v1 offset:704
	ds_load_b128 v[120:123], v1 offset:720
	scratch_load_b64 v[128:129], off, off offset:392
	s_waitcnt lgkmcnt(1)
	v_fma_f64 v[2:3], v[124:125], v[116:117], v[2:3]
	scratch_load_b128 v[124:127], off, off offset:376
	s_waitcnt vmcnt(5)
	v_fma_f64 v[2:3], v[134:135], v[118:119], v[2:3]
	s_waitcnt lgkmcnt(0)
	s_delay_alu instid0(VALU_DEP_1) | instskip(SKIP_1) | instid1(VALU_DEP_1)
	v_fma_f64 v[2:3], v[136:137], v[120:121], v[2:3]
	s_waitcnt vmcnt(4)
	v_fma_f64 v[2:3], v[108:109], v[122:123], v[2:3]
	ds_load_b128 v[116:119], v1 offset:736
	ds_load_b128 v[120:123], v1 offset:752
	s_waitcnt lgkmcnt(1)
	v_fma_f64 v[2:3], v[110:111], v[116:117], v[2:3]
	s_waitcnt vmcnt(3)
	s_delay_alu instid0(VALU_DEP_1) | instskip(SKIP_1) | instid1(VALU_DEP_1)
	v_fma_f64 v[2:3], v[130:131], v[118:119], v[2:3]
	s_waitcnt lgkmcnt(0)
	v_fma_f64 v[2:3], v[132:133], v[120:121], v[2:3]
	s_waitcnt vmcnt(2)
	s_delay_alu instid0(VALU_DEP_1)
	v_fma_f64 v[112:113], v[112:113], v[122:123], v[2:3]
	ds_load_b128 v[108:111], v1 offset:768
	ds_load_b128 v[1:4], v1 offset:784
	s_waitcnt lgkmcnt(1)
	v_fma_f64 v[108:109], v[114:115], v[108:109], v[112:113]
	s_waitcnt vmcnt(0)
	s_delay_alu instid0(VALU_DEP_1) | instskip(SKIP_1) | instid1(VALU_DEP_1)
	v_fma_f64 v[108:109], v[124:125], v[110:111], v[108:109]
	s_waitcnt lgkmcnt(0)
	v_fma_f64 v[1:2], v[126:127], v[1:2], v[108:109]
	s_delay_alu instid0(VALU_DEP_1) | instskip(NEXT) | instid1(VALU_DEP_1)
	v_fma_f64 v[1:2], v[128:129], v[3:4], v[1:2]
	v_add_f64 v[1:2], v[106:107], -v[1:2]
	scratch_store_b64 off, v[1:2], off offset:232
	v_cmpx_lt_u32_e32 28, v0
	s_cbranch_execz .LBB49_253
; %bb.252:
	scratch_load_b64 v[1:2], off, off offset:224
	v_mov_b32_e32 v3, 0
	s_delay_alu instid0(VALU_DEP_1)
	v_mov_b32_e32 v4, v3
	scratch_store_b64 off, v[3:4], off offset:224
	s_waitcnt vmcnt(0)
	ds_store_b64 v5, v[1:2]
.LBB49_253:
	s_or_b32 exec_lo, exec_lo, s0
	s_waitcnt lgkmcnt(0)
	s_waitcnt_vscnt null, 0x0
	s_barrier
	buffer_gl0_inv
	s_clause 0x4
	scratch_load_b128 v[106:109], off, off offset:224
	scratch_load_b128 v[110:113], off, off offset:240
	;; [unrolled: 1-line block ×5, first 2 shown]
	v_mov_b32_e32 v1, 0
	ds_load_2addr_b64 v[126:129], v1 offset0:79 offset1:80
	ds_load_2addr_b64 v[130:133], v1 offset0:81 offset1:82
	scratch_load_b128 v[134:137], off, off offset:304
	s_mov_b32 s0, exec_lo
	s_waitcnt vmcnt(5) lgkmcnt(1)
	v_fma_f64 v[2:3], v[108:109], v[126:127], 0
	s_waitcnt vmcnt(4)
	s_delay_alu instid0(VALU_DEP_1) | instskip(SKIP_4) | instid1(VALU_DEP_1)
	v_fma_f64 v[2:3], v[110:111], v[128:129], v[2:3]
	scratch_load_b128 v[108:111], off, off offset:320
	s_waitcnt lgkmcnt(0)
	v_fma_f64 v[2:3], v[112:113], v[130:131], v[2:3]
	s_waitcnt vmcnt(4)
	v_fma_f64 v[2:3], v[114:115], v[132:133], v[2:3]
	ds_load_2addr_b64 v[112:115], v1 offset0:83 offset1:84
	ds_load_2addr_b64 v[126:129], v1 offset0:85 offset1:86
	scratch_load_b128 v[130:133], off, off offset:336
	s_waitcnt lgkmcnt(1)
	v_fma_f64 v[2:3], v[116:117], v[112:113], v[2:3]
	s_waitcnt vmcnt(4)
	s_delay_alu instid0(VALU_DEP_1) | instskip(SKIP_4) | instid1(VALU_DEP_1)
	v_fma_f64 v[2:3], v[118:119], v[114:115], v[2:3]
	scratch_load_b128 v[112:115], off, off offset:352
	s_waitcnt lgkmcnt(0)
	v_fma_f64 v[2:3], v[120:121], v[126:127], v[2:3]
	s_waitcnt vmcnt(4)
	v_fma_f64 v[2:3], v[122:123], v[128:129], v[2:3]
	ds_load_2addr_b64 v[116:119], v1 offset0:87 offset1:88
	ds_load_2addr_b64 v[120:123], v1 offset0:89 offset1:90
	s_waitcnt lgkmcnt(1)
	v_fma_f64 v[2:3], v[124:125], v[116:117], v[2:3]
	scratch_load_b128 v[124:127], off, off offset:368
	s_waitcnt vmcnt(4)
	v_fma_f64 v[2:3], v[134:135], v[118:119], v[2:3]
	scratch_load_b128 v[116:119], off, off offset:384
	s_waitcnt lgkmcnt(0)
	v_fma_f64 v[2:3], v[136:137], v[120:121], v[2:3]
	s_waitcnt vmcnt(4)
	s_delay_alu instid0(VALU_DEP_1)
	v_fma_f64 v[2:3], v[108:109], v[122:123], v[2:3]
	ds_load_2addr_b64 v[120:123], v1 offset0:91 offset1:92
	ds_load_2addr_b64 v[134:137], v1 offset0:93 offset1:94
	s_waitcnt lgkmcnt(1)
	v_fma_f64 v[2:3], v[110:111], v[120:121], v[2:3]
	s_waitcnt vmcnt(3)
	s_delay_alu instid0(VALU_DEP_1)
	v_fma_f64 v[2:3], v[130:131], v[122:123], v[2:3]
	ds_load_2addr_b64 v[108:111], v1 offset0:95 offset1:96
	ds_load_2addr_b64 v[120:123], v1 offset0:97 offset1:98
	s_waitcnt lgkmcnt(2)
	v_fma_f64 v[2:3], v[132:133], v[134:135], v[2:3]
	s_waitcnt vmcnt(2)
	s_delay_alu instid0(VALU_DEP_1) | instskip(SKIP_1) | instid1(VALU_DEP_1)
	v_fma_f64 v[2:3], v[112:113], v[136:137], v[2:3]
	s_waitcnt lgkmcnt(1)
	v_fma_f64 v[2:3], v[114:115], v[108:109], v[2:3]
	ds_load_b64 v[108:109], v1 offset:792
	s_waitcnt vmcnt(1)
	v_fma_f64 v[2:3], v[124:125], v[110:111], v[2:3]
	s_waitcnt lgkmcnt(1)
	s_delay_alu instid0(VALU_DEP_1) | instskip(SKIP_1) | instid1(VALU_DEP_1)
	v_fma_f64 v[2:3], v[126:127], v[120:121], v[2:3]
	s_waitcnt vmcnt(0)
	v_fma_f64 v[2:3], v[116:117], v[122:123], v[2:3]
	s_waitcnt lgkmcnt(0)
	s_delay_alu instid0(VALU_DEP_1) | instskip(NEXT) | instid1(VALU_DEP_1)
	v_fma_f64 v[2:3], v[118:119], v[108:109], v[2:3]
	v_add_f64 v[2:3], v[106:107], -v[2:3]
	scratch_store_b64 off, v[2:3], off offset:224
	v_cmpx_lt_u32_e32 27, v0
	s_cbranch_execz .LBB49_255
; %bb.254:
	scratch_load_b64 v[3:4], off, off offset:216
	v_mov_b32_e32 v2, v1
	scratch_store_b64 off, v[1:2], off offset:216
	s_waitcnt vmcnt(0)
	ds_store_b64 v5, v[3:4]
.LBB49_255:
	s_or_b32 exec_lo, exec_lo, s0
	s_waitcnt lgkmcnt(0)
	s_waitcnt_vscnt null, 0x0
	s_barrier
	buffer_gl0_inv
	s_clause 0x4
	scratch_load_b128 v[106:109], off, off offset:216
	scratch_load_b128 v[110:113], off, off offset:232
	;; [unrolled: 1-line block ×5, first 2 shown]
	ds_load_b128 v[126:129], v1 offset:624
	ds_load_b128 v[130:133], v1 offset:640
	scratch_load_b128 v[134:137], off, off offset:296
	s_mov_b32 s0, exec_lo
	s_waitcnt vmcnt(5) lgkmcnt(1)
	v_fma_f64 v[2:3], v[108:109], v[126:127], 0
	s_waitcnt vmcnt(4)
	s_delay_alu instid0(VALU_DEP_1) | instskip(SKIP_4) | instid1(VALU_DEP_1)
	v_fma_f64 v[2:3], v[110:111], v[128:129], v[2:3]
	scratch_load_b128 v[108:111], off, off offset:312
	s_waitcnt lgkmcnt(0)
	v_fma_f64 v[2:3], v[112:113], v[130:131], v[2:3]
	s_waitcnt vmcnt(4)
	v_fma_f64 v[2:3], v[114:115], v[132:133], v[2:3]
	ds_load_b128 v[112:115], v1 offset:656
	ds_load_b128 v[126:129], v1 offset:672
	scratch_load_b128 v[130:133], off, off offset:328
	s_waitcnt lgkmcnt(1)
	v_fma_f64 v[2:3], v[116:117], v[112:113], v[2:3]
	s_waitcnt vmcnt(4)
	s_delay_alu instid0(VALU_DEP_1) | instskip(SKIP_4) | instid1(VALU_DEP_1)
	v_fma_f64 v[2:3], v[118:119], v[114:115], v[2:3]
	scratch_load_b128 v[112:115], off, off offset:344
	s_waitcnt lgkmcnt(0)
	v_fma_f64 v[2:3], v[120:121], v[126:127], v[2:3]
	s_waitcnt vmcnt(4)
	v_fma_f64 v[2:3], v[122:123], v[128:129], v[2:3]
	ds_load_b128 v[116:119], v1 offset:688
	ds_load_b128 v[120:123], v1 offset:704
	s_waitcnt lgkmcnt(1)
	v_fma_f64 v[2:3], v[124:125], v[116:117], v[2:3]
	scratch_load_b128 v[124:127], off, off offset:360
	s_waitcnt vmcnt(4)
	v_fma_f64 v[2:3], v[134:135], v[118:119], v[2:3]
	scratch_load_b128 v[116:119], off, off offset:376
	s_waitcnt lgkmcnt(0)
	v_fma_f64 v[2:3], v[136:137], v[120:121], v[2:3]
	s_waitcnt vmcnt(4)
	s_delay_alu instid0(VALU_DEP_1)
	v_fma_f64 v[2:3], v[108:109], v[122:123], v[2:3]
	ds_load_b128 v[120:123], v1 offset:720
	ds_load_b128 v[134:137], v1 offset:736
	scratch_load_b64 v[128:129], off, off offset:392
	s_waitcnt lgkmcnt(1)
	v_fma_f64 v[2:3], v[110:111], v[120:121], v[2:3]
	s_waitcnt vmcnt(4)
	s_delay_alu instid0(VALU_DEP_1)
	v_fma_f64 v[2:3], v[130:131], v[122:123], v[2:3]
	ds_load_b128 v[108:111], v1 offset:752
	ds_load_b128 v[120:123], v1 offset:768
	s_waitcnt lgkmcnt(2)
	v_fma_f64 v[2:3], v[132:133], v[134:135], v[2:3]
	s_waitcnt vmcnt(3)
	s_delay_alu instid0(VALU_DEP_1) | instskip(SKIP_1) | instid1(VALU_DEP_1)
	v_fma_f64 v[2:3], v[112:113], v[136:137], v[2:3]
	s_waitcnt lgkmcnt(1)
	v_fma_f64 v[2:3], v[114:115], v[108:109], v[2:3]
	s_waitcnt vmcnt(2)
	s_delay_alu instid0(VALU_DEP_1) | instskip(SKIP_1) | instid1(VALU_DEP_1)
	v_fma_f64 v[2:3], v[124:125], v[110:111], v[2:3]
	s_waitcnt lgkmcnt(0)
	v_fma_f64 v[2:3], v[126:127], v[120:121], v[2:3]
	s_waitcnt vmcnt(1)
	s_delay_alu instid0(VALU_DEP_1) | instskip(SKIP_4) | instid1(VALU_DEP_1)
	v_fma_f64 v[108:109], v[116:117], v[122:123], v[2:3]
	ds_load_b128 v[1:4], v1 offset:784
	s_waitcnt lgkmcnt(0)
	v_fma_f64 v[1:2], v[118:119], v[1:2], v[108:109]
	s_waitcnt vmcnt(0)
	v_fma_f64 v[1:2], v[128:129], v[3:4], v[1:2]
	s_delay_alu instid0(VALU_DEP_1)
	v_add_f64 v[1:2], v[106:107], -v[1:2]
	scratch_store_b64 off, v[1:2], off offset:216
	v_cmpx_lt_u32_e32 26, v0
	s_cbranch_execz .LBB49_257
; %bb.256:
	scratch_load_b64 v[1:2], off, off offset:208
	v_mov_b32_e32 v3, 0
	s_delay_alu instid0(VALU_DEP_1)
	v_mov_b32_e32 v4, v3
	scratch_store_b64 off, v[3:4], off offset:208
	s_waitcnt vmcnt(0)
	ds_store_b64 v5, v[1:2]
.LBB49_257:
	s_or_b32 exec_lo, exec_lo, s0
	s_waitcnt lgkmcnt(0)
	s_waitcnt_vscnt null, 0x0
	s_barrier
	buffer_gl0_inv
	s_clause 0x4
	scratch_load_b128 v[106:109], off, off offset:208
	scratch_load_b128 v[110:113], off, off offset:224
	;; [unrolled: 1-line block ×5, first 2 shown]
	v_mov_b32_e32 v1, 0
	ds_load_2addr_b64 v[126:129], v1 offset0:77 offset1:78
	ds_load_2addr_b64 v[130:133], v1 offset0:79 offset1:80
	scratch_load_b128 v[134:137], off, off offset:288
	s_mov_b32 s0, exec_lo
	s_waitcnt vmcnt(5) lgkmcnt(1)
	v_fma_f64 v[2:3], v[108:109], v[126:127], 0
	s_waitcnt vmcnt(4)
	s_delay_alu instid0(VALU_DEP_1) | instskip(SKIP_4) | instid1(VALU_DEP_1)
	v_fma_f64 v[2:3], v[110:111], v[128:129], v[2:3]
	scratch_load_b128 v[108:111], off, off offset:304
	s_waitcnt lgkmcnt(0)
	v_fma_f64 v[2:3], v[112:113], v[130:131], v[2:3]
	s_waitcnt vmcnt(4)
	v_fma_f64 v[2:3], v[114:115], v[132:133], v[2:3]
	ds_load_2addr_b64 v[112:115], v1 offset0:81 offset1:82
	ds_load_2addr_b64 v[126:129], v1 offset0:83 offset1:84
	scratch_load_b128 v[130:133], off, off offset:320
	s_waitcnt lgkmcnt(1)
	v_fma_f64 v[2:3], v[116:117], v[112:113], v[2:3]
	s_waitcnt vmcnt(4)
	s_delay_alu instid0(VALU_DEP_1) | instskip(SKIP_4) | instid1(VALU_DEP_1)
	v_fma_f64 v[2:3], v[118:119], v[114:115], v[2:3]
	scratch_load_b128 v[112:115], off, off offset:336
	s_waitcnt lgkmcnt(0)
	v_fma_f64 v[2:3], v[120:121], v[126:127], v[2:3]
	s_waitcnt vmcnt(4)
	v_fma_f64 v[2:3], v[122:123], v[128:129], v[2:3]
	ds_load_2addr_b64 v[116:119], v1 offset0:85 offset1:86
	ds_load_2addr_b64 v[120:123], v1 offset0:87 offset1:88
	s_waitcnt lgkmcnt(1)
	v_fma_f64 v[2:3], v[124:125], v[116:117], v[2:3]
	scratch_load_b128 v[124:127], off, off offset:352
	s_waitcnt vmcnt(4)
	v_fma_f64 v[2:3], v[134:135], v[118:119], v[2:3]
	scratch_load_b128 v[116:119], off, off offset:368
	s_waitcnt lgkmcnt(0)
	v_fma_f64 v[2:3], v[136:137], v[120:121], v[2:3]
	s_waitcnt vmcnt(4)
	s_delay_alu instid0(VALU_DEP_1)
	v_fma_f64 v[2:3], v[108:109], v[122:123], v[2:3]
	ds_load_2addr_b64 v[120:123], v1 offset0:89 offset1:90
	ds_load_2addr_b64 v[134:137], v1 offset0:91 offset1:92
	s_waitcnt lgkmcnt(1)
	v_fma_f64 v[2:3], v[110:111], v[120:121], v[2:3]
	scratch_load_b128 v[108:111], off, off offset:384
	s_waitcnt vmcnt(4)
	v_fma_f64 v[2:3], v[130:131], v[122:123], v[2:3]
	ds_load_2addr_b64 v[120:123], v1 offset0:93 offset1:94
	ds_load_2addr_b64 v[128:131], v1 offset0:95 offset1:96
	s_waitcnt lgkmcnt(2)
	v_fma_f64 v[2:3], v[132:133], v[134:135], v[2:3]
	s_waitcnt vmcnt(3)
	s_delay_alu instid0(VALU_DEP_1) | instskip(SKIP_1) | instid1(VALU_DEP_1)
	v_fma_f64 v[2:3], v[112:113], v[136:137], v[2:3]
	s_waitcnt lgkmcnt(1)
	v_fma_f64 v[2:3], v[114:115], v[120:121], v[2:3]
	s_waitcnt vmcnt(2)
	s_delay_alu instid0(VALU_DEP_1) | instskip(SKIP_1) | instid1(VALU_DEP_1)
	v_fma_f64 v[2:3], v[124:125], v[122:123], v[2:3]
	s_waitcnt lgkmcnt(0)
	v_fma_f64 v[2:3], v[126:127], v[128:129], v[2:3]
	s_waitcnt vmcnt(1)
	s_delay_alu instid0(VALU_DEP_1)
	v_fma_f64 v[2:3], v[116:117], v[130:131], v[2:3]
	ds_load_2addr_b64 v[112:115], v1 offset0:97 offset1:98
	ds_load_b64 v[116:117], v1 offset:792
	s_waitcnt lgkmcnt(1)
	v_fma_f64 v[2:3], v[118:119], v[112:113], v[2:3]
	s_waitcnt vmcnt(0)
	s_delay_alu instid0(VALU_DEP_1) | instskip(SKIP_1) | instid1(VALU_DEP_1)
	v_fma_f64 v[2:3], v[108:109], v[114:115], v[2:3]
	s_waitcnt lgkmcnt(0)
	v_fma_f64 v[2:3], v[110:111], v[116:117], v[2:3]
	s_delay_alu instid0(VALU_DEP_1)
	v_add_f64 v[2:3], v[106:107], -v[2:3]
	scratch_store_b64 off, v[2:3], off offset:208
	v_cmpx_lt_u32_e32 25, v0
	s_cbranch_execz .LBB49_259
; %bb.258:
	scratch_load_b64 v[3:4], off, off offset:200
	v_mov_b32_e32 v2, v1
	scratch_store_b64 off, v[1:2], off offset:200
	s_waitcnt vmcnt(0)
	ds_store_b64 v5, v[3:4]
.LBB49_259:
	s_or_b32 exec_lo, exec_lo, s0
	s_waitcnt lgkmcnt(0)
	s_waitcnt_vscnt null, 0x0
	s_barrier
	buffer_gl0_inv
	s_clause 0x4
	scratch_load_b128 v[106:109], off, off offset:200
	scratch_load_b128 v[110:113], off, off offset:216
	;; [unrolled: 1-line block ×5, first 2 shown]
	ds_load_b128 v[126:129], v1 offset:608
	ds_load_b128 v[130:133], v1 offset:624
	scratch_load_b128 v[134:137], off, off offset:280
	s_mov_b32 s0, exec_lo
	s_waitcnt vmcnt(5) lgkmcnt(1)
	v_fma_f64 v[2:3], v[108:109], v[126:127], 0
	s_waitcnt vmcnt(4)
	s_delay_alu instid0(VALU_DEP_1) | instskip(SKIP_4) | instid1(VALU_DEP_1)
	v_fma_f64 v[2:3], v[110:111], v[128:129], v[2:3]
	scratch_load_b128 v[108:111], off, off offset:296
	s_waitcnt lgkmcnt(0)
	v_fma_f64 v[2:3], v[112:113], v[130:131], v[2:3]
	s_waitcnt vmcnt(4)
	v_fma_f64 v[2:3], v[114:115], v[132:133], v[2:3]
	ds_load_b128 v[112:115], v1 offset:640
	ds_load_b128 v[126:129], v1 offset:656
	scratch_load_b128 v[130:133], off, off offset:312
	s_waitcnt lgkmcnt(1)
	v_fma_f64 v[2:3], v[116:117], v[112:113], v[2:3]
	s_waitcnt vmcnt(4)
	s_delay_alu instid0(VALU_DEP_1) | instskip(SKIP_4) | instid1(VALU_DEP_1)
	v_fma_f64 v[2:3], v[118:119], v[114:115], v[2:3]
	scratch_load_b128 v[112:115], off, off offset:328
	s_waitcnt lgkmcnt(0)
	v_fma_f64 v[2:3], v[120:121], v[126:127], v[2:3]
	s_waitcnt vmcnt(4)
	v_fma_f64 v[2:3], v[122:123], v[128:129], v[2:3]
	ds_load_b128 v[116:119], v1 offset:672
	ds_load_b128 v[120:123], v1 offset:688
	s_waitcnt lgkmcnt(1)
	v_fma_f64 v[2:3], v[124:125], v[116:117], v[2:3]
	scratch_load_b128 v[124:127], off, off offset:344
	s_waitcnt vmcnt(4)
	v_fma_f64 v[2:3], v[134:135], v[118:119], v[2:3]
	scratch_load_b128 v[116:119], off, off offset:360
	s_waitcnt lgkmcnt(0)
	v_fma_f64 v[2:3], v[136:137], v[120:121], v[2:3]
	s_waitcnt vmcnt(4)
	s_delay_alu instid0(VALU_DEP_1)
	v_fma_f64 v[2:3], v[108:109], v[122:123], v[2:3]
	ds_load_b128 v[120:123], v1 offset:704
	ds_load_b128 v[134:137], v1 offset:720
	s_waitcnt lgkmcnt(1)
	v_fma_f64 v[2:3], v[110:111], v[120:121], v[2:3]
	scratch_load_b128 v[108:111], off, off offset:376
	s_waitcnt vmcnt(4)
	v_fma_f64 v[2:3], v[130:131], v[122:123], v[2:3]
	s_waitcnt lgkmcnt(0)
	s_delay_alu instid0(VALU_DEP_1)
	v_fma_f64 v[2:3], v[132:133], v[134:135], v[2:3]
	scratch_load_b64 v[132:133], off, off offset:392
	ds_load_b128 v[120:123], v1 offset:736
	ds_load_b128 v[128:131], v1 offset:752
	s_waitcnt vmcnt(4)
	v_fma_f64 v[2:3], v[112:113], v[136:137], v[2:3]
	s_waitcnt lgkmcnt(1)
	s_delay_alu instid0(VALU_DEP_1) | instskip(SKIP_1) | instid1(VALU_DEP_1)
	v_fma_f64 v[2:3], v[114:115], v[120:121], v[2:3]
	s_waitcnt vmcnt(3)
	v_fma_f64 v[2:3], v[124:125], v[122:123], v[2:3]
	s_waitcnt lgkmcnt(0)
	s_delay_alu instid0(VALU_DEP_1) | instskip(SKIP_1) | instid1(VALU_DEP_1)
	v_fma_f64 v[2:3], v[126:127], v[128:129], v[2:3]
	s_waitcnt vmcnt(2)
	v_fma_f64 v[116:117], v[116:117], v[130:131], v[2:3]
	ds_load_b128 v[112:115], v1 offset:768
	ds_load_b128 v[1:4], v1 offset:784
	s_waitcnt lgkmcnt(1)
	v_fma_f64 v[112:113], v[118:119], v[112:113], v[116:117]
	s_waitcnt vmcnt(1)
	s_delay_alu instid0(VALU_DEP_1) | instskip(SKIP_1) | instid1(VALU_DEP_1)
	v_fma_f64 v[108:109], v[108:109], v[114:115], v[112:113]
	s_waitcnt lgkmcnt(0)
	v_fma_f64 v[1:2], v[110:111], v[1:2], v[108:109]
	s_waitcnt vmcnt(0)
	s_delay_alu instid0(VALU_DEP_1) | instskip(NEXT) | instid1(VALU_DEP_1)
	v_fma_f64 v[1:2], v[132:133], v[3:4], v[1:2]
	v_add_f64 v[1:2], v[106:107], -v[1:2]
	scratch_store_b64 off, v[1:2], off offset:200
	v_cmpx_lt_u32_e32 24, v0
	s_cbranch_execz .LBB49_261
; %bb.260:
	scratch_load_b64 v[1:2], off, off offset:192
	v_mov_b32_e32 v3, 0
	s_delay_alu instid0(VALU_DEP_1)
	v_mov_b32_e32 v4, v3
	scratch_store_b64 off, v[3:4], off offset:192
	s_waitcnt vmcnt(0)
	ds_store_b64 v5, v[1:2]
.LBB49_261:
	s_or_b32 exec_lo, exec_lo, s0
	s_waitcnt lgkmcnt(0)
	s_waitcnt_vscnt null, 0x0
	s_barrier
	buffer_gl0_inv
	s_clause 0x4
	scratch_load_b128 v[106:109], off, off offset:192
	scratch_load_b128 v[110:113], off, off offset:208
	;; [unrolled: 1-line block ×5, first 2 shown]
	v_mov_b32_e32 v1, 0
	ds_load_2addr_b64 v[126:129], v1 offset0:75 offset1:76
	ds_load_2addr_b64 v[130:133], v1 offset0:77 offset1:78
	scratch_load_b128 v[134:137], off, off offset:272
	s_mov_b32 s0, exec_lo
	s_waitcnt vmcnt(5) lgkmcnt(1)
	v_fma_f64 v[2:3], v[108:109], v[126:127], 0
	s_waitcnt vmcnt(4)
	s_delay_alu instid0(VALU_DEP_1) | instskip(SKIP_4) | instid1(VALU_DEP_1)
	v_fma_f64 v[2:3], v[110:111], v[128:129], v[2:3]
	scratch_load_b128 v[108:111], off, off offset:288
	s_waitcnt lgkmcnt(0)
	v_fma_f64 v[2:3], v[112:113], v[130:131], v[2:3]
	s_waitcnt vmcnt(4)
	v_fma_f64 v[2:3], v[114:115], v[132:133], v[2:3]
	ds_load_2addr_b64 v[112:115], v1 offset0:79 offset1:80
	ds_load_2addr_b64 v[126:129], v1 offset0:81 offset1:82
	scratch_load_b128 v[130:133], off, off offset:304
	s_waitcnt lgkmcnt(1)
	v_fma_f64 v[2:3], v[116:117], v[112:113], v[2:3]
	s_waitcnt vmcnt(4)
	s_delay_alu instid0(VALU_DEP_1) | instskip(SKIP_4) | instid1(VALU_DEP_1)
	v_fma_f64 v[2:3], v[118:119], v[114:115], v[2:3]
	scratch_load_b128 v[112:115], off, off offset:320
	s_waitcnt lgkmcnt(0)
	v_fma_f64 v[2:3], v[120:121], v[126:127], v[2:3]
	s_waitcnt vmcnt(4)
	v_fma_f64 v[2:3], v[122:123], v[128:129], v[2:3]
	ds_load_2addr_b64 v[116:119], v1 offset0:83 offset1:84
	ds_load_2addr_b64 v[120:123], v1 offset0:85 offset1:86
	s_waitcnt lgkmcnt(1)
	v_fma_f64 v[2:3], v[124:125], v[116:117], v[2:3]
	scratch_load_b128 v[124:127], off, off offset:336
	s_waitcnt vmcnt(4)
	v_fma_f64 v[2:3], v[134:135], v[118:119], v[2:3]
	scratch_load_b128 v[116:119], off, off offset:352
	s_waitcnt lgkmcnt(0)
	v_fma_f64 v[2:3], v[136:137], v[120:121], v[2:3]
	s_waitcnt vmcnt(4)
	s_delay_alu instid0(VALU_DEP_1)
	v_fma_f64 v[2:3], v[108:109], v[122:123], v[2:3]
	ds_load_2addr_b64 v[120:123], v1 offset0:87 offset1:88
	ds_load_2addr_b64 v[134:137], v1 offset0:89 offset1:90
	s_waitcnt lgkmcnt(1)
	v_fma_f64 v[2:3], v[110:111], v[120:121], v[2:3]
	scratch_load_b128 v[108:111], off, off offset:368
	s_waitcnt vmcnt(4)
	v_fma_f64 v[2:3], v[130:131], v[122:123], v[2:3]
	scratch_load_b128 v[120:123], off, off offset:384
	s_waitcnt lgkmcnt(0)
	v_fma_f64 v[2:3], v[132:133], v[134:135], v[2:3]
	ds_load_2addr_b64 v[128:131], v1 offset0:91 offset1:92
	ds_load_2addr_b64 v[132:135], v1 offset0:93 offset1:94
	s_waitcnt vmcnt(4)
	v_fma_f64 v[2:3], v[112:113], v[136:137], v[2:3]
	s_waitcnt lgkmcnt(1)
	s_delay_alu instid0(VALU_DEP_1) | instskip(SKIP_1) | instid1(VALU_DEP_1)
	v_fma_f64 v[2:3], v[114:115], v[128:129], v[2:3]
	s_waitcnt vmcnt(3)
	v_fma_f64 v[2:3], v[124:125], v[130:131], v[2:3]
	s_waitcnt lgkmcnt(0)
	s_delay_alu instid0(VALU_DEP_1)
	v_fma_f64 v[2:3], v[126:127], v[132:133], v[2:3]
	ds_load_2addr_b64 v[112:115], v1 offset0:95 offset1:96
	ds_load_2addr_b64 v[124:127], v1 offset0:97 offset1:98
	s_waitcnt vmcnt(2)
	v_fma_f64 v[2:3], v[116:117], v[134:135], v[2:3]
	s_waitcnt lgkmcnt(1)
	s_delay_alu instid0(VALU_DEP_1) | instskip(SKIP_1) | instid1(VALU_DEP_1)
	v_fma_f64 v[2:3], v[118:119], v[112:113], v[2:3]
	s_waitcnt vmcnt(1)
	v_fma_f64 v[2:3], v[108:109], v[114:115], v[2:3]
	ds_load_b64 v[108:109], v1 offset:792
	s_waitcnt lgkmcnt(1)
	v_fma_f64 v[2:3], v[110:111], v[124:125], v[2:3]
	s_waitcnt vmcnt(0)
	s_delay_alu instid0(VALU_DEP_1) | instskip(SKIP_1) | instid1(VALU_DEP_1)
	v_fma_f64 v[2:3], v[120:121], v[126:127], v[2:3]
	s_waitcnt lgkmcnt(0)
	v_fma_f64 v[2:3], v[122:123], v[108:109], v[2:3]
	s_delay_alu instid0(VALU_DEP_1)
	v_add_f64 v[2:3], v[106:107], -v[2:3]
	scratch_store_b64 off, v[2:3], off offset:192
	v_cmpx_lt_u32_e32 23, v0
	s_cbranch_execz .LBB49_263
; %bb.262:
	scratch_load_b64 v[3:4], off, off offset:184
	v_mov_b32_e32 v2, v1
	scratch_store_b64 off, v[1:2], off offset:184
	s_waitcnt vmcnt(0)
	ds_store_b64 v5, v[3:4]
.LBB49_263:
	s_or_b32 exec_lo, exec_lo, s0
	s_waitcnt lgkmcnt(0)
	s_waitcnt_vscnt null, 0x0
	s_barrier
	buffer_gl0_inv
	s_clause 0x4
	scratch_load_b128 v[106:109], off, off offset:184
	scratch_load_b128 v[110:113], off, off offset:200
	;; [unrolled: 1-line block ×5, first 2 shown]
	ds_load_b128 v[126:129], v1 offset:592
	ds_load_b128 v[130:133], v1 offset:608
	scratch_load_b128 v[134:137], off, off offset:264
	s_mov_b32 s0, exec_lo
	s_waitcnt vmcnt(5) lgkmcnt(1)
	v_fma_f64 v[2:3], v[108:109], v[126:127], 0
	s_waitcnt vmcnt(4)
	s_delay_alu instid0(VALU_DEP_1) | instskip(SKIP_4) | instid1(VALU_DEP_1)
	v_fma_f64 v[2:3], v[110:111], v[128:129], v[2:3]
	scratch_load_b128 v[108:111], off, off offset:280
	s_waitcnt lgkmcnt(0)
	v_fma_f64 v[2:3], v[112:113], v[130:131], v[2:3]
	s_waitcnt vmcnt(4)
	v_fma_f64 v[2:3], v[114:115], v[132:133], v[2:3]
	ds_load_b128 v[112:115], v1 offset:624
	ds_load_b128 v[126:129], v1 offset:640
	scratch_load_b128 v[130:133], off, off offset:296
	s_waitcnt lgkmcnt(1)
	v_fma_f64 v[2:3], v[116:117], v[112:113], v[2:3]
	s_waitcnt vmcnt(4)
	s_delay_alu instid0(VALU_DEP_1) | instskip(SKIP_4) | instid1(VALU_DEP_1)
	v_fma_f64 v[2:3], v[118:119], v[114:115], v[2:3]
	scratch_load_b128 v[112:115], off, off offset:312
	s_waitcnt lgkmcnt(0)
	v_fma_f64 v[2:3], v[120:121], v[126:127], v[2:3]
	s_waitcnt vmcnt(4)
	v_fma_f64 v[2:3], v[122:123], v[128:129], v[2:3]
	ds_load_b128 v[116:119], v1 offset:656
	ds_load_b128 v[120:123], v1 offset:672
	s_waitcnt lgkmcnt(1)
	v_fma_f64 v[2:3], v[124:125], v[116:117], v[2:3]
	scratch_load_b128 v[124:127], off, off offset:328
	s_waitcnt vmcnt(4)
	v_fma_f64 v[2:3], v[134:135], v[118:119], v[2:3]
	scratch_load_b128 v[116:119], off, off offset:344
	s_waitcnt lgkmcnt(0)
	v_fma_f64 v[2:3], v[136:137], v[120:121], v[2:3]
	s_waitcnt vmcnt(4)
	s_delay_alu instid0(VALU_DEP_1)
	v_fma_f64 v[2:3], v[108:109], v[122:123], v[2:3]
	ds_load_b128 v[120:123], v1 offset:688
	ds_load_b128 v[134:137], v1 offset:704
	s_waitcnt lgkmcnt(1)
	v_fma_f64 v[2:3], v[110:111], v[120:121], v[2:3]
	scratch_load_b128 v[108:111], off, off offset:360
	s_waitcnt vmcnt(4)
	v_fma_f64 v[2:3], v[130:131], v[122:123], v[2:3]
	scratch_load_b128 v[120:123], off, off offset:376
	s_waitcnt lgkmcnt(0)
	v_fma_f64 v[2:3], v[132:133], v[134:135], v[2:3]
	ds_load_b128 v[128:131], v1 offset:720
	ds_load_b128 v[132:135], v1 offset:736
	s_waitcnt vmcnt(4)
	v_fma_f64 v[2:3], v[112:113], v[136:137], v[2:3]
	s_waitcnt lgkmcnt(1)
	s_delay_alu instid0(VALU_DEP_1) | instskip(SKIP_4) | instid1(VALU_DEP_1)
	v_fma_f64 v[2:3], v[114:115], v[128:129], v[2:3]
	scratch_load_b64 v[128:129], off, off offset:392
	s_waitcnt vmcnt(4)
	v_fma_f64 v[2:3], v[124:125], v[130:131], v[2:3]
	s_waitcnt lgkmcnt(0)
	v_fma_f64 v[2:3], v[126:127], v[132:133], v[2:3]
	ds_load_b128 v[112:115], v1 offset:752
	ds_load_b128 v[124:127], v1 offset:768
	s_waitcnt vmcnt(3)
	v_fma_f64 v[2:3], v[116:117], v[134:135], v[2:3]
	s_waitcnt lgkmcnt(1)
	s_delay_alu instid0(VALU_DEP_1) | instskip(SKIP_1) | instid1(VALU_DEP_1)
	v_fma_f64 v[2:3], v[118:119], v[112:113], v[2:3]
	s_waitcnt vmcnt(2)
	v_fma_f64 v[2:3], v[108:109], v[114:115], v[2:3]
	s_waitcnt lgkmcnt(0)
	s_delay_alu instid0(VALU_DEP_1) | instskip(SKIP_1) | instid1(VALU_DEP_1)
	v_fma_f64 v[2:3], v[110:111], v[124:125], v[2:3]
	s_waitcnt vmcnt(1)
	v_fma_f64 v[108:109], v[120:121], v[126:127], v[2:3]
	ds_load_b128 v[1:4], v1 offset:784
	s_waitcnt lgkmcnt(0)
	v_fma_f64 v[1:2], v[122:123], v[1:2], v[108:109]
	s_waitcnt vmcnt(0)
	s_delay_alu instid0(VALU_DEP_1) | instskip(NEXT) | instid1(VALU_DEP_1)
	v_fma_f64 v[1:2], v[128:129], v[3:4], v[1:2]
	v_add_f64 v[1:2], v[106:107], -v[1:2]
	scratch_store_b64 off, v[1:2], off offset:184
	v_cmpx_lt_u32_e32 22, v0
	s_cbranch_execz .LBB49_265
; %bb.264:
	scratch_load_b64 v[1:2], off, off offset:176
	v_mov_b32_e32 v3, 0
	s_delay_alu instid0(VALU_DEP_1)
	v_mov_b32_e32 v4, v3
	scratch_store_b64 off, v[3:4], off offset:176
	s_waitcnt vmcnt(0)
	ds_store_b64 v5, v[1:2]
.LBB49_265:
	s_or_b32 exec_lo, exec_lo, s0
	s_waitcnt lgkmcnt(0)
	s_waitcnt_vscnt null, 0x0
	s_barrier
	buffer_gl0_inv
	s_clause 0x4
	scratch_load_b128 v[106:109], off, off offset:176
	scratch_load_b128 v[110:113], off, off offset:192
	;; [unrolled: 1-line block ×5, first 2 shown]
	v_mov_b32_e32 v1, 0
	ds_load_2addr_b64 v[126:129], v1 offset0:73 offset1:74
	ds_load_2addr_b64 v[130:133], v1 offset0:75 offset1:76
	scratch_load_b128 v[134:137], off, off offset:256
	s_mov_b32 s0, exec_lo
	s_waitcnt vmcnt(5) lgkmcnt(1)
	v_fma_f64 v[2:3], v[108:109], v[126:127], 0
	s_waitcnt vmcnt(4)
	s_delay_alu instid0(VALU_DEP_1) | instskip(SKIP_4) | instid1(VALU_DEP_1)
	v_fma_f64 v[2:3], v[110:111], v[128:129], v[2:3]
	scratch_load_b128 v[108:111], off, off offset:272
	s_waitcnt lgkmcnt(0)
	v_fma_f64 v[2:3], v[112:113], v[130:131], v[2:3]
	s_waitcnt vmcnt(4)
	v_fma_f64 v[2:3], v[114:115], v[132:133], v[2:3]
	ds_load_2addr_b64 v[112:115], v1 offset0:77 offset1:78
	ds_load_2addr_b64 v[126:129], v1 offset0:79 offset1:80
	scratch_load_b128 v[130:133], off, off offset:288
	s_waitcnt lgkmcnt(1)
	v_fma_f64 v[2:3], v[116:117], v[112:113], v[2:3]
	s_waitcnt vmcnt(4)
	s_delay_alu instid0(VALU_DEP_1) | instskip(SKIP_4) | instid1(VALU_DEP_1)
	v_fma_f64 v[2:3], v[118:119], v[114:115], v[2:3]
	scratch_load_b128 v[112:115], off, off offset:304
	s_waitcnt lgkmcnt(0)
	v_fma_f64 v[2:3], v[120:121], v[126:127], v[2:3]
	s_waitcnt vmcnt(4)
	v_fma_f64 v[2:3], v[122:123], v[128:129], v[2:3]
	ds_load_2addr_b64 v[116:119], v1 offset0:81 offset1:82
	ds_load_2addr_b64 v[120:123], v1 offset0:83 offset1:84
	s_waitcnt lgkmcnt(1)
	v_fma_f64 v[2:3], v[124:125], v[116:117], v[2:3]
	scratch_load_b128 v[124:127], off, off offset:320
	s_waitcnt vmcnt(4)
	v_fma_f64 v[2:3], v[134:135], v[118:119], v[2:3]
	scratch_load_b128 v[116:119], off, off offset:336
	s_waitcnt lgkmcnt(0)
	v_fma_f64 v[2:3], v[136:137], v[120:121], v[2:3]
	s_waitcnt vmcnt(4)
	s_delay_alu instid0(VALU_DEP_1)
	v_fma_f64 v[2:3], v[108:109], v[122:123], v[2:3]
	ds_load_2addr_b64 v[120:123], v1 offset0:85 offset1:86
	ds_load_2addr_b64 v[134:137], v1 offset0:87 offset1:88
	s_waitcnt lgkmcnt(1)
	v_fma_f64 v[2:3], v[110:111], v[120:121], v[2:3]
	scratch_load_b128 v[108:111], off, off offset:352
	s_waitcnt vmcnt(4)
	v_fma_f64 v[2:3], v[130:131], v[122:123], v[2:3]
	scratch_load_b128 v[120:123], off, off offset:368
	s_waitcnt lgkmcnt(0)
	v_fma_f64 v[2:3], v[132:133], v[134:135], v[2:3]
	ds_load_2addr_b64 v[128:131], v1 offset0:89 offset1:90
	ds_load_2addr_b64 v[132:135], v1 offset0:91 offset1:92
	s_waitcnt vmcnt(4)
	v_fma_f64 v[2:3], v[112:113], v[136:137], v[2:3]
	s_waitcnt lgkmcnt(1)
	s_delay_alu instid0(VALU_DEP_1) | instskip(SKIP_4) | instid1(VALU_DEP_1)
	v_fma_f64 v[2:3], v[114:115], v[128:129], v[2:3]
	scratch_load_b128 v[112:115], off, off offset:384
	s_waitcnt vmcnt(4)
	v_fma_f64 v[2:3], v[124:125], v[130:131], v[2:3]
	s_waitcnt lgkmcnt(0)
	v_fma_f64 v[2:3], v[126:127], v[132:133], v[2:3]
	ds_load_2addr_b64 v[124:127], v1 offset0:93 offset1:94
	ds_load_2addr_b64 v[128:131], v1 offset0:95 offset1:96
	s_waitcnt vmcnt(3)
	v_fma_f64 v[2:3], v[116:117], v[134:135], v[2:3]
	s_waitcnt lgkmcnt(1)
	s_delay_alu instid0(VALU_DEP_1) | instskip(SKIP_1) | instid1(VALU_DEP_1)
	v_fma_f64 v[2:3], v[118:119], v[124:125], v[2:3]
	s_waitcnt vmcnt(2)
	v_fma_f64 v[2:3], v[108:109], v[126:127], v[2:3]
	s_waitcnt lgkmcnt(0)
	s_delay_alu instid0(VALU_DEP_1)
	v_fma_f64 v[2:3], v[110:111], v[128:129], v[2:3]
	ds_load_2addr_b64 v[108:111], v1 offset0:97 offset1:98
	ds_load_b64 v[116:117], v1 offset:792
	s_waitcnt vmcnt(1)
	v_fma_f64 v[2:3], v[120:121], v[130:131], v[2:3]
	s_waitcnt lgkmcnt(1)
	s_delay_alu instid0(VALU_DEP_1) | instskip(SKIP_1) | instid1(VALU_DEP_1)
	v_fma_f64 v[2:3], v[122:123], v[108:109], v[2:3]
	s_waitcnt vmcnt(0)
	v_fma_f64 v[2:3], v[112:113], v[110:111], v[2:3]
	s_waitcnt lgkmcnt(0)
	s_delay_alu instid0(VALU_DEP_1) | instskip(NEXT) | instid1(VALU_DEP_1)
	v_fma_f64 v[2:3], v[114:115], v[116:117], v[2:3]
	v_add_f64 v[2:3], v[106:107], -v[2:3]
	scratch_store_b64 off, v[2:3], off offset:176
	v_cmpx_lt_u32_e32 21, v0
	s_cbranch_execz .LBB49_267
; %bb.266:
	scratch_load_b64 v[3:4], off, off offset:168
	v_mov_b32_e32 v2, v1
	scratch_store_b64 off, v[1:2], off offset:168
	s_waitcnt vmcnt(0)
	ds_store_b64 v5, v[3:4]
.LBB49_267:
	s_or_b32 exec_lo, exec_lo, s0
	s_waitcnt lgkmcnt(0)
	s_waitcnt_vscnt null, 0x0
	s_barrier
	buffer_gl0_inv
	s_clause 0x4
	scratch_load_b128 v[106:109], off, off offset:168
	scratch_load_b128 v[110:113], off, off offset:184
	;; [unrolled: 1-line block ×5, first 2 shown]
	ds_load_b128 v[126:129], v1 offset:576
	ds_load_b128 v[130:133], v1 offset:592
	scratch_load_b128 v[134:137], off, off offset:248
	s_mov_b32 s0, exec_lo
	s_waitcnt vmcnt(5) lgkmcnt(1)
	v_fma_f64 v[2:3], v[108:109], v[126:127], 0
	s_waitcnt vmcnt(4)
	s_delay_alu instid0(VALU_DEP_1) | instskip(SKIP_4) | instid1(VALU_DEP_1)
	v_fma_f64 v[2:3], v[110:111], v[128:129], v[2:3]
	scratch_load_b128 v[108:111], off, off offset:264
	s_waitcnt lgkmcnt(0)
	v_fma_f64 v[2:3], v[112:113], v[130:131], v[2:3]
	s_waitcnt vmcnt(4)
	v_fma_f64 v[2:3], v[114:115], v[132:133], v[2:3]
	ds_load_b128 v[112:115], v1 offset:608
	ds_load_b128 v[126:129], v1 offset:624
	scratch_load_b128 v[130:133], off, off offset:280
	s_waitcnt lgkmcnt(1)
	v_fma_f64 v[2:3], v[116:117], v[112:113], v[2:3]
	s_waitcnt vmcnt(4)
	s_delay_alu instid0(VALU_DEP_1) | instskip(SKIP_4) | instid1(VALU_DEP_1)
	v_fma_f64 v[2:3], v[118:119], v[114:115], v[2:3]
	scratch_load_b128 v[112:115], off, off offset:296
	s_waitcnt lgkmcnt(0)
	v_fma_f64 v[2:3], v[120:121], v[126:127], v[2:3]
	s_waitcnt vmcnt(4)
	v_fma_f64 v[2:3], v[122:123], v[128:129], v[2:3]
	ds_load_b128 v[116:119], v1 offset:640
	ds_load_b128 v[120:123], v1 offset:656
	s_waitcnt lgkmcnt(1)
	v_fma_f64 v[2:3], v[124:125], v[116:117], v[2:3]
	scratch_load_b128 v[124:127], off, off offset:312
	s_waitcnt vmcnt(4)
	v_fma_f64 v[2:3], v[134:135], v[118:119], v[2:3]
	scratch_load_b128 v[116:119], off, off offset:328
	s_waitcnt lgkmcnt(0)
	v_fma_f64 v[2:3], v[136:137], v[120:121], v[2:3]
	s_waitcnt vmcnt(4)
	s_delay_alu instid0(VALU_DEP_1)
	v_fma_f64 v[2:3], v[108:109], v[122:123], v[2:3]
	ds_load_b128 v[120:123], v1 offset:672
	ds_load_b128 v[134:137], v1 offset:688
	s_waitcnt lgkmcnt(1)
	v_fma_f64 v[2:3], v[110:111], v[120:121], v[2:3]
	scratch_load_b128 v[108:111], off, off offset:344
	s_waitcnt vmcnt(4)
	v_fma_f64 v[2:3], v[130:131], v[122:123], v[2:3]
	scratch_load_b128 v[120:123], off, off offset:360
	s_waitcnt lgkmcnt(0)
	v_fma_f64 v[2:3], v[132:133], v[134:135], v[2:3]
	ds_load_b128 v[128:131], v1 offset:704
	ds_load_b128 v[132:135], v1 offset:720
	s_waitcnt vmcnt(4)
	v_fma_f64 v[2:3], v[112:113], v[136:137], v[2:3]
	s_waitcnt lgkmcnt(1)
	s_delay_alu instid0(VALU_DEP_1) | instskip(SKIP_4) | instid1(VALU_DEP_1)
	v_fma_f64 v[2:3], v[114:115], v[128:129], v[2:3]
	scratch_load_b128 v[112:115], off, off offset:376
	s_waitcnt vmcnt(4)
	v_fma_f64 v[2:3], v[124:125], v[130:131], v[2:3]
	s_waitcnt lgkmcnt(0)
	v_fma_f64 v[2:3], v[126:127], v[132:133], v[2:3]
	scratch_load_b64 v[132:133], off, off offset:392
	ds_load_b128 v[124:127], v1 offset:736
	ds_load_b128 v[128:131], v1 offset:752
	s_waitcnt vmcnt(4)
	v_fma_f64 v[2:3], v[116:117], v[134:135], v[2:3]
	s_waitcnt lgkmcnt(1)
	s_delay_alu instid0(VALU_DEP_1) | instskip(SKIP_1) | instid1(VALU_DEP_1)
	v_fma_f64 v[2:3], v[118:119], v[124:125], v[2:3]
	s_waitcnt vmcnt(3)
	v_fma_f64 v[2:3], v[108:109], v[126:127], v[2:3]
	s_waitcnt lgkmcnt(0)
	s_delay_alu instid0(VALU_DEP_1) | instskip(SKIP_1) | instid1(VALU_DEP_1)
	v_fma_f64 v[2:3], v[110:111], v[128:129], v[2:3]
	s_waitcnt vmcnt(2)
	v_fma_f64 v[116:117], v[120:121], v[130:131], v[2:3]
	ds_load_b128 v[108:111], v1 offset:768
	ds_load_b128 v[1:4], v1 offset:784
	s_waitcnt lgkmcnt(1)
	v_fma_f64 v[108:109], v[122:123], v[108:109], v[116:117]
	s_waitcnt vmcnt(1)
	s_delay_alu instid0(VALU_DEP_1) | instskip(SKIP_1) | instid1(VALU_DEP_1)
	v_fma_f64 v[108:109], v[112:113], v[110:111], v[108:109]
	s_waitcnt lgkmcnt(0)
	v_fma_f64 v[1:2], v[114:115], v[1:2], v[108:109]
	s_waitcnt vmcnt(0)
	s_delay_alu instid0(VALU_DEP_1) | instskip(NEXT) | instid1(VALU_DEP_1)
	v_fma_f64 v[1:2], v[132:133], v[3:4], v[1:2]
	v_add_f64 v[1:2], v[106:107], -v[1:2]
	scratch_store_b64 off, v[1:2], off offset:168
	v_cmpx_lt_u32_e32 20, v0
	s_cbranch_execz .LBB49_269
; %bb.268:
	scratch_load_b64 v[1:2], off, off offset:160
	v_mov_b32_e32 v3, 0
	s_delay_alu instid0(VALU_DEP_1)
	v_mov_b32_e32 v4, v3
	scratch_store_b64 off, v[3:4], off offset:160
	s_waitcnt vmcnt(0)
	ds_store_b64 v5, v[1:2]
.LBB49_269:
	s_or_b32 exec_lo, exec_lo, s0
	s_waitcnt lgkmcnt(0)
	s_waitcnt_vscnt null, 0x0
	s_barrier
	buffer_gl0_inv
	s_clause 0x4
	scratch_load_b128 v[106:109], off, off offset:160
	scratch_load_b128 v[110:113], off, off offset:176
	;; [unrolled: 1-line block ×5, first 2 shown]
	v_mov_b32_e32 v1, 0
	ds_load_2addr_b64 v[126:129], v1 offset0:71 offset1:72
	ds_load_2addr_b64 v[130:133], v1 offset0:73 offset1:74
	scratch_load_b128 v[134:137], off, off offset:240
	s_mov_b32 s0, exec_lo
	s_waitcnt vmcnt(5) lgkmcnt(1)
	v_fma_f64 v[2:3], v[108:109], v[126:127], 0
	s_waitcnt vmcnt(4)
	s_delay_alu instid0(VALU_DEP_1) | instskip(SKIP_4) | instid1(VALU_DEP_1)
	v_fma_f64 v[2:3], v[110:111], v[128:129], v[2:3]
	scratch_load_b128 v[108:111], off, off offset:256
	s_waitcnt lgkmcnt(0)
	v_fma_f64 v[2:3], v[112:113], v[130:131], v[2:3]
	s_waitcnt vmcnt(4)
	v_fma_f64 v[2:3], v[114:115], v[132:133], v[2:3]
	ds_load_2addr_b64 v[112:115], v1 offset0:75 offset1:76
	ds_load_2addr_b64 v[126:129], v1 offset0:77 offset1:78
	scratch_load_b128 v[130:133], off, off offset:272
	s_waitcnt lgkmcnt(1)
	v_fma_f64 v[2:3], v[116:117], v[112:113], v[2:3]
	s_waitcnt vmcnt(4)
	s_delay_alu instid0(VALU_DEP_1) | instskip(SKIP_4) | instid1(VALU_DEP_1)
	v_fma_f64 v[2:3], v[118:119], v[114:115], v[2:3]
	scratch_load_b128 v[112:115], off, off offset:288
	s_waitcnt lgkmcnt(0)
	v_fma_f64 v[2:3], v[120:121], v[126:127], v[2:3]
	s_waitcnt vmcnt(4)
	v_fma_f64 v[2:3], v[122:123], v[128:129], v[2:3]
	ds_load_2addr_b64 v[116:119], v1 offset0:79 offset1:80
	ds_load_2addr_b64 v[120:123], v1 offset0:81 offset1:82
	s_waitcnt lgkmcnt(1)
	v_fma_f64 v[2:3], v[124:125], v[116:117], v[2:3]
	scratch_load_b128 v[124:127], off, off offset:304
	s_waitcnt vmcnt(4)
	v_fma_f64 v[2:3], v[134:135], v[118:119], v[2:3]
	scratch_load_b128 v[116:119], off, off offset:320
	s_waitcnt lgkmcnt(0)
	v_fma_f64 v[2:3], v[136:137], v[120:121], v[2:3]
	s_waitcnt vmcnt(4)
	s_delay_alu instid0(VALU_DEP_1)
	v_fma_f64 v[2:3], v[108:109], v[122:123], v[2:3]
	ds_load_2addr_b64 v[120:123], v1 offset0:83 offset1:84
	ds_load_2addr_b64 v[134:137], v1 offset0:85 offset1:86
	s_waitcnt lgkmcnt(1)
	v_fma_f64 v[2:3], v[110:111], v[120:121], v[2:3]
	scratch_load_b128 v[108:111], off, off offset:336
	s_waitcnt vmcnt(4)
	v_fma_f64 v[2:3], v[130:131], v[122:123], v[2:3]
	scratch_load_b128 v[120:123], off, off offset:352
	s_waitcnt lgkmcnt(0)
	v_fma_f64 v[2:3], v[132:133], v[134:135], v[2:3]
	ds_load_2addr_b64 v[128:131], v1 offset0:87 offset1:88
	ds_load_2addr_b64 v[132:135], v1 offset0:89 offset1:90
	s_waitcnt vmcnt(4)
	v_fma_f64 v[2:3], v[112:113], v[136:137], v[2:3]
	s_waitcnt lgkmcnt(1)
	s_delay_alu instid0(VALU_DEP_1) | instskip(SKIP_4) | instid1(VALU_DEP_1)
	v_fma_f64 v[2:3], v[114:115], v[128:129], v[2:3]
	scratch_load_b128 v[112:115], off, off offset:368
	s_waitcnt vmcnt(4)
	v_fma_f64 v[2:3], v[124:125], v[130:131], v[2:3]
	s_waitcnt lgkmcnt(0)
	v_fma_f64 v[2:3], v[126:127], v[132:133], v[2:3]
	scratch_load_b128 v[124:127], off, off offset:384
	s_waitcnt vmcnt(4)
	v_fma_f64 v[2:3], v[116:117], v[134:135], v[2:3]
	ds_load_2addr_b64 v[128:131], v1 offset0:91 offset1:92
	ds_load_2addr_b64 v[132:135], v1 offset0:93 offset1:94
	s_waitcnt lgkmcnt(1)
	v_fma_f64 v[2:3], v[118:119], v[128:129], v[2:3]
	s_waitcnt vmcnt(3)
	s_delay_alu instid0(VALU_DEP_1) | instskip(SKIP_1) | instid1(VALU_DEP_1)
	v_fma_f64 v[2:3], v[108:109], v[130:131], v[2:3]
	s_waitcnt lgkmcnt(0)
	v_fma_f64 v[2:3], v[110:111], v[132:133], v[2:3]
	ds_load_2addr_b64 v[108:111], v1 offset0:95 offset1:96
	ds_load_2addr_b64 v[116:119], v1 offset0:97 offset1:98
	s_waitcnt vmcnt(2)
	v_fma_f64 v[2:3], v[120:121], v[134:135], v[2:3]
	s_waitcnt lgkmcnt(1)
	s_delay_alu instid0(VALU_DEP_1) | instskip(SKIP_4) | instid1(VALU_DEP_1)
	v_fma_f64 v[2:3], v[122:123], v[108:109], v[2:3]
	ds_load_b64 v[108:109], v1 offset:792
	s_waitcnt vmcnt(1)
	v_fma_f64 v[2:3], v[112:113], v[110:111], v[2:3]
	s_waitcnt lgkmcnt(1)
	v_fma_f64 v[2:3], v[114:115], v[116:117], v[2:3]
	s_waitcnt vmcnt(0)
	s_delay_alu instid0(VALU_DEP_1) | instskip(SKIP_1) | instid1(VALU_DEP_1)
	v_fma_f64 v[2:3], v[124:125], v[118:119], v[2:3]
	s_waitcnt lgkmcnt(0)
	v_fma_f64 v[2:3], v[126:127], v[108:109], v[2:3]
	s_delay_alu instid0(VALU_DEP_1)
	v_add_f64 v[2:3], v[106:107], -v[2:3]
	scratch_store_b64 off, v[2:3], off offset:160
	v_cmpx_lt_u32_e32 19, v0
	s_cbranch_execz .LBB49_271
; %bb.270:
	scratch_load_b64 v[3:4], off, off offset:152
	v_mov_b32_e32 v2, v1
	scratch_store_b64 off, v[1:2], off offset:152
	s_waitcnt vmcnt(0)
	ds_store_b64 v5, v[3:4]
.LBB49_271:
	s_or_b32 exec_lo, exec_lo, s0
	s_waitcnt lgkmcnt(0)
	s_waitcnt_vscnt null, 0x0
	s_barrier
	buffer_gl0_inv
	s_clause 0x4
	scratch_load_b128 v[106:109], off, off offset:152
	scratch_load_b128 v[110:113], off, off offset:168
	;; [unrolled: 1-line block ×5, first 2 shown]
	ds_load_b128 v[126:129], v1 offset:560
	ds_load_b128 v[130:133], v1 offset:576
	scratch_load_b128 v[134:137], off, off offset:232
	s_mov_b32 s0, exec_lo
	s_waitcnt vmcnt(5) lgkmcnt(1)
	v_fma_f64 v[2:3], v[108:109], v[126:127], 0
	s_waitcnt vmcnt(4)
	s_delay_alu instid0(VALU_DEP_1) | instskip(SKIP_4) | instid1(VALU_DEP_1)
	v_fma_f64 v[2:3], v[110:111], v[128:129], v[2:3]
	scratch_load_b128 v[108:111], off, off offset:248
	s_waitcnt lgkmcnt(0)
	v_fma_f64 v[2:3], v[112:113], v[130:131], v[2:3]
	s_waitcnt vmcnt(4)
	v_fma_f64 v[2:3], v[114:115], v[132:133], v[2:3]
	ds_load_b128 v[112:115], v1 offset:592
	ds_load_b128 v[126:129], v1 offset:608
	scratch_load_b128 v[130:133], off, off offset:264
	s_waitcnt lgkmcnt(1)
	v_fma_f64 v[2:3], v[116:117], v[112:113], v[2:3]
	s_waitcnt vmcnt(4)
	s_delay_alu instid0(VALU_DEP_1) | instskip(SKIP_4) | instid1(VALU_DEP_1)
	v_fma_f64 v[2:3], v[118:119], v[114:115], v[2:3]
	scratch_load_b128 v[112:115], off, off offset:280
	s_waitcnt lgkmcnt(0)
	v_fma_f64 v[2:3], v[120:121], v[126:127], v[2:3]
	s_waitcnt vmcnt(4)
	v_fma_f64 v[2:3], v[122:123], v[128:129], v[2:3]
	ds_load_b128 v[116:119], v1 offset:624
	ds_load_b128 v[120:123], v1 offset:640
	s_waitcnt lgkmcnt(1)
	v_fma_f64 v[2:3], v[124:125], v[116:117], v[2:3]
	scratch_load_b128 v[124:127], off, off offset:296
	s_waitcnt vmcnt(4)
	v_fma_f64 v[2:3], v[134:135], v[118:119], v[2:3]
	scratch_load_b128 v[116:119], off, off offset:312
	s_waitcnt lgkmcnt(0)
	v_fma_f64 v[2:3], v[136:137], v[120:121], v[2:3]
	s_waitcnt vmcnt(4)
	s_delay_alu instid0(VALU_DEP_1)
	v_fma_f64 v[2:3], v[108:109], v[122:123], v[2:3]
	ds_load_b128 v[120:123], v1 offset:656
	ds_load_b128 v[134:137], v1 offset:672
	s_waitcnt lgkmcnt(1)
	v_fma_f64 v[2:3], v[110:111], v[120:121], v[2:3]
	scratch_load_b128 v[108:111], off, off offset:328
	s_waitcnt vmcnt(4)
	v_fma_f64 v[2:3], v[130:131], v[122:123], v[2:3]
	scratch_load_b128 v[120:123], off, off offset:344
	s_waitcnt lgkmcnt(0)
	v_fma_f64 v[2:3], v[132:133], v[134:135], v[2:3]
	ds_load_b128 v[128:131], v1 offset:688
	ds_load_b128 v[132:135], v1 offset:704
	s_waitcnt vmcnt(4)
	v_fma_f64 v[2:3], v[112:113], v[136:137], v[2:3]
	s_waitcnt lgkmcnt(1)
	s_delay_alu instid0(VALU_DEP_1) | instskip(SKIP_4) | instid1(VALU_DEP_1)
	v_fma_f64 v[2:3], v[114:115], v[128:129], v[2:3]
	scratch_load_b128 v[112:115], off, off offset:360
	s_waitcnt vmcnt(4)
	v_fma_f64 v[2:3], v[124:125], v[130:131], v[2:3]
	s_waitcnt lgkmcnt(0)
	v_fma_f64 v[2:3], v[126:127], v[132:133], v[2:3]
	scratch_load_b128 v[124:127], off, off offset:376
	s_waitcnt vmcnt(4)
	v_fma_f64 v[2:3], v[116:117], v[134:135], v[2:3]
	ds_load_b128 v[128:131], v1 offset:720
	ds_load_b128 v[132:135], v1 offset:736
	s_waitcnt lgkmcnt(1)
	v_fma_f64 v[2:3], v[118:119], v[128:129], v[2:3]
	scratch_load_b64 v[128:129], off, off offset:392
	s_waitcnt vmcnt(4)
	v_fma_f64 v[2:3], v[108:109], v[130:131], v[2:3]
	s_waitcnt lgkmcnt(0)
	s_delay_alu instid0(VALU_DEP_1)
	v_fma_f64 v[2:3], v[110:111], v[132:133], v[2:3]
	ds_load_b128 v[108:111], v1 offset:752
	ds_load_b128 v[116:119], v1 offset:768
	s_waitcnt vmcnt(3)
	v_fma_f64 v[2:3], v[120:121], v[134:135], v[2:3]
	s_waitcnt lgkmcnt(1)
	s_delay_alu instid0(VALU_DEP_1) | instskip(SKIP_1) | instid1(VALU_DEP_1)
	v_fma_f64 v[2:3], v[122:123], v[108:109], v[2:3]
	s_waitcnt vmcnt(2)
	v_fma_f64 v[2:3], v[112:113], v[110:111], v[2:3]
	s_waitcnt lgkmcnt(0)
	s_delay_alu instid0(VALU_DEP_1) | instskip(SKIP_1) | instid1(VALU_DEP_1)
	v_fma_f64 v[2:3], v[114:115], v[116:117], v[2:3]
	s_waitcnt vmcnt(1)
	v_fma_f64 v[108:109], v[124:125], v[118:119], v[2:3]
	ds_load_b128 v[1:4], v1 offset:784
	s_waitcnt lgkmcnt(0)
	v_fma_f64 v[1:2], v[126:127], v[1:2], v[108:109]
	s_waitcnt vmcnt(0)
	s_delay_alu instid0(VALU_DEP_1) | instskip(NEXT) | instid1(VALU_DEP_1)
	v_fma_f64 v[1:2], v[128:129], v[3:4], v[1:2]
	v_add_f64 v[1:2], v[106:107], -v[1:2]
	scratch_store_b64 off, v[1:2], off offset:152
	v_cmpx_lt_u32_e32 18, v0
	s_cbranch_execz .LBB49_273
; %bb.272:
	scratch_load_b64 v[1:2], off, off offset:144
	v_mov_b32_e32 v3, 0
	s_delay_alu instid0(VALU_DEP_1)
	v_mov_b32_e32 v4, v3
	scratch_store_b64 off, v[3:4], off offset:144
	s_waitcnt vmcnt(0)
	ds_store_b64 v5, v[1:2]
.LBB49_273:
	s_or_b32 exec_lo, exec_lo, s0
	s_waitcnt lgkmcnt(0)
	s_waitcnt_vscnt null, 0x0
	s_barrier
	buffer_gl0_inv
	s_clause 0x4
	scratch_load_b128 v[106:109], off, off offset:144
	scratch_load_b128 v[110:113], off, off offset:160
	;; [unrolled: 1-line block ×5, first 2 shown]
	v_mov_b32_e32 v1, 0
	ds_load_2addr_b64 v[126:129], v1 offset0:69 offset1:70
	ds_load_2addr_b64 v[130:133], v1 offset0:71 offset1:72
	scratch_load_b128 v[134:137], off, off offset:224
	s_mov_b32 s0, exec_lo
	s_waitcnt vmcnt(5) lgkmcnt(1)
	v_fma_f64 v[2:3], v[108:109], v[126:127], 0
	s_waitcnt vmcnt(4)
	s_delay_alu instid0(VALU_DEP_1) | instskip(SKIP_4) | instid1(VALU_DEP_1)
	v_fma_f64 v[2:3], v[110:111], v[128:129], v[2:3]
	scratch_load_b128 v[108:111], off, off offset:240
	s_waitcnt lgkmcnt(0)
	v_fma_f64 v[2:3], v[112:113], v[130:131], v[2:3]
	s_waitcnt vmcnt(4)
	v_fma_f64 v[2:3], v[114:115], v[132:133], v[2:3]
	ds_load_2addr_b64 v[112:115], v1 offset0:73 offset1:74
	ds_load_2addr_b64 v[126:129], v1 offset0:75 offset1:76
	scratch_load_b128 v[130:133], off, off offset:256
	s_waitcnt lgkmcnt(1)
	v_fma_f64 v[2:3], v[116:117], v[112:113], v[2:3]
	s_waitcnt vmcnt(4)
	s_delay_alu instid0(VALU_DEP_1) | instskip(SKIP_4) | instid1(VALU_DEP_1)
	v_fma_f64 v[2:3], v[118:119], v[114:115], v[2:3]
	scratch_load_b128 v[112:115], off, off offset:272
	s_waitcnt lgkmcnt(0)
	v_fma_f64 v[2:3], v[120:121], v[126:127], v[2:3]
	s_waitcnt vmcnt(4)
	v_fma_f64 v[2:3], v[122:123], v[128:129], v[2:3]
	ds_load_2addr_b64 v[116:119], v1 offset0:77 offset1:78
	ds_load_2addr_b64 v[120:123], v1 offset0:79 offset1:80
	s_waitcnt lgkmcnt(1)
	v_fma_f64 v[2:3], v[124:125], v[116:117], v[2:3]
	scratch_load_b128 v[124:127], off, off offset:288
	s_waitcnt vmcnt(4)
	v_fma_f64 v[2:3], v[134:135], v[118:119], v[2:3]
	scratch_load_b128 v[116:119], off, off offset:304
	s_waitcnt lgkmcnt(0)
	v_fma_f64 v[2:3], v[136:137], v[120:121], v[2:3]
	s_waitcnt vmcnt(4)
	s_delay_alu instid0(VALU_DEP_1)
	v_fma_f64 v[2:3], v[108:109], v[122:123], v[2:3]
	ds_load_2addr_b64 v[120:123], v1 offset0:81 offset1:82
	ds_load_2addr_b64 v[134:137], v1 offset0:83 offset1:84
	s_waitcnt lgkmcnt(1)
	v_fma_f64 v[2:3], v[110:111], v[120:121], v[2:3]
	scratch_load_b128 v[108:111], off, off offset:320
	s_waitcnt vmcnt(4)
	v_fma_f64 v[2:3], v[130:131], v[122:123], v[2:3]
	scratch_load_b128 v[120:123], off, off offset:336
	s_waitcnt lgkmcnt(0)
	v_fma_f64 v[2:3], v[132:133], v[134:135], v[2:3]
	ds_load_2addr_b64 v[128:131], v1 offset0:85 offset1:86
	ds_load_2addr_b64 v[132:135], v1 offset0:87 offset1:88
	s_waitcnt vmcnt(4)
	v_fma_f64 v[2:3], v[112:113], v[136:137], v[2:3]
	s_waitcnt lgkmcnt(1)
	s_delay_alu instid0(VALU_DEP_1) | instskip(SKIP_4) | instid1(VALU_DEP_1)
	v_fma_f64 v[2:3], v[114:115], v[128:129], v[2:3]
	scratch_load_b128 v[112:115], off, off offset:352
	s_waitcnt vmcnt(4)
	v_fma_f64 v[2:3], v[124:125], v[130:131], v[2:3]
	s_waitcnt lgkmcnt(0)
	v_fma_f64 v[2:3], v[126:127], v[132:133], v[2:3]
	scratch_load_b128 v[124:127], off, off offset:368
	s_waitcnt vmcnt(4)
	v_fma_f64 v[2:3], v[116:117], v[134:135], v[2:3]
	ds_load_2addr_b64 v[128:131], v1 offset0:89 offset1:90
	ds_load_2addr_b64 v[132:135], v1 offset0:91 offset1:92
	s_waitcnt lgkmcnt(1)
	v_fma_f64 v[2:3], v[118:119], v[128:129], v[2:3]
	scratch_load_b128 v[116:119], off, off offset:384
	s_waitcnt vmcnt(4)
	v_fma_f64 v[2:3], v[108:109], v[130:131], v[2:3]
	s_waitcnt lgkmcnt(0)
	s_delay_alu instid0(VALU_DEP_1)
	v_fma_f64 v[2:3], v[110:111], v[132:133], v[2:3]
	ds_load_2addr_b64 v[108:111], v1 offset0:93 offset1:94
	ds_load_2addr_b64 v[128:131], v1 offset0:95 offset1:96
	s_waitcnt vmcnt(3)
	v_fma_f64 v[2:3], v[120:121], v[134:135], v[2:3]
	s_waitcnt lgkmcnt(1)
	s_delay_alu instid0(VALU_DEP_1) | instskip(SKIP_1) | instid1(VALU_DEP_1)
	v_fma_f64 v[2:3], v[122:123], v[108:109], v[2:3]
	s_waitcnt vmcnt(2)
	v_fma_f64 v[2:3], v[112:113], v[110:111], v[2:3]
	ds_load_2addr_b64 v[108:111], v1 offset0:97 offset1:98
	ds_load_b64 v[112:113], v1 offset:792
	s_waitcnt lgkmcnt(2)
	v_fma_f64 v[2:3], v[114:115], v[128:129], v[2:3]
	s_waitcnt vmcnt(1)
	s_delay_alu instid0(VALU_DEP_1) | instskip(SKIP_1) | instid1(VALU_DEP_1)
	v_fma_f64 v[2:3], v[124:125], v[130:131], v[2:3]
	s_waitcnt lgkmcnt(1)
	v_fma_f64 v[2:3], v[126:127], v[108:109], v[2:3]
	s_waitcnt vmcnt(0)
	s_delay_alu instid0(VALU_DEP_1) | instskip(SKIP_1) | instid1(VALU_DEP_1)
	v_fma_f64 v[2:3], v[116:117], v[110:111], v[2:3]
	s_waitcnt lgkmcnt(0)
	v_fma_f64 v[2:3], v[118:119], v[112:113], v[2:3]
	s_delay_alu instid0(VALU_DEP_1)
	v_add_f64 v[2:3], v[106:107], -v[2:3]
	scratch_store_b64 off, v[2:3], off offset:144
	v_cmpx_lt_u32_e32 17, v0
	s_cbranch_execz .LBB49_275
; %bb.274:
	scratch_load_b64 v[3:4], off, off offset:136
	v_mov_b32_e32 v2, v1
	scratch_store_b64 off, v[1:2], off offset:136
	s_waitcnt vmcnt(0)
	ds_store_b64 v5, v[3:4]
.LBB49_275:
	s_or_b32 exec_lo, exec_lo, s0
	s_waitcnt lgkmcnt(0)
	s_waitcnt_vscnt null, 0x0
	s_barrier
	buffer_gl0_inv
	s_clause 0x4
	scratch_load_b128 v[106:109], off, off offset:136
	scratch_load_b128 v[110:113], off, off offset:152
	;; [unrolled: 1-line block ×5, first 2 shown]
	ds_load_b128 v[126:129], v1 offset:544
	ds_load_b128 v[130:133], v1 offset:560
	scratch_load_b128 v[134:137], off, off offset:216
	s_mov_b32 s0, exec_lo
	s_waitcnt vmcnt(5) lgkmcnt(1)
	v_fma_f64 v[2:3], v[108:109], v[126:127], 0
	s_waitcnt vmcnt(4)
	s_delay_alu instid0(VALU_DEP_1) | instskip(SKIP_4) | instid1(VALU_DEP_1)
	v_fma_f64 v[2:3], v[110:111], v[128:129], v[2:3]
	scratch_load_b128 v[108:111], off, off offset:232
	s_waitcnt lgkmcnt(0)
	v_fma_f64 v[2:3], v[112:113], v[130:131], v[2:3]
	s_waitcnt vmcnt(4)
	v_fma_f64 v[2:3], v[114:115], v[132:133], v[2:3]
	ds_load_b128 v[112:115], v1 offset:576
	ds_load_b128 v[126:129], v1 offset:592
	scratch_load_b128 v[130:133], off, off offset:248
	s_waitcnt lgkmcnt(1)
	v_fma_f64 v[2:3], v[116:117], v[112:113], v[2:3]
	s_waitcnt vmcnt(4)
	s_delay_alu instid0(VALU_DEP_1) | instskip(SKIP_4) | instid1(VALU_DEP_1)
	v_fma_f64 v[2:3], v[118:119], v[114:115], v[2:3]
	scratch_load_b128 v[112:115], off, off offset:264
	s_waitcnt lgkmcnt(0)
	v_fma_f64 v[2:3], v[120:121], v[126:127], v[2:3]
	s_waitcnt vmcnt(4)
	v_fma_f64 v[2:3], v[122:123], v[128:129], v[2:3]
	ds_load_b128 v[116:119], v1 offset:608
	ds_load_b128 v[120:123], v1 offset:624
	s_waitcnt lgkmcnt(1)
	v_fma_f64 v[2:3], v[124:125], v[116:117], v[2:3]
	scratch_load_b128 v[124:127], off, off offset:280
	s_waitcnt vmcnt(4)
	v_fma_f64 v[2:3], v[134:135], v[118:119], v[2:3]
	scratch_load_b128 v[116:119], off, off offset:296
	s_waitcnt lgkmcnt(0)
	v_fma_f64 v[2:3], v[136:137], v[120:121], v[2:3]
	s_waitcnt vmcnt(4)
	s_delay_alu instid0(VALU_DEP_1)
	v_fma_f64 v[2:3], v[108:109], v[122:123], v[2:3]
	ds_load_b128 v[120:123], v1 offset:640
	ds_load_b128 v[134:137], v1 offset:656
	s_waitcnt lgkmcnt(1)
	v_fma_f64 v[2:3], v[110:111], v[120:121], v[2:3]
	scratch_load_b128 v[108:111], off, off offset:312
	s_waitcnt vmcnt(4)
	v_fma_f64 v[2:3], v[130:131], v[122:123], v[2:3]
	scratch_load_b128 v[120:123], off, off offset:328
	s_waitcnt lgkmcnt(0)
	v_fma_f64 v[2:3], v[132:133], v[134:135], v[2:3]
	ds_load_b128 v[128:131], v1 offset:672
	ds_load_b128 v[132:135], v1 offset:688
	s_waitcnt vmcnt(4)
	v_fma_f64 v[2:3], v[112:113], v[136:137], v[2:3]
	s_waitcnt lgkmcnt(1)
	s_delay_alu instid0(VALU_DEP_1) | instskip(SKIP_4) | instid1(VALU_DEP_1)
	v_fma_f64 v[2:3], v[114:115], v[128:129], v[2:3]
	scratch_load_b128 v[112:115], off, off offset:344
	s_waitcnt vmcnt(4)
	v_fma_f64 v[2:3], v[124:125], v[130:131], v[2:3]
	s_waitcnt lgkmcnt(0)
	v_fma_f64 v[2:3], v[126:127], v[132:133], v[2:3]
	scratch_load_b128 v[124:127], off, off offset:360
	s_waitcnt vmcnt(4)
	v_fma_f64 v[2:3], v[116:117], v[134:135], v[2:3]
	ds_load_b128 v[128:131], v1 offset:704
	ds_load_b128 v[132:135], v1 offset:720
	s_waitcnt lgkmcnt(1)
	v_fma_f64 v[2:3], v[118:119], v[128:129], v[2:3]
	scratch_load_b128 v[116:119], off, off offset:376
	s_waitcnt vmcnt(4)
	v_fma_f64 v[2:3], v[108:109], v[130:131], v[2:3]
	s_waitcnt lgkmcnt(0)
	s_delay_alu instid0(VALU_DEP_1)
	v_fma_f64 v[2:3], v[110:111], v[132:133], v[2:3]
	scratch_load_b64 v[132:133], off, off offset:392
	ds_load_b128 v[108:111], v1 offset:736
	ds_load_b128 v[128:131], v1 offset:752
	s_waitcnt vmcnt(4)
	v_fma_f64 v[2:3], v[120:121], v[134:135], v[2:3]
	s_waitcnt lgkmcnt(1)
	s_delay_alu instid0(VALU_DEP_1) | instskip(SKIP_1) | instid1(VALU_DEP_1)
	v_fma_f64 v[2:3], v[122:123], v[108:109], v[2:3]
	s_waitcnt vmcnt(3)
	v_fma_f64 v[2:3], v[112:113], v[110:111], v[2:3]
	s_waitcnt lgkmcnt(0)
	s_delay_alu instid0(VALU_DEP_1) | instskip(SKIP_1) | instid1(VALU_DEP_1)
	v_fma_f64 v[2:3], v[114:115], v[128:129], v[2:3]
	s_waitcnt vmcnt(2)
	v_fma_f64 v[112:113], v[124:125], v[130:131], v[2:3]
	ds_load_b128 v[108:111], v1 offset:768
	ds_load_b128 v[1:4], v1 offset:784
	s_waitcnt lgkmcnt(1)
	v_fma_f64 v[108:109], v[126:127], v[108:109], v[112:113]
	s_waitcnt vmcnt(1)
	s_delay_alu instid0(VALU_DEP_1) | instskip(SKIP_1) | instid1(VALU_DEP_1)
	v_fma_f64 v[108:109], v[116:117], v[110:111], v[108:109]
	s_waitcnt lgkmcnt(0)
	v_fma_f64 v[1:2], v[118:119], v[1:2], v[108:109]
	s_waitcnt vmcnt(0)
	s_delay_alu instid0(VALU_DEP_1) | instskip(NEXT) | instid1(VALU_DEP_1)
	v_fma_f64 v[1:2], v[132:133], v[3:4], v[1:2]
	v_add_f64 v[1:2], v[106:107], -v[1:2]
	scratch_store_b64 off, v[1:2], off offset:136
	v_cmpx_lt_u32_e32 16, v0
	s_cbranch_execz .LBB49_277
; %bb.276:
	scratch_load_b64 v[1:2], off, off offset:128
	v_mov_b32_e32 v3, 0
	s_delay_alu instid0(VALU_DEP_1)
	v_mov_b32_e32 v4, v3
	scratch_store_b64 off, v[3:4], off offset:128
	s_waitcnt vmcnt(0)
	ds_store_b64 v5, v[1:2]
.LBB49_277:
	s_or_b32 exec_lo, exec_lo, s0
	s_waitcnt lgkmcnt(0)
	s_waitcnt_vscnt null, 0x0
	s_barrier
	buffer_gl0_inv
	s_clause 0x4
	scratch_load_b128 v[106:109], off, off offset:128
	scratch_load_b128 v[110:113], off, off offset:144
	;; [unrolled: 1-line block ×5, first 2 shown]
	v_mov_b32_e32 v1, 0
	ds_load_2addr_b64 v[126:129], v1 offset0:67 offset1:68
	ds_load_2addr_b64 v[130:133], v1 offset0:69 offset1:70
	scratch_load_b128 v[134:137], off, off offset:208
	s_mov_b32 s0, exec_lo
	s_waitcnt vmcnt(5) lgkmcnt(1)
	v_fma_f64 v[2:3], v[108:109], v[126:127], 0
	s_waitcnt vmcnt(4)
	s_delay_alu instid0(VALU_DEP_1) | instskip(SKIP_4) | instid1(VALU_DEP_1)
	v_fma_f64 v[2:3], v[110:111], v[128:129], v[2:3]
	scratch_load_b128 v[108:111], off, off offset:224
	s_waitcnt lgkmcnt(0)
	v_fma_f64 v[2:3], v[112:113], v[130:131], v[2:3]
	s_waitcnt vmcnt(4)
	v_fma_f64 v[2:3], v[114:115], v[132:133], v[2:3]
	ds_load_2addr_b64 v[112:115], v1 offset0:71 offset1:72
	ds_load_2addr_b64 v[126:129], v1 offset0:73 offset1:74
	scratch_load_b128 v[130:133], off, off offset:240
	s_waitcnt lgkmcnt(1)
	v_fma_f64 v[2:3], v[116:117], v[112:113], v[2:3]
	s_waitcnt vmcnt(4)
	s_delay_alu instid0(VALU_DEP_1) | instskip(SKIP_4) | instid1(VALU_DEP_1)
	v_fma_f64 v[2:3], v[118:119], v[114:115], v[2:3]
	scratch_load_b128 v[112:115], off, off offset:256
	s_waitcnt lgkmcnt(0)
	v_fma_f64 v[2:3], v[120:121], v[126:127], v[2:3]
	s_waitcnt vmcnt(4)
	v_fma_f64 v[2:3], v[122:123], v[128:129], v[2:3]
	ds_load_2addr_b64 v[116:119], v1 offset0:75 offset1:76
	ds_load_2addr_b64 v[120:123], v1 offset0:77 offset1:78
	s_waitcnt lgkmcnt(1)
	v_fma_f64 v[2:3], v[124:125], v[116:117], v[2:3]
	scratch_load_b128 v[124:127], off, off offset:272
	s_waitcnt vmcnt(4)
	v_fma_f64 v[2:3], v[134:135], v[118:119], v[2:3]
	scratch_load_b128 v[116:119], off, off offset:288
	s_waitcnt lgkmcnt(0)
	v_fma_f64 v[2:3], v[136:137], v[120:121], v[2:3]
	s_waitcnt vmcnt(4)
	s_delay_alu instid0(VALU_DEP_1)
	v_fma_f64 v[2:3], v[108:109], v[122:123], v[2:3]
	ds_load_2addr_b64 v[120:123], v1 offset0:79 offset1:80
	ds_load_2addr_b64 v[134:137], v1 offset0:81 offset1:82
	s_waitcnt lgkmcnt(1)
	v_fma_f64 v[2:3], v[110:111], v[120:121], v[2:3]
	scratch_load_b128 v[108:111], off, off offset:304
	s_waitcnt vmcnt(4)
	v_fma_f64 v[2:3], v[130:131], v[122:123], v[2:3]
	scratch_load_b128 v[120:123], off, off offset:320
	s_waitcnt lgkmcnt(0)
	v_fma_f64 v[2:3], v[132:133], v[134:135], v[2:3]
	ds_load_2addr_b64 v[128:131], v1 offset0:83 offset1:84
	ds_load_2addr_b64 v[132:135], v1 offset0:85 offset1:86
	s_waitcnt vmcnt(4)
	v_fma_f64 v[2:3], v[112:113], v[136:137], v[2:3]
	s_waitcnt lgkmcnt(1)
	s_delay_alu instid0(VALU_DEP_1) | instskip(SKIP_4) | instid1(VALU_DEP_1)
	v_fma_f64 v[2:3], v[114:115], v[128:129], v[2:3]
	scratch_load_b128 v[112:115], off, off offset:336
	s_waitcnt vmcnt(4)
	v_fma_f64 v[2:3], v[124:125], v[130:131], v[2:3]
	s_waitcnt lgkmcnt(0)
	v_fma_f64 v[2:3], v[126:127], v[132:133], v[2:3]
	scratch_load_b128 v[124:127], off, off offset:352
	s_waitcnt vmcnt(4)
	v_fma_f64 v[2:3], v[116:117], v[134:135], v[2:3]
	ds_load_2addr_b64 v[128:131], v1 offset0:87 offset1:88
	ds_load_2addr_b64 v[132:135], v1 offset0:89 offset1:90
	s_waitcnt lgkmcnt(1)
	v_fma_f64 v[2:3], v[118:119], v[128:129], v[2:3]
	scratch_load_b128 v[116:119], off, off offset:368
	s_waitcnt vmcnt(4)
	v_fma_f64 v[2:3], v[108:109], v[130:131], v[2:3]
	s_waitcnt lgkmcnt(0)
	s_delay_alu instid0(VALU_DEP_1)
	v_fma_f64 v[2:3], v[110:111], v[132:133], v[2:3]
	scratch_load_b128 v[108:111], off, off offset:384
	s_waitcnt vmcnt(4)
	v_fma_f64 v[2:3], v[120:121], v[134:135], v[2:3]
	ds_load_2addr_b64 v[128:131], v1 offset0:91 offset1:92
	ds_load_2addr_b64 v[132:135], v1 offset0:93 offset1:94
	s_waitcnt lgkmcnt(1)
	v_fma_f64 v[2:3], v[122:123], v[128:129], v[2:3]
	s_waitcnt vmcnt(3)
	s_delay_alu instid0(VALU_DEP_1) | instskip(SKIP_1) | instid1(VALU_DEP_1)
	v_fma_f64 v[2:3], v[112:113], v[130:131], v[2:3]
	s_waitcnt lgkmcnt(0)
	v_fma_f64 v[2:3], v[114:115], v[132:133], v[2:3]
	ds_load_2addr_b64 v[112:115], v1 offset0:95 offset1:96
	ds_load_2addr_b64 v[120:123], v1 offset0:97 offset1:98
	s_waitcnt vmcnt(2)
	v_fma_f64 v[2:3], v[124:125], v[134:135], v[2:3]
	s_waitcnt lgkmcnt(1)
	s_delay_alu instid0(VALU_DEP_1) | instskip(SKIP_1) | instid1(VALU_DEP_1)
	v_fma_f64 v[2:3], v[126:127], v[112:113], v[2:3]
	s_waitcnt vmcnt(1)
	v_fma_f64 v[2:3], v[116:117], v[114:115], v[2:3]
	s_waitcnt lgkmcnt(0)
	s_delay_alu instid0(VALU_DEP_1) | instskip(SKIP_1) | instid1(VALU_DEP_1)
	v_fma_f64 v[2:3], v[118:119], v[120:121], v[2:3]
	s_waitcnt vmcnt(0)
	v_fma_f64 v[2:3], v[108:109], v[122:123], v[2:3]
	ds_load_b64 v[108:109], v1 offset:792
	s_waitcnt lgkmcnt(0)
	v_fma_f64 v[2:3], v[110:111], v[108:109], v[2:3]
	s_delay_alu instid0(VALU_DEP_1)
	v_add_f64 v[2:3], v[106:107], -v[2:3]
	scratch_store_b64 off, v[2:3], off offset:128
	v_cmpx_lt_u32_e32 15, v0
	s_cbranch_execz .LBB49_279
; %bb.278:
	scratch_load_b64 v[3:4], off, off offset:120
	v_mov_b32_e32 v2, v1
	scratch_store_b64 off, v[1:2], off offset:120
	s_waitcnt vmcnt(0)
	ds_store_b64 v5, v[3:4]
.LBB49_279:
	s_or_b32 exec_lo, exec_lo, s0
	s_waitcnt lgkmcnt(0)
	s_waitcnt_vscnt null, 0x0
	s_barrier
	buffer_gl0_inv
	s_clause 0x4
	scratch_load_b128 v[106:109], off, off offset:120
	scratch_load_b128 v[110:113], off, off offset:136
	;; [unrolled: 1-line block ×5, first 2 shown]
	ds_load_b128 v[126:129], v1 offset:528
	ds_load_b128 v[130:133], v1 offset:544
	scratch_load_b128 v[134:137], off, off offset:200
	s_mov_b32 s0, exec_lo
	s_waitcnt vmcnt(5) lgkmcnt(1)
	v_fma_f64 v[2:3], v[108:109], v[126:127], 0
	s_waitcnt vmcnt(4)
	s_delay_alu instid0(VALU_DEP_1) | instskip(SKIP_4) | instid1(VALU_DEP_1)
	v_fma_f64 v[2:3], v[110:111], v[128:129], v[2:3]
	scratch_load_b128 v[108:111], off, off offset:216
	s_waitcnt lgkmcnt(0)
	v_fma_f64 v[2:3], v[112:113], v[130:131], v[2:3]
	s_waitcnt vmcnt(4)
	v_fma_f64 v[2:3], v[114:115], v[132:133], v[2:3]
	ds_load_b128 v[112:115], v1 offset:560
	ds_load_b128 v[126:129], v1 offset:576
	scratch_load_b128 v[130:133], off, off offset:232
	s_waitcnt lgkmcnt(1)
	v_fma_f64 v[2:3], v[116:117], v[112:113], v[2:3]
	s_waitcnt vmcnt(4)
	s_delay_alu instid0(VALU_DEP_1) | instskip(SKIP_4) | instid1(VALU_DEP_1)
	v_fma_f64 v[2:3], v[118:119], v[114:115], v[2:3]
	scratch_load_b128 v[112:115], off, off offset:248
	s_waitcnt lgkmcnt(0)
	v_fma_f64 v[2:3], v[120:121], v[126:127], v[2:3]
	s_waitcnt vmcnt(4)
	v_fma_f64 v[2:3], v[122:123], v[128:129], v[2:3]
	ds_load_b128 v[116:119], v1 offset:592
	ds_load_b128 v[120:123], v1 offset:608
	s_waitcnt lgkmcnt(1)
	v_fma_f64 v[2:3], v[124:125], v[116:117], v[2:3]
	scratch_load_b128 v[124:127], off, off offset:264
	s_waitcnt vmcnt(4)
	v_fma_f64 v[2:3], v[134:135], v[118:119], v[2:3]
	scratch_load_b128 v[116:119], off, off offset:280
	s_waitcnt lgkmcnt(0)
	v_fma_f64 v[2:3], v[136:137], v[120:121], v[2:3]
	s_waitcnt vmcnt(4)
	s_delay_alu instid0(VALU_DEP_1)
	v_fma_f64 v[2:3], v[108:109], v[122:123], v[2:3]
	ds_load_b128 v[120:123], v1 offset:624
	ds_load_b128 v[134:137], v1 offset:640
	s_waitcnt lgkmcnt(1)
	v_fma_f64 v[2:3], v[110:111], v[120:121], v[2:3]
	scratch_load_b128 v[108:111], off, off offset:296
	s_waitcnt vmcnt(4)
	v_fma_f64 v[2:3], v[130:131], v[122:123], v[2:3]
	scratch_load_b128 v[120:123], off, off offset:312
	s_waitcnt lgkmcnt(0)
	v_fma_f64 v[2:3], v[132:133], v[134:135], v[2:3]
	ds_load_b128 v[128:131], v1 offset:656
	ds_load_b128 v[132:135], v1 offset:672
	s_waitcnt vmcnt(4)
	v_fma_f64 v[2:3], v[112:113], v[136:137], v[2:3]
	s_waitcnt lgkmcnt(1)
	s_delay_alu instid0(VALU_DEP_1) | instskip(SKIP_4) | instid1(VALU_DEP_1)
	v_fma_f64 v[2:3], v[114:115], v[128:129], v[2:3]
	scratch_load_b128 v[112:115], off, off offset:328
	s_waitcnt vmcnt(4)
	v_fma_f64 v[2:3], v[124:125], v[130:131], v[2:3]
	s_waitcnt lgkmcnt(0)
	v_fma_f64 v[2:3], v[126:127], v[132:133], v[2:3]
	scratch_load_b128 v[124:127], off, off offset:344
	s_waitcnt vmcnt(4)
	v_fma_f64 v[2:3], v[116:117], v[134:135], v[2:3]
	ds_load_b128 v[128:131], v1 offset:688
	ds_load_b128 v[132:135], v1 offset:704
	s_waitcnt lgkmcnt(1)
	v_fma_f64 v[2:3], v[118:119], v[128:129], v[2:3]
	scratch_load_b128 v[116:119], off, off offset:360
	s_waitcnt vmcnt(4)
	v_fma_f64 v[2:3], v[108:109], v[130:131], v[2:3]
	s_waitcnt lgkmcnt(0)
	s_delay_alu instid0(VALU_DEP_1)
	v_fma_f64 v[2:3], v[110:111], v[132:133], v[2:3]
	scratch_load_b128 v[108:111], off, off offset:376
	s_waitcnt vmcnt(4)
	v_fma_f64 v[2:3], v[120:121], v[134:135], v[2:3]
	ds_load_b128 v[128:131], v1 offset:720
	ds_load_b128 v[132:135], v1 offset:736
	s_waitcnt lgkmcnt(1)
	v_fma_f64 v[2:3], v[122:123], v[128:129], v[2:3]
	scratch_load_b64 v[128:129], off, off offset:392
	s_waitcnt vmcnt(4)
	v_fma_f64 v[2:3], v[112:113], v[130:131], v[2:3]
	s_waitcnt lgkmcnt(0)
	s_delay_alu instid0(VALU_DEP_1)
	v_fma_f64 v[2:3], v[114:115], v[132:133], v[2:3]
	ds_load_b128 v[112:115], v1 offset:752
	ds_load_b128 v[120:123], v1 offset:768
	s_waitcnt vmcnt(3)
	v_fma_f64 v[2:3], v[124:125], v[134:135], v[2:3]
	s_waitcnt lgkmcnt(1)
	s_delay_alu instid0(VALU_DEP_1) | instskip(SKIP_1) | instid1(VALU_DEP_1)
	v_fma_f64 v[2:3], v[126:127], v[112:113], v[2:3]
	s_waitcnt vmcnt(2)
	v_fma_f64 v[2:3], v[116:117], v[114:115], v[2:3]
	s_waitcnt lgkmcnt(0)
	s_delay_alu instid0(VALU_DEP_1) | instskip(SKIP_1) | instid1(VALU_DEP_1)
	v_fma_f64 v[2:3], v[118:119], v[120:121], v[2:3]
	s_waitcnt vmcnt(1)
	v_fma_f64 v[108:109], v[108:109], v[122:123], v[2:3]
	ds_load_b128 v[1:4], v1 offset:784
	s_waitcnt lgkmcnt(0)
	v_fma_f64 v[1:2], v[110:111], v[1:2], v[108:109]
	s_waitcnt vmcnt(0)
	s_delay_alu instid0(VALU_DEP_1) | instskip(NEXT) | instid1(VALU_DEP_1)
	v_fma_f64 v[1:2], v[128:129], v[3:4], v[1:2]
	v_add_f64 v[1:2], v[106:107], -v[1:2]
	scratch_store_b64 off, v[1:2], off offset:120
	v_cmpx_lt_u32_e32 14, v0
	s_cbranch_execz .LBB49_281
; %bb.280:
	scratch_load_b64 v[1:2], off, off offset:112
	v_mov_b32_e32 v3, 0
	s_delay_alu instid0(VALU_DEP_1)
	v_mov_b32_e32 v4, v3
	scratch_store_b64 off, v[3:4], off offset:112
	s_waitcnt vmcnt(0)
	ds_store_b64 v5, v[1:2]
.LBB49_281:
	s_or_b32 exec_lo, exec_lo, s0
	s_waitcnt lgkmcnt(0)
	s_waitcnt_vscnt null, 0x0
	s_barrier
	buffer_gl0_inv
	s_clause 0x4
	scratch_load_b128 v[106:109], off, off offset:112
	scratch_load_b128 v[110:113], off, off offset:128
	;; [unrolled: 1-line block ×5, first 2 shown]
	v_mov_b32_e32 v1, 0
	ds_load_2addr_b64 v[126:129], v1 offset0:65 offset1:66
	ds_load_2addr_b64 v[130:133], v1 offset0:67 offset1:68
	scratch_load_b128 v[134:137], off, off offset:192
	s_mov_b32 s0, exec_lo
	s_waitcnt vmcnt(5) lgkmcnt(1)
	v_fma_f64 v[2:3], v[108:109], v[126:127], 0
	s_waitcnt vmcnt(4)
	s_delay_alu instid0(VALU_DEP_1) | instskip(SKIP_4) | instid1(VALU_DEP_1)
	v_fma_f64 v[2:3], v[110:111], v[128:129], v[2:3]
	scratch_load_b128 v[108:111], off, off offset:208
	s_waitcnt lgkmcnt(0)
	v_fma_f64 v[2:3], v[112:113], v[130:131], v[2:3]
	s_waitcnt vmcnt(4)
	v_fma_f64 v[2:3], v[114:115], v[132:133], v[2:3]
	ds_load_2addr_b64 v[112:115], v1 offset0:69 offset1:70
	ds_load_2addr_b64 v[126:129], v1 offset0:71 offset1:72
	scratch_load_b128 v[130:133], off, off offset:224
	s_waitcnt lgkmcnt(1)
	v_fma_f64 v[2:3], v[116:117], v[112:113], v[2:3]
	s_waitcnt vmcnt(4)
	s_delay_alu instid0(VALU_DEP_1) | instskip(SKIP_4) | instid1(VALU_DEP_1)
	v_fma_f64 v[2:3], v[118:119], v[114:115], v[2:3]
	scratch_load_b128 v[112:115], off, off offset:240
	s_waitcnt lgkmcnt(0)
	v_fma_f64 v[2:3], v[120:121], v[126:127], v[2:3]
	s_waitcnt vmcnt(4)
	v_fma_f64 v[2:3], v[122:123], v[128:129], v[2:3]
	ds_load_2addr_b64 v[116:119], v1 offset0:73 offset1:74
	ds_load_2addr_b64 v[120:123], v1 offset0:75 offset1:76
	s_waitcnt lgkmcnt(1)
	v_fma_f64 v[2:3], v[124:125], v[116:117], v[2:3]
	scratch_load_b128 v[124:127], off, off offset:256
	s_waitcnt vmcnt(4)
	v_fma_f64 v[2:3], v[134:135], v[118:119], v[2:3]
	scratch_load_b128 v[116:119], off, off offset:272
	s_waitcnt lgkmcnt(0)
	v_fma_f64 v[2:3], v[136:137], v[120:121], v[2:3]
	s_waitcnt vmcnt(4)
	s_delay_alu instid0(VALU_DEP_1)
	v_fma_f64 v[2:3], v[108:109], v[122:123], v[2:3]
	ds_load_2addr_b64 v[120:123], v1 offset0:77 offset1:78
	ds_load_2addr_b64 v[134:137], v1 offset0:79 offset1:80
	s_waitcnt lgkmcnt(1)
	v_fma_f64 v[2:3], v[110:111], v[120:121], v[2:3]
	scratch_load_b128 v[108:111], off, off offset:288
	s_waitcnt vmcnt(4)
	v_fma_f64 v[2:3], v[130:131], v[122:123], v[2:3]
	scratch_load_b128 v[120:123], off, off offset:304
	s_waitcnt lgkmcnt(0)
	v_fma_f64 v[2:3], v[132:133], v[134:135], v[2:3]
	ds_load_2addr_b64 v[128:131], v1 offset0:81 offset1:82
	ds_load_2addr_b64 v[132:135], v1 offset0:83 offset1:84
	s_waitcnt vmcnt(4)
	v_fma_f64 v[2:3], v[112:113], v[136:137], v[2:3]
	s_waitcnt lgkmcnt(1)
	s_delay_alu instid0(VALU_DEP_1) | instskip(SKIP_4) | instid1(VALU_DEP_1)
	v_fma_f64 v[2:3], v[114:115], v[128:129], v[2:3]
	scratch_load_b128 v[112:115], off, off offset:320
	s_waitcnt vmcnt(4)
	v_fma_f64 v[2:3], v[124:125], v[130:131], v[2:3]
	s_waitcnt lgkmcnt(0)
	v_fma_f64 v[2:3], v[126:127], v[132:133], v[2:3]
	scratch_load_b128 v[124:127], off, off offset:336
	s_waitcnt vmcnt(4)
	v_fma_f64 v[2:3], v[116:117], v[134:135], v[2:3]
	ds_load_2addr_b64 v[128:131], v1 offset0:85 offset1:86
	ds_load_2addr_b64 v[132:135], v1 offset0:87 offset1:88
	s_waitcnt lgkmcnt(1)
	v_fma_f64 v[2:3], v[118:119], v[128:129], v[2:3]
	scratch_load_b128 v[116:119], off, off offset:352
	s_waitcnt vmcnt(4)
	v_fma_f64 v[2:3], v[108:109], v[130:131], v[2:3]
	s_waitcnt lgkmcnt(0)
	s_delay_alu instid0(VALU_DEP_1)
	v_fma_f64 v[2:3], v[110:111], v[132:133], v[2:3]
	scratch_load_b128 v[108:111], off, off offset:368
	s_waitcnt vmcnt(4)
	v_fma_f64 v[2:3], v[120:121], v[134:135], v[2:3]
	ds_load_2addr_b64 v[128:131], v1 offset0:89 offset1:90
	ds_load_2addr_b64 v[132:135], v1 offset0:91 offset1:92
	s_waitcnt lgkmcnt(1)
	v_fma_f64 v[2:3], v[122:123], v[128:129], v[2:3]
	scratch_load_b128 v[120:123], off, off offset:384
	s_waitcnt vmcnt(4)
	v_fma_f64 v[2:3], v[112:113], v[130:131], v[2:3]
	s_waitcnt lgkmcnt(0)
	s_delay_alu instid0(VALU_DEP_1)
	v_fma_f64 v[2:3], v[114:115], v[132:133], v[2:3]
	ds_load_2addr_b64 v[112:115], v1 offset0:93 offset1:94
	ds_load_2addr_b64 v[128:131], v1 offset0:95 offset1:96
	s_waitcnt vmcnt(3)
	v_fma_f64 v[2:3], v[124:125], v[134:135], v[2:3]
	s_waitcnt lgkmcnt(1)
	s_delay_alu instid0(VALU_DEP_1) | instskip(SKIP_1) | instid1(VALU_DEP_1)
	v_fma_f64 v[2:3], v[126:127], v[112:113], v[2:3]
	s_waitcnt vmcnt(2)
	v_fma_f64 v[2:3], v[116:117], v[114:115], v[2:3]
	s_waitcnt lgkmcnt(0)
	s_delay_alu instid0(VALU_DEP_1) | instskip(SKIP_1) | instid1(VALU_DEP_1)
	v_fma_f64 v[2:3], v[118:119], v[128:129], v[2:3]
	s_waitcnt vmcnt(1)
	v_fma_f64 v[2:3], v[108:109], v[130:131], v[2:3]
	ds_load_2addr_b64 v[112:115], v1 offset0:97 offset1:98
	ds_load_b64 v[108:109], v1 offset:792
	s_waitcnt lgkmcnt(1)
	v_fma_f64 v[2:3], v[110:111], v[112:113], v[2:3]
	s_waitcnt vmcnt(0)
	s_delay_alu instid0(VALU_DEP_1) | instskip(SKIP_1) | instid1(VALU_DEP_1)
	v_fma_f64 v[2:3], v[120:121], v[114:115], v[2:3]
	s_waitcnt lgkmcnt(0)
	v_fma_f64 v[2:3], v[122:123], v[108:109], v[2:3]
	s_delay_alu instid0(VALU_DEP_1)
	v_add_f64 v[2:3], v[106:107], -v[2:3]
	scratch_store_b64 off, v[2:3], off offset:112
	v_cmpx_lt_u32_e32 13, v0
	s_cbranch_execz .LBB49_283
; %bb.282:
	scratch_load_b64 v[3:4], off, off offset:104
	v_mov_b32_e32 v2, v1
	scratch_store_b64 off, v[1:2], off offset:104
	s_waitcnt vmcnt(0)
	ds_store_b64 v5, v[3:4]
.LBB49_283:
	s_or_b32 exec_lo, exec_lo, s0
	s_waitcnt lgkmcnt(0)
	s_waitcnt_vscnt null, 0x0
	s_barrier
	buffer_gl0_inv
	s_clause 0x4
	scratch_load_b128 v[106:109], off, off offset:104
	scratch_load_b128 v[110:113], off, off offset:120
	;; [unrolled: 1-line block ×5, first 2 shown]
	ds_load_b128 v[126:129], v1 offset:512
	ds_load_b128 v[130:133], v1 offset:528
	scratch_load_b128 v[134:137], off, off offset:184
	s_mov_b32 s0, exec_lo
	s_waitcnt vmcnt(5) lgkmcnt(1)
	v_fma_f64 v[2:3], v[108:109], v[126:127], 0
	s_waitcnt vmcnt(4)
	s_delay_alu instid0(VALU_DEP_1) | instskip(SKIP_4) | instid1(VALU_DEP_1)
	v_fma_f64 v[2:3], v[110:111], v[128:129], v[2:3]
	scratch_load_b128 v[108:111], off, off offset:200
	s_waitcnt lgkmcnt(0)
	v_fma_f64 v[2:3], v[112:113], v[130:131], v[2:3]
	s_waitcnt vmcnt(4)
	v_fma_f64 v[2:3], v[114:115], v[132:133], v[2:3]
	ds_load_b128 v[112:115], v1 offset:544
	ds_load_b128 v[126:129], v1 offset:560
	scratch_load_b128 v[130:133], off, off offset:216
	s_waitcnt lgkmcnt(1)
	v_fma_f64 v[2:3], v[116:117], v[112:113], v[2:3]
	s_waitcnt vmcnt(4)
	s_delay_alu instid0(VALU_DEP_1) | instskip(SKIP_4) | instid1(VALU_DEP_1)
	v_fma_f64 v[2:3], v[118:119], v[114:115], v[2:3]
	scratch_load_b128 v[112:115], off, off offset:232
	s_waitcnt lgkmcnt(0)
	v_fma_f64 v[2:3], v[120:121], v[126:127], v[2:3]
	s_waitcnt vmcnt(4)
	v_fma_f64 v[2:3], v[122:123], v[128:129], v[2:3]
	ds_load_b128 v[116:119], v1 offset:576
	ds_load_b128 v[120:123], v1 offset:592
	s_waitcnt lgkmcnt(1)
	v_fma_f64 v[2:3], v[124:125], v[116:117], v[2:3]
	scratch_load_b128 v[124:127], off, off offset:248
	s_waitcnt vmcnt(4)
	v_fma_f64 v[2:3], v[134:135], v[118:119], v[2:3]
	scratch_load_b128 v[116:119], off, off offset:264
	s_waitcnt lgkmcnt(0)
	v_fma_f64 v[2:3], v[136:137], v[120:121], v[2:3]
	s_waitcnt vmcnt(4)
	s_delay_alu instid0(VALU_DEP_1)
	v_fma_f64 v[2:3], v[108:109], v[122:123], v[2:3]
	ds_load_b128 v[120:123], v1 offset:608
	ds_load_b128 v[134:137], v1 offset:624
	s_waitcnt lgkmcnt(1)
	v_fma_f64 v[2:3], v[110:111], v[120:121], v[2:3]
	scratch_load_b128 v[108:111], off, off offset:280
	s_waitcnt vmcnt(4)
	v_fma_f64 v[2:3], v[130:131], v[122:123], v[2:3]
	scratch_load_b128 v[120:123], off, off offset:296
	s_waitcnt lgkmcnt(0)
	v_fma_f64 v[2:3], v[132:133], v[134:135], v[2:3]
	ds_load_b128 v[128:131], v1 offset:640
	ds_load_b128 v[132:135], v1 offset:656
	s_waitcnt vmcnt(4)
	v_fma_f64 v[2:3], v[112:113], v[136:137], v[2:3]
	s_waitcnt lgkmcnt(1)
	s_delay_alu instid0(VALU_DEP_1) | instskip(SKIP_4) | instid1(VALU_DEP_1)
	v_fma_f64 v[2:3], v[114:115], v[128:129], v[2:3]
	scratch_load_b128 v[112:115], off, off offset:312
	s_waitcnt vmcnt(4)
	v_fma_f64 v[2:3], v[124:125], v[130:131], v[2:3]
	s_waitcnt lgkmcnt(0)
	v_fma_f64 v[2:3], v[126:127], v[132:133], v[2:3]
	scratch_load_b128 v[124:127], off, off offset:328
	s_waitcnt vmcnt(4)
	v_fma_f64 v[2:3], v[116:117], v[134:135], v[2:3]
	ds_load_b128 v[128:131], v1 offset:672
	ds_load_b128 v[132:135], v1 offset:688
	s_waitcnt lgkmcnt(1)
	v_fma_f64 v[2:3], v[118:119], v[128:129], v[2:3]
	scratch_load_b128 v[116:119], off, off offset:344
	s_waitcnt vmcnt(4)
	v_fma_f64 v[2:3], v[108:109], v[130:131], v[2:3]
	s_waitcnt lgkmcnt(0)
	s_delay_alu instid0(VALU_DEP_1)
	v_fma_f64 v[2:3], v[110:111], v[132:133], v[2:3]
	scratch_load_b128 v[108:111], off, off offset:360
	s_waitcnt vmcnt(4)
	v_fma_f64 v[2:3], v[120:121], v[134:135], v[2:3]
	ds_load_b128 v[128:131], v1 offset:704
	ds_load_b128 v[132:135], v1 offset:720
	s_waitcnt lgkmcnt(1)
	v_fma_f64 v[2:3], v[122:123], v[128:129], v[2:3]
	scratch_load_b128 v[120:123], off, off offset:376
	s_waitcnt vmcnt(4)
	v_fma_f64 v[2:3], v[112:113], v[130:131], v[2:3]
	s_waitcnt lgkmcnt(0)
	s_delay_alu instid0(VALU_DEP_1)
	v_fma_f64 v[2:3], v[114:115], v[132:133], v[2:3]
	scratch_load_b64 v[132:133], off, off offset:392
	ds_load_b128 v[112:115], v1 offset:736
	ds_load_b128 v[128:131], v1 offset:752
	s_waitcnt vmcnt(4)
	v_fma_f64 v[2:3], v[124:125], v[134:135], v[2:3]
	s_waitcnt lgkmcnt(1)
	s_delay_alu instid0(VALU_DEP_1) | instskip(SKIP_1) | instid1(VALU_DEP_1)
	v_fma_f64 v[2:3], v[126:127], v[112:113], v[2:3]
	s_waitcnt vmcnt(3)
	v_fma_f64 v[2:3], v[116:117], v[114:115], v[2:3]
	s_waitcnt lgkmcnt(0)
	s_delay_alu instid0(VALU_DEP_1) | instskip(SKIP_1) | instid1(VALU_DEP_1)
	v_fma_f64 v[2:3], v[118:119], v[128:129], v[2:3]
	s_waitcnt vmcnt(2)
	v_fma_f64 v[108:109], v[108:109], v[130:131], v[2:3]
	ds_load_b128 v[112:115], v1 offset:768
	ds_load_b128 v[1:4], v1 offset:784
	s_waitcnt lgkmcnt(1)
	v_fma_f64 v[108:109], v[110:111], v[112:113], v[108:109]
	s_waitcnt vmcnt(1)
	s_delay_alu instid0(VALU_DEP_1) | instskip(SKIP_1) | instid1(VALU_DEP_1)
	v_fma_f64 v[108:109], v[120:121], v[114:115], v[108:109]
	s_waitcnt lgkmcnt(0)
	v_fma_f64 v[1:2], v[122:123], v[1:2], v[108:109]
	s_waitcnt vmcnt(0)
	s_delay_alu instid0(VALU_DEP_1) | instskip(NEXT) | instid1(VALU_DEP_1)
	v_fma_f64 v[1:2], v[132:133], v[3:4], v[1:2]
	v_add_f64 v[1:2], v[106:107], -v[1:2]
	scratch_store_b64 off, v[1:2], off offset:104
	v_cmpx_lt_u32_e32 12, v0
	s_cbranch_execz .LBB49_285
; %bb.284:
	scratch_load_b64 v[1:2], off, off offset:96
	v_mov_b32_e32 v3, 0
	s_delay_alu instid0(VALU_DEP_1)
	v_mov_b32_e32 v4, v3
	scratch_store_b64 off, v[3:4], off offset:96
	s_waitcnt vmcnt(0)
	ds_store_b64 v5, v[1:2]
.LBB49_285:
	s_or_b32 exec_lo, exec_lo, s0
	s_waitcnt lgkmcnt(0)
	s_waitcnt_vscnt null, 0x0
	s_barrier
	buffer_gl0_inv
	s_clause 0x4
	scratch_load_b128 v[106:109], off, off offset:96
	scratch_load_b128 v[110:113], off, off offset:112
	;; [unrolled: 1-line block ×5, first 2 shown]
	v_mov_b32_e32 v1, 0
	ds_load_2addr_b64 v[126:129], v1 offset0:63 offset1:64
	ds_load_2addr_b64 v[130:133], v1 offset0:65 offset1:66
	scratch_load_b128 v[134:137], off, off offset:176
	s_mov_b32 s0, exec_lo
	s_waitcnt vmcnt(5) lgkmcnt(1)
	v_fma_f64 v[2:3], v[108:109], v[126:127], 0
	s_waitcnt vmcnt(4)
	s_delay_alu instid0(VALU_DEP_1) | instskip(SKIP_4) | instid1(VALU_DEP_1)
	v_fma_f64 v[2:3], v[110:111], v[128:129], v[2:3]
	scratch_load_b128 v[108:111], off, off offset:192
	s_waitcnt lgkmcnt(0)
	v_fma_f64 v[2:3], v[112:113], v[130:131], v[2:3]
	s_waitcnt vmcnt(4)
	v_fma_f64 v[2:3], v[114:115], v[132:133], v[2:3]
	ds_load_2addr_b64 v[112:115], v1 offset0:67 offset1:68
	ds_load_2addr_b64 v[126:129], v1 offset0:69 offset1:70
	scratch_load_b128 v[130:133], off, off offset:208
	s_waitcnt lgkmcnt(1)
	v_fma_f64 v[2:3], v[116:117], v[112:113], v[2:3]
	s_waitcnt vmcnt(4)
	s_delay_alu instid0(VALU_DEP_1) | instskip(SKIP_4) | instid1(VALU_DEP_1)
	v_fma_f64 v[2:3], v[118:119], v[114:115], v[2:3]
	scratch_load_b128 v[112:115], off, off offset:224
	s_waitcnt lgkmcnt(0)
	v_fma_f64 v[2:3], v[120:121], v[126:127], v[2:3]
	s_waitcnt vmcnt(4)
	v_fma_f64 v[2:3], v[122:123], v[128:129], v[2:3]
	ds_load_2addr_b64 v[116:119], v1 offset0:71 offset1:72
	ds_load_2addr_b64 v[120:123], v1 offset0:73 offset1:74
	s_waitcnt lgkmcnt(1)
	v_fma_f64 v[2:3], v[124:125], v[116:117], v[2:3]
	scratch_load_b128 v[124:127], off, off offset:240
	s_waitcnt vmcnt(4)
	v_fma_f64 v[2:3], v[134:135], v[118:119], v[2:3]
	scratch_load_b128 v[116:119], off, off offset:256
	s_waitcnt lgkmcnt(0)
	v_fma_f64 v[2:3], v[136:137], v[120:121], v[2:3]
	s_waitcnt vmcnt(4)
	s_delay_alu instid0(VALU_DEP_1)
	v_fma_f64 v[2:3], v[108:109], v[122:123], v[2:3]
	ds_load_2addr_b64 v[120:123], v1 offset0:75 offset1:76
	ds_load_2addr_b64 v[134:137], v1 offset0:77 offset1:78
	s_waitcnt lgkmcnt(1)
	v_fma_f64 v[2:3], v[110:111], v[120:121], v[2:3]
	scratch_load_b128 v[108:111], off, off offset:272
	s_waitcnt vmcnt(4)
	v_fma_f64 v[2:3], v[130:131], v[122:123], v[2:3]
	scratch_load_b128 v[120:123], off, off offset:288
	s_waitcnt lgkmcnt(0)
	v_fma_f64 v[2:3], v[132:133], v[134:135], v[2:3]
	ds_load_2addr_b64 v[128:131], v1 offset0:79 offset1:80
	ds_load_2addr_b64 v[132:135], v1 offset0:81 offset1:82
	s_waitcnt vmcnt(4)
	v_fma_f64 v[2:3], v[112:113], v[136:137], v[2:3]
	s_waitcnt lgkmcnt(1)
	s_delay_alu instid0(VALU_DEP_1) | instskip(SKIP_4) | instid1(VALU_DEP_1)
	v_fma_f64 v[2:3], v[114:115], v[128:129], v[2:3]
	scratch_load_b128 v[112:115], off, off offset:304
	s_waitcnt vmcnt(4)
	v_fma_f64 v[2:3], v[124:125], v[130:131], v[2:3]
	s_waitcnt lgkmcnt(0)
	v_fma_f64 v[2:3], v[126:127], v[132:133], v[2:3]
	scratch_load_b128 v[124:127], off, off offset:320
	s_waitcnt vmcnt(4)
	v_fma_f64 v[2:3], v[116:117], v[134:135], v[2:3]
	ds_load_2addr_b64 v[128:131], v1 offset0:83 offset1:84
	ds_load_2addr_b64 v[132:135], v1 offset0:85 offset1:86
	s_waitcnt lgkmcnt(1)
	v_fma_f64 v[2:3], v[118:119], v[128:129], v[2:3]
	scratch_load_b128 v[116:119], off, off offset:336
	s_waitcnt vmcnt(4)
	v_fma_f64 v[2:3], v[108:109], v[130:131], v[2:3]
	s_waitcnt lgkmcnt(0)
	s_delay_alu instid0(VALU_DEP_1)
	v_fma_f64 v[2:3], v[110:111], v[132:133], v[2:3]
	scratch_load_b128 v[108:111], off, off offset:352
	s_waitcnt vmcnt(4)
	v_fma_f64 v[2:3], v[120:121], v[134:135], v[2:3]
	ds_load_2addr_b64 v[128:131], v1 offset0:87 offset1:88
	ds_load_2addr_b64 v[132:135], v1 offset0:89 offset1:90
	s_waitcnt lgkmcnt(1)
	v_fma_f64 v[2:3], v[122:123], v[128:129], v[2:3]
	scratch_load_b128 v[120:123], off, off offset:368
	s_waitcnt vmcnt(4)
	v_fma_f64 v[2:3], v[112:113], v[130:131], v[2:3]
	s_waitcnt lgkmcnt(0)
	s_delay_alu instid0(VALU_DEP_1)
	v_fma_f64 v[2:3], v[114:115], v[132:133], v[2:3]
	scratch_load_b128 v[112:115], off, off offset:384
	s_waitcnt vmcnt(4)
	v_fma_f64 v[2:3], v[124:125], v[134:135], v[2:3]
	ds_load_2addr_b64 v[128:131], v1 offset0:91 offset1:92
	ds_load_2addr_b64 v[132:135], v1 offset0:93 offset1:94
	s_waitcnt lgkmcnt(1)
	v_fma_f64 v[2:3], v[126:127], v[128:129], v[2:3]
	s_waitcnt vmcnt(3)
	s_delay_alu instid0(VALU_DEP_1) | instskip(SKIP_1) | instid1(VALU_DEP_1)
	v_fma_f64 v[2:3], v[116:117], v[130:131], v[2:3]
	s_waitcnt lgkmcnt(0)
	v_fma_f64 v[2:3], v[118:119], v[132:133], v[2:3]
	ds_load_2addr_b64 v[116:119], v1 offset0:95 offset1:96
	ds_load_2addr_b64 v[124:127], v1 offset0:97 offset1:98
	s_waitcnt vmcnt(2)
	v_fma_f64 v[2:3], v[108:109], v[134:135], v[2:3]
	ds_load_b64 v[108:109], v1 offset:792
	s_waitcnt lgkmcnt(2)
	v_fma_f64 v[2:3], v[110:111], v[116:117], v[2:3]
	s_waitcnt vmcnt(1)
	s_delay_alu instid0(VALU_DEP_1) | instskip(SKIP_1) | instid1(VALU_DEP_1)
	v_fma_f64 v[2:3], v[120:121], v[118:119], v[2:3]
	s_waitcnt lgkmcnt(1)
	v_fma_f64 v[2:3], v[122:123], v[124:125], v[2:3]
	s_waitcnt vmcnt(0)
	s_delay_alu instid0(VALU_DEP_1) | instskip(SKIP_1) | instid1(VALU_DEP_1)
	v_fma_f64 v[2:3], v[112:113], v[126:127], v[2:3]
	s_waitcnt lgkmcnt(0)
	v_fma_f64 v[2:3], v[114:115], v[108:109], v[2:3]
	s_delay_alu instid0(VALU_DEP_1)
	v_add_f64 v[2:3], v[106:107], -v[2:3]
	scratch_store_b64 off, v[2:3], off offset:96
	v_cmpx_lt_u32_e32 11, v0
	s_cbranch_execz .LBB49_287
; %bb.286:
	scratch_load_b64 v[3:4], off, off offset:88
	v_mov_b32_e32 v2, v1
	scratch_store_b64 off, v[1:2], off offset:88
	s_waitcnt vmcnt(0)
	ds_store_b64 v5, v[3:4]
.LBB49_287:
	s_or_b32 exec_lo, exec_lo, s0
	s_waitcnt lgkmcnt(0)
	s_waitcnt_vscnt null, 0x0
	s_barrier
	buffer_gl0_inv
	s_clause 0x4
	scratch_load_b128 v[106:109], off, off offset:88
	scratch_load_b128 v[110:113], off, off offset:104
	;; [unrolled: 1-line block ×5, first 2 shown]
	ds_load_b128 v[126:129], v1 offset:496
	ds_load_b128 v[130:133], v1 offset:512
	scratch_load_b128 v[134:137], off, off offset:168
	s_mov_b32 s0, exec_lo
	s_waitcnt vmcnt(5) lgkmcnt(1)
	v_fma_f64 v[2:3], v[108:109], v[126:127], 0
	s_waitcnt vmcnt(4)
	s_delay_alu instid0(VALU_DEP_1) | instskip(SKIP_4) | instid1(VALU_DEP_1)
	v_fma_f64 v[2:3], v[110:111], v[128:129], v[2:3]
	scratch_load_b128 v[108:111], off, off offset:184
	s_waitcnt lgkmcnt(0)
	v_fma_f64 v[2:3], v[112:113], v[130:131], v[2:3]
	s_waitcnt vmcnt(4)
	v_fma_f64 v[2:3], v[114:115], v[132:133], v[2:3]
	ds_load_b128 v[112:115], v1 offset:528
	ds_load_b128 v[126:129], v1 offset:544
	scratch_load_b128 v[130:133], off, off offset:200
	s_waitcnt lgkmcnt(1)
	v_fma_f64 v[2:3], v[116:117], v[112:113], v[2:3]
	s_waitcnt vmcnt(4)
	s_delay_alu instid0(VALU_DEP_1) | instskip(SKIP_4) | instid1(VALU_DEP_1)
	v_fma_f64 v[2:3], v[118:119], v[114:115], v[2:3]
	scratch_load_b128 v[112:115], off, off offset:216
	s_waitcnt lgkmcnt(0)
	v_fma_f64 v[2:3], v[120:121], v[126:127], v[2:3]
	s_waitcnt vmcnt(4)
	v_fma_f64 v[2:3], v[122:123], v[128:129], v[2:3]
	ds_load_b128 v[116:119], v1 offset:560
	ds_load_b128 v[120:123], v1 offset:576
	s_waitcnt lgkmcnt(1)
	v_fma_f64 v[2:3], v[124:125], v[116:117], v[2:3]
	scratch_load_b128 v[124:127], off, off offset:232
	s_waitcnt vmcnt(4)
	v_fma_f64 v[2:3], v[134:135], v[118:119], v[2:3]
	scratch_load_b128 v[116:119], off, off offset:248
	s_waitcnt lgkmcnt(0)
	v_fma_f64 v[2:3], v[136:137], v[120:121], v[2:3]
	s_waitcnt vmcnt(4)
	s_delay_alu instid0(VALU_DEP_1)
	v_fma_f64 v[2:3], v[108:109], v[122:123], v[2:3]
	ds_load_b128 v[120:123], v1 offset:592
	ds_load_b128 v[134:137], v1 offset:608
	s_waitcnt lgkmcnt(1)
	v_fma_f64 v[2:3], v[110:111], v[120:121], v[2:3]
	scratch_load_b128 v[108:111], off, off offset:264
	s_waitcnt vmcnt(4)
	v_fma_f64 v[2:3], v[130:131], v[122:123], v[2:3]
	scratch_load_b128 v[120:123], off, off offset:280
	s_waitcnt lgkmcnt(0)
	v_fma_f64 v[2:3], v[132:133], v[134:135], v[2:3]
	ds_load_b128 v[128:131], v1 offset:624
	ds_load_b128 v[132:135], v1 offset:640
	s_waitcnt vmcnt(4)
	v_fma_f64 v[2:3], v[112:113], v[136:137], v[2:3]
	s_waitcnt lgkmcnt(1)
	s_delay_alu instid0(VALU_DEP_1) | instskip(SKIP_4) | instid1(VALU_DEP_1)
	v_fma_f64 v[2:3], v[114:115], v[128:129], v[2:3]
	scratch_load_b128 v[112:115], off, off offset:296
	s_waitcnt vmcnt(4)
	v_fma_f64 v[2:3], v[124:125], v[130:131], v[2:3]
	s_waitcnt lgkmcnt(0)
	v_fma_f64 v[2:3], v[126:127], v[132:133], v[2:3]
	scratch_load_b128 v[124:127], off, off offset:312
	s_waitcnt vmcnt(4)
	v_fma_f64 v[2:3], v[116:117], v[134:135], v[2:3]
	ds_load_b128 v[128:131], v1 offset:656
	ds_load_b128 v[132:135], v1 offset:672
	s_waitcnt lgkmcnt(1)
	v_fma_f64 v[2:3], v[118:119], v[128:129], v[2:3]
	scratch_load_b128 v[116:119], off, off offset:328
	s_waitcnt vmcnt(4)
	v_fma_f64 v[2:3], v[108:109], v[130:131], v[2:3]
	s_waitcnt lgkmcnt(0)
	s_delay_alu instid0(VALU_DEP_1)
	v_fma_f64 v[2:3], v[110:111], v[132:133], v[2:3]
	scratch_load_b128 v[108:111], off, off offset:344
	s_waitcnt vmcnt(4)
	v_fma_f64 v[2:3], v[120:121], v[134:135], v[2:3]
	ds_load_b128 v[128:131], v1 offset:688
	ds_load_b128 v[132:135], v1 offset:704
	s_waitcnt lgkmcnt(1)
	v_fma_f64 v[2:3], v[122:123], v[128:129], v[2:3]
	scratch_load_b128 v[120:123], off, off offset:360
	s_waitcnt vmcnt(4)
	v_fma_f64 v[2:3], v[112:113], v[130:131], v[2:3]
	s_waitcnt lgkmcnt(0)
	s_delay_alu instid0(VALU_DEP_1)
	v_fma_f64 v[2:3], v[114:115], v[132:133], v[2:3]
	scratch_load_b128 v[112:115], off, off offset:376
	s_waitcnt vmcnt(4)
	v_fma_f64 v[2:3], v[124:125], v[134:135], v[2:3]
	ds_load_b128 v[128:131], v1 offset:720
	ds_load_b128 v[132:135], v1 offset:736
	s_waitcnt lgkmcnt(1)
	v_fma_f64 v[2:3], v[126:127], v[128:129], v[2:3]
	scratch_load_b64 v[128:129], off, off offset:392
	s_waitcnt vmcnt(4)
	v_fma_f64 v[2:3], v[116:117], v[130:131], v[2:3]
	s_waitcnt lgkmcnt(0)
	s_delay_alu instid0(VALU_DEP_1)
	v_fma_f64 v[2:3], v[118:119], v[132:133], v[2:3]
	ds_load_b128 v[116:119], v1 offset:752
	ds_load_b128 v[124:127], v1 offset:768
	s_waitcnt vmcnt(3)
	v_fma_f64 v[2:3], v[108:109], v[134:135], v[2:3]
	s_waitcnt lgkmcnt(1)
	s_delay_alu instid0(VALU_DEP_1) | instskip(SKIP_1) | instid1(VALU_DEP_1)
	v_fma_f64 v[2:3], v[110:111], v[116:117], v[2:3]
	s_waitcnt vmcnt(2)
	v_fma_f64 v[2:3], v[120:121], v[118:119], v[2:3]
	s_waitcnt lgkmcnt(0)
	s_delay_alu instid0(VALU_DEP_1) | instskip(SKIP_1) | instid1(VALU_DEP_1)
	v_fma_f64 v[2:3], v[122:123], v[124:125], v[2:3]
	s_waitcnt vmcnt(1)
	v_fma_f64 v[108:109], v[112:113], v[126:127], v[2:3]
	ds_load_b128 v[1:4], v1 offset:784
	s_waitcnt lgkmcnt(0)
	v_fma_f64 v[1:2], v[114:115], v[1:2], v[108:109]
	s_waitcnt vmcnt(0)
	s_delay_alu instid0(VALU_DEP_1) | instskip(NEXT) | instid1(VALU_DEP_1)
	v_fma_f64 v[1:2], v[128:129], v[3:4], v[1:2]
	v_add_f64 v[1:2], v[106:107], -v[1:2]
	scratch_store_b64 off, v[1:2], off offset:88
	v_cmpx_lt_u32_e32 10, v0
	s_cbranch_execz .LBB49_289
; %bb.288:
	scratch_load_b64 v[1:2], off, off offset:80
	v_mov_b32_e32 v3, 0
	s_delay_alu instid0(VALU_DEP_1)
	v_mov_b32_e32 v4, v3
	scratch_store_b64 off, v[3:4], off offset:80
	s_waitcnt vmcnt(0)
	ds_store_b64 v5, v[1:2]
.LBB49_289:
	s_or_b32 exec_lo, exec_lo, s0
	s_waitcnt lgkmcnt(0)
	s_waitcnt_vscnt null, 0x0
	s_barrier
	buffer_gl0_inv
	s_clause 0x4
	scratch_load_b128 v[106:109], off, off offset:80
	scratch_load_b128 v[110:113], off, off offset:96
	;; [unrolled: 1-line block ×5, first 2 shown]
	v_mov_b32_e32 v1, 0
	ds_load_2addr_b64 v[126:129], v1 offset0:61 offset1:62
	ds_load_2addr_b64 v[130:133], v1 offset0:63 offset1:64
	scratch_load_b128 v[134:137], off, off offset:160
	s_mov_b32 s0, exec_lo
	s_waitcnt vmcnt(5) lgkmcnt(1)
	v_fma_f64 v[2:3], v[108:109], v[126:127], 0
	s_waitcnt vmcnt(4)
	s_delay_alu instid0(VALU_DEP_1) | instskip(SKIP_4) | instid1(VALU_DEP_1)
	v_fma_f64 v[2:3], v[110:111], v[128:129], v[2:3]
	scratch_load_b128 v[108:111], off, off offset:176
	s_waitcnt lgkmcnt(0)
	v_fma_f64 v[2:3], v[112:113], v[130:131], v[2:3]
	s_waitcnt vmcnt(4)
	v_fma_f64 v[2:3], v[114:115], v[132:133], v[2:3]
	ds_load_2addr_b64 v[112:115], v1 offset0:65 offset1:66
	ds_load_2addr_b64 v[126:129], v1 offset0:67 offset1:68
	scratch_load_b128 v[130:133], off, off offset:192
	s_waitcnt lgkmcnt(1)
	v_fma_f64 v[2:3], v[116:117], v[112:113], v[2:3]
	s_waitcnt vmcnt(4)
	s_delay_alu instid0(VALU_DEP_1) | instskip(SKIP_4) | instid1(VALU_DEP_1)
	v_fma_f64 v[2:3], v[118:119], v[114:115], v[2:3]
	scratch_load_b128 v[112:115], off, off offset:208
	s_waitcnt lgkmcnt(0)
	v_fma_f64 v[2:3], v[120:121], v[126:127], v[2:3]
	s_waitcnt vmcnt(4)
	v_fma_f64 v[2:3], v[122:123], v[128:129], v[2:3]
	ds_load_2addr_b64 v[116:119], v1 offset0:69 offset1:70
	ds_load_2addr_b64 v[120:123], v1 offset0:71 offset1:72
	s_waitcnt lgkmcnt(1)
	v_fma_f64 v[2:3], v[124:125], v[116:117], v[2:3]
	scratch_load_b128 v[124:127], off, off offset:224
	s_waitcnt vmcnt(4)
	v_fma_f64 v[2:3], v[134:135], v[118:119], v[2:3]
	scratch_load_b128 v[116:119], off, off offset:240
	s_waitcnt lgkmcnt(0)
	v_fma_f64 v[2:3], v[136:137], v[120:121], v[2:3]
	s_waitcnt vmcnt(4)
	s_delay_alu instid0(VALU_DEP_1)
	v_fma_f64 v[2:3], v[108:109], v[122:123], v[2:3]
	ds_load_2addr_b64 v[120:123], v1 offset0:73 offset1:74
	ds_load_2addr_b64 v[134:137], v1 offset0:75 offset1:76
	s_waitcnt lgkmcnt(1)
	v_fma_f64 v[2:3], v[110:111], v[120:121], v[2:3]
	scratch_load_b128 v[108:111], off, off offset:256
	s_waitcnt vmcnt(4)
	v_fma_f64 v[2:3], v[130:131], v[122:123], v[2:3]
	scratch_load_b128 v[120:123], off, off offset:272
	s_waitcnt lgkmcnt(0)
	v_fma_f64 v[2:3], v[132:133], v[134:135], v[2:3]
	ds_load_2addr_b64 v[128:131], v1 offset0:77 offset1:78
	ds_load_2addr_b64 v[132:135], v1 offset0:79 offset1:80
	s_waitcnt vmcnt(4)
	v_fma_f64 v[2:3], v[112:113], v[136:137], v[2:3]
	s_waitcnt lgkmcnt(1)
	s_delay_alu instid0(VALU_DEP_1) | instskip(SKIP_4) | instid1(VALU_DEP_1)
	v_fma_f64 v[2:3], v[114:115], v[128:129], v[2:3]
	scratch_load_b128 v[112:115], off, off offset:288
	s_waitcnt vmcnt(4)
	v_fma_f64 v[2:3], v[124:125], v[130:131], v[2:3]
	s_waitcnt lgkmcnt(0)
	v_fma_f64 v[2:3], v[126:127], v[132:133], v[2:3]
	scratch_load_b128 v[124:127], off, off offset:304
	s_waitcnt vmcnt(4)
	v_fma_f64 v[2:3], v[116:117], v[134:135], v[2:3]
	ds_load_2addr_b64 v[128:131], v1 offset0:81 offset1:82
	ds_load_2addr_b64 v[132:135], v1 offset0:83 offset1:84
	s_waitcnt lgkmcnt(1)
	v_fma_f64 v[2:3], v[118:119], v[128:129], v[2:3]
	scratch_load_b128 v[116:119], off, off offset:320
	s_waitcnt vmcnt(4)
	v_fma_f64 v[2:3], v[108:109], v[130:131], v[2:3]
	s_waitcnt lgkmcnt(0)
	s_delay_alu instid0(VALU_DEP_1)
	v_fma_f64 v[2:3], v[110:111], v[132:133], v[2:3]
	scratch_load_b128 v[108:111], off, off offset:336
	s_waitcnt vmcnt(4)
	v_fma_f64 v[2:3], v[120:121], v[134:135], v[2:3]
	ds_load_2addr_b64 v[128:131], v1 offset0:85 offset1:86
	ds_load_2addr_b64 v[132:135], v1 offset0:87 offset1:88
	s_waitcnt lgkmcnt(1)
	v_fma_f64 v[2:3], v[122:123], v[128:129], v[2:3]
	scratch_load_b128 v[120:123], off, off offset:352
	s_waitcnt vmcnt(4)
	v_fma_f64 v[2:3], v[112:113], v[130:131], v[2:3]
	s_waitcnt lgkmcnt(0)
	s_delay_alu instid0(VALU_DEP_1)
	;; [unrolled: 13-line block ×3, first 2 shown]
	v_fma_f64 v[2:3], v[118:119], v[132:133], v[2:3]
	ds_load_2addr_b64 v[116:119], v1 offset0:93 offset1:94
	ds_load_2addr_b64 v[128:131], v1 offset0:95 offset1:96
	s_waitcnt vmcnt(3)
	v_fma_f64 v[2:3], v[108:109], v[134:135], v[2:3]
	s_waitcnt lgkmcnt(1)
	s_delay_alu instid0(VALU_DEP_1) | instskip(SKIP_1) | instid1(VALU_DEP_1)
	v_fma_f64 v[2:3], v[110:111], v[116:117], v[2:3]
	s_waitcnt vmcnt(2)
	v_fma_f64 v[2:3], v[120:121], v[118:119], v[2:3]
	s_waitcnt lgkmcnt(0)
	s_delay_alu instid0(VALU_DEP_1) | instskip(SKIP_1) | instid1(VALU_DEP_1)
	v_fma_f64 v[2:3], v[122:123], v[128:129], v[2:3]
	s_waitcnt vmcnt(1)
	v_fma_f64 v[2:3], v[112:113], v[130:131], v[2:3]
	ds_load_2addr_b64 v[108:111], v1 offset0:97 offset1:98
	ds_load_b64 v[112:113], v1 offset:792
	s_waitcnt lgkmcnt(1)
	v_fma_f64 v[2:3], v[114:115], v[108:109], v[2:3]
	s_waitcnt vmcnt(0)
	s_delay_alu instid0(VALU_DEP_1) | instskip(SKIP_1) | instid1(VALU_DEP_1)
	v_fma_f64 v[2:3], v[124:125], v[110:111], v[2:3]
	s_waitcnt lgkmcnt(0)
	v_fma_f64 v[2:3], v[126:127], v[112:113], v[2:3]
	s_delay_alu instid0(VALU_DEP_1)
	v_add_f64 v[2:3], v[106:107], -v[2:3]
	scratch_store_b64 off, v[2:3], off offset:80
	v_cmpx_lt_u32_e32 9, v0
	s_cbranch_execz .LBB49_291
; %bb.290:
	scratch_load_b64 v[3:4], off, off offset:72
	v_mov_b32_e32 v2, v1
	scratch_store_b64 off, v[1:2], off offset:72
	s_waitcnt vmcnt(0)
	ds_store_b64 v5, v[3:4]
.LBB49_291:
	s_or_b32 exec_lo, exec_lo, s0
	s_waitcnt lgkmcnt(0)
	s_waitcnt_vscnt null, 0x0
	s_barrier
	buffer_gl0_inv
	s_clause 0x4
	scratch_load_b128 v[106:109], off, off offset:72
	scratch_load_b128 v[110:113], off, off offset:88
	;; [unrolled: 1-line block ×5, first 2 shown]
	ds_load_b128 v[126:129], v1 offset:480
	ds_load_b128 v[130:133], v1 offset:496
	scratch_load_b128 v[134:137], off, off offset:152
	s_mov_b32 s0, exec_lo
	s_waitcnt vmcnt(5) lgkmcnt(1)
	v_fma_f64 v[2:3], v[108:109], v[126:127], 0
	s_waitcnt vmcnt(4)
	s_delay_alu instid0(VALU_DEP_1) | instskip(SKIP_4) | instid1(VALU_DEP_1)
	v_fma_f64 v[2:3], v[110:111], v[128:129], v[2:3]
	scratch_load_b128 v[108:111], off, off offset:168
	s_waitcnt lgkmcnt(0)
	v_fma_f64 v[2:3], v[112:113], v[130:131], v[2:3]
	s_waitcnt vmcnt(4)
	v_fma_f64 v[2:3], v[114:115], v[132:133], v[2:3]
	ds_load_b128 v[112:115], v1 offset:512
	ds_load_b128 v[126:129], v1 offset:528
	scratch_load_b128 v[130:133], off, off offset:184
	s_waitcnt lgkmcnt(1)
	v_fma_f64 v[2:3], v[116:117], v[112:113], v[2:3]
	s_waitcnt vmcnt(4)
	s_delay_alu instid0(VALU_DEP_1) | instskip(SKIP_4) | instid1(VALU_DEP_1)
	v_fma_f64 v[2:3], v[118:119], v[114:115], v[2:3]
	scratch_load_b128 v[112:115], off, off offset:200
	s_waitcnt lgkmcnt(0)
	v_fma_f64 v[2:3], v[120:121], v[126:127], v[2:3]
	s_waitcnt vmcnt(4)
	v_fma_f64 v[2:3], v[122:123], v[128:129], v[2:3]
	ds_load_b128 v[116:119], v1 offset:544
	ds_load_b128 v[120:123], v1 offset:560
	s_waitcnt lgkmcnt(1)
	v_fma_f64 v[2:3], v[124:125], v[116:117], v[2:3]
	scratch_load_b128 v[124:127], off, off offset:216
	s_waitcnt vmcnt(4)
	v_fma_f64 v[2:3], v[134:135], v[118:119], v[2:3]
	scratch_load_b128 v[116:119], off, off offset:232
	s_waitcnt lgkmcnt(0)
	v_fma_f64 v[2:3], v[136:137], v[120:121], v[2:3]
	s_waitcnt vmcnt(4)
	s_delay_alu instid0(VALU_DEP_1)
	v_fma_f64 v[2:3], v[108:109], v[122:123], v[2:3]
	ds_load_b128 v[120:123], v1 offset:576
	ds_load_b128 v[134:137], v1 offset:592
	s_waitcnt lgkmcnt(1)
	v_fma_f64 v[2:3], v[110:111], v[120:121], v[2:3]
	scratch_load_b128 v[108:111], off, off offset:248
	s_waitcnt vmcnt(4)
	v_fma_f64 v[2:3], v[130:131], v[122:123], v[2:3]
	scratch_load_b128 v[120:123], off, off offset:264
	s_waitcnt lgkmcnt(0)
	v_fma_f64 v[2:3], v[132:133], v[134:135], v[2:3]
	ds_load_b128 v[128:131], v1 offset:608
	ds_load_b128 v[132:135], v1 offset:624
	s_waitcnt vmcnt(4)
	v_fma_f64 v[2:3], v[112:113], v[136:137], v[2:3]
	s_waitcnt lgkmcnt(1)
	s_delay_alu instid0(VALU_DEP_1) | instskip(SKIP_4) | instid1(VALU_DEP_1)
	v_fma_f64 v[2:3], v[114:115], v[128:129], v[2:3]
	scratch_load_b128 v[112:115], off, off offset:280
	s_waitcnt vmcnt(4)
	v_fma_f64 v[2:3], v[124:125], v[130:131], v[2:3]
	s_waitcnt lgkmcnt(0)
	v_fma_f64 v[2:3], v[126:127], v[132:133], v[2:3]
	scratch_load_b128 v[124:127], off, off offset:296
	s_waitcnt vmcnt(4)
	v_fma_f64 v[2:3], v[116:117], v[134:135], v[2:3]
	ds_load_b128 v[128:131], v1 offset:640
	ds_load_b128 v[132:135], v1 offset:656
	s_waitcnt lgkmcnt(1)
	v_fma_f64 v[2:3], v[118:119], v[128:129], v[2:3]
	scratch_load_b128 v[116:119], off, off offset:312
	s_waitcnt vmcnt(4)
	v_fma_f64 v[2:3], v[108:109], v[130:131], v[2:3]
	s_waitcnt lgkmcnt(0)
	s_delay_alu instid0(VALU_DEP_1)
	v_fma_f64 v[2:3], v[110:111], v[132:133], v[2:3]
	scratch_load_b128 v[108:111], off, off offset:328
	s_waitcnt vmcnt(4)
	v_fma_f64 v[2:3], v[120:121], v[134:135], v[2:3]
	ds_load_b128 v[128:131], v1 offset:672
	ds_load_b128 v[132:135], v1 offset:688
	s_waitcnt lgkmcnt(1)
	v_fma_f64 v[2:3], v[122:123], v[128:129], v[2:3]
	scratch_load_b128 v[120:123], off, off offset:344
	s_waitcnt vmcnt(4)
	v_fma_f64 v[2:3], v[112:113], v[130:131], v[2:3]
	s_waitcnt lgkmcnt(0)
	s_delay_alu instid0(VALU_DEP_1)
	;; [unrolled: 13-line block ×3, first 2 shown]
	v_fma_f64 v[2:3], v[118:119], v[132:133], v[2:3]
	scratch_load_b64 v[132:133], off, off offset:392
	ds_load_b128 v[116:119], v1 offset:736
	ds_load_b128 v[128:131], v1 offset:752
	s_waitcnt vmcnt(4)
	v_fma_f64 v[2:3], v[108:109], v[134:135], v[2:3]
	s_waitcnt lgkmcnt(1)
	s_delay_alu instid0(VALU_DEP_1) | instskip(SKIP_1) | instid1(VALU_DEP_1)
	v_fma_f64 v[2:3], v[110:111], v[116:117], v[2:3]
	s_waitcnt vmcnt(3)
	v_fma_f64 v[2:3], v[120:121], v[118:119], v[2:3]
	s_waitcnt lgkmcnt(0)
	s_delay_alu instid0(VALU_DEP_1) | instskip(SKIP_1) | instid1(VALU_DEP_1)
	v_fma_f64 v[2:3], v[122:123], v[128:129], v[2:3]
	s_waitcnt vmcnt(2)
	v_fma_f64 v[112:113], v[112:113], v[130:131], v[2:3]
	ds_load_b128 v[108:111], v1 offset:768
	ds_load_b128 v[1:4], v1 offset:784
	s_waitcnt lgkmcnt(1)
	v_fma_f64 v[108:109], v[114:115], v[108:109], v[112:113]
	s_waitcnt vmcnt(1)
	s_delay_alu instid0(VALU_DEP_1) | instskip(SKIP_1) | instid1(VALU_DEP_1)
	v_fma_f64 v[108:109], v[124:125], v[110:111], v[108:109]
	s_waitcnt lgkmcnt(0)
	v_fma_f64 v[1:2], v[126:127], v[1:2], v[108:109]
	s_waitcnt vmcnt(0)
	s_delay_alu instid0(VALU_DEP_1) | instskip(NEXT) | instid1(VALU_DEP_1)
	v_fma_f64 v[1:2], v[132:133], v[3:4], v[1:2]
	v_add_f64 v[1:2], v[106:107], -v[1:2]
	scratch_store_b64 off, v[1:2], off offset:72
	v_cmpx_lt_u32_e32 8, v0
	s_cbranch_execz .LBB49_293
; %bb.292:
	scratch_load_b64 v[1:2], off, off offset:64
	v_mov_b32_e32 v3, 0
	s_delay_alu instid0(VALU_DEP_1)
	v_mov_b32_e32 v4, v3
	scratch_store_b64 off, v[3:4], off offset:64
	s_waitcnt vmcnt(0)
	ds_store_b64 v5, v[1:2]
.LBB49_293:
	s_or_b32 exec_lo, exec_lo, s0
	s_waitcnt lgkmcnt(0)
	s_waitcnt_vscnt null, 0x0
	s_barrier
	buffer_gl0_inv
	s_clause 0x4
	scratch_load_b128 v[106:109], off, off offset:64
	scratch_load_b128 v[110:113], off, off offset:80
	;; [unrolled: 1-line block ×5, first 2 shown]
	v_mov_b32_e32 v1, 0
	ds_load_2addr_b64 v[126:129], v1 offset0:59 offset1:60
	ds_load_2addr_b64 v[130:133], v1 offset0:61 offset1:62
	scratch_load_b128 v[134:137], off, off offset:144
	s_mov_b32 s0, exec_lo
	s_waitcnt vmcnt(5) lgkmcnt(1)
	v_fma_f64 v[2:3], v[108:109], v[126:127], 0
	s_waitcnt vmcnt(4)
	s_delay_alu instid0(VALU_DEP_1) | instskip(SKIP_4) | instid1(VALU_DEP_1)
	v_fma_f64 v[2:3], v[110:111], v[128:129], v[2:3]
	scratch_load_b128 v[108:111], off, off offset:160
	s_waitcnt lgkmcnt(0)
	v_fma_f64 v[2:3], v[112:113], v[130:131], v[2:3]
	s_waitcnt vmcnt(4)
	v_fma_f64 v[2:3], v[114:115], v[132:133], v[2:3]
	ds_load_2addr_b64 v[112:115], v1 offset0:63 offset1:64
	ds_load_2addr_b64 v[126:129], v1 offset0:65 offset1:66
	scratch_load_b128 v[130:133], off, off offset:176
	s_waitcnt lgkmcnt(1)
	v_fma_f64 v[2:3], v[116:117], v[112:113], v[2:3]
	s_waitcnt vmcnt(4)
	s_delay_alu instid0(VALU_DEP_1) | instskip(SKIP_4) | instid1(VALU_DEP_1)
	v_fma_f64 v[2:3], v[118:119], v[114:115], v[2:3]
	scratch_load_b128 v[112:115], off, off offset:192
	s_waitcnt lgkmcnt(0)
	v_fma_f64 v[2:3], v[120:121], v[126:127], v[2:3]
	s_waitcnt vmcnt(4)
	v_fma_f64 v[2:3], v[122:123], v[128:129], v[2:3]
	ds_load_2addr_b64 v[116:119], v1 offset0:67 offset1:68
	ds_load_2addr_b64 v[120:123], v1 offset0:69 offset1:70
	s_waitcnt lgkmcnt(1)
	v_fma_f64 v[2:3], v[124:125], v[116:117], v[2:3]
	scratch_load_b128 v[124:127], off, off offset:208
	s_waitcnt vmcnt(4)
	v_fma_f64 v[2:3], v[134:135], v[118:119], v[2:3]
	scratch_load_b128 v[116:119], off, off offset:224
	s_waitcnt lgkmcnt(0)
	v_fma_f64 v[2:3], v[136:137], v[120:121], v[2:3]
	s_waitcnt vmcnt(4)
	s_delay_alu instid0(VALU_DEP_1)
	v_fma_f64 v[2:3], v[108:109], v[122:123], v[2:3]
	ds_load_2addr_b64 v[120:123], v1 offset0:71 offset1:72
	ds_load_2addr_b64 v[134:137], v1 offset0:73 offset1:74
	s_waitcnt lgkmcnt(1)
	v_fma_f64 v[2:3], v[110:111], v[120:121], v[2:3]
	scratch_load_b128 v[108:111], off, off offset:240
	s_waitcnt vmcnt(4)
	v_fma_f64 v[2:3], v[130:131], v[122:123], v[2:3]
	scratch_load_b128 v[120:123], off, off offset:256
	s_waitcnt lgkmcnt(0)
	v_fma_f64 v[2:3], v[132:133], v[134:135], v[2:3]
	ds_load_2addr_b64 v[128:131], v1 offset0:75 offset1:76
	ds_load_2addr_b64 v[132:135], v1 offset0:77 offset1:78
	s_waitcnt vmcnt(4)
	v_fma_f64 v[2:3], v[112:113], v[136:137], v[2:3]
	s_waitcnt lgkmcnt(1)
	s_delay_alu instid0(VALU_DEP_1) | instskip(SKIP_4) | instid1(VALU_DEP_1)
	v_fma_f64 v[2:3], v[114:115], v[128:129], v[2:3]
	scratch_load_b128 v[112:115], off, off offset:272
	s_waitcnt vmcnt(4)
	v_fma_f64 v[2:3], v[124:125], v[130:131], v[2:3]
	s_waitcnt lgkmcnt(0)
	v_fma_f64 v[2:3], v[126:127], v[132:133], v[2:3]
	scratch_load_b128 v[124:127], off, off offset:288
	s_waitcnt vmcnt(4)
	v_fma_f64 v[2:3], v[116:117], v[134:135], v[2:3]
	ds_load_2addr_b64 v[128:131], v1 offset0:79 offset1:80
	ds_load_2addr_b64 v[132:135], v1 offset0:81 offset1:82
	s_waitcnt lgkmcnt(1)
	v_fma_f64 v[2:3], v[118:119], v[128:129], v[2:3]
	scratch_load_b128 v[116:119], off, off offset:304
	s_waitcnt vmcnt(4)
	v_fma_f64 v[2:3], v[108:109], v[130:131], v[2:3]
	s_waitcnt lgkmcnt(0)
	s_delay_alu instid0(VALU_DEP_1)
	v_fma_f64 v[2:3], v[110:111], v[132:133], v[2:3]
	scratch_load_b128 v[108:111], off, off offset:320
	s_waitcnt vmcnt(4)
	v_fma_f64 v[2:3], v[120:121], v[134:135], v[2:3]
	ds_load_2addr_b64 v[128:131], v1 offset0:83 offset1:84
	ds_load_2addr_b64 v[132:135], v1 offset0:85 offset1:86
	s_waitcnt lgkmcnt(1)
	v_fma_f64 v[2:3], v[122:123], v[128:129], v[2:3]
	scratch_load_b128 v[120:123], off, off offset:336
	s_waitcnt vmcnt(4)
	v_fma_f64 v[2:3], v[112:113], v[130:131], v[2:3]
	s_waitcnt lgkmcnt(0)
	s_delay_alu instid0(VALU_DEP_1)
	;; [unrolled: 13-line block ×3, first 2 shown]
	v_fma_f64 v[2:3], v[118:119], v[132:133], v[2:3]
	scratch_load_b128 v[116:119], off, off offset:384
	s_waitcnt vmcnt(4)
	v_fma_f64 v[2:3], v[108:109], v[134:135], v[2:3]
	ds_load_2addr_b64 v[128:131], v1 offset0:91 offset1:92
	ds_load_2addr_b64 v[132:135], v1 offset0:93 offset1:94
	s_waitcnt lgkmcnt(1)
	v_fma_f64 v[2:3], v[110:111], v[128:129], v[2:3]
	s_waitcnt vmcnt(3)
	s_delay_alu instid0(VALU_DEP_1) | instskip(SKIP_1) | instid1(VALU_DEP_1)
	v_fma_f64 v[2:3], v[120:121], v[130:131], v[2:3]
	s_waitcnt lgkmcnt(0)
	v_fma_f64 v[2:3], v[122:123], v[132:133], v[2:3]
	ds_load_2addr_b64 v[108:111], v1 offset0:95 offset1:96
	ds_load_2addr_b64 v[120:123], v1 offset0:97 offset1:98
	s_waitcnt vmcnt(2)
	v_fma_f64 v[2:3], v[112:113], v[134:135], v[2:3]
	s_waitcnt lgkmcnt(1)
	s_delay_alu instid0(VALU_DEP_1) | instskip(SKIP_4) | instid1(VALU_DEP_1)
	v_fma_f64 v[2:3], v[114:115], v[108:109], v[2:3]
	ds_load_b64 v[108:109], v1 offset:792
	s_waitcnt vmcnt(1)
	v_fma_f64 v[2:3], v[124:125], v[110:111], v[2:3]
	s_waitcnt lgkmcnt(1)
	v_fma_f64 v[2:3], v[126:127], v[120:121], v[2:3]
	s_waitcnt vmcnt(0)
	s_delay_alu instid0(VALU_DEP_1) | instskip(SKIP_1) | instid1(VALU_DEP_1)
	v_fma_f64 v[2:3], v[116:117], v[122:123], v[2:3]
	s_waitcnt lgkmcnt(0)
	v_fma_f64 v[2:3], v[118:119], v[108:109], v[2:3]
	s_delay_alu instid0(VALU_DEP_1)
	v_add_f64 v[2:3], v[106:107], -v[2:3]
	scratch_store_b64 off, v[2:3], off offset:64
	v_cmpx_lt_u32_e32 7, v0
	s_cbranch_execz .LBB49_295
; %bb.294:
	scratch_load_b64 v[3:4], off, off offset:56
	v_mov_b32_e32 v2, v1
	scratch_store_b64 off, v[1:2], off offset:56
	s_waitcnt vmcnt(0)
	ds_store_b64 v5, v[3:4]
.LBB49_295:
	s_or_b32 exec_lo, exec_lo, s0
	s_waitcnt lgkmcnt(0)
	s_waitcnt_vscnt null, 0x0
	s_barrier
	buffer_gl0_inv
	s_clause 0x4
	scratch_load_b128 v[106:109], off, off offset:56
	scratch_load_b128 v[110:113], off, off offset:72
	;; [unrolled: 1-line block ×5, first 2 shown]
	ds_load_b128 v[126:129], v1 offset:464
	ds_load_b128 v[130:133], v1 offset:480
	scratch_load_b128 v[134:137], off, off offset:136
	s_mov_b32 s0, exec_lo
	s_waitcnt vmcnt(5) lgkmcnt(1)
	v_fma_f64 v[2:3], v[108:109], v[126:127], 0
	s_waitcnt vmcnt(4)
	s_delay_alu instid0(VALU_DEP_1) | instskip(SKIP_4) | instid1(VALU_DEP_1)
	v_fma_f64 v[2:3], v[110:111], v[128:129], v[2:3]
	scratch_load_b128 v[108:111], off, off offset:152
	s_waitcnt lgkmcnt(0)
	v_fma_f64 v[2:3], v[112:113], v[130:131], v[2:3]
	s_waitcnt vmcnt(4)
	v_fma_f64 v[2:3], v[114:115], v[132:133], v[2:3]
	ds_load_b128 v[112:115], v1 offset:496
	ds_load_b128 v[126:129], v1 offset:512
	scratch_load_b128 v[130:133], off, off offset:168
	s_waitcnt lgkmcnt(1)
	v_fma_f64 v[2:3], v[116:117], v[112:113], v[2:3]
	s_waitcnt vmcnt(4)
	s_delay_alu instid0(VALU_DEP_1) | instskip(SKIP_4) | instid1(VALU_DEP_1)
	v_fma_f64 v[2:3], v[118:119], v[114:115], v[2:3]
	scratch_load_b128 v[112:115], off, off offset:184
	s_waitcnt lgkmcnt(0)
	v_fma_f64 v[2:3], v[120:121], v[126:127], v[2:3]
	s_waitcnt vmcnt(4)
	v_fma_f64 v[2:3], v[122:123], v[128:129], v[2:3]
	ds_load_b128 v[116:119], v1 offset:528
	ds_load_b128 v[120:123], v1 offset:544
	s_waitcnt lgkmcnt(1)
	v_fma_f64 v[2:3], v[124:125], v[116:117], v[2:3]
	scratch_load_b128 v[124:127], off, off offset:200
	s_waitcnt vmcnt(4)
	v_fma_f64 v[2:3], v[134:135], v[118:119], v[2:3]
	scratch_load_b128 v[116:119], off, off offset:216
	s_waitcnt lgkmcnt(0)
	v_fma_f64 v[2:3], v[136:137], v[120:121], v[2:3]
	s_waitcnt vmcnt(4)
	s_delay_alu instid0(VALU_DEP_1)
	v_fma_f64 v[2:3], v[108:109], v[122:123], v[2:3]
	ds_load_b128 v[120:123], v1 offset:560
	ds_load_b128 v[134:137], v1 offset:576
	s_waitcnt lgkmcnt(1)
	v_fma_f64 v[2:3], v[110:111], v[120:121], v[2:3]
	scratch_load_b128 v[108:111], off, off offset:232
	s_waitcnt vmcnt(4)
	v_fma_f64 v[2:3], v[130:131], v[122:123], v[2:3]
	scratch_load_b128 v[120:123], off, off offset:248
	s_waitcnt lgkmcnt(0)
	v_fma_f64 v[2:3], v[132:133], v[134:135], v[2:3]
	ds_load_b128 v[128:131], v1 offset:592
	ds_load_b128 v[132:135], v1 offset:608
	s_waitcnt vmcnt(4)
	v_fma_f64 v[2:3], v[112:113], v[136:137], v[2:3]
	s_waitcnt lgkmcnt(1)
	s_delay_alu instid0(VALU_DEP_1) | instskip(SKIP_4) | instid1(VALU_DEP_1)
	v_fma_f64 v[2:3], v[114:115], v[128:129], v[2:3]
	scratch_load_b128 v[112:115], off, off offset:264
	s_waitcnt vmcnt(4)
	v_fma_f64 v[2:3], v[124:125], v[130:131], v[2:3]
	s_waitcnt lgkmcnt(0)
	v_fma_f64 v[2:3], v[126:127], v[132:133], v[2:3]
	scratch_load_b128 v[124:127], off, off offset:280
	s_waitcnt vmcnt(4)
	v_fma_f64 v[2:3], v[116:117], v[134:135], v[2:3]
	ds_load_b128 v[128:131], v1 offset:624
	ds_load_b128 v[132:135], v1 offset:640
	s_waitcnt lgkmcnt(1)
	v_fma_f64 v[2:3], v[118:119], v[128:129], v[2:3]
	scratch_load_b128 v[116:119], off, off offset:296
	s_waitcnt vmcnt(4)
	v_fma_f64 v[2:3], v[108:109], v[130:131], v[2:3]
	s_waitcnt lgkmcnt(0)
	s_delay_alu instid0(VALU_DEP_1)
	v_fma_f64 v[2:3], v[110:111], v[132:133], v[2:3]
	scratch_load_b128 v[108:111], off, off offset:312
	s_waitcnt vmcnt(4)
	v_fma_f64 v[2:3], v[120:121], v[134:135], v[2:3]
	ds_load_b128 v[128:131], v1 offset:656
	ds_load_b128 v[132:135], v1 offset:672
	s_waitcnt lgkmcnt(1)
	v_fma_f64 v[2:3], v[122:123], v[128:129], v[2:3]
	scratch_load_b128 v[120:123], off, off offset:328
	s_waitcnt vmcnt(4)
	v_fma_f64 v[2:3], v[112:113], v[130:131], v[2:3]
	s_waitcnt lgkmcnt(0)
	s_delay_alu instid0(VALU_DEP_1)
	;; [unrolled: 13-line block ×3, first 2 shown]
	v_fma_f64 v[2:3], v[118:119], v[132:133], v[2:3]
	scratch_load_b128 v[116:119], off, off offset:376
	s_waitcnt vmcnt(4)
	v_fma_f64 v[2:3], v[108:109], v[134:135], v[2:3]
	ds_load_b128 v[128:131], v1 offset:720
	ds_load_b128 v[132:135], v1 offset:736
	s_waitcnt lgkmcnt(1)
	v_fma_f64 v[2:3], v[110:111], v[128:129], v[2:3]
	scratch_load_b64 v[128:129], off, off offset:392
	s_waitcnt vmcnt(4)
	v_fma_f64 v[2:3], v[120:121], v[130:131], v[2:3]
	s_waitcnt lgkmcnt(0)
	s_delay_alu instid0(VALU_DEP_1)
	v_fma_f64 v[2:3], v[122:123], v[132:133], v[2:3]
	ds_load_b128 v[108:111], v1 offset:752
	ds_load_b128 v[120:123], v1 offset:768
	s_waitcnt vmcnt(3)
	v_fma_f64 v[2:3], v[112:113], v[134:135], v[2:3]
	s_waitcnt lgkmcnt(1)
	s_delay_alu instid0(VALU_DEP_1) | instskip(SKIP_1) | instid1(VALU_DEP_1)
	v_fma_f64 v[2:3], v[114:115], v[108:109], v[2:3]
	s_waitcnt vmcnt(2)
	v_fma_f64 v[2:3], v[124:125], v[110:111], v[2:3]
	s_waitcnt lgkmcnt(0)
	s_delay_alu instid0(VALU_DEP_1) | instskip(SKIP_1) | instid1(VALU_DEP_1)
	v_fma_f64 v[2:3], v[126:127], v[120:121], v[2:3]
	s_waitcnt vmcnt(1)
	v_fma_f64 v[108:109], v[116:117], v[122:123], v[2:3]
	ds_load_b128 v[1:4], v1 offset:784
	s_waitcnt lgkmcnt(0)
	v_fma_f64 v[1:2], v[118:119], v[1:2], v[108:109]
	s_waitcnt vmcnt(0)
	s_delay_alu instid0(VALU_DEP_1) | instskip(NEXT) | instid1(VALU_DEP_1)
	v_fma_f64 v[1:2], v[128:129], v[3:4], v[1:2]
	v_add_f64 v[1:2], v[106:107], -v[1:2]
	scratch_store_b64 off, v[1:2], off offset:56
	v_cmpx_lt_u32_e32 6, v0
	s_cbranch_execz .LBB49_297
; %bb.296:
	scratch_load_b64 v[1:2], off, off offset:48
	v_mov_b32_e32 v3, 0
	s_delay_alu instid0(VALU_DEP_1)
	v_mov_b32_e32 v4, v3
	scratch_store_b64 off, v[3:4], off offset:48
	s_waitcnt vmcnt(0)
	ds_store_b64 v5, v[1:2]
.LBB49_297:
	s_or_b32 exec_lo, exec_lo, s0
	s_waitcnt lgkmcnt(0)
	s_waitcnt_vscnt null, 0x0
	s_barrier
	buffer_gl0_inv
	s_clause 0x4
	scratch_load_b128 v[106:109], off, off offset:48
	scratch_load_b128 v[110:113], off, off offset:64
	;; [unrolled: 1-line block ×5, first 2 shown]
	v_mov_b32_e32 v1, 0
	ds_load_2addr_b64 v[126:129], v1 offset0:57 offset1:58
	ds_load_2addr_b64 v[130:133], v1 offset0:59 offset1:60
	scratch_load_b128 v[134:137], off, off offset:128
	s_mov_b32 s0, exec_lo
	s_waitcnt vmcnt(5) lgkmcnt(1)
	v_fma_f64 v[2:3], v[108:109], v[126:127], 0
	s_waitcnt vmcnt(4)
	s_delay_alu instid0(VALU_DEP_1) | instskip(SKIP_4) | instid1(VALU_DEP_1)
	v_fma_f64 v[2:3], v[110:111], v[128:129], v[2:3]
	scratch_load_b128 v[108:111], off, off offset:144
	s_waitcnt lgkmcnt(0)
	v_fma_f64 v[2:3], v[112:113], v[130:131], v[2:3]
	s_waitcnt vmcnt(4)
	v_fma_f64 v[2:3], v[114:115], v[132:133], v[2:3]
	ds_load_2addr_b64 v[112:115], v1 offset0:61 offset1:62
	ds_load_2addr_b64 v[126:129], v1 offset0:63 offset1:64
	scratch_load_b128 v[130:133], off, off offset:160
	s_waitcnt lgkmcnt(1)
	v_fma_f64 v[2:3], v[116:117], v[112:113], v[2:3]
	s_waitcnt vmcnt(4)
	s_delay_alu instid0(VALU_DEP_1) | instskip(SKIP_4) | instid1(VALU_DEP_1)
	v_fma_f64 v[2:3], v[118:119], v[114:115], v[2:3]
	scratch_load_b128 v[112:115], off, off offset:176
	s_waitcnt lgkmcnt(0)
	v_fma_f64 v[2:3], v[120:121], v[126:127], v[2:3]
	s_waitcnt vmcnt(4)
	v_fma_f64 v[2:3], v[122:123], v[128:129], v[2:3]
	ds_load_2addr_b64 v[116:119], v1 offset0:65 offset1:66
	ds_load_2addr_b64 v[120:123], v1 offset0:67 offset1:68
	s_waitcnt lgkmcnt(1)
	v_fma_f64 v[2:3], v[124:125], v[116:117], v[2:3]
	scratch_load_b128 v[124:127], off, off offset:192
	s_waitcnt vmcnt(4)
	v_fma_f64 v[2:3], v[134:135], v[118:119], v[2:3]
	scratch_load_b128 v[116:119], off, off offset:208
	s_waitcnt lgkmcnt(0)
	v_fma_f64 v[2:3], v[136:137], v[120:121], v[2:3]
	s_waitcnt vmcnt(4)
	s_delay_alu instid0(VALU_DEP_1)
	v_fma_f64 v[2:3], v[108:109], v[122:123], v[2:3]
	ds_load_2addr_b64 v[120:123], v1 offset0:69 offset1:70
	ds_load_2addr_b64 v[134:137], v1 offset0:71 offset1:72
	s_waitcnt lgkmcnt(1)
	v_fma_f64 v[2:3], v[110:111], v[120:121], v[2:3]
	scratch_load_b128 v[108:111], off, off offset:224
	s_waitcnt vmcnt(4)
	v_fma_f64 v[2:3], v[130:131], v[122:123], v[2:3]
	scratch_load_b128 v[120:123], off, off offset:240
	s_waitcnt lgkmcnt(0)
	v_fma_f64 v[2:3], v[132:133], v[134:135], v[2:3]
	ds_load_2addr_b64 v[128:131], v1 offset0:73 offset1:74
	ds_load_2addr_b64 v[132:135], v1 offset0:75 offset1:76
	s_waitcnt vmcnt(4)
	v_fma_f64 v[2:3], v[112:113], v[136:137], v[2:3]
	s_waitcnt lgkmcnt(1)
	s_delay_alu instid0(VALU_DEP_1) | instskip(SKIP_4) | instid1(VALU_DEP_1)
	v_fma_f64 v[2:3], v[114:115], v[128:129], v[2:3]
	scratch_load_b128 v[112:115], off, off offset:256
	s_waitcnt vmcnt(4)
	v_fma_f64 v[2:3], v[124:125], v[130:131], v[2:3]
	s_waitcnt lgkmcnt(0)
	v_fma_f64 v[2:3], v[126:127], v[132:133], v[2:3]
	scratch_load_b128 v[124:127], off, off offset:272
	s_waitcnt vmcnt(4)
	v_fma_f64 v[2:3], v[116:117], v[134:135], v[2:3]
	ds_load_2addr_b64 v[128:131], v1 offset0:77 offset1:78
	ds_load_2addr_b64 v[132:135], v1 offset0:79 offset1:80
	s_waitcnt lgkmcnt(1)
	v_fma_f64 v[2:3], v[118:119], v[128:129], v[2:3]
	scratch_load_b128 v[116:119], off, off offset:288
	s_waitcnt vmcnt(4)
	v_fma_f64 v[2:3], v[108:109], v[130:131], v[2:3]
	s_waitcnt lgkmcnt(0)
	s_delay_alu instid0(VALU_DEP_1)
	v_fma_f64 v[2:3], v[110:111], v[132:133], v[2:3]
	scratch_load_b128 v[108:111], off, off offset:304
	s_waitcnt vmcnt(4)
	v_fma_f64 v[2:3], v[120:121], v[134:135], v[2:3]
	ds_load_2addr_b64 v[128:131], v1 offset0:81 offset1:82
	ds_load_2addr_b64 v[132:135], v1 offset0:83 offset1:84
	s_waitcnt lgkmcnt(1)
	v_fma_f64 v[2:3], v[122:123], v[128:129], v[2:3]
	scratch_load_b128 v[120:123], off, off offset:320
	s_waitcnt vmcnt(4)
	v_fma_f64 v[2:3], v[112:113], v[130:131], v[2:3]
	s_waitcnt lgkmcnt(0)
	s_delay_alu instid0(VALU_DEP_1)
	;; [unrolled: 13-line block ×4, first 2 shown]
	v_fma_f64 v[2:3], v[122:123], v[132:133], v[2:3]
	ds_load_2addr_b64 v[120:123], v1 offset0:93 offset1:94
	ds_load_2addr_b64 v[128:131], v1 offset0:95 offset1:96
	s_waitcnt vmcnt(3)
	v_fma_f64 v[2:3], v[112:113], v[134:135], v[2:3]
	s_waitcnt lgkmcnt(1)
	s_delay_alu instid0(VALU_DEP_1) | instskip(SKIP_1) | instid1(VALU_DEP_1)
	v_fma_f64 v[2:3], v[114:115], v[120:121], v[2:3]
	s_waitcnt vmcnt(2)
	v_fma_f64 v[2:3], v[124:125], v[122:123], v[2:3]
	s_waitcnt lgkmcnt(0)
	s_delay_alu instid0(VALU_DEP_1) | instskip(SKIP_1) | instid1(VALU_DEP_1)
	v_fma_f64 v[2:3], v[126:127], v[128:129], v[2:3]
	s_waitcnt vmcnt(1)
	v_fma_f64 v[2:3], v[116:117], v[130:131], v[2:3]
	ds_load_2addr_b64 v[112:115], v1 offset0:97 offset1:98
	ds_load_b64 v[116:117], v1 offset:792
	s_waitcnt lgkmcnt(1)
	v_fma_f64 v[2:3], v[118:119], v[112:113], v[2:3]
	s_waitcnt vmcnt(0)
	s_delay_alu instid0(VALU_DEP_1) | instskip(SKIP_1) | instid1(VALU_DEP_1)
	v_fma_f64 v[2:3], v[108:109], v[114:115], v[2:3]
	s_waitcnt lgkmcnt(0)
	v_fma_f64 v[2:3], v[110:111], v[116:117], v[2:3]
	s_delay_alu instid0(VALU_DEP_1)
	v_add_f64 v[2:3], v[106:107], -v[2:3]
	scratch_store_b64 off, v[2:3], off offset:48
	v_cmpx_lt_u32_e32 5, v0
	s_cbranch_execz .LBB49_299
; %bb.298:
	scratch_load_b64 v[3:4], off, off offset:40
	v_mov_b32_e32 v2, v1
	scratch_store_b64 off, v[1:2], off offset:40
	s_waitcnt vmcnt(0)
	ds_store_b64 v5, v[3:4]
.LBB49_299:
	s_or_b32 exec_lo, exec_lo, s0
	s_waitcnt lgkmcnt(0)
	s_waitcnt_vscnt null, 0x0
	s_barrier
	buffer_gl0_inv
	s_clause 0x4
	scratch_load_b128 v[106:109], off, off offset:40
	scratch_load_b128 v[110:113], off, off offset:56
	;; [unrolled: 1-line block ×5, first 2 shown]
	ds_load_b128 v[126:129], v1 offset:448
	ds_load_b128 v[130:133], v1 offset:464
	scratch_load_b128 v[134:137], off, off offset:120
	s_mov_b32 s0, exec_lo
	s_waitcnt vmcnt(5) lgkmcnt(1)
	v_fma_f64 v[2:3], v[108:109], v[126:127], 0
	s_waitcnt vmcnt(4)
	s_delay_alu instid0(VALU_DEP_1) | instskip(SKIP_4) | instid1(VALU_DEP_1)
	v_fma_f64 v[2:3], v[110:111], v[128:129], v[2:3]
	scratch_load_b128 v[108:111], off, off offset:136
	s_waitcnt lgkmcnt(0)
	v_fma_f64 v[2:3], v[112:113], v[130:131], v[2:3]
	s_waitcnt vmcnt(4)
	v_fma_f64 v[2:3], v[114:115], v[132:133], v[2:3]
	ds_load_b128 v[112:115], v1 offset:480
	ds_load_b128 v[126:129], v1 offset:496
	scratch_load_b128 v[130:133], off, off offset:152
	s_waitcnt lgkmcnt(1)
	v_fma_f64 v[2:3], v[116:117], v[112:113], v[2:3]
	s_waitcnt vmcnt(4)
	s_delay_alu instid0(VALU_DEP_1) | instskip(SKIP_4) | instid1(VALU_DEP_1)
	v_fma_f64 v[2:3], v[118:119], v[114:115], v[2:3]
	scratch_load_b128 v[112:115], off, off offset:168
	s_waitcnt lgkmcnt(0)
	v_fma_f64 v[2:3], v[120:121], v[126:127], v[2:3]
	s_waitcnt vmcnt(4)
	v_fma_f64 v[2:3], v[122:123], v[128:129], v[2:3]
	ds_load_b128 v[116:119], v1 offset:512
	ds_load_b128 v[120:123], v1 offset:528
	s_waitcnt lgkmcnt(1)
	v_fma_f64 v[2:3], v[124:125], v[116:117], v[2:3]
	scratch_load_b128 v[124:127], off, off offset:184
	s_waitcnt vmcnt(4)
	v_fma_f64 v[2:3], v[134:135], v[118:119], v[2:3]
	scratch_load_b128 v[116:119], off, off offset:200
	s_waitcnt lgkmcnt(0)
	v_fma_f64 v[2:3], v[136:137], v[120:121], v[2:3]
	s_waitcnt vmcnt(4)
	s_delay_alu instid0(VALU_DEP_1)
	v_fma_f64 v[2:3], v[108:109], v[122:123], v[2:3]
	ds_load_b128 v[120:123], v1 offset:544
	ds_load_b128 v[134:137], v1 offset:560
	s_waitcnt lgkmcnt(1)
	v_fma_f64 v[2:3], v[110:111], v[120:121], v[2:3]
	scratch_load_b128 v[108:111], off, off offset:216
	s_waitcnt vmcnt(4)
	v_fma_f64 v[2:3], v[130:131], v[122:123], v[2:3]
	scratch_load_b128 v[120:123], off, off offset:232
	s_waitcnt lgkmcnt(0)
	v_fma_f64 v[2:3], v[132:133], v[134:135], v[2:3]
	ds_load_b128 v[128:131], v1 offset:576
	ds_load_b128 v[132:135], v1 offset:592
	s_waitcnt vmcnt(4)
	v_fma_f64 v[2:3], v[112:113], v[136:137], v[2:3]
	s_waitcnt lgkmcnt(1)
	s_delay_alu instid0(VALU_DEP_1) | instskip(SKIP_4) | instid1(VALU_DEP_1)
	v_fma_f64 v[2:3], v[114:115], v[128:129], v[2:3]
	scratch_load_b128 v[112:115], off, off offset:248
	s_waitcnt vmcnt(4)
	v_fma_f64 v[2:3], v[124:125], v[130:131], v[2:3]
	s_waitcnt lgkmcnt(0)
	v_fma_f64 v[2:3], v[126:127], v[132:133], v[2:3]
	scratch_load_b128 v[124:127], off, off offset:264
	s_waitcnt vmcnt(4)
	v_fma_f64 v[2:3], v[116:117], v[134:135], v[2:3]
	ds_load_b128 v[128:131], v1 offset:608
	ds_load_b128 v[132:135], v1 offset:624
	s_waitcnt lgkmcnt(1)
	v_fma_f64 v[2:3], v[118:119], v[128:129], v[2:3]
	scratch_load_b128 v[116:119], off, off offset:280
	s_waitcnt vmcnt(4)
	v_fma_f64 v[2:3], v[108:109], v[130:131], v[2:3]
	s_waitcnt lgkmcnt(0)
	s_delay_alu instid0(VALU_DEP_1)
	v_fma_f64 v[2:3], v[110:111], v[132:133], v[2:3]
	scratch_load_b128 v[108:111], off, off offset:296
	s_waitcnt vmcnt(4)
	v_fma_f64 v[2:3], v[120:121], v[134:135], v[2:3]
	ds_load_b128 v[128:131], v1 offset:640
	ds_load_b128 v[132:135], v1 offset:656
	s_waitcnt lgkmcnt(1)
	v_fma_f64 v[2:3], v[122:123], v[128:129], v[2:3]
	scratch_load_b128 v[120:123], off, off offset:312
	s_waitcnt vmcnt(4)
	v_fma_f64 v[2:3], v[112:113], v[130:131], v[2:3]
	s_waitcnt lgkmcnt(0)
	s_delay_alu instid0(VALU_DEP_1)
	;; [unrolled: 13-line block ×4, first 2 shown]
	v_fma_f64 v[2:3], v[122:123], v[132:133], v[2:3]
	scratch_load_b64 v[132:133], off, off offset:392
	ds_load_b128 v[120:123], v1 offset:736
	ds_load_b128 v[128:131], v1 offset:752
	s_waitcnt vmcnt(4)
	v_fma_f64 v[2:3], v[112:113], v[134:135], v[2:3]
	s_waitcnt lgkmcnt(1)
	s_delay_alu instid0(VALU_DEP_1) | instskip(SKIP_1) | instid1(VALU_DEP_1)
	v_fma_f64 v[2:3], v[114:115], v[120:121], v[2:3]
	s_waitcnt vmcnt(3)
	v_fma_f64 v[2:3], v[124:125], v[122:123], v[2:3]
	s_waitcnt lgkmcnt(0)
	s_delay_alu instid0(VALU_DEP_1) | instskip(SKIP_1) | instid1(VALU_DEP_1)
	v_fma_f64 v[2:3], v[126:127], v[128:129], v[2:3]
	s_waitcnt vmcnt(2)
	v_fma_f64 v[116:117], v[116:117], v[130:131], v[2:3]
	ds_load_b128 v[112:115], v1 offset:768
	ds_load_b128 v[1:4], v1 offset:784
	s_waitcnt lgkmcnt(1)
	v_fma_f64 v[112:113], v[118:119], v[112:113], v[116:117]
	s_waitcnt vmcnt(1)
	s_delay_alu instid0(VALU_DEP_1) | instskip(SKIP_1) | instid1(VALU_DEP_1)
	v_fma_f64 v[108:109], v[108:109], v[114:115], v[112:113]
	s_waitcnt lgkmcnt(0)
	v_fma_f64 v[1:2], v[110:111], v[1:2], v[108:109]
	s_waitcnt vmcnt(0)
	s_delay_alu instid0(VALU_DEP_1) | instskip(NEXT) | instid1(VALU_DEP_1)
	v_fma_f64 v[1:2], v[132:133], v[3:4], v[1:2]
	v_add_f64 v[1:2], v[106:107], -v[1:2]
	scratch_store_b64 off, v[1:2], off offset:40
	v_cmpx_lt_u32_e32 4, v0
	s_cbranch_execz .LBB49_301
; %bb.300:
	scratch_load_b64 v[1:2], off, off offset:32
	v_mov_b32_e32 v3, 0
	s_delay_alu instid0(VALU_DEP_1)
	v_mov_b32_e32 v4, v3
	scratch_store_b64 off, v[3:4], off offset:32
	s_waitcnt vmcnt(0)
	ds_store_b64 v5, v[1:2]
.LBB49_301:
	s_or_b32 exec_lo, exec_lo, s0
	s_waitcnt lgkmcnt(0)
	s_waitcnt_vscnt null, 0x0
	s_barrier
	buffer_gl0_inv
	s_clause 0x4
	scratch_load_b128 v[1:4], off, off offset:32
	scratch_load_b128 v[107:110], off, off offset:48
	scratch_load_b128 v[111:114], off, off offset:64
	scratch_load_b128 v[115:118], off, off offset:80
	scratch_load_b128 v[119:122], off, off offset:96
	v_mov_b32_e32 v106, 0
	ds_load_2addr_b64 v[123:126], v106 offset0:55 offset1:56
	ds_load_2addr_b64 v[127:130], v106 offset0:57 offset1:58
	scratch_load_b128 v[131:134], off, off offset:112
	s_mov_b32 s0, exec_lo
	s_waitcnt vmcnt(5) lgkmcnt(1)
	v_fma_f64 v[3:4], v[3:4], v[123:124], 0
	s_waitcnt vmcnt(4)
	s_delay_alu instid0(VALU_DEP_1) | instskip(SKIP_1) | instid1(VALU_DEP_1)
	v_fma_f64 v[3:4], v[107:108], v[125:126], v[3:4]
	s_waitcnt lgkmcnt(0)
	v_fma_f64 v[3:4], v[109:110], v[127:128], v[3:4]
	scratch_load_b128 v[107:110], off, off offset:128
	s_waitcnt vmcnt(4)
	v_fma_f64 v[3:4], v[111:112], v[129:130], v[3:4]
	ds_load_2addr_b64 v[123:126], v106 offset0:59 offset1:60
	ds_load_2addr_b64 v[127:130], v106 offset0:61 offset1:62
	s_waitcnt lgkmcnt(1)
	v_fma_f64 v[3:4], v[113:114], v[123:124], v[3:4]
	scratch_load_b128 v[111:114], off, off offset:144
	s_waitcnt vmcnt(4)
	v_fma_f64 v[3:4], v[115:116], v[125:126], v[3:4]
	s_waitcnt lgkmcnt(0)
	s_delay_alu instid0(VALU_DEP_1)
	v_fma_f64 v[3:4], v[117:118], v[127:128], v[3:4]
	scratch_load_b128 v[115:118], off, off offset:160
	s_waitcnt vmcnt(4)
	v_fma_f64 v[3:4], v[119:120], v[129:130], v[3:4]
	ds_load_2addr_b64 v[123:126], v106 offset0:63 offset1:64
	ds_load_2addr_b64 v[127:130], v106 offset0:65 offset1:66
	s_waitcnt lgkmcnt(1)
	v_fma_f64 v[3:4], v[121:122], v[123:124], v[3:4]
	scratch_load_b128 v[119:122], off, off offset:176
	s_waitcnt vmcnt(4)
	v_fma_f64 v[3:4], v[131:132], v[125:126], v[3:4]
	scratch_load_b128 v[123:126], off, off offset:192
	s_waitcnt lgkmcnt(0)
	v_fma_f64 v[3:4], v[133:134], v[127:128], v[3:4]
	s_waitcnt vmcnt(4)
	s_delay_alu instid0(VALU_DEP_1)
	v_fma_f64 v[3:4], v[107:108], v[129:130], v[3:4]
	ds_load_2addr_b64 v[127:130], v106 offset0:67 offset1:68
	ds_load_2addr_b64 v[131:134], v106 offset0:69 offset1:70
	s_waitcnt lgkmcnt(1)
	v_fma_f64 v[3:4], v[109:110], v[127:128], v[3:4]
	scratch_load_b128 v[107:110], off, off offset:208
	s_waitcnt vmcnt(4)
	v_fma_f64 v[3:4], v[111:112], v[129:130], v[3:4]
	s_waitcnt lgkmcnt(0)
	s_delay_alu instid0(VALU_DEP_1)
	v_fma_f64 v[3:4], v[113:114], v[131:132], v[3:4]
	scratch_load_b128 v[111:114], off, off offset:224
	s_waitcnt vmcnt(4)
	v_fma_f64 v[3:4], v[115:116], v[133:134], v[3:4]
	ds_load_2addr_b64 v[127:130], v106 offset0:71 offset1:72
	ds_load_2addr_b64 v[131:134], v106 offset0:73 offset1:74
	s_waitcnt lgkmcnt(1)
	v_fma_f64 v[3:4], v[117:118], v[127:128], v[3:4]
	scratch_load_b128 v[115:118], off, off offset:240
	s_waitcnt vmcnt(4)
	v_fma_f64 v[3:4], v[119:120], v[129:130], v[3:4]
	s_waitcnt lgkmcnt(0)
	s_delay_alu instid0(VALU_DEP_1)
	v_fma_f64 v[3:4], v[121:122], v[131:132], v[3:4]
	scratch_load_b128 v[119:122], off, off offset:256
	s_waitcnt vmcnt(4)
	;; [unrolled: 13-line block ×6, first 2 shown]
	v_fma_f64 v[3:4], v[115:116], v[133:134], v[3:4]
	ds_load_2addr_b64 v[127:130], v106 offset0:91 offset1:92
	ds_load_2addr_b64 v[131:134], v106 offset0:93 offset1:94
	s_waitcnt lgkmcnt(1)
	v_fma_f64 v[3:4], v[117:118], v[127:128], v[3:4]
	s_waitcnt vmcnt(3)
	s_delay_alu instid0(VALU_DEP_1) | instskip(SKIP_1) | instid1(VALU_DEP_1)
	v_fma_f64 v[3:4], v[119:120], v[129:130], v[3:4]
	s_waitcnt lgkmcnt(0)
	v_fma_f64 v[3:4], v[121:122], v[131:132], v[3:4]
	ds_load_2addr_b64 v[115:118], v106 offset0:95 offset1:96
	ds_load_2addr_b64 v[119:122], v106 offset0:97 offset1:98
	s_waitcnt vmcnt(2)
	v_fma_f64 v[3:4], v[123:124], v[133:134], v[3:4]
	s_waitcnt lgkmcnt(1)
	s_delay_alu instid0(VALU_DEP_1) | instskip(SKIP_1) | instid1(VALU_DEP_1)
	v_fma_f64 v[3:4], v[125:126], v[115:116], v[3:4]
	s_waitcnt vmcnt(1)
	v_fma_f64 v[3:4], v[107:108], v[117:118], v[3:4]
	ds_load_b64 v[107:108], v106 offset:792
	s_waitcnt lgkmcnt(1)
	v_fma_f64 v[3:4], v[109:110], v[119:120], v[3:4]
	s_waitcnt vmcnt(0)
	s_delay_alu instid0(VALU_DEP_1) | instskip(SKIP_1) | instid1(VALU_DEP_1)
	v_fma_f64 v[3:4], v[111:112], v[121:122], v[3:4]
	s_waitcnt lgkmcnt(0)
	v_fma_f64 v[3:4], v[113:114], v[107:108], v[3:4]
	s_delay_alu instid0(VALU_DEP_1)
	v_add_f64 v[1:2], v[1:2], -v[3:4]
	scratch_store_b64 off, v[1:2], off offset:32
	v_cmpx_lt_u32_e32 3, v0
	s_cbranch_execz .LBB49_303
; %bb.302:
	scratch_load_b64 v[1:2], off, off offset:24
	v_mov_b32_e32 v107, v106
	scratch_store_b64 off, v[106:107], off offset:24
	s_waitcnt vmcnt(0)
	ds_store_b64 v5, v[1:2]
.LBB49_303:
	s_or_b32 exec_lo, exec_lo, s0
	s_waitcnt lgkmcnt(0)
	s_waitcnt_vscnt null, 0x0
	s_barrier
	buffer_gl0_inv
	s_clause 0x4
	scratch_load_b128 v[1:4], off, off offset:24
	scratch_load_b128 v[107:110], off, off offset:40
	;; [unrolled: 1-line block ×5, first 2 shown]
	ds_load_b128 v[123:126], v106 offset:432
	ds_load_b128 v[127:130], v106 offset:448
	scratch_load_b128 v[131:134], off, off offset:104
	s_mov_b32 s0, exec_lo
	s_waitcnt vmcnt(5) lgkmcnt(1)
	v_fma_f64 v[3:4], v[3:4], v[123:124], 0
	s_waitcnt vmcnt(4)
	s_delay_alu instid0(VALU_DEP_1) | instskip(SKIP_1) | instid1(VALU_DEP_1)
	v_fma_f64 v[3:4], v[107:108], v[125:126], v[3:4]
	s_waitcnt lgkmcnt(0)
	v_fma_f64 v[3:4], v[109:110], v[127:128], v[3:4]
	scratch_load_b128 v[107:110], off, off offset:120
	s_waitcnt vmcnt(4)
	v_fma_f64 v[3:4], v[111:112], v[129:130], v[3:4]
	ds_load_b128 v[123:126], v106 offset:464
	ds_load_b128 v[127:130], v106 offset:480
	s_waitcnt lgkmcnt(1)
	v_fma_f64 v[3:4], v[113:114], v[123:124], v[3:4]
	scratch_load_b128 v[111:114], off, off offset:136
	s_waitcnt vmcnt(4)
	v_fma_f64 v[3:4], v[115:116], v[125:126], v[3:4]
	s_waitcnt lgkmcnt(0)
	s_delay_alu instid0(VALU_DEP_1)
	v_fma_f64 v[3:4], v[117:118], v[127:128], v[3:4]
	scratch_load_b128 v[115:118], off, off offset:152
	s_waitcnt vmcnt(4)
	v_fma_f64 v[3:4], v[119:120], v[129:130], v[3:4]
	ds_load_b128 v[123:126], v106 offset:496
	ds_load_b128 v[127:130], v106 offset:512
	s_waitcnt lgkmcnt(1)
	v_fma_f64 v[3:4], v[121:122], v[123:124], v[3:4]
	scratch_load_b128 v[119:122], off, off offset:168
	s_waitcnt vmcnt(4)
	v_fma_f64 v[3:4], v[131:132], v[125:126], v[3:4]
	scratch_load_b128 v[123:126], off, off offset:184
	s_waitcnt lgkmcnt(0)
	v_fma_f64 v[3:4], v[133:134], v[127:128], v[3:4]
	s_waitcnt vmcnt(4)
	s_delay_alu instid0(VALU_DEP_1)
	v_fma_f64 v[3:4], v[107:108], v[129:130], v[3:4]
	ds_load_b128 v[127:130], v106 offset:528
	ds_load_b128 v[131:134], v106 offset:544
	s_waitcnt lgkmcnt(1)
	v_fma_f64 v[3:4], v[109:110], v[127:128], v[3:4]
	scratch_load_b128 v[107:110], off, off offset:200
	s_waitcnt vmcnt(4)
	v_fma_f64 v[3:4], v[111:112], v[129:130], v[3:4]
	s_waitcnt lgkmcnt(0)
	s_delay_alu instid0(VALU_DEP_1)
	v_fma_f64 v[3:4], v[113:114], v[131:132], v[3:4]
	scratch_load_b128 v[111:114], off, off offset:216
	s_waitcnt vmcnt(4)
	v_fma_f64 v[3:4], v[115:116], v[133:134], v[3:4]
	ds_load_b128 v[127:130], v106 offset:560
	ds_load_b128 v[131:134], v106 offset:576
	s_waitcnt lgkmcnt(1)
	v_fma_f64 v[3:4], v[117:118], v[127:128], v[3:4]
	scratch_load_b128 v[115:118], off, off offset:232
	s_waitcnt vmcnt(4)
	v_fma_f64 v[3:4], v[119:120], v[129:130], v[3:4]
	s_waitcnt lgkmcnt(0)
	s_delay_alu instid0(VALU_DEP_1)
	v_fma_f64 v[3:4], v[121:122], v[131:132], v[3:4]
	scratch_load_b128 v[119:122], off, off offset:248
	s_waitcnt vmcnt(4)
	;; [unrolled: 13-line block ×6, first 2 shown]
	v_fma_f64 v[3:4], v[115:116], v[133:134], v[3:4]
	ds_load_b128 v[127:130], v106 offset:720
	ds_load_b128 v[131:134], v106 offset:736
	s_waitcnt lgkmcnt(1)
	v_fma_f64 v[3:4], v[117:118], v[127:128], v[3:4]
	scratch_load_b64 v[127:128], off, off offset:392
	s_waitcnt vmcnt(4)
	v_fma_f64 v[3:4], v[119:120], v[129:130], v[3:4]
	s_waitcnt lgkmcnt(0)
	s_delay_alu instid0(VALU_DEP_1)
	v_fma_f64 v[3:4], v[121:122], v[131:132], v[3:4]
	ds_load_b128 v[115:118], v106 offset:752
	ds_load_b128 v[119:122], v106 offset:768
	s_waitcnt vmcnt(3)
	v_fma_f64 v[3:4], v[123:124], v[133:134], v[3:4]
	s_waitcnt lgkmcnt(1)
	s_delay_alu instid0(VALU_DEP_1) | instskip(SKIP_1) | instid1(VALU_DEP_1)
	v_fma_f64 v[3:4], v[125:126], v[115:116], v[3:4]
	s_waitcnt vmcnt(2)
	v_fma_f64 v[3:4], v[107:108], v[117:118], v[3:4]
	s_waitcnt lgkmcnt(0)
	s_delay_alu instid0(VALU_DEP_1) | instskip(SKIP_4) | instid1(VALU_DEP_1)
	v_fma_f64 v[3:4], v[109:110], v[119:120], v[3:4]
	ds_load_b128 v[106:109], v106 offset:784
	s_waitcnt vmcnt(1)
	v_fma_f64 v[3:4], v[111:112], v[121:122], v[3:4]
	s_waitcnt lgkmcnt(0)
	v_fma_f64 v[3:4], v[113:114], v[106:107], v[3:4]
	s_waitcnt vmcnt(0)
	s_delay_alu instid0(VALU_DEP_1) | instskip(NEXT) | instid1(VALU_DEP_1)
	v_fma_f64 v[3:4], v[127:128], v[108:109], v[3:4]
	v_add_f64 v[1:2], v[1:2], -v[3:4]
	scratch_store_b64 off, v[1:2], off offset:24
	v_cmpx_lt_u32_e32 2, v0
	s_cbranch_execz .LBB49_305
; %bb.304:
	scratch_load_b64 v[1:2], off, off offset:16
	v_mov_b32_e32 v3, 0
	s_delay_alu instid0(VALU_DEP_1)
	v_mov_b32_e32 v4, v3
	scratch_store_b64 off, v[3:4], off offset:16
	s_waitcnt vmcnt(0)
	ds_store_b64 v5, v[1:2]
.LBB49_305:
	s_or_b32 exec_lo, exec_lo, s0
	s_waitcnt lgkmcnt(0)
	s_waitcnt_vscnt null, 0x0
	s_barrier
	buffer_gl0_inv
	s_clause 0x4
	scratch_load_b128 v[1:4], off, off offset:16
	scratch_load_b128 v[107:110], off, off offset:32
	;; [unrolled: 1-line block ×5, first 2 shown]
	v_mov_b32_e32 v106, 0
	ds_load_2addr_b64 v[123:126], v106 offset0:53 offset1:54
	ds_load_2addr_b64 v[127:130], v106 offset0:55 offset1:56
	scratch_load_b128 v[131:134], off, off offset:96
	s_mov_b32 s0, exec_lo
	s_waitcnt vmcnt(5) lgkmcnt(1)
	v_fma_f64 v[3:4], v[3:4], v[123:124], 0
	s_waitcnt vmcnt(4)
	s_delay_alu instid0(VALU_DEP_1) | instskip(SKIP_1) | instid1(VALU_DEP_1)
	v_fma_f64 v[3:4], v[107:108], v[125:126], v[3:4]
	s_waitcnt lgkmcnt(0)
	v_fma_f64 v[3:4], v[109:110], v[127:128], v[3:4]
	scratch_load_b128 v[107:110], off, off offset:112
	s_waitcnt vmcnt(4)
	v_fma_f64 v[3:4], v[111:112], v[129:130], v[3:4]
	ds_load_2addr_b64 v[123:126], v106 offset0:57 offset1:58
	ds_load_2addr_b64 v[127:130], v106 offset0:59 offset1:60
	s_waitcnt lgkmcnt(1)
	v_fma_f64 v[3:4], v[113:114], v[123:124], v[3:4]
	scratch_load_b128 v[111:114], off, off offset:128
	s_waitcnt vmcnt(4)
	v_fma_f64 v[3:4], v[115:116], v[125:126], v[3:4]
	s_waitcnt lgkmcnt(0)
	s_delay_alu instid0(VALU_DEP_1)
	v_fma_f64 v[3:4], v[117:118], v[127:128], v[3:4]
	scratch_load_b128 v[115:118], off, off offset:144
	s_waitcnt vmcnt(4)
	v_fma_f64 v[3:4], v[119:120], v[129:130], v[3:4]
	ds_load_2addr_b64 v[123:126], v106 offset0:61 offset1:62
	ds_load_2addr_b64 v[127:130], v106 offset0:63 offset1:64
	s_waitcnt lgkmcnt(1)
	v_fma_f64 v[3:4], v[121:122], v[123:124], v[3:4]
	scratch_load_b128 v[119:122], off, off offset:160
	s_waitcnt vmcnt(4)
	v_fma_f64 v[3:4], v[131:132], v[125:126], v[3:4]
	scratch_load_b128 v[123:126], off, off offset:176
	s_waitcnt lgkmcnt(0)
	v_fma_f64 v[3:4], v[133:134], v[127:128], v[3:4]
	s_waitcnt vmcnt(4)
	s_delay_alu instid0(VALU_DEP_1)
	v_fma_f64 v[3:4], v[107:108], v[129:130], v[3:4]
	ds_load_2addr_b64 v[127:130], v106 offset0:65 offset1:66
	ds_load_2addr_b64 v[131:134], v106 offset0:67 offset1:68
	s_waitcnt lgkmcnt(1)
	v_fma_f64 v[3:4], v[109:110], v[127:128], v[3:4]
	scratch_load_b128 v[107:110], off, off offset:192
	s_waitcnt vmcnt(4)
	v_fma_f64 v[3:4], v[111:112], v[129:130], v[3:4]
	s_waitcnt lgkmcnt(0)
	s_delay_alu instid0(VALU_DEP_1)
	v_fma_f64 v[3:4], v[113:114], v[131:132], v[3:4]
	scratch_load_b128 v[111:114], off, off offset:208
	s_waitcnt vmcnt(4)
	v_fma_f64 v[3:4], v[115:116], v[133:134], v[3:4]
	ds_load_2addr_b64 v[127:130], v106 offset0:69 offset1:70
	ds_load_2addr_b64 v[131:134], v106 offset0:71 offset1:72
	s_waitcnt lgkmcnt(1)
	v_fma_f64 v[3:4], v[117:118], v[127:128], v[3:4]
	scratch_load_b128 v[115:118], off, off offset:224
	s_waitcnt vmcnt(4)
	v_fma_f64 v[3:4], v[119:120], v[129:130], v[3:4]
	s_waitcnt lgkmcnt(0)
	s_delay_alu instid0(VALU_DEP_1)
	v_fma_f64 v[3:4], v[121:122], v[131:132], v[3:4]
	scratch_load_b128 v[119:122], off, off offset:240
	s_waitcnt vmcnt(4)
	;; [unrolled: 13-line block ×6, first 2 shown]
	v_fma_f64 v[3:4], v[115:116], v[133:134], v[3:4]
	ds_load_2addr_b64 v[127:130], v106 offset0:89 offset1:90
	ds_load_2addr_b64 v[131:134], v106 offset0:91 offset1:92
	s_waitcnt lgkmcnt(1)
	v_fma_f64 v[3:4], v[117:118], v[127:128], v[3:4]
	scratch_load_b128 v[115:118], off, off offset:384
	s_waitcnt vmcnt(4)
	v_fma_f64 v[3:4], v[119:120], v[129:130], v[3:4]
	s_waitcnt lgkmcnt(0)
	s_delay_alu instid0(VALU_DEP_1)
	v_fma_f64 v[3:4], v[121:122], v[131:132], v[3:4]
	ds_load_2addr_b64 v[119:122], v106 offset0:93 offset1:94
	ds_load_2addr_b64 v[127:130], v106 offset0:95 offset1:96
	s_waitcnt vmcnt(3)
	v_fma_f64 v[3:4], v[123:124], v[133:134], v[3:4]
	s_waitcnt lgkmcnt(1)
	s_delay_alu instid0(VALU_DEP_1) | instskip(SKIP_1) | instid1(VALU_DEP_1)
	v_fma_f64 v[3:4], v[125:126], v[119:120], v[3:4]
	s_waitcnt vmcnt(2)
	v_fma_f64 v[3:4], v[107:108], v[121:122], v[3:4]
	s_waitcnt lgkmcnt(0)
	s_delay_alu instid0(VALU_DEP_1) | instskip(SKIP_1) | instid1(VALU_DEP_1)
	v_fma_f64 v[3:4], v[109:110], v[127:128], v[3:4]
	s_waitcnt vmcnt(1)
	v_fma_f64 v[3:4], v[111:112], v[129:130], v[3:4]
	ds_load_2addr_b64 v[107:110], v106 offset0:97 offset1:98
	ds_load_b64 v[111:112], v106 offset:792
	s_waitcnt lgkmcnt(1)
	v_fma_f64 v[3:4], v[113:114], v[107:108], v[3:4]
	s_waitcnt vmcnt(0)
	s_delay_alu instid0(VALU_DEP_1) | instskip(SKIP_1) | instid1(VALU_DEP_1)
	v_fma_f64 v[3:4], v[115:116], v[109:110], v[3:4]
	s_waitcnt lgkmcnt(0)
	v_fma_f64 v[3:4], v[117:118], v[111:112], v[3:4]
	s_delay_alu instid0(VALU_DEP_1)
	v_add_f64 v[1:2], v[1:2], -v[3:4]
	scratch_store_b64 off, v[1:2], off offset:16
	v_cmpx_lt_u32_e32 1, v0
	s_cbranch_execz .LBB49_307
; %bb.306:
	scratch_load_b64 v[1:2], off, off offset:8
	v_mov_b32_e32 v107, v106
	scratch_store_b64 off, v[106:107], off offset:8
	s_waitcnt vmcnt(0)
	ds_store_b64 v5, v[1:2]
.LBB49_307:
	s_or_b32 exec_lo, exec_lo, s0
	s_waitcnt lgkmcnt(0)
	s_waitcnt_vscnt null, 0x0
	s_barrier
	buffer_gl0_inv
	s_clause 0x4
	scratch_load_b128 v[1:4], off, off offset:8
	scratch_load_b128 v[107:110], off, off offset:24
	;; [unrolled: 1-line block ×5, first 2 shown]
	ds_load_b128 v[123:126], v106 offset:416
	ds_load_b128 v[127:130], v106 offset:432
	scratch_load_b128 v[131:134], off, off offset:88
	s_mov_b32 s0, exec_lo
	s_waitcnt vmcnt(5) lgkmcnt(1)
	v_fma_f64 v[3:4], v[3:4], v[123:124], 0
	s_waitcnt vmcnt(4)
	s_delay_alu instid0(VALU_DEP_1) | instskip(SKIP_1) | instid1(VALU_DEP_1)
	v_fma_f64 v[3:4], v[107:108], v[125:126], v[3:4]
	s_waitcnt lgkmcnt(0)
	v_fma_f64 v[3:4], v[109:110], v[127:128], v[3:4]
	scratch_load_b128 v[107:110], off, off offset:104
	s_waitcnt vmcnt(4)
	v_fma_f64 v[3:4], v[111:112], v[129:130], v[3:4]
	ds_load_b128 v[123:126], v106 offset:448
	ds_load_b128 v[127:130], v106 offset:464
	s_waitcnt lgkmcnt(1)
	v_fma_f64 v[3:4], v[113:114], v[123:124], v[3:4]
	scratch_load_b128 v[111:114], off, off offset:120
	s_waitcnt vmcnt(4)
	v_fma_f64 v[3:4], v[115:116], v[125:126], v[3:4]
	s_waitcnt lgkmcnt(0)
	s_delay_alu instid0(VALU_DEP_1)
	v_fma_f64 v[3:4], v[117:118], v[127:128], v[3:4]
	scratch_load_b128 v[115:118], off, off offset:136
	s_waitcnt vmcnt(4)
	v_fma_f64 v[3:4], v[119:120], v[129:130], v[3:4]
	ds_load_b128 v[123:126], v106 offset:480
	ds_load_b128 v[127:130], v106 offset:496
	s_waitcnt lgkmcnt(1)
	v_fma_f64 v[3:4], v[121:122], v[123:124], v[3:4]
	scratch_load_b128 v[119:122], off, off offset:152
	s_waitcnt vmcnt(4)
	v_fma_f64 v[3:4], v[131:132], v[125:126], v[3:4]
	scratch_load_b128 v[123:126], off, off offset:168
	s_waitcnt lgkmcnt(0)
	v_fma_f64 v[3:4], v[133:134], v[127:128], v[3:4]
	s_waitcnt vmcnt(4)
	s_delay_alu instid0(VALU_DEP_1)
	v_fma_f64 v[3:4], v[107:108], v[129:130], v[3:4]
	ds_load_b128 v[127:130], v106 offset:512
	ds_load_b128 v[131:134], v106 offset:528
	s_waitcnt lgkmcnt(1)
	v_fma_f64 v[3:4], v[109:110], v[127:128], v[3:4]
	scratch_load_b128 v[107:110], off, off offset:184
	s_waitcnt vmcnt(4)
	v_fma_f64 v[3:4], v[111:112], v[129:130], v[3:4]
	s_waitcnt lgkmcnt(0)
	s_delay_alu instid0(VALU_DEP_1)
	v_fma_f64 v[3:4], v[113:114], v[131:132], v[3:4]
	scratch_load_b128 v[111:114], off, off offset:200
	s_waitcnt vmcnt(4)
	v_fma_f64 v[3:4], v[115:116], v[133:134], v[3:4]
	ds_load_b128 v[127:130], v106 offset:544
	ds_load_b128 v[131:134], v106 offset:560
	s_waitcnt lgkmcnt(1)
	v_fma_f64 v[3:4], v[117:118], v[127:128], v[3:4]
	scratch_load_b128 v[115:118], off, off offset:216
	s_waitcnt vmcnt(4)
	v_fma_f64 v[3:4], v[119:120], v[129:130], v[3:4]
	s_waitcnt lgkmcnt(0)
	s_delay_alu instid0(VALU_DEP_1)
	v_fma_f64 v[3:4], v[121:122], v[131:132], v[3:4]
	scratch_load_b128 v[119:122], off, off offset:232
	s_waitcnt vmcnt(4)
	;; [unrolled: 13-line block ×6, first 2 shown]
	v_fma_f64 v[3:4], v[115:116], v[133:134], v[3:4]
	ds_load_b128 v[127:130], v106 offset:704
	ds_load_b128 v[131:134], v106 offset:720
	s_waitcnt lgkmcnt(1)
	v_fma_f64 v[3:4], v[117:118], v[127:128], v[3:4]
	scratch_load_b128 v[115:118], off, off offset:376
	s_waitcnt vmcnt(4)
	v_fma_f64 v[3:4], v[119:120], v[129:130], v[3:4]
	s_waitcnt lgkmcnt(0)
	s_delay_alu instid0(VALU_DEP_1)
	v_fma_f64 v[3:4], v[121:122], v[131:132], v[3:4]
	scratch_load_b64 v[131:132], off, off offset:392
	ds_load_b128 v[119:122], v106 offset:736
	ds_load_b128 v[127:130], v106 offset:752
	s_waitcnt vmcnt(4)
	v_fma_f64 v[3:4], v[123:124], v[133:134], v[3:4]
	s_waitcnt lgkmcnt(1)
	s_delay_alu instid0(VALU_DEP_1) | instskip(SKIP_1) | instid1(VALU_DEP_1)
	v_fma_f64 v[3:4], v[125:126], v[119:120], v[3:4]
	s_waitcnt vmcnt(3)
	v_fma_f64 v[3:4], v[107:108], v[121:122], v[3:4]
	s_waitcnt lgkmcnt(0)
	s_delay_alu instid0(VALU_DEP_1)
	v_fma_f64 v[3:4], v[109:110], v[127:128], v[3:4]
	ds_load_b128 v[107:110], v106 offset:768
	ds_load_b128 v[119:122], v106 offset:784
	s_waitcnt vmcnt(2)
	v_fma_f64 v[3:4], v[111:112], v[129:130], v[3:4]
	s_waitcnt lgkmcnt(1)
	s_delay_alu instid0(VALU_DEP_1) | instskip(SKIP_1) | instid1(VALU_DEP_1)
	v_fma_f64 v[3:4], v[113:114], v[107:108], v[3:4]
	s_waitcnt vmcnt(1)
	v_fma_f64 v[3:4], v[115:116], v[109:110], v[3:4]
	s_waitcnt lgkmcnt(0)
	s_delay_alu instid0(VALU_DEP_1) | instskip(SKIP_1) | instid1(VALU_DEP_1)
	v_fma_f64 v[3:4], v[117:118], v[119:120], v[3:4]
	s_waitcnt vmcnt(0)
	v_fma_f64 v[3:4], v[131:132], v[121:122], v[3:4]
	s_delay_alu instid0(VALU_DEP_1)
	v_add_f64 v[1:2], v[1:2], -v[3:4]
	scratch_store_b64 off, v[1:2], off offset:8
	v_cmpx_ne_u32_e32 0, v0
	s_cbranch_execz .LBB49_309
; %bb.308:
	scratch_load_b64 v[0:1], off, off
	v_mov_b32_e32 v2, 0
	s_delay_alu instid0(VALU_DEP_1)
	v_mov_b32_e32 v3, v2
	scratch_store_b64 off, v[2:3], off
	s_waitcnt vmcnt(0)
	ds_store_b64 v5, v[0:1]
.LBB49_309:
	s_or_b32 exec_lo, exec_lo, s0
	s_waitcnt lgkmcnt(0)
	s_waitcnt_vscnt null, 0x0
	s_barrier
	buffer_gl0_inv
	s_clause 0x4
	scratch_load_b128 v[0:3], off, off
	scratch_load_b128 v[106:109], off, off offset:16
	scratch_load_b128 v[110:113], off, off offset:32
	;; [unrolled: 1-line block ×4, first 2 shown]
	v_mov_b32_e32 v130, 0
	ds_load_2addr_b64 v[122:125], v130 offset0:51 offset1:52
	ds_load_2addr_b64 v[126:129], v130 offset0:53 offset1:54
	s_and_b32 vcc_lo, exec_lo, s16
	s_waitcnt vmcnt(4) lgkmcnt(1)
	v_fma_f64 v[122:123], v[2:3], v[122:123], 0
	scratch_load_b128 v[2:5], off, off offset:80
	s_waitcnt vmcnt(4)
	v_fma_f64 v[106:107], v[106:107], v[124:125], v[122:123]
	s_waitcnt lgkmcnt(0)
	s_delay_alu instid0(VALU_DEP_1)
	v_fma_f64 v[122:123], v[108:109], v[126:127], v[106:107]
	scratch_load_b128 v[106:109], off, off offset:96
	s_waitcnt vmcnt(4)
	v_fma_f64 v[110:111], v[110:111], v[128:129], v[122:123]
	ds_load_2addr_b64 v[122:125], v130 offset0:55 offset1:56
	ds_load_2addr_b64 v[126:129], v130 offset0:57 offset1:58
	s_waitcnt lgkmcnt(1)
	v_fma_f64 v[122:123], v[112:113], v[122:123], v[110:111]
	scratch_load_b128 v[110:113], off, off offset:112
	s_waitcnt vmcnt(4)
	v_fma_f64 v[114:115], v[114:115], v[124:125], v[122:123]
	s_waitcnt lgkmcnt(0)
	s_delay_alu instid0(VALU_DEP_1)
	v_fma_f64 v[122:123], v[116:117], v[126:127], v[114:115]
	scratch_load_b128 v[114:117], off, off offset:128
	s_waitcnt vmcnt(4)
	v_fma_f64 v[118:119], v[118:119], v[128:129], v[122:123]
	ds_load_2addr_b64 v[122:125], v130 offset0:59 offset1:60
	ds_load_2addr_b64 v[126:129], v130 offset0:61 offset1:62
	s_waitcnt lgkmcnt(1)
	;; [unrolled: 13-line block ×7, first 2 shown]
	v_fma_f64 v[122:123], v[120:121], v[122:123], v[118:119]
	scratch_load_b128 v[118:121], off, off offset:304
	s_waitcnt vmcnt(4)
	v_fma_f64 v[2:3], v[2:3], v[124:125], v[122:123]
	scratch_load_b128 v[122:125], off, off offset:320
	s_waitcnt lgkmcnt(0)
	v_fma_f64 v[2:3], v[4:5], v[126:127], v[2:3]
	s_waitcnt vmcnt(4)
	s_delay_alu instid0(VALU_DEP_1)
	v_fma_f64 v[106:107], v[106:107], v[128:129], v[2:3]
	ds_load_2addr_b64 v[2:5], v130 offset0:83 offset1:84
	ds_load_2addr_b64 v[126:129], v130 offset0:85 offset1:86
	s_waitcnt lgkmcnt(1)
	v_fma_f64 v[2:3], v[108:109], v[2:3], v[106:107]
	scratch_load_b128 v[106:109], off, off offset:336
	s_waitcnt vmcnt(4)
	v_fma_f64 v[2:3], v[110:111], v[4:5], v[2:3]
	s_waitcnt lgkmcnt(0)
	s_delay_alu instid0(VALU_DEP_1)
	v_fma_f64 v[2:3], v[112:113], v[126:127], v[2:3]
	scratch_load_b128 v[110:113], off, off offset:352
	s_waitcnt vmcnt(4)
	v_fma_f64 v[114:115], v[114:115], v[128:129], v[2:3]
	ds_load_2addr_b64 v[2:5], v130 offset0:87 offset1:88
	ds_load_2addr_b64 v[126:129], v130 offset0:89 offset1:90
	s_waitcnt lgkmcnt(1)
	v_fma_f64 v[2:3], v[116:117], v[2:3], v[114:115]
	scratch_load_b128 v[114:117], off, off offset:368
	s_waitcnt vmcnt(4)
	v_fma_f64 v[2:3], v[118:119], v[4:5], v[2:3]
	s_waitcnt lgkmcnt(0)
	s_delay_alu instid0(VALU_DEP_1)
	v_fma_f64 v[118:119], v[120:121], v[126:127], v[2:3]
	scratch_load_b128 v[2:5], off, off offset:384
	s_waitcnt vmcnt(4)
	v_fma_f64 v[122:123], v[122:123], v[128:129], v[118:119]
	ds_load_2addr_b64 v[118:121], v130 offset0:91 offset1:92
	ds_load_2addr_b64 v[126:129], v130 offset0:93 offset1:94
	s_waitcnt lgkmcnt(1)
	v_fma_f64 v[118:119], v[124:125], v[118:119], v[122:123]
	s_waitcnt vmcnt(3)
	s_delay_alu instid0(VALU_DEP_1) | instskip(SKIP_1) | instid1(VALU_DEP_1)
	v_fma_f64 v[106:107], v[106:107], v[120:121], v[118:119]
	s_waitcnt lgkmcnt(0)
	v_fma_f64 v[106:107], v[108:109], v[126:127], v[106:107]
	s_waitcnt vmcnt(2)
	s_delay_alu instid0(VALU_DEP_1)
	v_fma_f64 v[110:111], v[110:111], v[128:129], v[106:107]
	ds_load_2addr_b64 v[106:109], v130 offset0:95 offset1:96
	ds_load_2addr_b64 v[118:121], v130 offset0:97 offset1:98
	s_waitcnt lgkmcnt(1)
	v_fma_f64 v[106:107], v[112:113], v[106:107], v[110:111]
	s_waitcnt vmcnt(1)
	s_delay_alu instid0(VALU_DEP_1) | instskip(SKIP_4) | instid1(VALU_DEP_1)
	v_fma_f64 v[106:107], v[114:115], v[108:109], v[106:107]
	ds_load_b64 v[108:109], v130 offset:792
	s_waitcnt lgkmcnt(1)
	v_fma_f64 v[106:107], v[116:117], v[118:119], v[106:107]
	s_waitcnt vmcnt(0)
	v_fma_f64 v[106:107], v[2:3], v[120:121], v[106:107]
	s_waitcnt lgkmcnt(0)
	s_delay_alu instid0(VALU_DEP_1) | instskip(NEXT) | instid1(VALU_DEP_1)
	v_fma_f64 v[4:5], v[4:5], v[108:109], v[106:107]
	v_add_f64 v[0:1], v[0:1], -v[4:5]
	scratch_store_b64 off, v[0:1], off
	s_cbranch_vccz .LBB49_409
; %bb.310:
	v_dual_mov_b32 v0, s12 :: v_dual_mov_b32 v1, s13
	s_mov_b32 s0, exec_lo
	flat_load_b32 v0, v[0:1] offset:192
	s_waitcnt vmcnt(0) lgkmcnt(0)
	v_cmpx_ne_u32_e32 49, v0
	s_cbranch_execz .LBB49_312
; %bb.311:
	v_lshl_add_u32 v4, v0, 3, 0
	scratch_load_b64 v[0:1], v4, off offset:-8
	s_waitcnt vmcnt(0)
	scratch_store_b64 off, v[0:1], off offset:384
	scratch_store_b64 v4, v[2:3], off offset:-8
.LBB49_312:
	s_or_b32 exec_lo, exec_lo, s0
	v_dual_mov_b32 v0, s12 :: v_dual_mov_b32 v1, s13
	s_mov_b32 s0, exec_lo
	flat_load_b32 v0, v[0:1] offset:188
	s_waitcnt vmcnt(0) lgkmcnt(0)
	v_cmpx_ne_u32_e32 48, v0
	s_cbranch_execz .LBB49_314
; %bb.313:
	v_lshl_add_u32 v4, v0, 3, 0
	scratch_load_b64 v[0:1], v4, off offset:-8
	scratch_load_b64 v[2:3], off, off offset:376
	s_waitcnt vmcnt(1)
	scratch_store_b64 off, v[0:1], off offset:376
	s_waitcnt vmcnt(0)
	scratch_store_b64 v4, v[2:3], off offset:-8
.LBB49_314:
	s_or_b32 exec_lo, exec_lo, s0
	v_dual_mov_b32 v0, s12 :: v_dual_mov_b32 v1, s13
	s_mov_b32 s0, exec_lo
	flat_load_b32 v0, v[0:1] offset:184
	s_waitcnt vmcnt(0) lgkmcnt(0)
	v_cmpx_ne_u32_e32 47, v0
	s_cbranch_execz .LBB49_316
; %bb.315:
	v_lshl_add_u32 v4, v0, 3, 0
	scratch_load_b64 v[0:1], v4, off offset:-8
	scratch_load_b64 v[2:3], off, off offset:368
	s_waitcnt vmcnt(1)
	scratch_store_b64 off, v[0:1], off offset:368
	s_waitcnt vmcnt(0)
	scratch_store_b64 v4, v[2:3], off offset:-8
.LBB49_316:
	;; [unrolled: 16-line block ×47, first 2 shown]
	s_or_b32 exec_lo, exec_lo, s0
	v_dual_mov_b32 v0, s12 :: v_dual_mov_b32 v1, s13
	s_mov_b32 s0, exec_lo
	flat_load_b32 v2, v[0:1]
	scratch_load_b64 v[0:1], off, off
	s_waitcnt vmcnt(1) lgkmcnt(0)
	v_cmpx_ne_u32_e32 1, v2
	s_cbranch_execz .LBB49_408
; %bb.407:
	v_lshl_add_u32 v4, v2, 3, 0
	scratch_load_b64 v[2:3], v4, off offset:-8
	s_waitcnt vmcnt(0)
	scratch_store_b64 off, v[2:3], off
	scratch_store_b64 v4, v[0:1], off offset:-8
	scratch_load_b64 v[0:1], off, off
.LBB49_408:
	s_or_b32 exec_lo, exec_lo, s0
.LBB49_409:
	s_clause 0x8
	scratch_load_b128 v[2:5], off, off offset:8
	scratch_load_b128 v[106:109], off, off offset:24
	scratch_load_b128 v[110:113], off, off offset:40
	scratch_load_b128 v[114:117], off, off offset:56
	scratch_load_b128 v[118:121], off, off offset:72
	scratch_load_b128 v[122:125], off, off offset:88
	scratch_load_b128 v[126:129], off, off offset:104
	scratch_load_b128 v[130:133], off, off offset:120
	scratch_load_b128 v[134:137], off, off offset:136
	s_waitcnt vmcnt(9)
	global_store_b64 v[40:41], v[0:1], off
	s_clause 0x1
	scratch_load_b128 v[138:141], off, off offset:152
	scratch_load_b128 v[142:145], off, off offset:232
	s_waitcnt vmcnt(10)
	global_store_b64 v[38:39], v[2:3], off
	scratch_load_b128 v[0:3], off, off offset:168
	global_store_b64 v[32:33], v[4:5], off
	s_waitcnt vmcnt(10)
	s_clause 0x1
	global_store_b64 v[34:35], v[106:107], off
	global_store_b64 v[28:29], v[108:109], off
	s_waitcnt vmcnt(9)
	s_clause 0x1
	global_store_b64 v[24:25], v[110:111], off
	;; [unrolled: 4-line block ×6, first 2 shown]
	global_store_b64 v[14:15], v[128:129], off
	s_clause 0xc
	scratch_load_b128 v[38:41], off, off offset:184
	scratch_load_b128 v[32:35], off, off offset:200
	scratch_load_b128 v[106:109], off, off offset:216
	scratch_load_b128 v[28:31], off, off offset:248
	scratch_load_b128 v[24:27], off, off offset:264
	scratch_load_b128 v[110:113], off, off offset:280
	scratch_load_b128 v[114:117], off, off offset:296
	scratch_load_b128 v[20:23], off, off offset:312
	scratch_load_b128 v[118:121], off, off offset:328
	scratch_load_b128 v[10:13], off, off offset:344
	scratch_load_b128 v[122:125], off, off offset:360
	scratch_load_b128 v[126:129], off, off offset:376
	scratch_load_b64 v[4:5], off, off offset:392
	s_waitcnt vmcnt(17)
	s_clause 0x1
	global_store_b64 v[6:7], v[130:131], off
	global_store_b64 v[36:37], v[132:133], off
	s_waitcnt vmcnt(16)
	s_clause 0x1
	global_store_b64 v[42:43], v[134:135], off
	global_store_b64 v[44:45], v[136:137], off
	;; [unrolled: 4-line block ×7, first 2 shown]
	global_store_b64 v[66:67], v[142:143], off
	global_store_b64 v[68:69], v[144:145], off
	s_waitcnt vmcnt(9)
	s_clause 0x1
	global_store_b64 v[70:71], v[28:29], off
	global_store_b64 v[72:73], v[30:31], off
	s_waitcnt vmcnt(8)
	s_clause 0x1
	;; [unrolled: 4-line block ×9, first 2 shown]
	global_store_b64 v[102:103], v[126:127], off
	global_store_b64 v[104:105], v[128:129], off
	s_waitcnt vmcnt(0)
	global_store_b64 v[16:17], v[4:5], off
	s_endpgm
	.section	.rodata,"a",@progbits
	.p2align	6, 0x0
	.amdhsa_kernel _ZN9rocsolver6v33100L18getri_kernel_smallILi50EdPdEEvT1_iilPiilS4_bb
		.amdhsa_group_segment_fixed_size 808
		.amdhsa_private_segment_fixed_size 416
		.amdhsa_kernarg_size 60
		.amdhsa_user_sgpr_count 15
		.amdhsa_user_sgpr_dispatch_ptr 0
		.amdhsa_user_sgpr_queue_ptr 0
		.amdhsa_user_sgpr_kernarg_segment_ptr 1
		.amdhsa_user_sgpr_dispatch_id 0
		.amdhsa_user_sgpr_private_segment_size 0
		.amdhsa_wavefront_size32 1
		.amdhsa_uses_dynamic_stack 0
		.amdhsa_enable_private_segment 1
		.amdhsa_system_sgpr_workgroup_id_x 1
		.amdhsa_system_sgpr_workgroup_id_y 0
		.amdhsa_system_sgpr_workgroup_id_z 0
		.amdhsa_system_sgpr_workgroup_info 0
		.amdhsa_system_vgpr_workitem_id 0
		.amdhsa_next_free_vgpr 148
		.amdhsa_next_free_sgpr 18
		.amdhsa_reserve_vcc 1
		.amdhsa_float_round_mode_32 0
		.amdhsa_float_round_mode_16_64 0
		.amdhsa_float_denorm_mode_32 3
		.amdhsa_float_denorm_mode_16_64 3
		.amdhsa_dx10_clamp 1
		.amdhsa_ieee_mode 1
		.amdhsa_fp16_overflow 0
		.amdhsa_workgroup_processor_mode 1
		.amdhsa_memory_ordered 1
		.amdhsa_forward_progress 0
		.amdhsa_shared_vgpr_count 0
		.amdhsa_exception_fp_ieee_invalid_op 0
		.amdhsa_exception_fp_denorm_src 0
		.amdhsa_exception_fp_ieee_div_zero 0
		.amdhsa_exception_fp_ieee_overflow 0
		.amdhsa_exception_fp_ieee_underflow 0
		.amdhsa_exception_fp_ieee_inexact 0
		.amdhsa_exception_int_div_zero 0
	.end_amdhsa_kernel
	.section	.text._ZN9rocsolver6v33100L18getri_kernel_smallILi50EdPdEEvT1_iilPiilS4_bb,"axG",@progbits,_ZN9rocsolver6v33100L18getri_kernel_smallILi50EdPdEEvT1_iilPiilS4_bb,comdat
.Lfunc_end49:
	.size	_ZN9rocsolver6v33100L18getri_kernel_smallILi50EdPdEEvT1_iilPiilS4_bb, .Lfunc_end49-_ZN9rocsolver6v33100L18getri_kernel_smallILi50EdPdEEvT1_iilPiilS4_bb
                                        ; -- End function
	.section	.AMDGPU.csdata,"",@progbits
; Kernel info:
; codeLenInByte = 48232
; NumSgprs: 20
; NumVgprs: 148
; ScratchSize: 416
; MemoryBound: 0
; FloatMode: 240
; IeeeMode: 1
; LDSByteSize: 808 bytes/workgroup (compile time only)
; SGPRBlocks: 2
; VGPRBlocks: 18
; NumSGPRsForWavesPerEU: 20
; NumVGPRsForWavesPerEU: 148
; Occupancy: 9
; WaveLimiterHint : 1
; COMPUTE_PGM_RSRC2:SCRATCH_EN: 1
; COMPUTE_PGM_RSRC2:USER_SGPR: 15
; COMPUTE_PGM_RSRC2:TRAP_HANDLER: 0
; COMPUTE_PGM_RSRC2:TGID_X_EN: 1
; COMPUTE_PGM_RSRC2:TGID_Y_EN: 0
; COMPUTE_PGM_RSRC2:TGID_Z_EN: 0
; COMPUTE_PGM_RSRC2:TIDIG_COMP_CNT: 0
	.section	.text._ZN9rocsolver6v33100L18getri_kernel_smallILi51EdPdEEvT1_iilPiilS4_bb,"axG",@progbits,_ZN9rocsolver6v33100L18getri_kernel_smallILi51EdPdEEvT1_iilPiilS4_bb,comdat
	.globl	_ZN9rocsolver6v33100L18getri_kernel_smallILi51EdPdEEvT1_iilPiilS4_bb ; -- Begin function _ZN9rocsolver6v33100L18getri_kernel_smallILi51EdPdEEvT1_iilPiilS4_bb
	.p2align	8
	.type	_ZN9rocsolver6v33100L18getri_kernel_smallILi51EdPdEEvT1_iilPiilS4_bb,@function
_ZN9rocsolver6v33100L18getri_kernel_smallILi51EdPdEEvT1_iilPiilS4_bb: ; @_ZN9rocsolver6v33100L18getri_kernel_smallILi51EdPdEEvT1_iilPiilS4_bb
; %bb.0:
	s_mov_b32 s2, exec_lo
	v_cmpx_gt_u32_e32 51, v0
	s_cbranch_execz .LBB50_214
; %bb.1:
	s_clause 0x2
	s_load_b32 s17, s[0:1], 0x38
	s_load_b128 s[8:11], s[0:1], 0x10
	s_load_b128 s[4:7], s[0:1], 0x28
	s_mov_b32 s14, s15
                                        ; implicit-def: $sgpr12_sgpr13
	s_waitcnt lgkmcnt(0)
	s_bitcmp1_b32 s17, 8
	s_cselect_b32 s16, -1, 0
	s_bfe_u32 s2, s17, 0x10008
	s_ashr_i32 s15, s15, 31
	s_cmp_eq_u32 s2, 0
	s_cbranch_scc1 .LBB50_3
; %bb.2:
	s_load_b32 s2, s[0:1], 0x20
	s_mul_i32 s3, s14, s5
	s_mul_hi_u32 s5, s14, s4
	s_mul_i32 s12, s15, s4
	s_add_i32 s3, s5, s3
	s_mul_i32 s4, s14, s4
	s_add_i32 s5, s3, s12
	s_delay_alu instid0(SALU_CYCLE_1)
	s_lshl_b64 s[4:5], s[4:5], 2
	s_waitcnt lgkmcnt(0)
	s_ashr_i32 s3, s2, 31
	s_add_u32 s4, s10, s4
	s_addc_u32 s5, s11, s5
	s_lshl_b64 s[2:3], s[2:3], 2
	s_delay_alu instid0(SALU_CYCLE_1)
	s_add_u32 s12, s4, s2
	s_addc_u32 s13, s5, s3
.LBB50_3:
	s_load_b128 s[0:3], s[0:1], 0x0
	s_mul_i32 s4, s14, s9
	s_mul_hi_u32 s5, s14, s8
	s_mul_i32 s9, s15, s8
	s_add_i32 s5, s5, s4
	s_mul_i32 s4, s14, s8
	s_add_i32 s5, s5, s9
	v_lshlrev_b32_e32 v3, 3, v0
	s_lshl_b64 s[4:5], s[4:5], 3
	s_waitcnt lgkmcnt(0)
	s_ashr_i32 s9, s2, 31
	s_mov_b32 s8, s2
	s_add_u32 s2, s0, s4
	s_addc_u32 s5, s1, s5
	s_lshl_b64 s[0:1], s[8:9], 3
	s_mov_b32 s4, s3
	s_add_u32 s0, s2, s0
	s_addc_u32 s1, s5, s1
	v_add_co_u32 v24, s2, s0, v3
	s_ashr_i32 s5, s3, 31
	v_add_co_ci_u32_e64 v25, null, s1, 0, s2
	s_lshl_b64 s[4:5], s[4:5], 3
	v_add3_u32 v1, s3, s3, v0
	v_add_co_u32 v8, vcc_lo, v24, s4
	s_delay_alu instid0(VALU_DEP_3)
	v_add_co_ci_u32_e32 v9, vcc_lo, s5, v25, vcc_lo
	s_clause 0x1
	global_load_b64 v[42:43], v3, s[0:1]
	global_load_b64 v[44:45], v[8:9], off
	v_add_nc_u32_e32 v4, s3, v1
	v_ashrrev_i32_e32 v2, 31, v1
	s_bitcmp0_b32 s17, 0
	s_delay_alu instid0(VALU_DEP_2) | instskip(SKIP_1) | instid1(VALU_DEP_3)
	v_add_nc_u32_e32 v6, s3, v4
	v_ashrrev_i32_e32 v5, 31, v4
	v_lshlrev_b64 v[1:2], 3, v[1:2]
	s_delay_alu instid0(VALU_DEP_3) | instskip(NEXT) | instid1(VALU_DEP_3)
	v_add_nc_u32_e32 v10, s3, v6
	v_lshlrev_b64 v[4:5], 3, v[4:5]
	v_ashrrev_i32_e32 v7, 31, v6
	s_delay_alu instid0(VALU_DEP_4) | instskip(NEXT) | instid1(VALU_DEP_4)
	v_add_co_u32 v48, vcc_lo, s0, v1
	v_add_nc_u32_e32 v12, s3, v10
	v_ashrrev_i32_e32 v11, 31, v10
	v_add_co_ci_u32_e32 v49, vcc_lo, s1, v2, vcc_lo
	v_lshlrev_b64 v[1:2], 3, v[6:7]
	s_delay_alu instid0(VALU_DEP_4) | instskip(SKIP_2) | instid1(VALU_DEP_3)
	v_add_nc_u32_e32 v14, s3, v12
	v_add_co_u32 v38, vcc_lo, s0, v4
	v_add_co_ci_u32_e32 v39, vcc_lo, s1, v5, vcc_lo
	v_add_nc_u32_e32 v16, s3, v14
	v_lshlrev_b64 v[4:5], 3, v[10:11]
	v_ashrrev_i32_e32 v13, 31, v12
	v_add_co_u32 v46, vcc_lo, s0, v1
	s_delay_alu instid0(VALU_DEP_4) | instskip(SKIP_3) | instid1(VALU_DEP_4)
	v_add_nc_u32_e32 v18, s3, v16
	v_ashrrev_i32_e32 v15, 31, v14
	v_add_co_ci_u32_e32 v47, vcc_lo, s1, v2, vcc_lo
	v_lshlrev_b64 v[1:2], 3, v[12:13]
	v_add_nc_u32_e32 v20, s3, v18
	v_add_co_u32 v32, vcc_lo, s0, v4
	v_add_co_ci_u32_e32 v33, vcc_lo, s1, v5, vcc_lo
	s_delay_alu instid0(VALU_DEP_3) | instskip(SKIP_3) | instid1(VALU_DEP_4)
	v_add_nc_u32_e32 v22, s3, v20
	v_lshlrev_b64 v[4:5], 3, v[14:15]
	v_ashrrev_i32_e32 v17, 31, v16
	v_add_co_u32 v40, vcc_lo, s0, v1
	v_add_nc_u32_e32 v26, s3, v22
	v_ashrrev_i32_e32 v19, 31, v18
	v_add_co_ci_u32_e32 v41, vcc_lo, s1, v2, vcc_lo
	v_lshlrev_b64 v[1:2], 3, v[16:17]
	s_delay_alu instid0(VALU_DEP_4) | instskip(SKIP_2) | instid1(VALU_DEP_3)
	v_add_nc_u32_e32 v30, s3, v26
	v_add_co_u32 v28, vcc_lo, s0, v4
	v_add_co_ci_u32_e32 v29, vcc_lo, s1, v5, vcc_lo
	v_add_nc_u32_e32 v50, s3, v30
	v_lshlrev_b64 v[4:5], 3, v[18:19]
	v_add_co_u32 v36, vcc_lo, s0, v1
	v_add_co_ci_u32_e32 v37, vcc_lo, s1, v2, vcc_lo
	s_delay_alu instid0(VALU_DEP_4) | instskip(NEXT) | instid1(VALU_DEP_4)
	v_add_nc_u32_e32 v74, s3, v50
	v_add_co_u32 v18, vcc_lo, s0, v4
	v_ashrrev_i32_e32 v21, 31, v20
	s_clause 0x2
	global_load_b64 v[52:53], v[48:49], off
	global_load_b64 v[54:55], v[38:39], off
	;; [unrolled: 1-line block ×3, first 2 shown]
	v_add_nc_u32_e32 v76, s3, v74
	global_load_b64 v[58:59], v[32:33], off
	v_ashrrev_i32_e32 v23, 31, v22
	v_lshlrev_b64 v[1:2], 3, v[20:21]
	v_add_co_ci_u32_e32 v19, vcc_lo, s1, v5, vcc_lo
	v_add_nc_u32_e32 v78, s3, v76
	s_delay_alu instid0(VALU_DEP_4) | instskip(SKIP_2) | instid1(VALU_DEP_4)
	v_lshlrev_b64 v[5:6], 3, v[22:23]
	v_ashrrev_i32_e32 v27, 31, v26
	v_add_co_u32 v34, vcc_lo, s0, v1
	v_add_nc_u32_e32 v84, s3, v78
	v_ashrrev_i32_e32 v31, 31, v30
	v_add_co_ci_u32_e32 v35, vcc_lo, s1, v2, vcc_lo
	v_lshlrev_b64 v[1:2], 3, v[26:27]
	s_delay_alu instid0(VALU_DEP_4)
	v_add_nc_u32_e32 v86, s3, v84
	v_add_co_u32 v20, vcc_lo, s0, v5
	s_clause 0x3
	global_load_b64 v[60:61], v[40:41], off
	global_load_b64 v[62:63], v[28:29], off
	;; [unrolled: 1-line block ×4, first 2 shown]
	v_add_nc_u32_e32 v88, s3, v86
	v_add_co_ci_u32_e32 v21, vcc_lo, s1, v6, vcc_lo
	v_lshlrev_b64 v[5:6], 3, v[30:31]
	v_ashrrev_i32_e32 v51, 31, v50
	s_delay_alu instid0(VALU_DEP_4) | instskip(SKIP_3) | instid1(VALU_DEP_4)
	v_add_nc_u32_e32 v90, s3, v88
	v_add_co_u32 v26, vcc_lo, s0, v1
	v_ashrrev_i32_e32 v75, 31, v74
	v_add_co_ci_u32_e32 v27, vcc_lo, s1, v2, vcc_lo
	v_add_nc_u32_e32 v92, s3, v90
	v_lshlrev_b64 v[1:2], 3, v[50:51]
	v_add_co_u32 v12, vcc_lo, s0, v5
	v_add_co_ci_u32_e32 v13, vcc_lo, s1, v6, vcc_lo
	s_delay_alu instid0(VALU_DEP_4)
	v_add_nc_u32_e32 v94, s3, v92
	v_lshlrev_b64 v[5:6], 3, v[74:75]
	v_ashrrev_i32_e32 v77, 31, v76
	s_clause 0x2
	global_load_b64 v[68:69], v[34:35], off
	global_load_b64 v[70:71], v[20:21], off
	;; [unrolled: 1-line block ×3, first 2 shown]
	v_add_co_u32 v22, vcc_lo, s0, v1
	v_add_nc_u32_e32 v96, s3, v94
	global_load_b64 v[74:75], v[12:13], off
	v_add_co_ci_u32_e32 v23, vcc_lo, s1, v2, vcc_lo
	v_lshlrev_b64 v[1:2], 3, v[76:77]
	v_add_nc_u32_e32 v98, s3, v96
	v_ashrrev_i32_e32 v79, 31, v78
	v_add_co_u32 v14, vcc_lo, s0, v5
	v_add_co_ci_u32_e32 v15, vcc_lo, s1, v6, vcc_lo
	s_delay_alu instid0(VALU_DEP_4) | instskip(NEXT) | instid1(VALU_DEP_4)
	v_add_nc_u32_e32 v100, s3, v98
	v_lshlrev_b64 v[30:31], 3, v[78:79]
	v_add_co_u32 v16, vcc_lo, s0, v1
	v_add_co_ci_u32_e32 v17, vcc_lo, s1, v2, vcc_lo
	s_delay_alu instid0(VALU_DEP_4)
	v_add_nc_u32_e32 v102, s3, v100
	v_ashrrev_i32_e32 v85, 31, v84
	v_ashrrev_i32_e32 v87, 31, v86
	;; [unrolled: 1-line block ×4, first 2 shown]
	v_add_nc_u32_e32 v104, s3, v102
	v_ashrrev_i32_e32 v93, 31, v92
	v_ashrrev_i32_e32 v95, 31, v94
	;; [unrolled: 1-line block ×3, first 2 shown]
	v_lshlrev_b64 v[50:51], 3, v[90:91]
	v_add_nc_u32_e32 v106, s3, v104
	v_lshlrev_b64 v[92:93], 3, v[92:93]
	v_ashrrev_i32_e32 v99, 31, v98
	v_ashrrev_i32_e32 v101, 31, v100
	;; [unrolled: 1-line block ×3, first 2 shown]
	v_add_nc_u32_e32 v108, s3, v106
	v_ashrrev_i32_e32 v105, 31, v104
	v_ashrrev_i32_e32 v107, 31, v106
	v_lshlrev_b64 v[100:101], 3, v[100:101]
	s_delay_alu instid0(VALU_DEP_4) | instskip(SKIP_1) | instid1(VALU_DEP_2)
	v_add_nc_u32_e32 v110, s3, v108
	v_ashrrev_i32_e32 v109, 31, v108
	v_add_nc_u32_e32 v112, s3, v110
	v_ashrrev_i32_e32 v111, 31, v110
	s_delay_alu instid0(VALU_DEP_2) | instskip(SKIP_1) | instid1(VALU_DEP_2)
	v_add_nc_u32_e32 v114, s3, v112
	v_ashrrev_i32_e32 v113, 31, v112
	v_add_nc_u32_e32 v116, s3, v114
	v_ashrrev_i32_e32 v115, 31, v114
	s_delay_alu instid0(VALU_DEP_2) | instskip(SKIP_1) | instid1(VALU_DEP_2)
	v_add_nc_u32_e32 v118, s3, v116
	v_ashrrev_i32_e32 v117, 31, v116
	v_add_nc_u32_e32 v120, s3, v118
	v_ashrrev_i32_e32 v119, 31, v118
	s_delay_alu instid0(VALU_DEP_2) | instskip(SKIP_1) | instid1(VALU_DEP_2)
	v_add_nc_u32_e32 v122, s3, v120
	v_ashrrev_i32_e32 v121, 31, v120
	v_add_nc_u32_e32 v124, s3, v122
	v_ashrrev_i32_e32 v123, 31, v122
	s_delay_alu instid0(VALU_DEP_2) | instskip(SKIP_1) | instid1(VALU_DEP_2)
	v_add_nc_u32_e32 v126, s3, v124
	v_ashrrev_i32_e32 v125, 31, v124
	v_add_nc_u32_e32 v128, s3, v126
	v_ashrrev_i32_e32 v127, 31, v126
	s_delay_alu instid0(VALU_DEP_2) | instskip(SKIP_1) | instid1(VALU_DEP_2)
	v_add_nc_u32_e32 v130, s3, v128
	v_ashrrev_i32_e32 v129, 31, v128
	v_add_nc_u32_e32 v132, s3, v130
	v_ashrrev_i32_e32 v131, 31, v130
	s_delay_alu instid0(VALU_DEP_2) | instskip(SKIP_1) | instid1(VALU_DEP_2)
	v_add_nc_u32_e32 v134, s3, v132
	v_ashrrev_i32_e32 v133, 31, v132
	v_add_nc_u32_e32 v4, s3, v134
	v_ashrrev_i32_e32 v135, 31, v134
	s_delay_alu instid0(VALU_DEP_2) | instskip(SKIP_1) | instid1(VALU_DEP_2)
	v_add_nc_u32_e32 v136, s3, v4
	v_ashrrev_i32_e32 v5, 31, v4
	v_add_nc_u32_e32 v138, s3, v136
	s_delay_alu instid0(VALU_DEP_2) | instskip(SKIP_1) | instid1(VALU_DEP_3)
	v_lshlrev_b64 v[4:5], 3, v[4:5]
	v_ashrrev_i32_e32 v137, 31, v136
	v_add_nc_u32_e32 v140, s3, v138
	v_ashrrev_i32_e32 v139, 31, v138
	s_delay_alu instid0(VALU_DEP_2) | instskip(SKIP_1) | instid1(VALU_DEP_2)
	v_add_nc_u32_e32 v142, s3, v140
	v_ashrrev_i32_e32 v141, 31, v140
	v_add_nc_u32_e32 v144, s3, v142
	v_ashrrev_i32_e32 v143, 31, v142
	s_delay_alu instid0(VALU_DEP_2) | instskip(SKIP_1) | instid1(VALU_DEP_2)
	v_add_nc_u32_e32 v10, s3, v144
	v_ashrrev_i32_e32 v145, 31, v144
	v_ashrrev_i32_e32 v11, 31, v10
	s_delay_alu instid0(VALU_DEP_1) | instskip(NEXT) | instid1(VALU_DEP_1)
	v_lshlrev_b64 v[6:7], 3, v[10:11]
	v_add_co_u32 v6, vcc_lo, s0, v6
	s_delay_alu instid0(VALU_DEP_2) | instskip(SKIP_4) | instid1(VALU_DEP_1)
	v_add_co_ci_u32_e32 v7, vcc_lo, s1, v7, vcc_lo
	v_add_co_u32 v10, vcc_lo, s0, v30
	v_add_co_ci_u32_e32 v11, vcc_lo, s1, v31, vcc_lo
	global_load_b64 v[1:2], v[6:7], off
	v_lshlrev_b64 v[30:31], 3, v[84:85]
	v_add_co_u32 v30, vcc_lo, s0, v30
	s_delay_alu instid0(VALU_DEP_2)
	v_add_co_ci_u32_e32 v31, vcc_lo, s1, v31, vcc_lo
	s_waitcnt vmcnt(13)
	scratch_store_b128 off, v[42:45], off
	s_clause 0x3
	global_load_b64 v[76:77], v[22:23], off
	global_load_b64 v[78:79], v[14:15], off
	;; [unrolled: 1-line block ×4, first 2 shown]
	v_lshlrev_b64 v[42:43], 3, v[86:87]
	v_lshlrev_b64 v[44:45], 3, v[88:89]
	s_waitcnt vmcnt(15)
	scratch_store_b128 off, v[52:55], off offset:16
	s_waitcnt vmcnt(13)
	scratch_store_b128 off, v[56:59], off offset:32
	v_add_co_u32 v42, vcc_lo, s0, v42
	v_add_co_ci_u32_e32 v43, vcc_lo, s1, v43, vcc_lo
	v_add_co_u32 v44, vcc_lo, s0, v44
	v_add_co_ci_u32_e32 v45, vcc_lo, s1, v45, vcc_lo
	;; [unrolled: 2-line block ×3, first 2 shown]
	v_lshlrev_b64 v[54:55], 3, v[94:95]
	v_add_co_u32 v52, vcc_lo, s0, v92
	v_lshlrev_b64 v[56:57], 3, v[96:97]
	s_clause 0x3
	global_load_b64 v[84:85], v[30:31], off
	global_load_b64 v[86:87], v[42:43], off
	;; [unrolled: 1-line block ×4, first 2 shown]
	v_add_co_ci_u32_e32 v53, vcc_lo, s1, v93, vcc_lo
	v_add_co_u32 v54, vcc_lo, s0, v54
	v_lshlrev_b64 v[58:59], 3, v[98:99]
	v_add_co_ci_u32_e32 v55, vcc_lo, s1, v55, vcc_lo
	v_add_co_u32 v56, vcc_lo, s0, v56
	v_add_co_ci_u32_e32 v57, vcc_lo, s1, v57, vcc_lo
	s_delay_alu instid0(VALU_DEP_4)
	v_add_co_u32 v58, vcc_lo, s0, v58
	v_add_co_ci_u32_e32 v59, vcc_lo, s1, v59, vcc_lo
	s_waitcnt vmcnt(15)
	scratch_store_b128 off, v[60:63], off offset:48
	s_waitcnt vmcnt(13)
	scratch_store_b128 off, v[64:67], off offset:64
	v_lshlrev_b64 v[62:63], 3, v[102:103]
	s_clause 0x3
	global_load_b64 v[92:93], v[52:53], off
	global_load_b64 v[94:95], v[54:55], off
	;; [unrolled: 1-line block ×4, first 2 shown]
	v_add_co_u32 v60, vcc_lo, s0, v100
	v_lshlrev_b64 v[64:65], 3, v[104:105]
	v_add_co_ci_u32_e32 v61, vcc_lo, s1, v101, vcc_lo
	v_add_co_u32 v62, vcc_lo, s0, v62
	v_lshlrev_b64 v[66:67], 3, v[106:107]
	v_add_co_ci_u32_e32 v63, vcc_lo, s1, v63, vcc_lo
	v_add_co_u32 v64, vcc_lo, s0, v64
	v_add_co_ci_u32_e32 v65, vcc_lo, s1, v65, vcc_lo
	s_delay_alu instid0(VALU_DEP_4)
	v_add_co_u32 v66, vcc_lo, s0, v66
	s_waitcnt vmcnt(15)
	scratch_store_b128 off, v[68:71], off offset:80
	s_waitcnt vmcnt(13)
	scratch_store_b128 off, v[72:75], off offset:96
	v_lshlrev_b64 v[68:69], 3, v[108:109]
	v_add_co_ci_u32_e32 v67, vcc_lo, s1, v67, vcc_lo
	s_clause 0x3
	global_load_b64 v[100:101], v[60:61], off
	global_load_b64 v[102:103], v[62:63], off
	;; [unrolled: 1-line block ×4, first 2 shown]
	v_lshlrev_b64 v[70:71], 3, v[110:111]
	v_lshlrev_b64 v[72:73], 3, v[112:113]
	v_add_co_u32 v68, vcc_lo, s0, v68
	v_add_co_ci_u32_e32 v69, vcc_lo, s1, v69, vcc_lo
	s_delay_alu instid0(VALU_DEP_4) | instskip(SKIP_4) | instid1(VALU_DEP_4)
	v_add_co_u32 v70, vcc_lo, s0, v70
	v_lshlrev_b64 v[74:75], 3, v[114:115]
	v_add_co_ci_u32_e32 v71, vcc_lo, s1, v71, vcc_lo
	v_add_co_u32 v72, vcc_lo, s0, v72
	v_add_co_ci_u32_e32 v73, vcc_lo, s1, v73, vcc_lo
	v_add_co_u32 v74, vcc_lo, s0, v74
	v_add_co_ci_u32_e32 v75, vcc_lo, s1, v75, vcc_lo
	s_waitcnt vmcnt(14)
	scratch_store_b128 off, v[76:79], off offset:112
	s_waitcnt vmcnt(12)
	scratch_store_b128 off, v[80:83], off offset:128
	s_clause 0x3
	global_load_b64 v[108:109], v[68:69], off
	global_load_b64 v[110:111], v[70:71], off
	;; [unrolled: 1-line block ×4, first 2 shown]
	v_lshlrev_b64 v[76:77], 3, v[116:117]
	v_lshlrev_b64 v[78:79], 3, v[118:119]
	;; [unrolled: 1-line block ×5, first 2 shown]
	s_waitcnt vmcnt(14)
	scratch_store_b128 off, v[84:87], off offset:144
	s_waitcnt vmcnt(12)
	scratch_store_b128 off, v[88:91], off offset:160
	v_add_co_u32 v76, vcc_lo, s0, v76
	v_add_co_ci_u32_e32 v77, vcc_lo, s1, v77, vcc_lo
	v_add_co_u32 v78, vcc_lo, s0, v78
	v_add_co_ci_u32_e32 v79, vcc_lo, s1, v79, vcc_lo
	;; [unrolled: 2-line block ×3, first 2 shown]
	v_add_co_u32 v82, vcc_lo, s0, v82
	v_lshlrev_b64 v[86:87], 3, v[126:127]
	v_add_co_ci_u32_e32 v83, vcc_lo, s1, v83, vcc_lo
	v_add_co_u32 v84, vcc_lo, s0, v122
	v_lshlrev_b64 v[88:89], 3, v[128:129]
	v_add_co_ci_u32_e32 v85, vcc_lo, s1, v123, vcc_lo
	;; [unrolled: 3-line block ×4, first 2 shown]
	s_clause 0x2
	global_load_b64 v[116:117], v[76:77], off
	global_load_b64 v[118:119], v[78:79], off
	;; [unrolled: 1-line block ×3, first 2 shown]
	s_waitcnt vmcnt(13)
	scratch_store_b128 off, v[92:95], off offset:176
	s_waitcnt vmcnt(11)
	scratch_store_b128 off, v[96:99], off offset:192
	v_add_co_u32 v90, vcc_lo, s0, v90
	v_lshlrev_b64 v[94:95], 3, v[134:135]
	v_add_co_ci_u32_e32 v91, vcc_lo, s1, v91, vcc_lo
	v_add_co_u32 v92, vcc_lo, s0, v130
	v_add_co_ci_u32_e32 v93, vcc_lo, s1, v131, vcc_lo
	s_delay_alu instid0(VALU_DEP_4)
	v_add_co_u32 v94, vcc_lo, s0, v94
	v_add_co_ci_u32_e32 v95, vcc_lo, s1, v95, vcc_lo
	v_lshlrev_b64 v[98:99], 3, v[136:137]
	v_add_co_u32 v96, vcc_lo, s0, v4
	v_add_co_ci_u32_e32 v97, vcc_lo, s1, v5, vcc_lo
	v_lshlrev_b64 v[4:5], 3, v[138:139]
	s_clause 0x3
	global_load_b64 v[122:123], v[82:83], off
	global_load_b64 v[124:125], v[84:85], off
	global_load_b64 v[126:127], v[86:87], off
	global_load_b64 v[128:129], v[88:89], off
	s_waitcnt vmcnt(13)
	scratch_store_b128 off, v[100:103], off offset:208
	s_waitcnt vmcnt(11)
	scratch_store_b128 off, v[104:107], off offset:224
	v_add_co_u32 v98, vcc_lo, s0, v98
	v_lshlrev_b64 v[102:103], 3, v[140:141]
	v_add_co_ci_u32_e32 v99, vcc_lo, s1, v99, vcc_lo
	v_add_co_u32 v100, vcc_lo, s0, v4
	v_add_co_ci_u32_e32 v101, vcc_lo, s1, v5, vcc_lo
	v_lshlrev_b64 v[4:5], 3, v[142:143]
	v_add_co_u32 v104, vcc_lo, s0, v102
	v_add_co_ci_u32_e32 v105, vcc_lo, s1, v103, vcc_lo
	v_lshlrev_b64 v[102:103], 3, v[144:145]
	s_delay_alu instid0(VALU_DEP_4)
	v_add_co_u32 v106, vcc_lo, s0, v4
	v_add_co_ci_u32_e32 v107, vcc_lo, s1, v5, vcc_lo
	s_clause 0x3
	global_load_b64 v[130:131], v[90:91], off
	global_load_b64 v[132:133], v[92:93], off
	;; [unrolled: 1-line block ×4, first 2 shown]
	v_add_co_u32 v102, vcc_lo, s0, v102
	v_add_co_ci_u32_e32 v103, vcc_lo, s1, v103, vcc_lo
	s_mov_b32 s1, -1
	s_waitcnt vmcnt(13)
	scratch_store_b128 off, v[108:111], off offset:240
	s_waitcnt vmcnt(11)
	scratch_store_b128 off, v[112:115], off offset:256
	s_clause 0x4
	global_load_b64 v[138:139], v[98:99], off
	global_load_b64 v[108:109], v[100:101], off
	global_load_b64 v[110:111], v[104:105], off
	global_load_b64 v[112:113], v[106:107], off
	global_load_b64 v[114:115], v[102:103], off
	s_waitcnt vmcnt(14)
	scratch_store_b128 off, v[116:119], off offset:272
	s_waitcnt vmcnt(12)
	scratch_store_b128 off, v[120:123], off offset:288
	;; [unrolled: 2-line block ×7, first 2 shown]
	s_waitcnt vmcnt(0)
	s_clause 0x1
	scratch_store_b128 off, v[112:115], off offset:384
	scratch_store_b64 off, v[1:2], off offset:400
	s_cbranch_scc1 .LBB50_212
; %bb.4:
	v_cmp_eq_u32_e64 s0, 0, v0
	s_delay_alu instid0(VALU_DEP_1)
	s_and_saveexec_b32 s1, s0
	s_cbranch_execz .LBB50_6
; %bb.5:
	v_mov_b32_e32 v1, 0
	ds_store_b32 v1, v1 offset:408
.LBB50_6:
	s_or_b32 exec_lo, exec_lo, s1
	s_waitcnt lgkmcnt(0)
	s_waitcnt_vscnt null, 0x0
	s_barrier
	buffer_gl0_inv
	scratch_load_b64 v[1:2], v3, off
	s_mov_b32 s2, exec_lo
	s_waitcnt vmcnt(0)
	v_cmpx_eq_f64_e32 0, v[1:2]
	s_cbranch_execz .LBB50_10
; %bb.7:
	v_mov_b32_e32 v1, 0
	s_mov_b32 s3, 0
	ds_load_b32 v2, v1 offset:408
	s_waitcnt lgkmcnt(0)
	v_readfirstlane_b32 s1, v2
	v_add_nc_u32_e32 v2, 1, v0
	s_delay_alu instid0(VALU_DEP_2) | instskip(NEXT) | instid1(VALU_DEP_1)
	s_cmp_eq_u32 s1, 0
	v_cmp_gt_i32_e32 vcc_lo, s1, v2
	s_cselect_b32 s4, -1, 0
	s_delay_alu instid0(SALU_CYCLE_1) | instskip(NEXT) | instid1(SALU_CYCLE_1)
	s_or_b32 s4, s4, vcc_lo
	s_and_b32 exec_lo, exec_lo, s4
	s_cbranch_execz .LBB50_10
; %bb.8:
	v_mov_b32_e32 v4, s1
.LBB50_9:                               ; =>This Inner Loop Header: Depth=1
	ds_cmpstore_rtn_b32 v4, v1, v2, v4 offset:408
	s_waitcnt lgkmcnt(0)
	v_cmp_ne_u32_e32 vcc_lo, 0, v4
	v_cmp_le_i32_e64 s1, v4, v2
	s_delay_alu instid0(VALU_DEP_1) | instskip(NEXT) | instid1(SALU_CYCLE_1)
	s_and_b32 s1, vcc_lo, s1
	s_and_b32 s1, exec_lo, s1
	s_delay_alu instid0(SALU_CYCLE_1) | instskip(NEXT) | instid1(SALU_CYCLE_1)
	s_or_b32 s3, s1, s3
	s_and_not1_b32 exec_lo, exec_lo, s3
	s_cbranch_execnz .LBB50_9
.LBB50_10:
	s_or_b32 exec_lo, exec_lo, s2
	v_mov_b32_e32 v1, 0
	s_barrier
	buffer_gl0_inv
	ds_load_b32 v2, v1 offset:408
	s_and_saveexec_b32 s1, s0
	s_cbranch_execz .LBB50_12
; %bb.11:
	s_lshl_b64 s[2:3], s[14:15], 2
	s_delay_alu instid0(SALU_CYCLE_1)
	s_add_u32 s2, s6, s2
	s_addc_u32 s3, s7, s3
	s_waitcnt lgkmcnt(0)
	global_store_b32 v1, v2, s[2:3]
.LBB50_12:
	s_or_b32 exec_lo, exec_lo, s1
	s_waitcnt lgkmcnt(0)
	v_cmp_ne_u32_e32 vcc_lo, 0, v2
	s_mov_b32 s1, 0
	s_cbranch_vccnz .LBB50_212
; %bb.13:
	v_add_nc_u32_e32 v4, 0, v3
	v_add_nc_u32_e32 v5, 0x1a0, v3
	scratch_load_b64 v[1:2], v4, off
	s_waitcnt vmcnt(0)
	v_div_scale_f64 v[108:109], null, v[1:2], v[1:2], 1.0
	v_div_scale_f64 v[114:115], vcc_lo, 1.0, v[1:2], 1.0
	s_delay_alu instid0(VALU_DEP_2) | instskip(SKIP_2) | instid1(VALU_DEP_1)
	v_rcp_f64_e32 v[110:111], v[108:109]
	s_waitcnt_depctr 0xfff
	v_fma_f64 v[112:113], -v[108:109], v[110:111], 1.0
	v_fma_f64 v[110:111], v[110:111], v[112:113], v[110:111]
	s_delay_alu instid0(VALU_DEP_1) | instskip(NEXT) | instid1(VALU_DEP_1)
	v_fma_f64 v[112:113], -v[108:109], v[110:111], 1.0
	v_fma_f64 v[110:111], v[110:111], v[112:113], v[110:111]
	s_delay_alu instid0(VALU_DEP_1) | instskip(NEXT) | instid1(VALU_DEP_1)
	v_mul_f64 v[112:113], v[114:115], v[110:111]
	v_fma_f64 v[108:109], -v[108:109], v[112:113], v[114:115]
	s_delay_alu instid0(VALU_DEP_1) | instskip(NEXT) | instid1(VALU_DEP_1)
	v_div_fmas_f64 v[108:109], v[108:109], v[110:111], v[112:113]
	v_div_fixup_f64 v[1:2], v[108:109], v[1:2], 1.0
	scratch_store_b64 v4, v[1:2], off
	scratch_load_b64 v[108:109], off, off offset:8
	v_xor_b32_e32 v2, 0x80000000, v2
	s_waitcnt vmcnt(0)
	ds_store_2addr_b64 v3, v[1:2], v[108:109] offset1:52
	s_waitcnt lgkmcnt(0)
	s_waitcnt_vscnt null, 0x0
	s_barrier
	buffer_gl0_inv
	s_and_saveexec_b32 s1, s0
	s_cbranch_execz .LBB50_15
; %bb.14:
	scratch_load_b64 v[1:2], v4, off
	ds_load_b64 v[108:109], v5
	s_waitcnt vmcnt(0) lgkmcnt(0)
	v_fma_f64 v[1:2], v[1:2], v[108:109], 0
	v_mov_b32_e32 v108, 0
	ds_load_b64 v[108:109], v108 offset:8
	s_waitcnt lgkmcnt(0)
	v_mul_f64 v[1:2], v[1:2], v[108:109]
	scratch_store_b64 off, v[1:2], off offset:8
.LBB50_15:
	s_or_b32 exec_lo, exec_lo, s1
	s_waitcnt_vscnt null, 0x0
	s_barrier
	buffer_gl0_inv
	scratch_load_b64 v[1:2], off, off offset:16
	s_mov_b32 s1, exec_lo
	s_waitcnt vmcnt(0)
	ds_store_b64 v5, v[1:2]
	s_waitcnt lgkmcnt(0)
	s_barrier
	buffer_gl0_inv
	v_cmpx_gt_u32_e32 2, v0
	s_cbranch_execz .LBB50_19
; %bb.16:
	scratch_load_b64 v[1:2], v4, off
	ds_load_b64 v[108:109], v5
	s_waitcnt vmcnt(0) lgkmcnt(0)
	v_fma_f64 v[1:2], v[1:2], v[108:109], 0
	s_and_saveexec_b32 s2, s0
	s_cbranch_execz .LBB50_18
; %bb.17:
	scratch_load_b64 v[108:109], off, off offset:8
	v_mov_b32_e32 v110, 0
	ds_load_b64 v[110:111], v110 offset:424
	s_waitcnt vmcnt(0) lgkmcnt(0)
	v_fma_f64 v[1:2], v[108:109], v[110:111], v[1:2]
.LBB50_18:
	s_or_b32 exec_lo, exec_lo, s2
	v_mov_b32_e32 v108, 0
	ds_load_b64 v[108:109], v108 offset:16
	s_waitcnt lgkmcnt(0)
	v_mul_f64 v[1:2], v[1:2], v[108:109]
	scratch_store_b64 off, v[1:2], off offset:16
.LBB50_19:
	s_or_b32 exec_lo, exec_lo, s1
	s_waitcnt_vscnt null, 0x0
	s_barrier
	buffer_gl0_inv
	scratch_load_b64 v[1:2], off, off offset:24
	v_add_nc_u32_e32 v108, -1, v0
	s_mov_b32 s0, exec_lo
	s_waitcnt vmcnt(0)
	ds_store_b64 v5, v[1:2]
	s_waitcnt lgkmcnt(0)
	s_barrier
	buffer_gl0_inv
	v_cmpx_gt_u32_e32 3, v0
	s_cbranch_execz .LBB50_23
; %bb.20:
	v_dual_mov_b32 v1, 0 :: v_dual_add_nc_u32 v110, 0x1a0, v3
	v_dual_mov_b32 v2, 0 :: v_dual_add_nc_u32 v109, -1, v0
	v_add_nc_u32_e32 v111, 0, v3
	s_mov_b32 s1, 0
.LBB50_21:                              ; =>This Inner Loop Header: Depth=1
	scratch_load_b64 v[112:113], v111, off
	ds_load_b64 v[114:115], v110
	v_add_nc_u32_e32 v109, 1, v109
	v_add_nc_u32_e32 v110, 8, v110
	v_add_nc_u32_e32 v111, 8, v111
	s_delay_alu instid0(VALU_DEP_3)
	v_cmp_lt_u32_e32 vcc_lo, 1, v109
	s_or_b32 s1, vcc_lo, s1
	s_waitcnt vmcnt(0) lgkmcnt(0)
	v_fma_f64 v[1:2], v[112:113], v[114:115], v[1:2]
	s_and_not1_b32 exec_lo, exec_lo, s1
	s_cbranch_execnz .LBB50_21
; %bb.22:
	s_or_b32 exec_lo, exec_lo, s1
	v_mov_b32_e32 v109, 0
	ds_load_b64 v[109:110], v109 offset:24
	s_waitcnt lgkmcnt(0)
	v_mul_f64 v[1:2], v[1:2], v[109:110]
	scratch_store_b64 off, v[1:2], off offset:24
.LBB50_23:
	s_or_b32 exec_lo, exec_lo, s0
	s_waitcnt_vscnt null, 0x0
	s_barrier
	buffer_gl0_inv
	scratch_load_b64 v[1:2], off, off offset:32
	s_mov_b32 s0, exec_lo
	s_waitcnt vmcnt(0)
	ds_store_b64 v5, v[1:2]
	s_waitcnt lgkmcnt(0)
	s_barrier
	buffer_gl0_inv
	v_cmpx_gt_u32_e32 4, v0
	s_cbranch_execz .LBB50_27
; %bb.24:
	v_dual_mov_b32 v1, 0 :: v_dual_add_nc_u32 v110, 0x1a0, v3
	v_dual_mov_b32 v2, 0 :: v_dual_add_nc_u32 v109, -1, v0
	v_add_nc_u32_e32 v111, 0, v3
	s_mov_b32 s1, 0
.LBB50_25:                              ; =>This Inner Loop Header: Depth=1
	scratch_load_b64 v[112:113], v111, off
	ds_load_b64 v[114:115], v110
	v_add_nc_u32_e32 v109, 1, v109
	v_add_nc_u32_e32 v110, 8, v110
	v_add_nc_u32_e32 v111, 8, v111
	s_delay_alu instid0(VALU_DEP_3)
	v_cmp_lt_u32_e32 vcc_lo, 2, v109
	s_or_b32 s1, vcc_lo, s1
	s_waitcnt vmcnt(0) lgkmcnt(0)
	v_fma_f64 v[1:2], v[112:113], v[114:115], v[1:2]
	s_and_not1_b32 exec_lo, exec_lo, s1
	s_cbranch_execnz .LBB50_25
; %bb.26:
	s_or_b32 exec_lo, exec_lo, s1
	v_mov_b32_e32 v109, 0
	ds_load_b64 v[109:110], v109 offset:32
	s_waitcnt lgkmcnt(0)
	v_mul_f64 v[1:2], v[1:2], v[109:110]
	scratch_store_b64 off, v[1:2], off offset:32
.LBB50_27:
	s_or_b32 exec_lo, exec_lo, s0
	s_waitcnt_vscnt null, 0x0
	s_barrier
	buffer_gl0_inv
	scratch_load_b64 v[1:2], off, off offset:40
	s_mov_b32 s0, exec_lo
	s_waitcnt vmcnt(0)
	ds_store_b64 v5, v[1:2]
	s_waitcnt lgkmcnt(0)
	s_barrier
	buffer_gl0_inv
	v_cmpx_gt_u32_e32 5, v0
	s_cbranch_execz .LBB50_31
; %bb.28:
	v_dual_mov_b32 v1, 0 :: v_dual_add_nc_u32 v110, 0x1a0, v3
	v_dual_mov_b32 v2, 0 :: v_dual_add_nc_u32 v109, -1, v0
	v_add_nc_u32_e32 v111, 0, v3
	s_mov_b32 s1, 0
.LBB50_29:                              ; =>This Inner Loop Header: Depth=1
	scratch_load_b64 v[112:113], v111, off
	ds_load_b64 v[114:115], v110
	v_add_nc_u32_e32 v109, 1, v109
	v_add_nc_u32_e32 v110, 8, v110
	v_add_nc_u32_e32 v111, 8, v111
	s_delay_alu instid0(VALU_DEP_3)
	v_cmp_lt_u32_e32 vcc_lo, 3, v109
	s_or_b32 s1, vcc_lo, s1
	s_waitcnt vmcnt(0) lgkmcnt(0)
	v_fma_f64 v[1:2], v[112:113], v[114:115], v[1:2]
	s_and_not1_b32 exec_lo, exec_lo, s1
	s_cbranch_execnz .LBB50_29
; %bb.30:
	s_or_b32 exec_lo, exec_lo, s1
	v_mov_b32_e32 v109, 0
	ds_load_b64 v[109:110], v109 offset:40
	s_waitcnt lgkmcnt(0)
	v_mul_f64 v[1:2], v[1:2], v[109:110]
	scratch_store_b64 off, v[1:2], off offset:40
.LBB50_31:
	s_or_b32 exec_lo, exec_lo, s0
	s_waitcnt_vscnt null, 0x0
	s_barrier
	buffer_gl0_inv
	scratch_load_b64 v[1:2], off, off offset:48
	s_mov_b32 s0, exec_lo
	s_waitcnt vmcnt(0)
	ds_store_b64 v5, v[1:2]
	s_waitcnt lgkmcnt(0)
	s_barrier
	buffer_gl0_inv
	v_cmpx_gt_u32_e32 6, v0
	s_cbranch_execz .LBB50_35
; %bb.32:
	v_dual_mov_b32 v1, 0 :: v_dual_add_nc_u32 v110, 0x1a0, v3
	v_dual_mov_b32 v2, 0 :: v_dual_add_nc_u32 v109, -1, v0
	v_add_nc_u32_e32 v111, 0, v3
	s_mov_b32 s1, 0
.LBB50_33:                              ; =>This Inner Loop Header: Depth=1
	scratch_load_b64 v[112:113], v111, off
	ds_load_b64 v[114:115], v110
	v_add_nc_u32_e32 v109, 1, v109
	v_add_nc_u32_e32 v110, 8, v110
	v_add_nc_u32_e32 v111, 8, v111
	s_delay_alu instid0(VALU_DEP_3)
	v_cmp_lt_u32_e32 vcc_lo, 4, v109
	s_or_b32 s1, vcc_lo, s1
	s_waitcnt vmcnt(0) lgkmcnt(0)
	v_fma_f64 v[1:2], v[112:113], v[114:115], v[1:2]
	s_and_not1_b32 exec_lo, exec_lo, s1
	s_cbranch_execnz .LBB50_33
; %bb.34:
	s_or_b32 exec_lo, exec_lo, s1
	v_mov_b32_e32 v109, 0
	ds_load_b64 v[109:110], v109 offset:48
	s_waitcnt lgkmcnt(0)
	v_mul_f64 v[1:2], v[1:2], v[109:110]
	scratch_store_b64 off, v[1:2], off offset:48
.LBB50_35:
	s_or_b32 exec_lo, exec_lo, s0
	s_waitcnt_vscnt null, 0x0
	s_barrier
	buffer_gl0_inv
	scratch_load_b64 v[1:2], off, off offset:56
	s_mov_b32 s0, exec_lo
	s_waitcnt vmcnt(0)
	ds_store_b64 v5, v[1:2]
	s_waitcnt lgkmcnt(0)
	s_barrier
	buffer_gl0_inv
	v_cmpx_gt_u32_e32 7, v0
	s_cbranch_execz .LBB50_39
; %bb.36:
	v_dual_mov_b32 v1, 0 :: v_dual_add_nc_u32 v110, 0x1a0, v3
	v_dual_mov_b32 v2, 0 :: v_dual_add_nc_u32 v109, -1, v0
	v_add_nc_u32_e32 v111, 0, v3
	s_mov_b32 s1, 0
.LBB50_37:                              ; =>This Inner Loop Header: Depth=1
	scratch_load_b64 v[112:113], v111, off
	ds_load_b64 v[114:115], v110
	v_add_nc_u32_e32 v109, 1, v109
	v_add_nc_u32_e32 v110, 8, v110
	v_add_nc_u32_e32 v111, 8, v111
	s_delay_alu instid0(VALU_DEP_3)
	v_cmp_lt_u32_e32 vcc_lo, 5, v109
	s_or_b32 s1, vcc_lo, s1
	s_waitcnt vmcnt(0) lgkmcnt(0)
	v_fma_f64 v[1:2], v[112:113], v[114:115], v[1:2]
	s_and_not1_b32 exec_lo, exec_lo, s1
	s_cbranch_execnz .LBB50_37
; %bb.38:
	s_or_b32 exec_lo, exec_lo, s1
	v_mov_b32_e32 v109, 0
	ds_load_b64 v[109:110], v109 offset:56
	s_waitcnt lgkmcnt(0)
	v_mul_f64 v[1:2], v[1:2], v[109:110]
	scratch_store_b64 off, v[1:2], off offset:56
.LBB50_39:
	s_or_b32 exec_lo, exec_lo, s0
	s_waitcnt_vscnt null, 0x0
	s_barrier
	buffer_gl0_inv
	scratch_load_b64 v[1:2], off, off offset:64
	s_mov_b32 s0, exec_lo
	s_waitcnt vmcnt(0)
	ds_store_b64 v5, v[1:2]
	s_waitcnt lgkmcnt(0)
	s_barrier
	buffer_gl0_inv
	v_cmpx_gt_u32_e32 8, v0
	s_cbranch_execz .LBB50_43
; %bb.40:
	v_dual_mov_b32 v1, 0 :: v_dual_add_nc_u32 v110, 0x1a0, v3
	v_dual_mov_b32 v2, 0 :: v_dual_add_nc_u32 v109, -1, v0
	v_add_nc_u32_e32 v111, 0, v3
	s_mov_b32 s1, 0
.LBB50_41:                              ; =>This Inner Loop Header: Depth=1
	scratch_load_b64 v[112:113], v111, off
	ds_load_b64 v[114:115], v110
	v_add_nc_u32_e32 v109, 1, v109
	v_add_nc_u32_e32 v110, 8, v110
	v_add_nc_u32_e32 v111, 8, v111
	s_delay_alu instid0(VALU_DEP_3)
	v_cmp_lt_u32_e32 vcc_lo, 6, v109
	s_or_b32 s1, vcc_lo, s1
	s_waitcnt vmcnt(0) lgkmcnt(0)
	v_fma_f64 v[1:2], v[112:113], v[114:115], v[1:2]
	s_and_not1_b32 exec_lo, exec_lo, s1
	s_cbranch_execnz .LBB50_41
; %bb.42:
	s_or_b32 exec_lo, exec_lo, s1
	v_mov_b32_e32 v109, 0
	ds_load_b64 v[109:110], v109 offset:64
	s_waitcnt lgkmcnt(0)
	v_mul_f64 v[1:2], v[1:2], v[109:110]
	scratch_store_b64 off, v[1:2], off offset:64
.LBB50_43:
	s_or_b32 exec_lo, exec_lo, s0
	s_waitcnt_vscnt null, 0x0
	s_barrier
	buffer_gl0_inv
	scratch_load_b64 v[1:2], off, off offset:72
	s_mov_b32 s0, exec_lo
	s_waitcnt vmcnt(0)
	ds_store_b64 v5, v[1:2]
	s_waitcnt lgkmcnt(0)
	s_barrier
	buffer_gl0_inv
	v_cmpx_gt_u32_e32 9, v0
	s_cbranch_execz .LBB50_47
; %bb.44:
	v_dual_mov_b32 v1, 0 :: v_dual_add_nc_u32 v110, 0x1a0, v3
	v_dual_mov_b32 v2, 0 :: v_dual_add_nc_u32 v109, -1, v0
	v_add_nc_u32_e32 v111, 0, v3
	s_mov_b32 s1, 0
.LBB50_45:                              ; =>This Inner Loop Header: Depth=1
	scratch_load_b64 v[112:113], v111, off
	ds_load_b64 v[114:115], v110
	v_add_nc_u32_e32 v109, 1, v109
	v_add_nc_u32_e32 v110, 8, v110
	v_add_nc_u32_e32 v111, 8, v111
	s_delay_alu instid0(VALU_DEP_3)
	v_cmp_lt_u32_e32 vcc_lo, 7, v109
	s_or_b32 s1, vcc_lo, s1
	s_waitcnt vmcnt(0) lgkmcnt(0)
	v_fma_f64 v[1:2], v[112:113], v[114:115], v[1:2]
	s_and_not1_b32 exec_lo, exec_lo, s1
	s_cbranch_execnz .LBB50_45
; %bb.46:
	s_or_b32 exec_lo, exec_lo, s1
	v_mov_b32_e32 v109, 0
	ds_load_b64 v[109:110], v109 offset:72
	s_waitcnt lgkmcnt(0)
	v_mul_f64 v[1:2], v[1:2], v[109:110]
	scratch_store_b64 off, v[1:2], off offset:72
.LBB50_47:
	s_or_b32 exec_lo, exec_lo, s0
	s_waitcnt_vscnt null, 0x0
	s_barrier
	buffer_gl0_inv
	scratch_load_b64 v[1:2], off, off offset:80
	s_mov_b32 s0, exec_lo
	s_waitcnt vmcnt(0)
	ds_store_b64 v5, v[1:2]
	s_waitcnt lgkmcnt(0)
	s_barrier
	buffer_gl0_inv
	v_cmpx_gt_u32_e32 10, v0
	s_cbranch_execz .LBB50_51
; %bb.48:
	v_dual_mov_b32 v1, 0 :: v_dual_add_nc_u32 v110, 0x1a0, v3
	v_dual_mov_b32 v2, 0 :: v_dual_add_nc_u32 v109, -1, v0
	v_add_nc_u32_e32 v111, 0, v3
	s_mov_b32 s1, 0
.LBB50_49:                              ; =>This Inner Loop Header: Depth=1
	scratch_load_b64 v[112:113], v111, off
	ds_load_b64 v[114:115], v110
	v_add_nc_u32_e32 v109, 1, v109
	v_add_nc_u32_e32 v110, 8, v110
	v_add_nc_u32_e32 v111, 8, v111
	s_delay_alu instid0(VALU_DEP_3)
	v_cmp_lt_u32_e32 vcc_lo, 8, v109
	s_or_b32 s1, vcc_lo, s1
	s_waitcnt vmcnt(0) lgkmcnt(0)
	v_fma_f64 v[1:2], v[112:113], v[114:115], v[1:2]
	s_and_not1_b32 exec_lo, exec_lo, s1
	s_cbranch_execnz .LBB50_49
; %bb.50:
	s_or_b32 exec_lo, exec_lo, s1
	v_mov_b32_e32 v109, 0
	ds_load_b64 v[109:110], v109 offset:80
	s_waitcnt lgkmcnt(0)
	v_mul_f64 v[1:2], v[1:2], v[109:110]
	scratch_store_b64 off, v[1:2], off offset:80
.LBB50_51:
	s_or_b32 exec_lo, exec_lo, s0
	s_waitcnt_vscnt null, 0x0
	s_barrier
	buffer_gl0_inv
	scratch_load_b64 v[1:2], off, off offset:88
	s_mov_b32 s0, exec_lo
	s_waitcnt vmcnt(0)
	ds_store_b64 v5, v[1:2]
	s_waitcnt lgkmcnt(0)
	s_barrier
	buffer_gl0_inv
	v_cmpx_gt_u32_e32 11, v0
	s_cbranch_execz .LBB50_55
; %bb.52:
	v_dual_mov_b32 v1, 0 :: v_dual_add_nc_u32 v110, 0x1a0, v3
	v_dual_mov_b32 v2, 0 :: v_dual_add_nc_u32 v109, -1, v0
	v_add_nc_u32_e32 v111, 0, v3
	s_mov_b32 s1, 0
.LBB50_53:                              ; =>This Inner Loop Header: Depth=1
	scratch_load_b64 v[112:113], v111, off
	ds_load_b64 v[114:115], v110
	v_add_nc_u32_e32 v109, 1, v109
	v_add_nc_u32_e32 v110, 8, v110
	v_add_nc_u32_e32 v111, 8, v111
	s_delay_alu instid0(VALU_DEP_3)
	v_cmp_lt_u32_e32 vcc_lo, 9, v109
	s_or_b32 s1, vcc_lo, s1
	s_waitcnt vmcnt(0) lgkmcnt(0)
	v_fma_f64 v[1:2], v[112:113], v[114:115], v[1:2]
	s_and_not1_b32 exec_lo, exec_lo, s1
	s_cbranch_execnz .LBB50_53
; %bb.54:
	s_or_b32 exec_lo, exec_lo, s1
	v_mov_b32_e32 v109, 0
	ds_load_b64 v[109:110], v109 offset:88
	s_waitcnt lgkmcnt(0)
	v_mul_f64 v[1:2], v[1:2], v[109:110]
	scratch_store_b64 off, v[1:2], off offset:88
.LBB50_55:
	s_or_b32 exec_lo, exec_lo, s0
	s_waitcnt_vscnt null, 0x0
	s_barrier
	buffer_gl0_inv
	scratch_load_b64 v[1:2], off, off offset:96
	s_mov_b32 s0, exec_lo
	s_waitcnt vmcnt(0)
	ds_store_b64 v5, v[1:2]
	s_waitcnt lgkmcnt(0)
	s_barrier
	buffer_gl0_inv
	v_cmpx_gt_u32_e32 12, v0
	s_cbranch_execz .LBB50_59
; %bb.56:
	v_dual_mov_b32 v1, 0 :: v_dual_add_nc_u32 v110, 0x1a0, v3
	v_dual_mov_b32 v2, 0 :: v_dual_add_nc_u32 v109, -1, v0
	v_add_nc_u32_e32 v111, 0, v3
	s_mov_b32 s1, 0
.LBB50_57:                              ; =>This Inner Loop Header: Depth=1
	scratch_load_b64 v[112:113], v111, off
	ds_load_b64 v[114:115], v110
	v_add_nc_u32_e32 v109, 1, v109
	v_add_nc_u32_e32 v110, 8, v110
	v_add_nc_u32_e32 v111, 8, v111
	s_delay_alu instid0(VALU_DEP_3)
	v_cmp_lt_u32_e32 vcc_lo, 10, v109
	s_or_b32 s1, vcc_lo, s1
	s_waitcnt vmcnt(0) lgkmcnt(0)
	v_fma_f64 v[1:2], v[112:113], v[114:115], v[1:2]
	s_and_not1_b32 exec_lo, exec_lo, s1
	s_cbranch_execnz .LBB50_57
; %bb.58:
	s_or_b32 exec_lo, exec_lo, s1
	v_mov_b32_e32 v109, 0
	ds_load_b64 v[109:110], v109 offset:96
	s_waitcnt lgkmcnt(0)
	v_mul_f64 v[1:2], v[1:2], v[109:110]
	scratch_store_b64 off, v[1:2], off offset:96
.LBB50_59:
	s_or_b32 exec_lo, exec_lo, s0
	s_waitcnt_vscnt null, 0x0
	s_barrier
	buffer_gl0_inv
	scratch_load_b64 v[1:2], off, off offset:104
	s_mov_b32 s0, exec_lo
	s_waitcnt vmcnt(0)
	ds_store_b64 v5, v[1:2]
	s_waitcnt lgkmcnt(0)
	s_barrier
	buffer_gl0_inv
	v_cmpx_gt_u32_e32 13, v0
	s_cbranch_execz .LBB50_63
; %bb.60:
	v_dual_mov_b32 v1, 0 :: v_dual_add_nc_u32 v110, 0x1a0, v3
	v_dual_mov_b32 v2, 0 :: v_dual_add_nc_u32 v109, -1, v0
	v_add_nc_u32_e32 v111, 0, v3
	s_mov_b32 s1, 0
.LBB50_61:                              ; =>This Inner Loop Header: Depth=1
	scratch_load_b64 v[112:113], v111, off
	ds_load_b64 v[114:115], v110
	v_add_nc_u32_e32 v109, 1, v109
	v_add_nc_u32_e32 v110, 8, v110
	v_add_nc_u32_e32 v111, 8, v111
	s_delay_alu instid0(VALU_DEP_3)
	v_cmp_lt_u32_e32 vcc_lo, 11, v109
	s_or_b32 s1, vcc_lo, s1
	s_waitcnt vmcnt(0) lgkmcnt(0)
	v_fma_f64 v[1:2], v[112:113], v[114:115], v[1:2]
	s_and_not1_b32 exec_lo, exec_lo, s1
	s_cbranch_execnz .LBB50_61
; %bb.62:
	s_or_b32 exec_lo, exec_lo, s1
	v_mov_b32_e32 v109, 0
	ds_load_b64 v[109:110], v109 offset:104
	s_waitcnt lgkmcnt(0)
	v_mul_f64 v[1:2], v[1:2], v[109:110]
	scratch_store_b64 off, v[1:2], off offset:104
.LBB50_63:
	s_or_b32 exec_lo, exec_lo, s0
	s_waitcnt_vscnt null, 0x0
	s_barrier
	buffer_gl0_inv
	scratch_load_b64 v[1:2], off, off offset:112
	s_mov_b32 s0, exec_lo
	s_waitcnt vmcnt(0)
	ds_store_b64 v5, v[1:2]
	s_waitcnt lgkmcnt(0)
	s_barrier
	buffer_gl0_inv
	v_cmpx_gt_u32_e32 14, v0
	s_cbranch_execz .LBB50_67
; %bb.64:
	v_dual_mov_b32 v1, 0 :: v_dual_add_nc_u32 v110, 0x1a0, v3
	v_dual_mov_b32 v2, 0 :: v_dual_add_nc_u32 v109, -1, v0
	v_add_nc_u32_e32 v111, 0, v3
	s_mov_b32 s1, 0
.LBB50_65:                              ; =>This Inner Loop Header: Depth=1
	scratch_load_b64 v[112:113], v111, off
	ds_load_b64 v[114:115], v110
	v_add_nc_u32_e32 v109, 1, v109
	v_add_nc_u32_e32 v110, 8, v110
	v_add_nc_u32_e32 v111, 8, v111
	s_delay_alu instid0(VALU_DEP_3)
	v_cmp_lt_u32_e32 vcc_lo, 12, v109
	s_or_b32 s1, vcc_lo, s1
	s_waitcnt vmcnt(0) lgkmcnt(0)
	v_fma_f64 v[1:2], v[112:113], v[114:115], v[1:2]
	s_and_not1_b32 exec_lo, exec_lo, s1
	s_cbranch_execnz .LBB50_65
; %bb.66:
	s_or_b32 exec_lo, exec_lo, s1
	v_mov_b32_e32 v109, 0
	ds_load_b64 v[109:110], v109 offset:112
	s_waitcnt lgkmcnt(0)
	v_mul_f64 v[1:2], v[1:2], v[109:110]
	scratch_store_b64 off, v[1:2], off offset:112
.LBB50_67:
	s_or_b32 exec_lo, exec_lo, s0
	s_waitcnt_vscnt null, 0x0
	s_barrier
	buffer_gl0_inv
	scratch_load_b64 v[1:2], off, off offset:120
	s_mov_b32 s0, exec_lo
	s_waitcnt vmcnt(0)
	ds_store_b64 v5, v[1:2]
	s_waitcnt lgkmcnt(0)
	s_barrier
	buffer_gl0_inv
	v_cmpx_gt_u32_e32 15, v0
	s_cbranch_execz .LBB50_71
; %bb.68:
	v_dual_mov_b32 v1, 0 :: v_dual_add_nc_u32 v110, 0x1a0, v3
	v_dual_mov_b32 v2, 0 :: v_dual_add_nc_u32 v109, -1, v0
	v_add_nc_u32_e32 v111, 0, v3
	s_mov_b32 s1, 0
.LBB50_69:                              ; =>This Inner Loop Header: Depth=1
	scratch_load_b64 v[112:113], v111, off
	ds_load_b64 v[114:115], v110
	v_add_nc_u32_e32 v109, 1, v109
	v_add_nc_u32_e32 v110, 8, v110
	v_add_nc_u32_e32 v111, 8, v111
	s_delay_alu instid0(VALU_DEP_3)
	v_cmp_lt_u32_e32 vcc_lo, 13, v109
	s_or_b32 s1, vcc_lo, s1
	s_waitcnt vmcnt(0) lgkmcnt(0)
	v_fma_f64 v[1:2], v[112:113], v[114:115], v[1:2]
	s_and_not1_b32 exec_lo, exec_lo, s1
	s_cbranch_execnz .LBB50_69
; %bb.70:
	s_or_b32 exec_lo, exec_lo, s1
	v_mov_b32_e32 v109, 0
	ds_load_b64 v[109:110], v109 offset:120
	s_waitcnt lgkmcnt(0)
	v_mul_f64 v[1:2], v[1:2], v[109:110]
	scratch_store_b64 off, v[1:2], off offset:120
.LBB50_71:
	s_or_b32 exec_lo, exec_lo, s0
	s_waitcnt_vscnt null, 0x0
	s_barrier
	buffer_gl0_inv
	scratch_load_b64 v[1:2], off, off offset:128
	s_mov_b32 s0, exec_lo
	s_waitcnt vmcnt(0)
	ds_store_b64 v5, v[1:2]
	s_waitcnt lgkmcnt(0)
	s_barrier
	buffer_gl0_inv
	v_cmpx_gt_u32_e32 16, v0
	s_cbranch_execz .LBB50_75
; %bb.72:
	v_dual_mov_b32 v1, 0 :: v_dual_add_nc_u32 v110, 0x1a0, v3
	v_dual_mov_b32 v2, 0 :: v_dual_add_nc_u32 v109, -1, v0
	v_add_nc_u32_e32 v111, 0, v3
	s_mov_b32 s1, 0
.LBB50_73:                              ; =>This Inner Loop Header: Depth=1
	scratch_load_b64 v[112:113], v111, off
	ds_load_b64 v[114:115], v110
	v_add_nc_u32_e32 v109, 1, v109
	v_add_nc_u32_e32 v110, 8, v110
	v_add_nc_u32_e32 v111, 8, v111
	s_delay_alu instid0(VALU_DEP_3)
	v_cmp_lt_u32_e32 vcc_lo, 14, v109
	s_or_b32 s1, vcc_lo, s1
	s_waitcnt vmcnt(0) lgkmcnt(0)
	v_fma_f64 v[1:2], v[112:113], v[114:115], v[1:2]
	s_and_not1_b32 exec_lo, exec_lo, s1
	s_cbranch_execnz .LBB50_73
; %bb.74:
	s_or_b32 exec_lo, exec_lo, s1
	v_mov_b32_e32 v109, 0
	ds_load_b64 v[109:110], v109 offset:128
	s_waitcnt lgkmcnt(0)
	v_mul_f64 v[1:2], v[1:2], v[109:110]
	scratch_store_b64 off, v[1:2], off offset:128
.LBB50_75:
	s_or_b32 exec_lo, exec_lo, s0
	s_waitcnt_vscnt null, 0x0
	s_barrier
	buffer_gl0_inv
	scratch_load_b64 v[1:2], off, off offset:136
	s_mov_b32 s0, exec_lo
	s_waitcnt vmcnt(0)
	ds_store_b64 v5, v[1:2]
	s_waitcnt lgkmcnt(0)
	s_barrier
	buffer_gl0_inv
	v_cmpx_gt_u32_e32 17, v0
	s_cbranch_execz .LBB50_79
; %bb.76:
	v_dual_mov_b32 v1, 0 :: v_dual_add_nc_u32 v110, 0x1a0, v3
	v_dual_mov_b32 v2, 0 :: v_dual_add_nc_u32 v109, -1, v0
	v_add_nc_u32_e32 v111, 0, v3
	s_mov_b32 s1, 0
.LBB50_77:                              ; =>This Inner Loop Header: Depth=1
	scratch_load_b64 v[112:113], v111, off
	ds_load_b64 v[114:115], v110
	v_add_nc_u32_e32 v109, 1, v109
	v_add_nc_u32_e32 v110, 8, v110
	v_add_nc_u32_e32 v111, 8, v111
	s_delay_alu instid0(VALU_DEP_3)
	v_cmp_lt_u32_e32 vcc_lo, 15, v109
	s_or_b32 s1, vcc_lo, s1
	s_waitcnt vmcnt(0) lgkmcnt(0)
	v_fma_f64 v[1:2], v[112:113], v[114:115], v[1:2]
	s_and_not1_b32 exec_lo, exec_lo, s1
	s_cbranch_execnz .LBB50_77
; %bb.78:
	s_or_b32 exec_lo, exec_lo, s1
	v_mov_b32_e32 v109, 0
	ds_load_b64 v[109:110], v109 offset:136
	s_waitcnt lgkmcnt(0)
	v_mul_f64 v[1:2], v[1:2], v[109:110]
	scratch_store_b64 off, v[1:2], off offset:136
.LBB50_79:
	s_or_b32 exec_lo, exec_lo, s0
	s_waitcnt_vscnt null, 0x0
	s_barrier
	buffer_gl0_inv
	scratch_load_b64 v[1:2], off, off offset:144
	s_mov_b32 s0, exec_lo
	s_waitcnt vmcnt(0)
	ds_store_b64 v5, v[1:2]
	s_waitcnt lgkmcnt(0)
	s_barrier
	buffer_gl0_inv
	v_cmpx_gt_u32_e32 18, v0
	s_cbranch_execz .LBB50_83
; %bb.80:
	v_dual_mov_b32 v1, 0 :: v_dual_add_nc_u32 v110, 0x1a0, v3
	v_dual_mov_b32 v2, 0 :: v_dual_add_nc_u32 v109, -1, v0
	v_add_nc_u32_e32 v111, 0, v3
	s_mov_b32 s1, 0
.LBB50_81:                              ; =>This Inner Loop Header: Depth=1
	scratch_load_b64 v[112:113], v111, off
	ds_load_b64 v[114:115], v110
	v_add_nc_u32_e32 v109, 1, v109
	v_add_nc_u32_e32 v110, 8, v110
	v_add_nc_u32_e32 v111, 8, v111
	s_delay_alu instid0(VALU_DEP_3)
	v_cmp_lt_u32_e32 vcc_lo, 16, v109
	s_or_b32 s1, vcc_lo, s1
	s_waitcnt vmcnt(0) lgkmcnt(0)
	v_fma_f64 v[1:2], v[112:113], v[114:115], v[1:2]
	s_and_not1_b32 exec_lo, exec_lo, s1
	s_cbranch_execnz .LBB50_81
; %bb.82:
	s_or_b32 exec_lo, exec_lo, s1
	v_mov_b32_e32 v109, 0
	ds_load_b64 v[109:110], v109 offset:144
	s_waitcnt lgkmcnt(0)
	v_mul_f64 v[1:2], v[1:2], v[109:110]
	scratch_store_b64 off, v[1:2], off offset:144
.LBB50_83:
	s_or_b32 exec_lo, exec_lo, s0
	s_waitcnt_vscnt null, 0x0
	s_barrier
	buffer_gl0_inv
	scratch_load_b64 v[1:2], off, off offset:152
	s_mov_b32 s0, exec_lo
	s_waitcnt vmcnt(0)
	ds_store_b64 v5, v[1:2]
	s_waitcnt lgkmcnt(0)
	s_barrier
	buffer_gl0_inv
	v_cmpx_gt_u32_e32 19, v0
	s_cbranch_execz .LBB50_87
; %bb.84:
	v_dual_mov_b32 v1, 0 :: v_dual_add_nc_u32 v110, 0x1a0, v3
	v_dual_mov_b32 v2, 0 :: v_dual_add_nc_u32 v109, -1, v0
	v_add_nc_u32_e32 v111, 0, v3
	s_mov_b32 s1, 0
.LBB50_85:                              ; =>This Inner Loop Header: Depth=1
	scratch_load_b64 v[112:113], v111, off
	ds_load_b64 v[114:115], v110
	v_add_nc_u32_e32 v109, 1, v109
	v_add_nc_u32_e32 v110, 8, v110
	v_add_nc_u32_e32 v111, 8, v111
	s_delay_alu instid0(VALU_DEP_3)
	v_cmp_lt_u32_e32 vcc_lo, 17, v109
	s_or_b32 s1, vcc_lo, s1
	s_waitcnt vmcnt(0) lgkmcnt(0)
	v_fma_f64 v[1:2], v[112:113], v[114:115], v[1:2]
	s_and_not1_b32 exec_lo, exec_lo, s1
	s_cbranch_execnz .LBB50_85
; %bb.86:
	s_or_b32 exec_lo, exec_lo, s1
	v_mov_b32_e32 v109, 0
	ds_load_b64 v[109:110], v109 offset:152
	s_waitcnt lgkmcnt(0)
	v_mul_f64 v[1:2], v[1:2], v[109:110]
	scratch_store_b64 off, v[1:2], off offset:152
.LBB50_87:
	s_or_b32 exec_lo, exec_lo, s0
	s_waitcnt_vscnt null, 0x0
	s_barrier
	buffer_gl0_inv
	scratch_load_b64 v[1:2], off, off offset:160
	s_mov_b32 s0, exec_lo
	s_waitcnt vmcnt(0)
	ds_store_b64 v5, v[1:2]
	s_waitcnt lgkmcnt(0)
	s_barrier
	buffer_gl0_inv
	v_cmpx_gt_u32_e32 20, v0
	s_cbranch_execz .LBB50_91
; %bb.88:
	v_dual_mov_b32 v1, 0 :: v_dual_add_nc_u32 v110, 0x1a0, v3
	v_dual_mov_b32 v2, 0 :: v_dual_add_nc_u32 v109, -1, v0
	v_add_nc_u32_e32 v111, 0, v3
	s_mov_b32 s1, 0
.LBB50_89:                              ; =>This Inner Loop Header: Depth=1
	scratch_load_b64 v[112:113], v111, off
	ds_load_b64 v[114:115], v110
	v_add_nc_u32_e32 v109, 1, v109
	v_add_nc_u32_e32 v110, 8, v110
	v_add_nc_u32_e32 v111, 8, v111
	s_delay_alu instid0(VALU_DEP_3)
	v_cmp_lt_u32_e32 vcc_lo, 18, v109
	s_or_b32 s1, vcc_lo, s1
	s_waitcnt vmcnt(0) lgkmcnt(0)
	v_fma_f64 v[1:2], v[112:113], v[114:115], v[1:2]
	s_and_not1_b32 exec_lo, exec_lo, s1
	s_cbranch_execnz .LBB50_89
; %bb.90:
	s_or_b32 exec_lo, exec_lo, s1
	v_mov_b32_e32 v109, 0
	ds_load_b64 v[109:110], v109 offset:160
	s_waitcnt lgkmcnt(0)
	v_mul_f64 v[1:2], v[1:2], v[109:110]
	scratch_store_b64 off, v[1:2], off offset:160
.LBB50_91:
	s_or_b32 exec_lo, exec_lo, s0
	s_waitcnt_vscnt null, 0x0
	s_barrier
	buffer_gl0_inv
	scratch_load_b64 v[1:2], off, off offset:168
	s_mov_b32 s0, exec_lo
	s_waitcnt vmcnt(0)
	ds_store_b64 v5, v[1:2]
	s_waitcnt lgkmcnt(0)
	s_barrier
	buffer_gl0_inv
	v_cmpx_gt_u32_e32 21, v0
	s_cbranch_execz .LBB50_95
; %bb.92:
	v_dual_mov_b32 v1, 0 :: v_dual_add_nc_u32 v110, 0x1a0, v3
	v_dual_mov_b32 v2, 0 :: v_dual_add_nc_u32 v109, -1, v0
	v_add_nc_u32_e32 v111, 0, v3
	s_mov_b32 s1, 0
.LBB50_93:                              ; =>This Inner Loop Header: Depth=1
	scratch_load_b64 v[112:113], v111, off
	ds_load_b64 v[114:115], v110
	v_add_nc_u32_e32 v109, 1, v109
	v_add_nc_u32_e32 v110, 8, v110
	v_add_nc_u32_e32 v111, 8, v111
	s_delay_alu instid0(VALU_DEP_3)
	v_cmp_lt_u32_e32 vcc_lo, 19, v109
	s_or_b32 s1, vcc_lo, s1
	s_waitcnt vmcnt(0) lgkmcnt(0)
	v_fma_f64 v[1:2], v[112:113], v[114:115], v[1:2]
	s_and_not1_b32 exec_lo, exec_lo, s1
	s_cbranch_execnz .LBB50_93
; %bb.94:
	s_or_b32 exec_lo, exec_lo, s1
	v_mov_b32_e32 v109, 0
	ds_load_b64 v[109:110], v109 offset:168
	s_waitcnt lgkmcnt(0)
	v_mul_f64 v[1:2], v[1:2], v[109:110]
	scratch_store_b64 off, v[1:2], off offset:168
.LBB50_95:
	s_or_b32 exec_lo, exec_lo, s0
	s_waitcnt_vscnt null, 0x0
	s_barrier
	buffer_gl0_inv
	scratch_load_b64 v[1:2], off, off offset:176
	s_mov_b32 s0, exec_lo
	s_waitcnt vmcnt(0)
	ds_store_b64 v5, v[1:2]
	s_waitcnt lgkmcnt(0)
	s_barrier
	buffer_gl0_inv
	v_cmpx_gt_u32_e32 22, v0
	s_cbranch_execz .LBB50_99
; %bb.96:
	v_dual_mov_b32 v1, 0 :: v_dual_add_nc_u32 v110, 0x1a0, v3
	v_dual_mov_b32 v2, 0 :: v_dual_add_nc_u32 v109, -1, v0
	v_add_nc_u32_e32 v111, 0, v3
	s_mov_b32 s1, 0
.LBB50_97:                              ; =>This Inner Loop Header: Depth=1
	scratch_load_b64 v[112:113], v111, off
	ds_load_b64 v[114:115], v110
	v_add_nc_u32_e32 v109, 1, v109
	v_add_nc_u32_e32 v110, 8, v110
	v_add_nc_u32_e32 v111, 8, v111
	s_delay_alu instid0(VALU_DEP_3)
	v_cmp_lt_u32_e32 vcc_lo, 20, v109
	s_or_b32 s1, vcc_lo, s1
	s_waitcnt vmcnt(0) lgkmcnt(0)
	v_fma_f64 v[1:2], v[112:113], v[114:115], v[1:2]
	s_and_not1_b32 exec_lo, exec_lo, s1
	s_cbranch_execnz .LBB50_97
; %bb.98:
	s_or_b32 exec_lo, exec_lo, s1
	v_mov_b32_e32 v109, 0
	ds_load_b64 v[109:110], v109 offset:176
	s_waitcnt lgkmcnt(0)
	v_mul_f64 v[1:2], v[1:2], v[109:110]
	scratch_store_b64 off, v[1:2], off offset:176
.LBB50_99:
	s_or_b32 exec_lo, exec_lo, s0
	s_waitcnt_vscnt null, 0x0
	s_barrier
	buffer_gl0_inv
	scratch_load_b64 v[1:2], off, off offset:184
	s_mov_b32 s0, exec_lo
	s_waitcnt vmcnt(0)
	ds_store_b64 v5, v[1:2]
	s_waitcnt lgkmcnt(0)
	s_barrier
	buffer_gl0_inv
	v_cmpx_gt_u32_e32 23, v0
	s_cbranch_execz .LBB50_103
; %bb.100:
	v_dual_mov_b32 v1, 0 :: v_dual_add_nc_u32 v110, 0x1a0, v3
	v_dual_mov_b32 v2, 0 :: v_dual_add_nc_u32 v109, -1, v0
	v_add_nc_u32_e32 v111, 0, v3
	s_mov_b32 s1, 0
.LBB50_101:                             ; =>This Inner Loop Header: Depth=1
	scratch_load_b64 v[112:113], v111, off
	ds_load_b64 v[114:115], v110
	v_add_nc_u32_e32 v109, 1, v109
	v_add_nc_u32_e32 v110, 8, v110
	v_add_nc_u32_e32 v111, 8, v111
	s_delay_alu instid0(VALU_DEP_3)
	v_cmp_lt_u32_e32 vcc_lo, 21, v109
	s_or_b32 s1, vcc_lo, s1
	s_waitcnt vmcnt(0) lgkmcnt(0)
	v_fma_f64 v[1:2], v[112:113], v[114:115], v[1:2]
	s_and_not1_b32 exec_lo, exec_lo, s1
	s_cbranch_execnz .LBB50_101
; %bb.102:
	s_or_b32 exec_lo, exec_lo, s1
	v_mov_b32_e32 v109, 0
	ds_load_b64 v[109:110], v109 offset:184
	s_waitcnt lgkmcnt(0)
	v_mul_f64 v[1:2], v[1:2], v[109:110]
	scratch_store_b64 off, v[1:2], off offset:184
.LBB50_103:
	s_or_b32 exec_lo, exec_lo, s0
	s_waitcnt_vscnt null, 0x0
	s_barrier
	buffer_gl0_inv
	scratch_load_b64 v[1:2], off, off offset:192
	s_mov_b32 s0, exec_lo
	s_waitcnt vmcnt(0)
	ds_store_b64 v5, v[1:2]
	s_waitcnt lgkmcnt(0)
	s_barrier
	buffer_gl0_inv
	v_cmpx_gt_u32_e32 24, v0
	s_cbranch_execz .LBB50_107
; %bb.104:
	v_dual_mov_b32 v1, 0 :: v_dual_add_nc_u32 v110, 0x1a0, v3
	v_dual_mov_b32 v2, 0 :: v_dual_add_nc_u32 v109, -1, v0
	v_add_nc_u32_e32 v111, 0, v3
	s_mov_b32 s1, 0
.LBB50_105:                             ; =>This Inner Loop Header: Depth=1
	scratch_load_b64 v[112:113], v111, off
	ds_load_b64 v[114:115], v110
	v_add_nc_u32_e32 v109, 1, v109
	v_add_nc_u32_e32 v110, 8, v110
	v_add_nc_u32_e32 v111, 8, v111
	s_delay_alu instid0(VALU_DEP_3)
	v_cmp_lt_u32_e32 vcc_lo, 22, v109
	s_or_b32 s1, vcc_lo, s1
	s_waitcnt vmcnt(0) lgkmcnt(0)
	v_fma_f64 v[1:2], v[112:113], v[114:115], v[1:2]
	s_and_not1_b32 exec_lo, exec_lo, s1
	s_cbranch_execnz .LBB50_105
; %bb.106:
	s_or_b32 exec_lo, exec_lo, s1
	v_mov_b32_e32 v109, 0
	ds_load_b64 v[109:110], v109 offset:192
	s_waitcnt lgkmcnt(0)
	v_mul_f64 v[1:2], v[1:2], v[109:110]
	scratch_store_b64 off, v[1:2], off offset:192
.LBB50_107:
	s_or_b32 exec_lo, exec_lo, s0
	s_waitcnt_vscnt null, 0x0
	s_barrier
	buffer_gl0_inv
	scratch_load_b64 v[1:2], off, off offset:200
	;; [unrolled: 39-line block ×27, first 2 shown]
	s_mov_b32 s0, exec_lo
	s_waitcnt vmcnt(0)
	ds_store_b64 v5, v[1:2]
	s_waitcnt lgkmcnt(0)
	s_barrier
	buffer_gl0_inv
	v_cmpx_ne_u32_e32 50, v0
	s_cbranch_execz .LBB50_211
; %bb.208:
	v_mov_b32_e32 v1, 0
	v_mov_b32_e32 v2, 0
	s_mov_b32 s1, 0
.LBB50_209:                             ; =>This Inner Loop Header: Depth=1
	scratch_load_b64 v[109:110], v4, off
	ds_load_b64 v[111:112], v5
	v_add_nc_u32_e32 v108, 1, v108
	v_add_nc_u32_e32 v5, 8, v5
	;; [unrolled: 1-line block ×3, first 2 shown]
	s_delay_alu instid0(VALU_DEP_3)
	v_cmp_lt_u32_e32 vcc_lo, 48, v108
	s_or_b32 s1, vcc_lo, s1
	s_waitcnt vmcnt(0) lgkmcnt(0)
	v_fma_f64 v[1:2], v[109:110], v[111:112], v[1:2]
	s_and_not1_b32 exec_lo, exec_lo, s1
	s_cbranch_execnz .LBB50_209
; %bb.210:
	s_or_b32 exec_lo, exec_lo, s1
	v_mov_b32_e32 v3, 0
	ds_load_b64 v[3:4], v3 offset:400
	s_waitcnt lgkmcnt(0)
	v_mul_f64 v[1:2], v[1:2], v[3:4]
	scratch_store_b64 off, v[1:2], off offset:400
.LBB50_211:
	s_or_b32 exec_lo, exec_lo, s0
	s_mov_b32 s1, -1
	s_waitcnt_vscnt null, 0x0
	s_barrier
	buffer_gl0_inv
.LBB50_212:
	s_and_b32 vcc_lo, exec_lo, s1
	s_cbranch_vccz .LBB50_214
; %bb.213:
	s_lshl_b64 s[0:1], s[14:15], 2
	v_mov_b32_e32 v1, 0
	s_add_u32 s0, s6, s0
	s_addc_u32 s1, s7, s1
	global_load_b32 v1, v1, s[0:1]
	s_waitcnt vmcnt(0)
	v_cmp_ne_u32_e32 vcc_lo, 0, v1
	s_cbranch_vccz .LBB50_215
.LBB50_214:
	s_endpgm
.LBB50_215:
	v_lshl_add_u32 v5, v0, 3, 0x1a0
	s_mov_b32 s0, exec_lo
	v_cmpx_eq_u32_e32 50, v0
	s_cbranch_execz .LBB50_217
; %bb.216:
	scratch_load_b64 v[1:2], off, off offset:392
	v_mov_b32_e32 v3, 0
	s_delay_alu instid0(VALU_DEP_1)
	v_mov_b32_e32 v4, v3
	scratch_store_b64 off, v[3:4], off offset:392
	s_waitcnt vmcnt(0)
	ds_store_b64 v5, v[1:2]
.LBB50_217:
	s_or_b32 exec_lo, exec_lo, s0
	s_waitcnt lgkmcnt(0)
	s_waitcnt_vscnt null, 0x0
	s_barrier
	buffer_gl0_inv
	scratch_load_b128 v[108:111], off, off offset:392
	v_mov_b32_e32 v1, 0
	s_mov_b32 s0, exec_lo
	ds_load_b64 v[2:3], v1 offset:816
	s_waitcnt vmcnt(0) lgkmcnt(0)
	v_fma_f64 v[2:3], v[110:111], v[2:3], 0
	s_delay_alu instid0(VALU_DEP_1)
	v_add_f64 v[2:3], v[108:109], -v[2:3]
	scratch_store_b64 off, v[2:3], off offset:392
	v_cmpx_lt_u32_e32 48, v0
	s_cbranch_execz .LBB50_219
; %bb.218:
	scratch_load_b64 v[3:4], off, off offset:384
	v_mov_b32_e32 v2, v1
	scratch_store_b64 off, v[1:2], off offset:384
	s_waitcnt vmcnt(0)
	ds_store_b64 v5, v[3:4]
.LBB50_219:
	s_or_b32 exec_lo, exec_lo, s0
	s_waitcnt lgkmcnt(0)
	s_waitcnt_vscnt null, 0x0
	s_barrier
	buffer_gl0_inv
	s_clause 0x1
	scratch_load_b128 v[108:111], off, off offset:384
	scratch_load_b64 v[112:113], off, off offset:400
	ds_load_2addr_b64 v[1:4], v1 offset0:101 offset1:102
	s_mov_b32 s0, exec_lo
	s_waitcnt vmcnt(1) lgkmcnt(0)
	v_fma_f64 v[1:2], v[110:111], v[1:2], 0
	s_waitcnt vmcnt(0)
	s_delay_alu instid0(VALU_DEP_1) | instskip(NEXT) | instid1(VALU_DEP_1)
	v_fma_f64 v[1:2], v[112:113], v[3:4], v[1:2]
	v_add_f64 v[1:2], v[108:109], -v[1:2]
	scratch_store_b64 off, v[1:2], off offset:384
	v_cmpx_lt_u32_e32 47, v0
	s_cbranch_execz .LBB50_221
; %bb.220:
	scratch_load_b64 v[1:2], off, off offset:376
	v_mov_b32_e32 v3, 0
	s_delay_alu instid0(VALU_DEP_1)
	v_mov_b32_e32 v4, v3
	scratch_store_b64 off, v[3:4], off offset:376
	s_waitcnt vmcnt(0)
	ds_store_b64 v5, v[1:2]
.LBB50_221:
	s_or_b32 exec_lo, exec_lo, s0
	s_waitcnt lgkmcnt(0)
	s_waitcnt_vscnt null, 0x0
	s_barrier
	buffer_gl0_inv
	s_clause 0x1
	scratch_load_b128 v[108:111], off, off offset:376
	scratch_load_b128 v[112:115], off, off offset:392
	v_mov_b32_e32 v1, 0
	s_mov_b32 s0, exec_lo
	ds_load_b128 v[116:119], v1 offset:800
	s_waitcnt vmcnt(1) lgkmcnt(0)
	v_fma_f64 v[2:3], v[110:111], v[116:117], 0
	ds_load_b64 v[110:111], v1 offset:816
	s_waitcnt vmcnt(0)
	v_fma_f64 v[2:3], v[112:113], v[118:119], v[2:3]
	s_waitcnt lgkmcnt(0)
	s_delay_alu instid0(VALU_DEP_1) | instskip(NEXT) | instid1(VALU_DEP_1)
	v_fma_f64 v[2:3], v[114:115], v[110:111], v[2:3]
	v_add_f64 v[2:3], v[108:109], -v[2:3]
	scratch_store_b64 off, v[2:3], off offset:376
	v_cmpx_lt_u32_e32 46, v0
	s_cbranch_execz .LBB50_223
; %bb.222:
	scratch_load_b64 v[3:4], off, off offset:368
	v_mov_b32_e32 v2, v1
	scratch_store_b64 off, v[1:2], off offset:368
	s_waitcnt vmcnt(0)
	ds_store_b64 v5, v[3:4]
.LBB50_223:
	s_or_b32 exec_lo, exec_lo, s0
	s_waitcnt lgkmcnt(0)
	s_waitcnt_vscnt null, 0x0
	s_barrier
	buffer_gl0_inv
	s_clause 0x2
	scratch_load_b128 v[108:111], off, off offset:368
	scratch_load_b128 v[112:115], off, off offset:384
	scratch_load_b64 v[120:121], off, off offset:400
	ds_load_2addr_b64 v[116:119], v1 offset0:99 offset1:100
	s_mov_b32 s0, exec_lo
	s_waitcnt vmcnt(2) lgkmcnt(0)
	v_fma_f64 v[2:3], v[110:111], v[116:117], 0
	s_waitcnt vmcnt(1)
	s_delay_alu instid0(VALU_DEP_1) | instskip(SKIP_4) | instid1(VALU_DEP_1)
	v_fma_f64 v[110:111], v[112:113], v[118:119], v[2:3]
	ds_load_2addr_b64 v[1:4], v1 offset0:101 offset1:102
	s_waitcnt lgkmcnt(0)
	v_fma_f64 v[1:2], v[114:115], v[1:2], v[110:111]
	s_waitcnt vmcnt(0)
	v_fma_f64 v[1:2], v[120:121], v[3:4], v[1:2]
	s_delay_alu instid0(VALU_DEP_1)
	v_add_f64 v[1:2], v[108:109], -v[1:2]
	scratch_store_b64 off, v[1:2], off offset:368
	v_cmpx_lt_u32_e32 45, v0
	s_cbranch_execz .LBB50_225
; %bb.224:
	scratch_load_b64 v[1:2], off, off offset:360
	v_mov_b32_e32 v3, 0
	s_delay_alu instid0(VALU_DEP_1)
	v_mov_b32_e32 v4, v3
	scratch_store_b64 off, v[3:4], off offset:360
	s_waitcnt vmcnt(0)
	ds_store_b64 v5, v[1:2]
.LBB50_225:
	s_or_b32 exec_lo, exec_lo, s0
	s_waitcnt lgkmcnt(0)
	s_waitcnt_vscnt null, 0x0
	s_barrier
	buffer_gl0_inv
	s_clause 0x2
	scratch_load_b128 v[108:111], off, off offset:360
	scratch_load_b128 v[112:115], off, off offset:376
	;; [unrolled: 1-line block ×3, first 2 shown]
	v_mov_b32_e32 v1, 0
	ds_load_b128 v[120:123], v1 offset:784
	ds_load_b128 v[124:127], v1 offset:800
	s_mov_b32 s0, exec_lo
	s_waitcnt vmcnt(2) lgkmcnt(1)
	v_fma_f64 v[2:3], v[110:111], v[120:121], 0
	ds_load_b64 v[110:111], v1 offset:816
	s_waitcnt vmcnt(1)
	v_fma_f64 v[2:3], v[112:113], v[122:123], v[2:3]
	s_waitcnt lgkmcnt(1)
	s_delay_alu instid0(VALU_DEP_1) | instskip(SKIP_1) | instid1(VALU_DEP_1)
	v_fma_f64 v[2:3], v[114:115], v[124:125], v[2:3]
	s_waitcnt vmcnt(0)
	v_fma_f64 v[2:3], v[116:117], v[126:127], v[2:3]
	s_waitcnt lgkmcnt(0)
	s_delay_alu instid0(VALU_DEP_1) | instskip(NEXT) | instid1(VALU_DEP_1)
	v_fma_f64 v[2:3], v[118:119], v[110:111], v[2:3]
	v_add_f64 v[2:3], v[108:109], -v[2:3]
	scratch_store_b64 off, v[2:3], off offset:360
	v_cmpx_lt_u32_e32 44, v0
	s_cbranch_execz .LBB50_227
; %bb.226:
	scratch_load_b64 v[3:4], off, off offset:352
	v_mov_b32_e32 v2, v1
	scratch_store_b64 off, v[1:2], off offset:352
	s_waitcnt vmcnt(0)
	ds_store_b64 v5, v[3:4]
.LBB50_227:
	s_or_b32 exec_lo, exec_lo, s0
	s_waitcnt lgkmcnt(0)
	s_waitcnt_vscnt null, 0x0
	s_barrier
	buffer_gl0_inv
	s_clause 0x3
	scratch_load_b128 v[108:111], off, off offset:352
	scratch_load_b128 v[112:115], off, off offset:368
	;; [unrolled: 1-line block ×3, first 2 shown]
	scratch_load_b64 v[128:129], off, off offset:400
	ds_load_2addr_b64 v[120:123], v1 offset0:97 offset1:98
	ds_load_2addr_b64 v[124:127], v1 offset0:99 offset1:100
	s_mov_b32 s0, exec_lo
	s_waitcnt vmcnt(3) lgkmcnt(1)
	v_fma_f64 v[2:3], v[110:111], v[120:121], 0
	s_waitcnt vmcnt(2)
	s_delay_alu instid0(VALU_DEP_1) | instskip(SKIP_1) | instid1(VALU_DEP_1)
	v_fma_f64 v[2:3], v[112:113], v[122:123], v[2:3]
	s_waitcnt lgkmcnt(0)
	v_fma_f64 v[2:3], v[114:115], v[124:125], v[2:3]
	s_waitcnt vmcnt(1)
	s_delay_alu instid0(VALU_DEP_1) | instskip(SKIP_4) | instid1(VALU_DEP_1)
	v_fma_f64 v[110:111], v[116:117], v[126:127], v[2:3]
	ds_load_2addr_b64 v[1:4], v1 offset0:101 offset1:102
	s_waitcnt lgkmcnt(0)
	v_fma_f64 v[1:2], v[118:119], v[1:2], v[110:111]
	s_waitcnt vmcnt(0)
	v_fma_f64 v[1:2], v[128:129], v[3:4], v[1:2]
	s_delay_alu instid0(VALU_DEP_1)
	v_add_f64 v[1:2], v[108:109], -v[1:2]
	scratch_store_b64 off, v[1:2], off offset:352
	v_cmpx_lt_u32_e32 43, v0
	s_cbranch_execz .LBB50_229
; %bb.228:
	scratch_load_b64 v[1:2], off, off offset:344
	v_mov_b32_e32 v3, 0
	s_delay_alu instid0(VALU_DEP_1)
	v_mov_b32_e32 v4, v3
	scratch_store_b64 off, v[3:4], off offset:344
	s_waitcnt vmcnt(0)
	ds_store_b64 v5, v[1:2]
.LBB50_229:
	s_or_b32 exec_lo, exec_lo, s0
	s_waitcnt lgkmcnt(0)
	s_waitcnt_vscnt null, 0x0
	s_barrier
	buffer_gl0_inv
	s_clause 0x3
	scratch_load_b128 v[108:111], off, off offset:344
	scratch_load_b128 v[112:115], off, off offset:360
	;; [unrolled: 1-line block ×4, first 2 shown]
	v_mov_b32_e32 v1, 0
	ds_load_b128 v[124:127], v1 offset:768
	ds_load_b128 v[128:131], v1 offset:784
	s_mov_b32 s0, exec_lo
	s_waitcnt vmcnt(3) lgkmcnt(1)
	v_fma_f64 v[2:3], v[110:111], v[124:125], 0
	s_waitcnt vmcnt(2)
	s_delay_alu instid0(VALU_DEP_1) | instskip(SKIP_1) | instid1(VALU_DEP_1)
	v_fma_f64 v[2:3], v[112:113], v[126:127], v[2:3]
	s_waitcnt lgkmcnt(0)
	v_fma_f64 v[2:3], v[114:115], v[128:129], v[2:3]
	ds_load_b128 v[110:113], v1 offset:800
	ds_load_b64 v[114:115], v1 offset:816
	s_waitcnt vmcnt(1)
	v_fma_f64 v[2:3], v[116:117], v[130:131], v[2:3]
	s_waitcnt lgkmcnt(1)
	s_delay_alu instid0(VALU_DEP_1) | instskip(SKIP_1) | instid1(VALU_DEP_1)
	v_fma_f64 v[2:3], v[118:119], v[110:111], v[2:3]
	s_waitcnt vmcnt(0)
	v_fma_f64 v[2:3], v[120:121], v[112:113], v[2:3]
	s_waitcnt lgkmcnt(0)
	s_delay_alu instid0(VALU_DEP_1) | instskip(NEXT) | instid1(VALU_DEP_1)
	v_fma_f64 v[2:3], v[122:123], v[114:115], v[2:3]
	v_add_f64 v[2:3], v[108:109], -v[2:3]
	scratch_store_b64 off, v[2:3], off offset:344
	v_cmpx_lt_u32_e32 42, v0
	s_cbranch_execz .LBB50_231
; %bb.230:
	scratch_load_b64 v[3:4], off, off offset:336
	v_mov_b32_e32 v2, v1
	scratch_store_b64 off, v[1:2], off offset:336
	s_waitcnt vmcnt(0)
	ds_store_b64 v5, v[3:4]
.LBB50_231:
	s_or_b32 exec_lo, exec_lo, s0
	s_waitcnt lgkmcnt(0)
	s_waitcnt_vscnt null, 0x0
	s_barrier
	buffer_gl0_inv
	s_clause 0x4
	scratch_load_b128 v[108:111], off, off offset:336
	scratch_load_b128 v[112:115], off, off offset:352
	scratch_load_b128 v[116:119], off, off offset:368
	scratch_load_b128 v[120:123], off, off offset:384
	scratch_load_b64 v[132:133], off, off offset:400
	ds_load_2addr_b64 v[124:127], v1 offset0:95 offset1:96
	ds_load_2addr_b64 v[128:131], v1 offset0:97 offset1:98
	s_mov_b32 s0, exec_lo
	s_waitcnt vmcnt(4) lgkmcnt(1)
	v_fma_f64 v[2:3], v[110:111], v[124:125], 0
	s_waitcnt vmcnt(3)
	s_delay_alu instid0(VALU_DEP_1) | instskip(SKIP_1) | instid1(VALU_DEP_1)
	v_fma_f64 v[2:3], v[112:113], v[126:127], v[2:3]
	s_waitcnt lgkmcnt(0)
	v_fma_f64 v[2:3], v[114:115], v[128:129], v[2:3]
	s_waitcnt vmcnt(2)
	s_delay_alu instid0(VALU_DEP_1)
	v_fma_f64 v[114:115], v[116:117], v[130:131], v[2:3]
	ds_load_2addr_b64 v[110:113], v1 offset0:99 offset1:100
	ds_load_2addr_b64 v[1:4], v1 offset0:101 offset1:102
	s_waitcnt lgkmcnt(1)
	v_fma_f64 v[110:111], v[118:119], v[110:111], v[114:115]
	s_waitcnt vmcnt(1)
	s_delay_alu instid0(VALU_DEP_1) | instskip(SKIP_1) | instid1(VALU_DEP_1)
	v_fma_f64 v[110:111], v[120:121], v[112:113], v[110:111]
	s_waitcnt lgkmcnt(0)
	v_fma_f64 v[1:2], v[122:123], v[1:2], v[110:111]
	s_waitcnt vmcnt(0)
	s_delay_alu instid0(VALU_DEP_1) | instskip(NEXT) | instid1(VALU_DEP_1)
	v_fma_f64 v[1:2], v[132:133], v[3:4], v[1:2]
	v_add_f64 v[1:2], v[108:109], -v[1:2]
	scratch_store_b64 off, v[1:2], off offset:336
	v_cmpx_lt_u32_e32 41, v0
	s_cbranch_execz .LBB50_233
; %bb.232:
	scratch_load_b64 v[1:2], off, off offset:328
	v_mov_b32_e32 v3, 0
	s_delay_alu instid0(VALU_DEP_1)
	v_mov_b32_e32 v4, v3
	scratch_store_b64 off, v[3:4], off offset:328
	s_waitcnt vmcnt(0)
	ds_store_b64 v5, v[1:2]
.LBB50_233:
	s_or_b32 exec_lo, exec_lo, s0
	s_waitcnt lgkmcnt(0)
	s_waitcnt_vscnt null, 0x0
	s_barrier
	buffer_gl0_inv
	s_clause 0x4
	scratch_load_b128 v[108:111], off, off offset:328
	scratch_load_b128 v[112:115], off, off offset:344
	;; [unrolled: 1-line block ×5, first 2 shown]
	v_mov_b32_e32 v1, 0
	ds_load_b128 v[128:131], v1 offset:752
	ds_load_b128 v[132:135], v1 offset:768
	s_mov_b32 s0, exec_lo
	s_waitcnt vmcnt(4) lgkmcnt(1)
	v_fma_f64 v[2:3], v[110:111], v[128:129], 0
	s_waitcnt vmcnt(3)
	s_delay_alu instid0(VALU_DEP_1) | instskip(SKIP_1) | instid1(VALU_DEP_1)
	v_fma_f64 v[2:3], v[112:113], v[130:131], v[2:3]
	s_waitcnt lgkmcnt(0)
	v_fma_f64 v[2:3], v[114:115], v[132:133], v[2:3]
	s_waitcnt vmcnt(2)
	s_delay_alu instid0(VALU_DEP_1)
	v_fma_f64 v[2:3], v[116:117], v[134:135], v[2:3]
	ds_load_b128 v[110:113], v1 offset:784
	ds_load_b128 v[114:117], v1 offset:800
	s_waitcnt lgkmcnt(1)
	v_fma_f64 v[2:3], v[118:119], v[110:111], v[2:3]
	ds_load_b64 v[110:111], v1 offset:816
	s_waitcnt vmcnt(1)
	v_fma_f64 v[2:3], v[120:121], v[112:113], v[2:3]
	s_waitcnt lgkmcnt(1)
	s_delay_alu instid0(VALU_DEP_1) | instskip(SKIP_1) | instid1(VALU_DEP_1)
	v_fma_f64 v[2:3], v[122:123], v[114:115], v[2:3]
	s_waitcnt vmcnt(0)
	v_fma_f64 v[2:3], v[124:125], v[116:117], v[2:3]
	s_waitcnt lgkmcnt(0)
	s_delay_alu instid0(VALU_DEP_1) | instskip(NEXT) | instid1(VALU_DEP_1)
	v_fma_f64 v[2:3], v[126:127], v[110:111], v[2:3]
	v_add_f64 v[2:3], v[108:109], -v[2:3]
	scratch_store_b64 off, v[2:3], off offset:328
	v_cmpx_lt_u32_e32 40, v0
	s_cbranch_execz .LBB50_235
; %bb.234:
	scratch_load_b64 v[3:4], off, off offset:320
	v_mov_b32_e32 v2, v1
	scratch_store_b64 off, v[1:2], off offset:320
	s_waitcnt vmcnt(0)
	ds_store_b64 v5, v[3:4]
.LBB50_235:
	s_or_b32 exec_lo, exec_lo, s0
	s_waitcnt lgkmcnt(0)
	s_waitcnt_vscnt null, 0x0
	s_barrier
	buffer_gl0_inv
	s_clause 0x4
	scratch_load_b128 v[108:111], off, off offset:320
	scratch_load_b128 v[112:115], off, off offset:336
	;; [unrolled: 1-line block ×5, first 2 shown]
	ds_load_2addr_b64 v[128:131], v1 offset0:93 offset1:94
	ds_load_2addr_b64 v[132:135], v1 offset0:95 offset1:96
	s_mov_b32 s0, exec_lo
	s_waitcnt vmcnt(4) lgkmcnt(1)
	v_fma_f64 v[2:3], v[110:111], v[128:129], 0
	scratch_load_b64 v[128:129], off, off offset:400
	s_waitcnt vmcnt(4)
	v_fma_f64 v[2:3], v[112:113], v[130:131], v[2:3]
	s_waitcnt lgkmcnt(0)
	s_delay_alu instid0(VALU_DEP_1) | instskip(SKIP_1) | instid1(VALU_DEP_1)
	v_fma_f64 v[2:3], v[114:115], v[132:133], v[2:3]
	s_waitcnt vmcnt(3)
	v_fma_f64 v[2:3], v[116:117], v[134:135], v[2:3]
	ds_load_2addr_b64 v[110:113], v1 offset0:97 offset1:98
	ds_load_2addr_b64 v[114:117], v1 offset0:99 offset1:100
	s_waitcnt lgkmcnt(1)
	v_fma_f64 v[2:3], v[118:119], v[110:111], v[2:3]
	s_waitcnt vmcnt(2)
	s_delay_alu instid0(VALU_DEP_1) | instskip(SKIP_1) | instid1(VALU_DEP_1)
	v_fma_f64 v[2:3], v[120:121], v[112:113], v[2:3]
	s_waitcnt lgkmcnt(0)
	v_fma_f64 v[2:3], v[122:123], v[114:115], v[2:3]
	s_waitcnt vmcnt(1)
	s_delay_alu instid0(VALU_DEP_1) | instskip(SKIP_4) | instid1(VALU_DEP_1)
	v_fma_f64 v[110:111], v[124:125], v[116:117], v[2:3]
	ds_load_2addr_b64 v[1:4], v1 offset0:101 offset1:102
	s_waitcnt lgkmcnt(0)
	v_fma_f64 v[1:2], v[126:127], v[1:2], v[110:111]
	s_waitcnt vmcnt(0)
	v_fma_f64 v[1:2], v[128:129], v[3:4], v[1:2]
	s_delay_alu instid0(VALU_DEP_1)
	v_add_f64 v[1:2], v[108:109], -v[1:2]
	scratch_store_b64 off, v[1:2], off offset:320
	v_cmpx_lt_u32_e32 39, v0
	s_cbranch_execz .LBB50_237
; %bb.236:
	scratch_load_b64 v[1:2], off, off offset:312
	v_mov_b32_e32 v3, 0
	s_delay_alu instid0(VALU_DEP_1)
	v_mov_b32_e32 v4, v3
	scratch_store_b64 off, v[3:4], off offset:312
	s_waitcnt vmcnt(0)
	ds_store_b64 v5, v[1:2]
.LBB50_237:
	s_or_b32 exec_lo, exec_lo, s0
	s_waitcnt lgkmcnt(0)
	s_waitcnt_vscnt null, 0x0
	s_barrier
	buffer_gl0_inv
	s_clause 0x4
	scratch_load_b128 v[108:111], off, off offset:312
	scratch_load_b128 v[112:115], off, off offset:328
	;; [unrolled: 1-line block ×5, first 2 shown]
	v_mov_b32_e32 v1, 0
	ds_load_b128 v[128:131], v1 offset:736
	ds_load_b128 v[132:135], v1 offset:752
	scratch_load_b128 v[136:139], off, off offset:392
	s_mov_b32 s0, exec_lo
	s_waitcnt vmcnt(5) lgkmcnt(1)
	v_fma_f64 v[2:3], v[110:111], v[128:129], 0
	s_waitcnt vmcnt(4)
	s_delay_alu instid0(VALU_DEP_1) | instskip(SKIP_1) | instid1(VALU_DEP_1)
	v_fma_f64 v[2:3], v[112:113], v[130:131], v[2:3]
	s_waitcnt lgkmcnt(0)
	v_fma_f64 v[2:3], v[114:115], v[132:133], v[2:3]
	s_waitcnt vmcnt(3)
	s_delay_alu instid0(VALU_DEP_1)
	v_fma_f64 v[2:3], v[116:117], v[134:135], v[2:3]
	ds_load_b128 v[110:113], v1 offset:768
	ds_load_b128 v[114:117], v1 offset:784
	s_waitcnt lgkmcnt(1)
	v_fma_f64 v[2:3], v[118:119], v[110:111], v[2:3]
	s_waitcnt vmcnt(2)
	s_delay_alu instid0(VALU_DEP_1) | instskip(SKIP_1) | instid1(VALU_DEP_1)
	v_fma_f64 v[2:3], v[120:121], v[112:113], v[2:3]
	s_waitcnt lgkmcnt(0)
	v_fma_f64 v[2:3], v[122:123], v[114:115], v[2:3]
	ds_load_b128 v[110:113], v1 offset:800
	ds_load_b64 v[114:115], v1 offset:816
	s_waitcnt vmcnt(1)
	v_fma_f64 v[2:3], v[124:125], v[116:117], v[2:3]
	s_waitcnt lgkmcnt(1)
	s_delay_alu instid0(VALU_DEP_1) | instskip(SKIP_1) | instid1(VALU_DEP_1)
	v_fma_f64 v[2:3], v[126:127], v[110:111], v[2:3]
	s_waitcnt vmcnt(0)
	v_fma_f64 v[2:3], v[136:137], v[112:113], v[2:3]
	s_waitcnt lgkmcnt(0)
	s_delay_alu instid0(VALU_DEP_1) | instskip(NEXT) | instid1(VALU_DEP_1)
	v_fma_f64 v[2:3], v[138:139], v[114:115], v[2:3]
	v_add_f64 v[2:3], v[108:109], -v[2:3]
	scratch_store_b64 off, v[2:3], off offset:312
	v_cmpx_lt_u32_e32 38, v0
	s_cbranch_execz .LBB50_239
; %bb.238:
	scratch_load_b64 v[3:4], off, off offset:304
	v_mov_b32_e32 v2, v1
	scratch_store_b64 off, v[1:2], off offset:304
	s_waitcnt vmcnt(0)
	ds_store_b64 v5, v[3:4]
.LBB50_239:
	s_or_b32 exec_lo, exec_lo, s0
	s_waitcnt lgkmcnt(0)
	s_waitcnt_vscnt null, 0x0
	s_barrier
	buffer_gl0_inv
	s_clause 0x4
	scratch_load_b128 v[108:111], off, off offset:304
	scratch_load_b128 v[112:115], off, off offset:320
	;; [unrolled: 1-line block ×5, first 2 shown]
	ds_load_2addr_b64 v[128:131], v1 offset0:91 offset1:92
	ds_load_2addr_b64 v[132:135], v1 offset0:93 offset1:94
	scratch_load_b128 v[136:139], off, off offset:384
	s_mov_b32 s0, exec_lo
	s_waitcnt vmcnt(5) lgkmcnt(1)
	v_fma_f64 v[2:3], v[110:111], v[128:129], 0
	scratch_load_b64 v[128:129], off, off offset:400
	s_waitcnt vmcnt(5)
	v_fma_f64 v[2:3], v[112:113], v[130:131], v[2:3]
	s_waitcnt lgkmcnt(0)
	s_delay_alu instid0(VALU_DEP_1) | instskip(SKIP_1) | instid1(VALU_DEP_1)
	v_fma_f64 v[2:3], v[114:115], v[132:133], v[2:3]
	s_waitcnt vmcnt(4)
	v_fma_f64 v[2:3], v[116:117], v[134:135], v[2:3]
	ds_load_2addr_b64 v[110:113], v1 offset0:95 offset1:96
	ds_load_2addr_b64 v[114:117], v1 offset0:97 offset1:98
	s_waitcnt lgkmcnt(1)
	v_fma_f64 v[2:3], v[118:119], v[110:111], v[2:3]
	s_waitcnt vmcnt(3)
	s_delay_alu instid0(VALU_DEP_1) | instskip(SKIP_1) | instid1(VALU_DEP_1)
	v_fma_f64 v[2:3], v[120:121], v[112:113], v[2:3]
	s_waitcnt lgkmcnt(0)
	v_fma_f64 v[2:3], v[122:123], v[114:115], v[2:3]
	s_waitcnt vmcnt(2)
	s_delay_alu instid0(VALU_DEP_1)
	v_fma_f64 v[114:115], v[124:125], v[116:117], v[2:3]
	ds_load_2addr_b64 v[110:113], v1 offset0:99 offset1:100
	ds_load_2addr_b64 v[1:4], v1 offset0:101 offset1:102
	s_waitcnt lgkmcnt(1)
	v_fma_f64 v[110:111], v[126:127], v[110:111], v[114:115]
	s_waitcnt vmcnt(1)
	s_delay_alu instid0(VALU_DEP_1) | instskip(SKIP_1) | instid1(VALU_DEP_1)
	v_fma_f64 v[110:111], v[136:137], v[112:113], v[110:111]
	s_waitcnt lgkmcnt(0)
	v_fma_f64 v[1:2], v[138:139], v[1:2], v[110:111]
	s_waitcnt vmcnt(0)
	s_delay_alu instid0(VALU_DEP_1) | instskip(NEXT) | instid1(VALU_DEP_1)
	v_fma_f64 v[1:2], v[128:129], v[3:4], v[1:2]
	v_add_f64 v[1:2], v[108:109], -v[1:2]
	scratch_store_b64 off, v[1:2], off offset:304
	v_cmpx_lt_u32_e32 37, v0
	s_cbranch_execz .LBB50_241
; %bb.240:
	scratch_load_b64 v[1:2], off, off offset:296
	v_mov_b32_e32 v3, 0
	s_delay_alu instid0(VALU_DEP_1)
	v_mov_b32_e32 v4, v3
	scratch_store_b64 off, v[3:4], off offset:296
	s_waitcnt vmcnt(0)
	ds_store_b64 v5, v[1:2]
.LBB50_241:
	s_or_b32 exec_lo, exec_lo, s0
	s_waitcnt lgkmcnt(0)
	s_waitcnt_vscnt null, 0x0
	s_barrier
	buffer_gl0_inv
	s_clause 0x4
	scratch_load_b128 v[108:111], off, off offset:296
	scratch_load_b128 v[112:115], off, off offset:312
	;; [unrolled: 1-line block ×5, first 2 shown]
	v_mov_b32_e32 v1, 0
	ds_load_b128 v[128:131], v1 offset:720
	ds_load_b128 v[132:135], v1 offset:736
	scratch_load_b128 v[136:139], off, off offset:376
	s_mov_b32 s0, exec_lo
	s_waitcnt vmcnt(5) lgkmcnt(1)
	v_fma_f64 v[2:3], v[110:111], v[128:129], 0
	s_waitcnt vmcnt(4)
	s_delay_alu instid0(VALU_DEP_1) | instskip(SKIP_4) | instid1(VALU_DEP_1)
	v_fma_f64 v[2:3], v[112:113], v[130:131], v[2:3]
	scratch_load_b128 v[110:113], off, off offset:392
	s_waitcnt lgkmcnt(0)
	v_fma_f64 v[2:3], v[114:115], v[132:133], v[2:3]
	s_waitcnt vmcnt(4)
	v_fma_f64 v[2:3], v[116:117], v[134:135], v[2:3]
	ds_load_b128 v[114:117], v1 offset:752
	ds_load_b128 v[128:131], v1 offset:768
	s_waitcnt lgkmcnt(1)
	v_fma_f64 v[2:3], v[118:119], v[114:115], v[2:3]
	s_waitcnt vmcnt(3)
	s_delay_alu instid0(VALU_DEP_1)
	v_fma_f64 v[2:3], v[120:121], v[116:117], v[2:3]
	ds_load_b128 v[114:117], v1 offset:784
	ds_load_b128 v[118:121], v1 offset:800
	s_waitcnt lgkmcnt(2)
	v_fma_f64 v[2:3], v[122:123], v[128:129], v[2:3]
	s_waitcnt vmcnt(2)
	s_delay_alu instid0(VALU_DEP_1) | instskip(SKIP_1) | instid1(VALU_DEP_1)
	v_fma_f64 v[2:3], v[124:125], v[130:131], v[2:3]
	s_waitcnt lgkmcnt(1)
	v_fma_f64 v[2:3], v[126:127], v[114:115], v[2:3]
	s_waitcnt vmcnt(1)
	s_delay_alu instid0(VALU_DEP_1) | instskip(SKIP_1) | instid1(VALU_DEP_1)
	v_fma_f64 v[2:3], v[136:137], v[116:117], v[2:3]
	s_waitcnt lgkmcnt(0)
	v_fma_f64 v[2:3], v[138:139], v[118:119], v[2:3]
	s_waitcnt vmcnt(0)
	s_delay_alu instid0(VALU_DEP_1) | instskip(SKIP_3) | instid1(VALU_DEP_1)
	v_fma_f64 v[2:3], v[110:111], v[120:121], v[2:3]
	ds_load_b64 v[110:111], v1 offset:816
	s_waitcnt lgkmcnt(0)
	v_fma_f64 v[2:3], v[112:113], v[110:111], v[2:3]
	v_add_f64 v[2:3], v[108:109], -v[2:3]
	scratch_store_b64 off, v[2:3], off offset:296
	v_cmpx_lt_u32_e32 36, v0
	s_cbranch_execz .LBB50_243
; %bb.242:
	scratch_load_b64 v[3:4], off, off offset:288
	v_mov_b32_e32 v2, v1
	scratch_store_b64 off, v[1:2], off offset:288
	s_waitcnt vmcnt(0)
	ds_store_b64 v5, v[3:4]
.LBB50_243:
	s_or_b32 exec_lo, exec_lo, s0
	s_waitcnt lgkmcnt(0)
	s_waitcnt_vscnt null, 0x0
	s_barrier
	buffer_gl0_inv
	s_clause 0x4
	scratch_load_b128 v[108:111], off, off offset:288
	scratch_load_b128 v[112:115], off, off offset:304
	;; [unrolled: 1-line block ×5, first 2 shown]
	ds_load_2addr_b64 v[128:131], v1 offset0:89 offset1:90
	ds_load_2addr_b64 v[132:135], v1 offset0:91 offset1:92
	scratch_load_b128 v[136:139], off, off offset:368
	s_mov_b32 s0, exec_lo
	s_waitcnt vmcnt(5) lgkmcnt(1)
	v_fma_f64 v[2:3], v[110:111], v[128:129], 0
	s_waitcnt vmcnt(4)
	s_delay_alu instid0(VALU_DEP_1) | instskip(SKIP_4) | instid1(VALU_DEP_1)
	v_fma_f64 v[2:3], v[112:113], v[130:131], v[2:3]
	scratch_load_b128 v[110:113], off, off offset:384
	s_waitcnt lgkmcnt(0)
	v_fma_f64 v[2:3], v[114:115], v[132:133], v[2:3]
	s_waitcnt vmcnt(4)
	v_fma_f64 v[2:3], v[116:117], v[134:135], v[2:3]
	ds_load_2addr_b64 v[114:117], v1 offset0:93 offset1:94
	ds_load_2addr_b64 v[128:131], v1 offset0:95 offset1:96
	scratch_load_b64 v[132:133], off, off offset:400
	s_waitcnt lgkmcnt(1)
	v_fma_f64 v[2:3], v[118:119], v[114:115], v[2:3]
	s_waitcnt vmcnt(4)
	s_delay_alu instid0(VALU_DEP_1)
	v_fma_f64 v[2:3], v[120:121], v[116:117], v[2:3]
	ds_load_2addr_b64 v[114:117], v1 offset0:97 offset1:98
	ds_load_2addr_b64 v[118:121], v1 offset0:99 offset1:100
	s_waitcnt lgkmcnt(2)
	v_fma_f64 v[2:3], v[122:123], v[128:129], v[2:3]
	s_waitcnt vmcnt(3)
	s_delay_alu instid0(VALU_DEP_1) | instskip(SKIP_1) | instid1(VALU_DEP_1)
	v_fma_f64 v[2:3], v[124:125], v[130:131], v[2:3]
	s_waitcnt lgkmcnt(1)
	v_fma_f64 v[2:3], v[126:127], v[114:115], v[2:3]
	s_waitcnt vmcnt(2)
	s_delay_alu instid0(VALU_DEP_1) | instskip(SKIP_1) | instid1(VALU_DEP_1)
	v_fma_f64 v[2:3], v[136:137], v[116:117], v[2:3]
	s_waitcnt lgkmcnt(0)
	v_fma_f64 v[2:3], v[138:139], v[118:119], v[2:3]
	s_waitcnt vmcnt(1)
	s_delay_alu instid0(VALU_DEP_1) | instskip(SKIP_4) | instid1(VALU_DEP_1)
	v_fma_f64 v[110:111], v[110:111], v[120:121], v[2:3]
	ds_load_2addr_b64 v[1:4], v1 offset0:101 offset1:102
	s_waitcnt lgkmcnt(0)
	v_fma_f64 v[1:2], v[112:113], v[1:2], v[110:111]
	s_waitcnt vmcnt(0)
	v_fma_f64 v[1:2], v[132:133], v[3:4], v[1:2]
	s_delay_alu instid0(VALU_DEP_1)
	v_add_f64 v[1:2], v[108:109], -v[1:2]
	scratch_store_b64 off, v[1:2], off offset:288
	v_cmpx_lt_u32_e32 35, v0
	s_cbranch_execz .LBB50_245
; %bb.244:
	scratch_load_b64 v[1:2], off, off offset:280
	v_mov_b32_e32 v3, 0
	s_delay_alu instid0(VALU_DEP_1)
	v_mov_b32_e32 v4, v3
	scratch_store_b64 off, v[3:4], off offset:280
	s_waitcnt vmcnt(0)
	ds_store_b64 v5, v[1:2]
.LBB50_245:
	s_or_b32 exec_lo, exec_lo, s0
	s_waitcnt lgkmcnt(0)
	s_waitcnt_vscnt null, 0x0
	s_barrier
	buffer_gl0_inv
	s_clause 0x4
	scratch_load_b128 v[108:111], off, off offset:280
	scratch_load_b128 v[112:115], off, off offset:296
	;; [unrolled: 1-line block ×5, first 2 shown]
	v_mov_b32_e32 v1, 0
	ds_load_b128 v[128:131], v1 offset:704
	ds_load_b128 v[132:135], v1 offset:720
	scratch_load_b128 v[136:139], off, off offset:360
	s_mov_b32 s0, exec_lo
	s_waitcnt vmcnt(5) lgkmcnt(1)
	v_fma_f64 v[2:3], v[110:111], v[128:129], 0
	s_waitcnt vmcnt(4)
	s_delay_alu instid0(VALU_DEP_1) | instskip(SKIP_4) | instid1(VALU_DEP_1)
	v_fma_f64 v[2:3], v[112:113], v[130:131], v[2:3]
	scratch_load_b128 v[110:113], off, off offset:376
	s_waitcnt lgkmcnt(0)
	v_fma_f64 v[2:3], v[114:115], v[132:133], v[2:3]
	s_waitcnt vmcnt(4)
	v_fma_f64 v[2:3], v[116:117], v[134:135], v[2:3]
	ds_load_b128 v[114:117], v1 offset:736
	ds_load_b128 v[128:131], v1 offset:752
	scratch_load_b128 v[132:135], off, off offset:392
	s_waitcnt lgkmcnt(1)
	v_fma_f64 v[2:3], v[118:119], v[114:115], v[2:3]
	s_waitcnt vmcnt(4)
	s_delay_alu instid0(VALU_DEP_1)
	v_fma_f64 v[2:3], v[120:121], v[116:117], v[2:3]
	ds_load_b128 v[114:117], v1 offset:768
	ds_load_b128 v[118:121], v1 offset:784
	s_waitcnt lgkmcnt(2)
	v_fma_f64 v[2:3], v[122:123], v[128:129], v[2:3]
	s_waitcnt vmcnt(3)
	s_delay_alu instid0(VALU_DEP_1) | instskip(SKIP_1) | instid1(VALU_DEP_1)
	v_fma_f64 v[2:3], v[124:125], v[130:131], v[2:3]
	s_waitcnt lgkmcnt(1)
	v_fma_f64 v[2:3], v[126:127], v[114:115], v[2:3]
	s_waitcnt vmcnt(2)
	s_delay_alu instid0(VALU_DEP_1) | instskip(SKIP_1) | instid1(VALU_DEP_1)
	v_fma_f64 v[2:3], v[136:137], v[116:117], v[2:3]
	s_waitcnt lgkmcnt(0)
	v_fma_f64 v[2:3], v[138:139], v[118:119], v[2:3]
	s_waitcnt vmcnt(1)
	s_delay_alu instid0(VALU_DEP_1)
	v_fma_f64 v[2:3], v[110:111], v[120:121], v[2:3]
	ds_load_b128 v[114:117], v1 offset:800
	ds_load_b64 v[110:111], v1 offset:816
	s_waitcnt lgkmcnt(1)
	v_fma_f64 v[2:3], v[112:113], v[114:115], v[2:3]
	s_waitcnt vmcnt(0)
	s_delay_alu instid0(VALU_DEP_1) | instskip(SKIP_1) | instid1(VALU_DEP_1)
	v_fma_f64 v[2:3], v[132:133], v[116:117], v[2:3]
	s_waitcnt lgkmcnt(0)
	v_fma_f64 v[2:3], v[134:135], v[110:111], v[2:3]
	s_delay_alu instid0(VALU_DEP_1)
	v_add_f64 v[2:3], v[108:109], -v[2:3]
	scratch_store_b64 off, v[2:3], off offset:280
	v_cmpx_lt_u32_e32 34, v0
	s_cbranch_execz .LBB50_247
; %bb.246:
	scratch_load_b64 v[3:4], off, off offset:272
	v_mov_b32_e32 v2, v1
	scratch_store_b64 off, v[1:2], off offset:272
	s_waitcnt vmcnt(0)
	ds_store_b64 v5, v[3:4]
.LBB50_247:
	s_or_b32 exec_lo, exec_lo, s0
	s_waitcnt lgkmcnt(0)
	s_waitcnt_vscnt null, 0x0
	s_barrier
	buffer_gl0_inv
	s_clause 0x4
	scratch_load_b128 v[108:111], off, off offset:272
	scratch_load_b128 v[112:115], off, off offset:288
	;; [unrolled: 1-line block ×5, first 2 shown]
	ds_load_2addr_b64 v[128:131], v1 offset0:87 offset1:88
	ds_load_2addr_b64 v[132:135], v1 offset0:89 offset1:90
	scratch_load_b128 v[136:139], off, off offset:352
	s_mov_b32 s0, exec_lo
	s_waitcnt vmcnt(5) lgkmcnt(1)
	v_fma_f64 v[2:3], v[110:111], v[128:129], 0
	s_waitcnt vmcnt(4)
	s_delay_alu instid0(VALU_DEP_1) | instskip(SKIP_4) | instid1(VALU_DEP_1)
	v_fma_f64 v[2:3], v[112:113], v[130:131], v[2:3]
	scratch_load_b128 v[110:113], off, off offset:368
	s_waitcnt lgkmcnt(0)
	v_fma_f64 v[2:3], v[114:115], v[132:133], v[2:3]
	s_waitcnt vmcnt(4)
	v_fma_f64 v[2:3], v[116:117], v[134:135], v[2:3]
	ds_load_2addr_b64 v[114:117], v1 offset0:91 offset1:92
	ds_load_2addr_b64 v[128:131], v1 offset0:93 offset1:94
	scratch_load_b128 v[132:135], off, off offset:384
	s_waitcnt lgkmcnt(1)
	v_fma_f64 v[2:3], v[118:119], v[114:115], v[2:3]
	s_waitcnt vmcnt(4)
	s_delay_alu instid0(VALU_DEP_1) | instskip(SKIP_1) | instid1(VALU_DEP_1)
	v_fma_f64 v[2:3], v[120:121], v[116:117], v[2:3]
	s_waitcnt lgkmcnt(0)
	v_fma_f64 v[2:3], v[122:123], v[128:129], v[2:3]
	scratch_load_b64 v[122:123], off, off offset:400
	ds_load_2addr_b64 v[114:117], v1 offset0:95 offset1:96
	ds_load_2addr_b64 v[118:121], v1 offset0:97 offset1:98
	s_waitcnt vmcnt(4)
	v_fma_f64 v[2:3], v[124:125], v[130:131], v[2:3]
	s_waitcnt lgkmcnt(1)
	s_delay_alu instid0(VALU_DEP_1) | instskip(SKIP_1) | instid1(VALU_DEP_1)
	v_fma_f64 v[2:3], v[126:127], v[114:115], v[2:3]
	s_waitcnt vmcnt(3)
	v_fma_f64 v[2:3], v[136:137], v[116:117], v[2:3]
	s_waitcnt lgkmcnt(0)
	s_delay_alu instid0(VALU_DEP_1) | instskip(SKIP_1) | instid1(VALU_DEP_1)
	v_fma_f64 v[2:3], v[138:139], v[118:119], v[2:3]
	s_waitcnt vmcnt(2)
	v_fma_f64 v[110:111], v[110:111], v[120:121], v[2:3]
	ds_load_2addr_b64 v[114:117], v1 offset0:99 offset1:100
	ds_load_2addr_b64 v[1:4], v1 offset0:101 offset1:102
	s_waitcnt lgkmcnt(1)
	v_fma_f64 v[110:111], v[112:113], v[114:115], v[110:111]
	s_waitcnt vmcnt(1)
	s_delay_alu instid0(VALU_DEP_1) | instskip(SKIP_1) | instid1(VALU_DEP_1)
	v_fma_f64 v[110:111], v[132:133], v[116:117], v[110:111]
	s_waitcnt lgkmcnt(0)
	v_fma_f64 v[1:2], v[134:135], v[1:2], v[110:111]
	s_waitcnt vmcnt(0)
	s_delay_alu instid0(VALU_DEP_1) | instskip(NEXT) | instid1(VALU_DEP_1)
	v_fma_f64 v[1:2], v[122:123], v[3:4], v[1:2]
	v_add_f64 v[1:2], v[108:109], -v[1:2]
	scratch_store_b64 off, v[1:2], off offset:272
	v_cmpx_lt_u32_e32 33, v0
	s_cbranch_execz .LBB50_249
; %bb.248:
	scratch_load_b64 v[1:2], off, off offset:264
	v_mov_b32_e32 v3, 0
	s_delay_alu instid0(VALU_DEP_1)
	v_mov_b32_e32 v4, v3
	scratch_store_b64 off, v[3:4], off offset:264
	s_waitcnt vmcnt(0)
	ds_store_b64 v5, v[1:2]
.LBB50_249:
	s_or_b32 exec_lo, exec_lo, s0
	s_waitcnt lgkmcnt(0)
	s_waitcnt_vscnt null, 0x0
	s_barrier
	buffer_gl0_inv
	s_clause 0x4
	scratch_load_b128 v[108:111], off, off offset:264
	scratch_load_b128 v[112:115], off, off offset:280
	;; [unrolled: 1-line block ×5, first 2 shown]
	v_mov_b32_e32 v1, 0
	ds_load_b128 v[128:131], v1 offset:688
	ds_load_b128 v[132:135], v1 offset:704
	scratch_load_b128 v[136:139], off, off offset:344
	s_mov_b32 s0, exec_lo
	s_waitcnt vmcnt(5) lgkmcnt(1)
	v_fma_f64 v[2:3], v[110:111], v[128:129], 0
	s_waitcnt vmcnt(4)
	s_delay_alu instid0(VALU_DEP_1) | instskip(SKIP_4) | instid1(VALU_DEP_1)
	v_fma_f64 v[2:3], v[112:113], v[130:131], v[2:3]
	scratch_load_b128 v[110:113], off, off offset:360
	s_waitcnt lgkmcnt(0)
	v_fma_f64 v[2:3], v[114:115], v[132:133], v[2:3]
	s_waitcnt vmcnt(4)
	v_fma_f64 v[2:3], v[116:117], v[134:135], v[2:3]
	ds_load_b128 v[114:117], v1 offset:720
	ds_load_b128 v[128:131], v1 offset:736
	scratch_load_b128 v[132:135], off, off offset:376
	s_waitcnt lgkmcnt(1)
	v_fma_f64 v[2:3], v[118:119], v[114:115], v[2:3]
	s_waitcnt vmcnt(4)
	s_delay_alu instid0(VALU_DEP_1) | instskip(SKIP_4) | instid1(VALU_DEP_1)
	v_fma_f64 v[2:3], v[120:121], v[116:117], v[2:3]
	scratch_load_b128 v[114:117], off, off offset:392
	s_waitcnt lgkmcnt(0)
	v_fma_f64 v[2:3], v[122:123], v[128:129], v[2:3]
	s_waitcnt vmcnt(4)
	v_fma_f64 v[2:3], v[124:125], v[130:131], v[2:3]
	ds_load_b128 v[118:121], v1 offset:752
	ds_load_b128 v[122:125], v1 offset:768
	s_waitcnt lgkmcnt(1)
	v_fma_f64 v[2:3], v[126:127], v[118:119], v[2:3]
	s_waitcnt vmcnt(3)
	s_delay_alu instid0(VALU_DEP_1) | instskip(SKIP_1) | instid1(VALU_DEP_1)
	v_fma_f64 v[2:3], v[136:137], v[120:121], v[2:3]
	s_waitcnt lgkmcnt(0)
	v_fma_f64 v[2:3], v[138:139], v[122:123], v[2:3]
	s_waitcnt vmcnt(2)
	s_delay_alu instid0(VALU_DEP_1)
	v_fma_f64 v[2:3], v[110:111], v[124:125], v[2:3]
	ds_load_b128 v[118:121], v1 offset:784
	ds_load_b128 v[122:125], v1 offset:800
	ds_load_b64 v[110:111], v1 offset:816
	s_waitcnt lgkmcnt(2)
	v_fma_f64 v[2:3], v[112:113], v[118:119], v[2:3]
	s_waitcnt vmcnt(1)
	s_delay_alu instid0(VALU_DEP_1) | instskip(SKIP_1) | instid1(VALU_DEP_1)
	v_fma_f64 v[2:3], v[132:133], v[120:121], v[2:3]
	s_waitcnt lgkmcnt(1)
	v_fma_f64 v[2:3], v[134:135], v[122:123], v[2:3]
	s_waitcnt vmcnt(0)
	s_delay_alu instid0(VALU_DEP_1) | instskip(SKIP_1) | instid1(VALU_DEP_1)
	v_fma_f64 v[2:3], v[114:115], v[124:125], v[2:3]
	s_waitcnt lgkmcnt(0)
	v_fma_f64 v[2:3], v[116:117], v[110:111], v[2:3]
	s_delay_alu instid0(VALU_DEP_1)
	v_add_f64 v[2:3], v[108:109], -v[2:3]
	scratch_store_b64 off, v[2:3], off offset:264
	v_cmpx_lt_u32_e32 32, v0
	s_cbranch_execz .LBB50_251
; %bb.250:
	scratch_load_b64 v[3:4], off, off offset:256
	v_mov_b32_e32 v2, v1
	scratch_store_b64 off, v[1:2], off offset:256
	s_waitcnt vmcnt(0)
	ds_store_b64 v5, v[3:4]
.LBB50_251:
	s_or_b32 exec_lo, exec_lo, s0
	s_waitcnt lgkmcnt(0)
	s_waitcnt_vscnt null, 0x0
	s_barrier
	buffer_gl0_inv
	s_clause 0x4
	scratch_load_b128 v[108:111], off, off offset:256
	scratch_load_b128 v[112:115], off, off offset:272
	;; [unrolled: 1-line block ×5, first 2 shown]
	ds_load_2addr_b64 v[128:131], v1 offset0:85 offset1:86
	ds_load_2addr_b64 v[132:135], v1 offset0:87 offset1:88
	scratch_load_b128 v[136:139], off, off offset:336
	s_mov_b32 s0, exec_lo
	s_waitcnt vmcnt(5) lgkmcnt(1)
	v_fma_f64 v[2:3], v[110:111], v[128:129], 0
	s_waitcnt vmcnt(4)
	s_delay_alu instid0(VALU_DEP_1) | instskip(SKIP_4) | instid1(VALU_DEP_1)
	v_fma_f64 v[2:3], v[112:113], v[130:131], v[2:3]
	scratch_load_b128 v[110:113], off, off offset:352
	s_waitcnt lgkmcnt(0)
	v_fma_f64 v[2:3], v[114:115], v[132:133], v[2:3]
	s_waitcnt vmcnt(4)
	v_fma_f64 v[2:3], v[116:117], v[134:135], v[2:3]
	ds_load_2addr_b64 v[114:117], v1 offset0:89 offset1:90
	ds_load_2addr_b64 v[128:131], v1 offset0:91 offset1:92
	scratch_load_b128 v[132:135], off, off offset:368
	s_waitcnt lgkmcnt(1)
	v_fma_f64 v[2:3], v[118:119], v[114:115], v[2:3]
	s_waitcnt vmcnt(4)
	s_delay_alu instid0(VALU_DEP_1) | instskip(SKIP_4) | instid1(VALU_DEP_1)
	v_fma_f64 v[2:3], v[120:121], v[116:117], v[2:3]
	scratch_load_b128 v[114:117], off, off offset:384
	s_waitcnt lgkmcnt(0)
	v_fma_f64 v[2:3], v[122:123], v[128:129], v[2:3]
	s_waitcnt vmcnt(4)
	v_fma_f64 v[2:3], v[124:125], v[130:131], v[2:3]
	ds_load_2addr_b64 v[118:121], v1 offset0:93 offset1:94
	ds_load_2addr_b64 v[122:125], v1 offset0:95 offset1:96
	s_waitcnt lgkmcnt(1)
	v_fma_f64 v[2:3], v[126:127], v[118:119], v[2:3]
	scratch_load_b64 v[126:127], off, off offset:400
	s_waitcnt vmcnt(4)
	v_fma_f64 v[2:3], v[136:137], v[120:121], v[2:3]
	s_waitcnt lgkmcnt(0)
	s_delay_alu instid0(VALU_DEP_1) | instskip(SKIP_1) | instid1(VALU_DEP_1)
	v_fma_f64 v[2:3], v[138:139], v[122:123], v[2:3]
	s_waitcnt vmcnt(3)
	v_fma_f64 v[2:3], v[110:111], v[124:125], v[2:3]
	ds_load_2addr_b64 v[118:121], v1 offset0:97 offset1:98
	ds_load_2addr_b64 v[122:125], v1 offset0:99 offset1:100
	s_waitcnt lgkmcnt(1)
	v_fma_f64 v[2:3], v[112:113], v[118:119], v[2:3]
	s_waitcnt vmcnt(2)
	s_delay_alu instid0(VALU_DEP_1) | instskip(SKIP_1) | instid1(VALU_DEP_1)
	v_fma_f64 v[2:3], v[132:133], v[120:121], v[2:3]
	s_waitcnt lgkmcnt(0)
	v_fma_f64 v[2:3], v[134:135], v[122:123], v[2:3]
	s_waitcnt vmcnt(1)
	s_delay_alu instid0(VALU_DEP_1) | instskip(SKIP_4) | instid1(VALU_DEP_1)
	v_fma_f64 v[110:111], v[114:115], v[124:125], v[2:3]
	ds_load_2addr_b64 v[1:4], v1 offset0:101 offset1:102
	s_waitcnt lgkmcnt(0)
	v_fma_f64 v[1:2], v[116:117], v[1:2], v[110:111]
	s_waitcnt vmcnt(0)
	v_fma_f64 v[1:2], v[126:127], v[3:4], v[1:2]
	s_delay_alu instid0(VALU_DEP_1)
	v_add_f64 v[1:2], v[108:109], -v[1:2]
	scratch_store_b64 off, v[1:2], off offset:256
	v_cmpx_lt_u32_e32 31, v0
	s_cbranch_execz .LBB50_253
; %bb.252:
	scratch_load_b64 v[1:2], off, off offset:248
	v_mov_b32_e32 v3, 0
	s_delay_alu instid0(VALU_DEP_1)
	v_mov_b32_e32 v4, v3
	scratch_store_b64 off, v[3:4], off offset:248
	s_waitcnt vmcnt(0)
	ds_store_b64 v5, v[1:2]
.LBB50_253:
	s_or_b32 exec_lo, exec_lo, s0
	s_waitcnt lgkmcnt(0)
	s_waitcnt_vscnt null, 0x0
	s_barrier
	buffer_gl0_inv
	s_clause 0x4
	scratch_load_b128 v[108:111], off, off offset:248
	scratch_load_b128 v[112:115], off, off offset:264
	;; [unrolled: 1-line block ×5, first 2 shown]
	v_mov_b32_e32 v1, 0
	ds_load_b128 v[128:131], v1 offset:672
	ds_load_b128 v[132:135], v1 offset:688
	scratch_load_b128 v[136:139], off, off offset:328
	s_mov_b32 s0, exec_lo
	s_waitcnt vmcnt(5) lgkmcnt(1)
	v_fma_f64 v[2:3], v[110:111], v[128:129], 0
	s_waitcnt vmcnt(4)
	s_delay_alu instid0(VALU_DEP_1) | instskip(SKIP_4) | instid1(VALU_DEP_1)
	v_fma_f64 v[2:3], v[112:113], v[130:131], v[2:3]
	scratch_load_b128 v[110:113], off, off offset:344
	s_waitcnt lgkmcnt(0)
	v_fma_f64 v[2:3], v[114:115], v[132:133], v[2:3]
	s_waitcnt vmcnt(4)
	v_fma_f64 v[2:3], v[116:117], v[134:135], v[2:3]
	ds_load_b128 v[114:117], v1 offset:704
	ds_load_b128 v[128:131], v1 offset:720
	scratch_load_b128 v[132:135], off, off offset:360
	s_waitcnt lgkmcnt(1)
	v_fma_f64 v[2:3], v[118:119], v[114:115], v[2:3]
	s_waitcnt vmcnt(4)
	s_delay_alu instid0(VALU_DEP_1) | instskip(SKIP_4) | instid1(VALU_DEP_1)
	v_fma_f64 v[2:3], v[120:121], v[116:117], v[2:3]
	scratch_load_b128 v[114:117], off, off offset:376
	s_waitcnt lgkmcnt(0)
	v_fma_f64 v[2:3], v[122:123], v[128:129], v[2:3]
	s_waitcnt vmcnt(4)
	v_fma_f64 v[2:3], v[124:125], v[130:131], v[2:3]
	ds_load_b128 v[118:121], v1 offset:736
	ds_load_b128 v[122:125], v1 offset:752
	s_waitcnt lgkmcnt(1)
	v_fma_f64 v[2:3], v[126:127], v[118:119], v[2:3]
	scratch_load_b128 v[126:129], off, off offset:392
	s_waitcnt vmcnt(4)
	v_fma_f64 v[2:3], v[136:137], v[120:121], v[2:3]
	s_waitcnt lgkmcnt(0)
	s_delay_alu instid0(VALU_DEP_1) | instskip(SKIP_1) | instid1(VALU_DEP_1)
	v_fma_f64 v[2:3], v[138:139], v[122:123], v[2:3]
	s_waitcnt vmcnt(3)
	v_fma_f64 v[2:3], v[110:111], v[124:125], v[2:3]
	ds_load_b128 v[118:121], v1 offset:768
	ds_load_b128 v[122:125], v1 offset:784
	s_waitcnt lgkmcnt(1)
	v_fma_f64 v[2:3], v[112:113], v[118:119], v[2:3]
	s_waitcnt vmcnt(2)
	s_delay_alu instid0(VALU_DEP_1) | instskip(SKIP_1) | instid1(VALU_DEP_1)
	v_fma_f64 v[2:3], v[132:133], v[120:121], v[2:3]
	s_waitcnt lgkmcnt(0)
	v_fma_f64 v[2:3], v[134:135], v[122:123], v[2:3]
	s_waitcnt vmcnt(1)
	s_delay_alu instid0(VALU_DEP_1)
	v_fma_f64 v[2:3], v[114:115], v[124:125], v[2:3]
	ds_load_b128 v[110:113], v1 offset:800
	ds_load_b64 v[114:115], v1 offset:816
	s_waitcnt lgkmcnt(1)
	v_fma_f64 v[2:3], v[116:117], v[110:111], v[2:3]
	s_waitcnt vmcnt(0)
	s_delay_alu instid0(VALU_DEP_1) | instskip(SKIP_1) | instid1(VALU_DEP_1)
	v_fma_f64 v[2:3], v[126:127], v[112:113], v[2:3]
	s_waitcnt lgkmcnt(0)
	v_fma_f64 v[2:3], v[128:129], v[114:115], v[2:3]
	s_delay_alu instid0(VALU_DEP_1)
	v_add_f64 v[2:3], v[108:109], -v[2:3]
	scratch_store_b64 off, v[2:3], off offset:248
	v_cmpx_lt_u32_e32 30, v0
	s_cbranch_execz .LBB50_255
; %bb.254:
	scratch_load_b64 v[3:4], off, off offset:240
	v_mov_b32_e32 v2, v1
	scratch_store_b64 off, v[1:2], off offset:240
	s_waitcnt vmcnt(0)
	ds_store_b64 v5, v[3:4]
.LBB50_255:
	s_or_b32 exec_lo, exec_lo, s0
	s_waitcnt lgkmcnt(0)
	s_waitcnt_vscnt null, 0x0
	s_barrier
	buffer_gl0_inv
	s_clause 0x4
	scratch_load_b128 v[108:111], off, off offset:240
	scratch_load_b128 v[112:115], off, off offset:256
	;; [unrolled: 1-line block ×5, first 2 shown]
	ds_load_2addr_b64 v[128:131], v1 offset0:83 offset1:84
	ds_load_2addr_b64 v[132:135], v1 offset0:85 offset1:86
	scratch_load_b128 v[136:139], off, off offset:320
	s_mov_b32 s0, exec_lo
	s_waitcnt vmcnt(5) lgkmcnt(1)
	v_fma_f64 v[2:3], v[110:111], v[128:129], 0
	s_waitcnt vmcnt(4)
	s_delay_alu instid0(VALU_DEP_1) | instskip(SKIP_4) | instid1(VALU_DEP_1)
	v_fma_f64 v[2:3], v[112:113], v[130:131], v[2:3]
	scratch_load_b128 v[110:113], off, off offset:336
	s_waitcnt lgkmcnt(0)
	v_fma_f64 v[2:3], v[114:115], v[132:133], v[2:3]
	s_waitcnt vmcnt(4)
	v_fma_f64 v[2:3], v[116:117], v[134:135], v[2:3]
	ds_load_2addr_b64 v[114:117], v1 offset0:87 offset1:88
	ds_load_2addr_b64 v[128:131], v1 offset0:89 offset1:90
	scratch_load_b128 v[132:135], off, off offset:352
	s_waitcnt lgkmcnt(1)
	v_fma_f64 v[2:3], v[118:119], v[114:115], v[2:3]
	s_waitcnt vmcnt(4)
	s_delay_alu instid0(VALU_DEP_1) | instskip(SKIP_4) | instid1(VALU_DEP_1)
	v_fma_f64 v[2:3], v[120:121], v[116:117], v[2:3]
	scratch_load_b128 v[114:117], off, off offset:368
	s_waitcnt lgkmcnt(0)
	v_fma_f64 v[2:3], v[122:123], v[128:129], v[2:3]
	s_waitcnt vmcnt(4)
	v_fma_f64 v[2:3], v[124:125], v[130:131], v[2:3]
	ds_load_2addr_b64 v[118:121], v1 offset0:91 offset1:92
	ds_load_2addr_b64 v[122:125], v1 offset0:93 offset1:94
	scratch_load_b64 v[130:131], off, off offset:400
	s_waitcnt lgkmcnt(1)
	v_fma_f64 v[2:3], v[126:127], v[118:119], v[2:3]
	scratch_load_b128 v[126:129], off, off offset:384
	s_waitcnt vmcnt(5)
	v_fma_f64 v[2:3], v[136:137], v[120:121], v[2:3]
	s_waitcnt lgkmcnt(0)
	s_delay_alu instid0(VALU_DEP_1) | instskip(SKIP_1) | instid1(VALU_DEP_1)
	v_fma_f64 v[2:3], v[138:139], v[122:123], v[2:3]
	s_waitcnt vmcnt(4)
	v_fma_f64 v[2:3], v[110:111], v[124:125], v[2:3]
	ds_load_2addr_b64 v[118:121], v1 offset0:95 offset1:96
	ds_load_2addr_b64 v[122:125], v1 offset0:97 offset1:98
	s_waitcnt lgkmcnt(1)
	v_fma_f64 v[2:3], v[112:113], v[118:119], v[2:3]
	s_waitcnt vmcnt(3)
	s_delay_alu instid0(VALU_DEP_1) | instskip(SKIP_1) | instid1(VALU_DEP_1)
	v_fma_f64 v[2:3], v[132:133], v[120:121], v[2:3]
	s_waitcnt lgkmcnt(0)
	v_fma_f64 v[2:3], v[134:135], v[122:123], v[2:3]
	s_waitcnt vmcnt(2)
	s_delay_alu instid0(VALU_DEP_1)
	v_fma_f64 v[114:115], v[114:115], v[124:125], v[2:3]
	ds_load_2addr_b64 v[110:113], v1 offset0:99 offset1:100
	ds_load_2addr_b64 v[1:4], v1 offset0:101 offset1:102
	s_waitcnt lgkmcnt(1)
	v_fma_f64 v[110:111], v[116:117], v[110:111], v[114:115]
	s_waitcnt vmcnt(0)
	s_delay_alu instid0(VALU_DEP_1) | instskip(SKIP_1) | instid1(VALU_DEP_1)
	v_fma_f64 v[110:111], v[126:127], v[112:113], v[110:111]
	s_waitcnt lgkmcnt(0)
	v_fma_f64 v[1:2], v[128:129], v[1:2], v[110:111]
	s_delay_alu instid0(VALU_DEP_1) | instskip(NEXT) | instid1(VALU_DEP_1)
	v_fma_f64 v[1:2], v[130:131], v[3:4], v[1:2]
	v_add_f64 v[1:2], v[108:109], -v[1:2]
	scratch_store_b64 off, v[1:2], off offset:240
	v_cmpx_lt_u32_e32 29, v0
	s_cbranch_execz .LBB50_257
; %bb.256:
	scratch_load_b64 v[1:2], off, off offset:232
	v_mov_b32_e32 v3, 0
	s_delay_alu instid0(VALU_DEP_1)
	v_mov_b32_e32 v4, v3
	scratch_store_b64 off, v[3:4], off offset:232
	s_waitcnt vmcnt(0)
	ds_store_b64 v5, v[1:2]
.LBB50_257:
	s_or_b32 exec_lo, exec_lo, s0
	s_waitcnt lgkmcnt(0)
	s_waitcnt_vscnt null, 0x0
	s_barrier
	buffer_gl0_inv
	s_clause 0x4
	scratch_load_b128 v[108:111], off, off offset:232
	scratch_load_b128 v[112:115], off, off offset:248
	;; [unrolled: 1-line block ×5, first 2 shown]
	v_mov_b32_e32 v1, 0
	ds_load_b128 v[128:131], v1 offset:656
	ds_load_b128 v[132:135], v1 offset:672
	scratch_load_b128 v[136:139], off, off offset:312
	s_mov_b32 s0, exec_lo
	s_waitcnt vmcnt(5) lgkmcnt(1)
	v_fma_f64 v[2:3], v[110:111], v[128:129], 0
	s_waitcnt vmcnt(4)
	s_delay_alu instid0(VALU_DEP_1) | instskip(SKIP_4) | instid1(VALU_DEP_1)
	v_fma_f64 v[2:3], v[112:113], v[130:131], v[2:3]
	scratch_load_b128 v[110:113], off, off offset:328
	s_waitcnt lgkmcnt(0)
	v_fma_f64 v[2:3], v[114:115], v[132:133], v[2:3]
	s_waitcnt vmcnt(4)
	v_fma_f64 v[2:3], v[116:117], v[134:135], v[2:3]
	ds_load_b128 v[114:117], v1 offset:688
	ds_load_b128 v[128:131], v1 offset:704
	scratch_load_b128 v[132:135], off, off offset:344
	s_waitcnt lgkmcnt(1)
	v_fma_f64 v[2:3], v[118:119], v[114:115], v[2:3]
	s_waitcnt vmcnt(4)
	s_delay_alu instid0(VALU_DEP_1) | instskip(SKIP_4) | instid1(VALU_DEP_1)
	v_fma_f64 v[2:3], v[120:121], v[116:117], v[2:3]
	scratch_load_b128 v[114:117], off, off offset:360
	s_waitcnt lgkmcnt(0)
	v_fma_f64 v[2:3], v[122:123], v[128:129], v[2:3]
	s_waitcnt vmcnt(4)
	v_fma_f64 v[2:3], v[124:125], v[130:131], v[2:3]
	ds_load_b128 v[118:121], v1 offset:720
	ds_load_b128 v[122:125], v1 offset:736
	s_waitcnt lgkmcnt(1)
	v_fma_f64 v[2:3], v[126:127], v[118:119], v[2:3]
	scratch_load_b128 v[126:129], off, off offset:376
	s_waitcnt vmcnt(4)
	v_fma_f64 v[2:3], v[136:137], v[120:121], v[2:3]
	scratch_load_b128 v[118:121], off, off offset:392
	s_waitcnt lgkmcnt(0)
	v_fma_f64 v[2:3], v[138:139], v[122:123], v[2:3]
	s_waitcnt vmcnt(4)
	s_delay_alu instid0(VALU_DEP_1)
	v_fma_f64 v[2:3], v[110:111], v[124:125], v[2:3]
	ds_load_b128 v[122:125], v1 offset:752
	ds_load_b128 v[136:139], v1 offset:768
	s_waitcnt lgkmcnt(1)
	v_fma_f64 v[2:3], v[112:113], v[122:123], v[2:3]
	s_waitcnt vmcnt(3)
	s_delay_alu instid0(VALU_DEP_1)
	v_fma_f64 v[2:3], v[132:133], v[124:125], v[2:3]
	ds_load_b128 v[110:113], v1 offset:784
	ds_load_b128 v[122:125], v1 offset:800
	s_waitcnt lgkmcnt(2)
	v_fma_f64 v[2:3], v[134:135], v[136:137], v[2:3]
	s_waitcnt vmcnt(2)
	s_delay_alu instid0(VALU_DEP_1) | instskip(SKIP_1) | instid1(VALU_DEP_1)
	v_fma_f64 v[2:3], v[114:115], v[138:139], v[2:3]
	s_waitcnt lgkmcnt(1)
	v_fma_f64 v[2:3], v[116:117], v[110:111], v[2:3]
	ds_load_b64 v[110:111], v1 offset:816
	s_waitcnt vmcnt(1)
	v_fma_f64 v[2:3], v[126:127], v[112:113], v[2:3]
	s_waitcnt lgkmcnt(1)
	s_delay_alu instid0(VALU_DEP_1) | instskip(SKIP_1) | instid1(VALU_DEP_1)
	v_fma_f64 v[2:3], v[128:129], v[122:123], v[2:3]
	s_waitcnt vmcnt(0)
	v_fma_f64 v[2:3], v[118:119], v[124:125], v[2:3]
	s_waitcnt lgkmcnt(0)
	s_delay_alu instid0(VALU_DEP_1) | instskip(NEXT) | instid1(VALU_DEP_1)
	v_fma_f64 v[2:3], v[120:121], v[110:111], v[2:3]
	v_add_f64 v[2:3], v[108:109], -v[2:3]
	scratch_store_b64 off, v[2:3], off offset:232
	v_cmpx_lt_u32_e32 28, v0
	s_cbranch_execz .LBB50_259
; %bb.258:
	scratch_load_b64 v[3:4], off, off offset:224
	v_mov_b32_e32 v2, v1
	scratch_store_b64 off, v[1:2], off offset:224
	s_waitcnt vmcnt(0)
	ds_store_b64 v5, v[3:4]
.LBB50_259:
	s_or_b32 exec_lo, exec_lo, s0
	s_waitcnt lgkmcnt(0)
	s_waitcnt_vscnt null, 0x0
	s_barrier
	buffer_gl0_inv
	s_clause 0x4
	scratch_load_b128 v[108:111], off, off offset:224
	scratch_load_b128 v[112:115], off, off offset:240
	;; [unrolled: 1-line block ×5, first 2 shown]
	ds_load_2addr_b64 v[128:131], v1 offset0:81 offset1:82
	ds_load_2addr_b64 v[132:135], v1 offset0:83 offset1:84
	scratch_load_b128 v[136:139], off, off offset:304
	s_mov_b32 s0, exec_lo
	s_waitcnt vmcnt(5) lgkmcnt(1)
	v_fma_f64 v[2:3], v[110:111], v[128:129], 0
	s_waitcnt vmcnt(4)
	s_delay_alu instid0(VALU_DEP_1) | instskip(SKIP_4) | instid1(VALU_DEP_1)
	v_fma_f64 v[2:3], v[112:113], v[130:131], v[2:3]
	scratch_load_b128 v[110:113], off, off offset:320
	s_waitcnt lgkmcnt(0)
	v_fma_f64 v[2:3], v[114:115], v[132:133], v[2:3]
	s_waitcnt vmcnt(4)
	v_fma_f64 v[2:3], v[116:117], v[134:135], v[2:3]
	ds_load_2addr_b64 v[114:117], v1 offset0:85 offset1:86
	ds_load_2addr_b64 v[128:131], v1 offset0:87 offset1:88
	scratch_load_b128 v[132:135], off, off offset:336
	s_waitcnt lgkmcnt(1)
	v_fma_f64 v[2:3], v[118:119], v[114:115], v[2:3]
	s_waitcnt vmcnt(4)
	s_delay_alu instid0(VALU_DEP_1) | instskip(SKIP_4) | instid1(VALU_DEP_1)
	v_fma_f64 v[2:3], v[120:121], v[116:117], v[2:3]
	scratch_load_b128 v[114:117], off, off offset:352
	s_waitcnt lgkmcnt(0)
	v_fma_f64 v[2:3], v[122:123], v[128:129], v[2:3]
	s_waitcnt vmcnt(4)
	v_fma_f64 v[2:3], v[124:125], v[130:131], v[2:3]
	ds_load_2addr_b64 v[118:121], v1 offset0:89 offset1:90
	ds_load_2addr_b64 v[122:125], v1 offset0:91 offset1:92
	s_waitcnt lgkmcnt(1)
	v_fma_f64 v[2:3], v[126:127], v[118:119], v[2:3]
	scratch_load_b128 v[126:129], off, off offset:368
	s_waitcnt vmcnt(4)
	v_fma_f64 v[2:3], v[136:137], v[120:121], v[2:3]
	scratch_load_b128 v[118:121], off, off offset:384
	s_waitcnt lgkmcnt(0)
	v_fma_f64 v[2:3], v[138:139], v[122:123], v[2:3]
	s_waitcnt vmcnt(4)
	s_delay_alu instid0(VALU_DEP_1)
	v_fma_f64 v[2:3], v[110:111], v[124:125], v[2:3]
	ds_load_2addr_b64 v[122:125], v1 offset0:93 offset1:94
	ds_load_2addr_b64 v[136:139], v1 offset0:95 offset1:96
	scratch_load_b64 v[130:131], off, off offset:400
	s_waitcnt lgkmcnt(1)
	v_fma_f64 v[2:3], v[112:113], v[122:123], v[2:3]
	s_waitcnt vmcnt(4)
	s_delay_alu instid0(VALU_DEP_1)
	v_fma_f64 v[2:3], v[132:133], v[124:125], v[2:3]
	ds_load_2addr_b64 v[110:113], v1 offset0:97 offset1:98
	ds_load_2addr_b64 v[122:125], v1 offset0:99 offset1:100
	s_waitcnt lgkmcnt(2)
	v_fma_f64 v[2:3], v[134:135], v[136:137], v[2:3]
	s_waitcnt vmcnt(3)
	s_delay_alu instid0(VALU_DEP_1) | instskip(SKIP_1) | instid1(VALU_DEP_1)
	v_fma_f64 v[2:3], v[114:115], v[138:139], v[2:3]
	s_waitcnt lgkmcnt(1)
	v_fma_f64 v[2:3], v[116:117], v[110:111], v[2:3]
	s_waitcnt vmcnt(2)
	s_delay_alu instid0(VALU_DEP_1) | instskip(SKIP_1) | instid1(VALU_DEP_1)
	v_fma_f64 v[2:3], v[126:127], v[112:113], v[2:3]
	s_waitcnt lgkmcnt(0)
	v_fma_f64 v[2:3], v[128:129], v[122:123], v[2:3]
	s_waitcnt vmcnt(1)
	s_delay_alu instid0(VALU_DEP_1) | instskip(SKIP_4) | instid1(VALU_DEP_1)
	v_fma_f64 v[110:111], v[118:119], v[124:125], v[2:3]
	ds_load_2addr_b64 v[1:4], v1 offset0:101 offset1:102
	s_waitcnt lgkmcnt(0)
	v_fma_f64 v[1:2], v[120:121], v[1:2], v[110:111]
	s_waitcnt vmcnt(0)
	v_fma_f64 v[1:2], v[130:131], v[3:4], v[1:2]
	s_delay_alu instid0(VALU_DEP_1)
	v_add_f64 v[1:2], v[108:109], -v[1:2]
	scratch_store_b64 off, v[1:2], off offset:224
	v_cmpx_lt_u32_e32 27, v0
	s_cbranch_execz .LBB50_261
; %bb.260:
	scratch_load_b64 v[1:2], off, off offset:216
	v_mov_b32_e32 v3, 0
	s_delay_alu instid0(VALU_DEP_1)
	v_mov_b32_e32 v4, v3
	scratch_store_b64 off, v[3:4], off offset:216
	s_waitcnt vmcnt(0)
	ds_store_b64 v5, v[1:2]
.LBB50_261:
	s_or_b32 exec_lo, exec_lo, s0
	s_waitcnt lgkmcnt(0)
	s_waitcnt_vscnt null, 0x0
	s_barrier
	buffer_gl0_inv
	s_clause 0x4
	scratch_load_b128 v[108:111], off, off offset:216
	scratch_load_b128 v[112:115], off, off offset:232
	scratch_load_b128 v[116:119], off, off offset:248
	scratch_load_b128 v[120:123], off, off offset:264
	scratch_load_b128 v[124:127], off, off offset:280
	v_mov_b32_e32 v1, 0
	ds_load_b128 v[128:131], v1 offset:640
	ds_load_b128 v[132:135], v1 offset:656
	scratch_load_b128 v[136:139], off, off offset:296
	s_mov_b32 s0, exec_lo
	s_waitcnt vmcnt(5) lgkmcnt(1)
	v_fma_f64 v[2:3], v[110:111], v[128:129], 0
	s_waitcnt vmcnt(4)
	s_delay_alu instid0(VALU_DEP_1) | instskip(SKIP_4) | instid1(VALU_DEP_1)
	v_fma_f64 v[2:3], v[112:113], v[130:131], v[2:3]
	scratch_load_b128 v[110:113], off, off offset:312
	s_waitcnt lgkmcnt(0)
	v_fma_f64 v[2:3], v[114:115], v[132:133], v[2:3]
	s_waitcnt vmcnt(4)
	v_fma_f64 v[2:3], v[116:117], v[134:135], v[2:3]
	ds_load_b128 v[114:117], v1 offset:672
	ds_load_b128 v[128:131], v1 offset:688
	scratch_load_b128 v[132:135], off, off offset:328
	s_waitcnt lgkmcnt(1)
	v_fma_f64 v[2:3], v[118:119], v[114:115], v[2:3]
	s_waitcnt vmcnt(4)
	s_delay_alu instid0(VALU_DEP_1) | instskip(SKIP_4) | instid1(VALU_DEP_1)
	v_fma_f64 v[2:3], v[120:121], v[116:117], v[2:3]
	scratch_load_b128 v[114:117], off, off offset:344
	s_waitcnt lgkmcnt(0)
	v_fma_f64 v[2:3], v[122:123], v[128:129], v[2:3]
	s_waitcnt vmcnt(4)
	v_fma_f64 v[2:3], v[124:125], v[130:131], v[2:3]
	ds_load_b128 v[118:121], v1 offset:704
	ds_load_b128 v[122:125], v1 offset:720
	s_waitcnt lgkmcnt(1)
	v_fma_f64 v[2:3], v[126:127], v[118:119], v[2:3]
	scratch_load_b128 v[126:129], off, off offset:360
	s_waitcnt vmcnt(4)
	v_fma_f64 v[2:3], v[136:137], v[120:121], v[2:3]
	scratch_load_b128 v[118:121], off, off offset:376
	s_waitcnt lgkmcnt(0)
	v_fma_f64 v[2:3], v[138:139], v[122:123], v[2:3]
	s_waitcnt vmcnt(4)
	s_delay_alu instid0(VALU_DEP_1)
	v_fma_f64 v[2:3], v[110:111], v[124:125], v[2:3]
	ds_load_b128 v[122:125], v1 offset:736
	ds_load_b128 v[136:139], v1 offset:752
	s_waitcnt lgkmcnt(1)
	v_fma_f64 v[2:3], v[112:113], v[122:123], v[2:3]
	scratch_load_b128 v[110:113], off, off offset:392
	s_waitcnt vmcnt(4)
	v_fma_f64 v[2:3], v[132:133], v[124:125], v[2:3]
	ds_load_b128 v[122:125], v1 offset:768
	ds_load_b128 v[130:133], v1 offset:784
	s_waitcnt lgkmcnt(2)
	v_fma_f64 v[2:3], v[134:135], v[136:137], v[2:3]
	s_waitcnt vmcnt(3)
	s_delay_alu instid0(VALU_DEP_1) | instskip(SKIP_1) | instid1(VALU_DEP_1)
	v_fma_f64 v[2:3], v[114:115], v[138:139], v[2:3]
	s_waitcnt lgkmcnt(1)
	v_fma_f64 v[2:3], v[116:117], v[122:123], v[2:3]
	s_waitcnt vmcnt(2)
	s_delay_alu instid0(VALU_DEP_1) | instskip(SKIP_1) | instid1(VALU_DEP_1)
	v_fma_f64 v[2:3], v[126:127], v[124:125], v[2:3]
	s_waitcnt lgkmcnt(0)
	v_fma_f64 v[2:3], v[128:129], v[130:131], v[2:3]
	s_waitcnt vmcnt(1)
	s_delay_alu instid0(VALU_DEP_1)
	v_fma_f64 v[2:3], v[118:119], v[132:133], v[2:3]
	ds_load_b128 v[114:117], v1 offset:800
	ds_load_b64 v[118:119], v1 offset:816
	s_waitcnt lgkmcnt(1)
	v_fma_f64 v[2:3], v[120:121], v[114:115], v[2:3]
	s_waitcnt vmcnt(0)
	s_delay_alu instid0(VALU_DEP_1) | instskip(SKIP_1) | instid1(VALU_DEP_1)
	v_fma_f64 v[2:3], v[110:111], v[116:117], v[2:3]
	s_waitcnt lgkmcnt(0)
	v_fma_f64 v[2:3], v[112:113], v[118:119], v[2:3]
	s_delay_alu instid0(VALU_DEP_1)
	v_add_f64 v[2:3], v[108:109], -v[2:3]
	scratch_store_b64 off, v[2:3], off offset:216
	v_cmpx_lt_u32_e32 26, v0
	s_cbranch_execz .LBB50_263
; %bb.262:
	scratch_load_b64 v[3:4], off, off offset:208
	v_mov_b32_e32 v2, v1
	scratch_store_b64 off, v[1:2], off offset:208
	s_waitcnt vmcnt(0)
	ds_store_b64 v5, v[3:4]
.LBB50_263:
	s_or_b32 exec_lo, exec_lo, s0
	s_waitcnt lgkmcnt(0)
	s_waitcnt_vscnt null, 0x0
	s_barrier
	buffer_gl0_inv
	s_clause 0x4
	scratch_load_b128 v[108:111], off, off offset:208
	scratch_load_b128 v[112:115], off, off offset:224
	;; [unrolled: 1-line block ×5, first 2 shown]
	ds_load_2addr_b64 v[128:131], v1 offset0:79 offset1:80
	ds_load_2addr_b64 v[132:135], v1 offset0:81 offset1:82
	scratch_load_b128 v[136:139], off, off offset:288
	s_mov_b32 s0, exec_lo
	s_waitcnt vmcnt(5) lgkmcnt(1)
	v_fma_f64 v[2:3], v[110:111], v[128:129], 0
	s_waitcnt vmcnt(4)
	s_delay_alu instid0(VALU_DEP_1) | instskip(SKIP_4) | instid1(VALU_DEP_1)
	v_fma_f64 v[2:3], v[112:113], v[130:131], v[2:3]
	scratch_load_b128 v[110:113], off, off offset:304
	s_waitcnt lgkmcnt(0)
	v_fma_f64 v[2:3], v[114:115], v[132:133], v[2:3]
	s_waitcnt vmcnt(4)
	v_fma_f64 v[2:3], v[116:117], v[134:135], v[2:3]
	ds_load_2addr_b64 v[114:117], v1 offset0:83 offset1:84
	ds_load_2addr_b64 v[128:131], v1 offset0:85 offset1:86
	scratch_load_b128 v[132:135], off, off offset:320
	s_waitcnt lgkmcnt(1)
	v_fma_f64 v[2:3], v[118:119], v[114:115], v[2:3]
	s_waitcnt vmcnt(4)
	s_delay_alu instid0(VALU_DEP_1) | instskip(SKIP_4) | instid1(VALU_DEP_1)
	v_fma_f64 v[2:3], v[120:121], v[116:117], v[2:3]
	scratch_load_b128 v[114:117], off, off offset:336
	s_waitcnt lgkmcnt(0)
	v_fma_f64 v[2:3], v[122:123], v[128:129], v[2:3]
	s_waitcnt vmcnt(4)
	v_fma_f64 v[2:3], v[124:125], v[130:131], v[2:3]
	ds_load_2addr_b64 v[118:121], v1 offset0:87 offset1:88
	ds_load_2addr_b64 v[122:125], v1 offset0:89 offset1:90
	s_waitcnt lgkmcnt(1)
	v_fma_f64 v[2:3], v[126:127], v[118:119], v[2:3]
	scratch_load_b128 v[126:129], off, off offset:352
	s_waitcnt vmcnt(4)
	v_fma_f64 v[2:3], v[136:137], v[120:121], v[2:3]
	scratch_load_b128 v[118:121], off, off offset:368
	s_waitcnt lgkmcnt(0)
	v_fma_f64 v[2:3], v[138:139], v[122:123], v[2:3]
	s_waitcnt vmcnt(4)
	s_delay_alu instid0(VALU_DEP_1)
	v_fma_f64 v[2:3], v[110:111], v[124:125], v[2:3]
	ds_load_2addr_b64 v[122:125], v1 offset0:91 offset1:92
	ds_load_2addr_b64 v[136:139], v1 offset0:93 offset1:94
	s_waitcnt lgkmcnt(1)
	v_fma_f64 v[2:3], v[112:113], v[122:123], v[2:3]
	scratch_load_b128 v[110:113], off, off offset:384
	s_waitcnt vmcnt(4)
	v_fma_f64 v[2:3], v[132:133], v[124:125], v[2:3]
	s_waitcnt lgkmcnt(0)
	s_delay_alu instid0(VALU_DEP_1)
	v_fma_f64 v[2:3], v[134:135], v[136:137], v[2:3]
	scratch_load_b64 v[134:135], off, off offset:400
	ds_load_2addr_b64 v[122:125], v1 offset0:95 offset1:96
	ds_load_2addr_b64 v[130:133], v1 offset0:97 offset1:98
	s_waitcnt vmcnt(4)
	v_fma_f64 v[2:3], v[114:115], v[138:139], v[2:3]
	s_waitcnt lgkmcnt(1)
	s_delay_alu instid0(VALU_DEP_1) | instskip(SKIP_1) | instid1(VALU_DEP_1)
	v_fma_f64 v[2:3], v[116:117], v[122:123], v[2:3]
	s_waitcnt vmcnt(3)
	v_fma_f64 v[2:3], v[126:127], v[124:125], v[2:3]
	s_waitcnt lgkmcnt(0)
	s_delay_alu instid0(VALU_DEP_1) | instskip(SKIP_1) | instid1(VALU_DEP_1)
	v_fma_f64 v[2:3], v[128:129], v[130:131], v[2:3]
	s_waitcnt vmcnt(2)
	v_fma_f64 v[118:119], v[118:119], v[132:133], v[2:3]
	ds_load_2addr_b64 v[114:117], v1 offset0:99 offset1:100
	ds_load_2addr_b64 v[1:4], v1 offset0:101 offset1:102
	s_waitcnt lgkmcnt(1)
	v_fma_f64 v[114:115], v[120:121], v[114:115], v[118:119]
	s_waitcnt vmcnt(1)
	s_delay_alu instid0(VALU_DEP_1) | instskip(SKIP_1) | instid1(VALU_DEP_1)
	v_fma_f64 v[110:111], v[110:111], v[116:117], v[114:115]
	s_waitcnt lgkmcnt(0)
	v_fma_f64 v[1:2], v[112:113], v[1:2], v[110:111]
	s_waitcnt vmcnt(0)
	s_delay_alu instid0(VALU_DEP_1) | instskip(NEXT) | instid1(VALU_DEP_1)
	v_fma_f64 v[1:2], v[134:135], v[3:4], v[1:2]
	v_add_f64 v[1:2], v[108:109], -v[1:2]
	scratch_store_b64 off, v[1:2], off offset:208
	v_cmpx_lt_u32_e32 25, v0
	s_cbranch_execz .LBB50_265
; %bb.264:
	scratch_load_b64 v[1:2], off, off offset:200
	v_mov_b32_e32 v3, 0
	s_delay_alu instid0(VALU_DEP_1)
	v_mov_b32_e32 v4, v3
	scratch_store_b64 off, v[3:4], off offset:200
	s_waitcnt vmcnt(0)
	ds_store_b64 v5, v[1:2]
.LBB50_265:
	s_or_b32 exec_lo, exec_lo, s0
	s_waitcnt lgkmcnt(0)
	s_waitcnt_vscnt null, 0x0
	s_barrier
	buffer_gl0_inv
	s_clause 0x4
	scratch_load_b128 v[108:111], off, off offset:200
	scratch_load_b128 v[112:115], off, off offset:216
	;; [unrolled: 1-line block ×5, first 2 shown]
	v_mov_b32_e32 v1, 0
	ds_load_b128 v[128:131], v1 offset:624
	ds_load_b128 v[132:135], v1 offset:640
	scratch_load_b128 v[136:139], off, off offset:280
	s_mov_b32 s0, exec_lo
	s_waitcnt vmcnt(5) lgkmcnt(1)
	v_fma_f64 v[2:3], v[110:111], v[128:129], 0
	s_waitcnt vmcnt(4)
	s_delay_alu instid0(VALU_DEP_1) | instskip(SKIP_4) | instid1(VALU_DEP_1)
	v_fma_f64 v[2:3], v[112:113], v[130:131], v[2:3]
	scratch_load_b128 v[110:113], off, off offset:296
	s_waitcnt lgkmcnt(0)
	v_fma_f64 v[2:3], v[114:115], v[132:133], v[2:3]
	s_waitcnt vmcnt(4)
	v_fma_f64 v[2:3], v[116:117], v[134:135], v[2:3]
	ds_load_b128 v[114:117], v1 offset:656
	ds_load_b128 v[128:131], v1 offset:672
	scratch_load_b128 v[132:135], off, off offset:312
	s_waitcnt lgkmcnt(1)
	v_fma_f64 v[2:3], v[118:119], v[114:115], v[2:3]
	s_waitcnt vmcnt(4)
	s_delay_alu instid0(VALU_DEP_1) | instskip(SKIP_4) | instid1(VALU_DEP_1)
	v_fma_f64 v[2:3], v[120:121], v[116:117], v[2:3]
	scratch_load_b128 v[114:117], off, off offset:328
	s_waitcnt lgkmcnt(0)
	v_fma_f64 v[2:3], v[122:123], v[128:129], v[2:3]
	s_waitcnt vmcnt(4)
	v_fma_f64 v[2:3], v[124:125], v[130:131], v[2:3]
	ds_load_b128 v[118:121], v1 offset:688
	ds_load_b128 v[122:125], v1 offset:704
	s_waitcnt lgkmcnt(1)
	v_fma_f64 v[2:3], v[126:127], v[118:119], v[2:3]
	scratch_load_b128 v[126:129], off, off offset:344
	s_waitcnt vmcnt(4)
	v_fma_f64 v[2:3], v[136:137], v[120:121], v[2:3]
	scratch_load_b128 v[118:121], off, off offset:360
	s_waitcnt lgkmcnt(0)
	v_fma_f64 v[2:3], v[138:139], v[122:123], v[2:3]
	s_waitcnt vmcnt(4)
	s_delay_alu instid0(VALU_DEP_1)
	v_fma_f64 v[2:3], v[110:111], v[124:125], v[2:3]
	ds_load_b128 v[122:125], v1 offset:720
	ds_load_b128 v[136:139], v1 offset:736
	s_waitcnt lgkmcnt(1)
	v_fma_f64 v[2:3], v[112:113], v[122:123], v[2:3]
	scratch_load_b128 v[110:113], off, off offset:376
	s_waitcnt vmcnt(4)
	v_fma_f64 v[2:3], v[132:133], v[124:125], v[2:3]
	scratch_load_b128 v[122:125], off, off offset:392
	s_waitcnt lgkmcnt(0)
	v_fma_f64 v[2:3], v[134:135], v[136:137], v[2:3]
	ds_load_b128 v[130:133], v1 offset:752
	ds_load_b128 v[134:137], v1 offset:768
	s_waitcnt vmcnt(4)
	v_fma_f64 v[2:3], v[114:115], v[138:139], v[2:3]
	s_waitcnt lgkmcnt(1)
	s_delay_alu instid0(VALU_DEP_1) | instskip(SKIP_1) | instid1(VALU_DEP_1)
	v_fma_f64 v[2:3], v[116:117], v[130:131], v[2:3]
	s_waitcnt vmcnt(3)
	v_fma_f64 v[2:3], v[126:127], v[132:133], v[2:3]
	s_waitcnt lgkmcnt(0)
	s_delay_alu instid0(VALU_DEP_1)
	v_fma_f64 v[2:3], v[128:129], v[134:135], v[2:3]
	ds_load_b128 v[114:117], v1 offset:784
	ds_load_b128 v[126:129], v1 offset:800
	s_waitcnt vmcnt(2)
	v_fma_f64 v[2:3], v[118:119], v[136:137], v[2:3]
	s_waitcnt lgkmcnt(1)
	s_delay_alu instid0(VALU_DEP_1) | instskip(SKIP_1) | instid1(VALU_DEP_1)
	v_fma_f64 v[2:3], v[120:121], v[114:115], v[2:3]
	s_waitcnt vmcnt(1)
	v_fma_f64 v[2:3], v[110:111], v[116:117], v[2:3]
	ds_load_b64 v[110:111], v1 offset:816
	s_waitcnt lgkmcnt(1)
	v_fma_f64 v[2:3], v[112:113], v[126:127], v[2:3]
	s_waitcnt vmcnt(0)
	s_delay_alu instid0(VALU_DEP_1) | instskip(SKIP_1) | instid1(VALU_DEP_1)
	v_fma_f64 v[2:3], v[122:123], v[128:129], v[2:3]
	s_waitcnt lgkmcnt(0)
	v_fma_f64 v[2:3], v[124:125], v[110:111], v[2:3]
	s_delay_alu instid0(VALU_DEP_1)
	v_add_f64 v[2:3], v[108:109], -v[2:3]
	scratch_store_b64 off, v[2:3], off offset:200
	v_cmpx_lt_u32_e32 24, v0
	s_cbranch_execz .LBB50_267
; %bb.266:
	scratch_load_b64 v[3:4], off, off offset:192
	v_mov_b32_e32 v2, v1
	scratch_store_b64 off, v[1:2], off offset:192
	s_waitcnt vmcnt(0)
	ds_store_b64 v5, v[3:4]
.LBB50_267:
	s_or_b32 exec_lo, exec_lo, s0
	s_waitcnt lgkmcnt(0)
	s_waitcnt_vscnt null, 0x0
	s_barrier
	buffer_gl0_inv
	s_clause 0x4
	scratch_load_b128 v[108:111], off, off offset:192
	scratch_load_b128 v[112:115], off, off offset:208
	;; [unrolled: 1-line block ×5, first 2 shown]
	ds_load_2addr_b64 v[128:131], v1 offset0:77 offset1:78
	ds_load_2addr_b64 v[132:135], v1 offset0:79 offset1:80
	scratch_load_b128 v[136:139], off, off offset:272
	s_mov_b32 s0, exec_lo
	s_waitcnt vmcnt(5) lgkmcnt(1)
	v_fma_f64 v[2:3], v[110:111], v[128:129], 0
	s_waitcnt vmcnt(4)
	s_delay_alu instid0(VALU_DEP_1) | instskip(SKIP_4) | instid1(VALU_DEP_1)
	v_fma_f64 v[2:3], v[112:113], v[130:131], v[2:3]
	scratch_load_b128 v[110:113], off, off offset:288
	s_waitcnt lgkmcnt(0)
	v_fma_f64 v[2:3], v[114:115], v[132:133], v[2:3]
	s_waitcnt vmcnt(4)
	v_fma_f64 v[2:3], v[116:117], v[134:135], v[2:3]
	ds_load_2addr_b64 v[114:117], v1 offset0:81 offset1:82
	ds_load_2addr_b64 v[128:131], v1 offset0:83 offset1:84
	scratch_load_b128 v[132:135], off, off offset:304
	s_waitcnt lgkmcnt(1)
	v_fma_f64 v[2:3], v[118:119], v[114:115], v[2:3]
	s_waitcnt vmcnt(4)
	s_delay_alu instid0(VALU_DEP_1) | instskip(SKIP_4) | instid1(VALU_DEP_1)
	v_fma_f64 v[2:3], v[120:121], v[116:117], v[2:3]
	scratch_load_b128 v[114:117], off, off offset:320
	s_waitcnt lgkmcnt(0)
	v_fma_f64 v[2:3], v[122:123], v[128:129], v[2:3]
	s_waitcnt vmcnt(4)
	v_fma_f64 v[2:3], v[124:125], v[130:131], v[2:3]
	ds_load_2addr_b64 v[118:121], v1 offset0:85 offset1:86
	ds_load_2addr_b64 v[122:125], v1 offset0:87 offset1:88
	s_waitcnt lgkmcnt(1)
	v_fma_f64 v[2:3], v[126:127], v[118:119], v[2:3]
	scratch_load_b128 v[126:129], off, off offset:336
	s_waitcnt vmcnt(4)
	v_fma_f64 v[2:3], v[136:137], v[120:121], v[2:3]
	scratch_load_b128 v[118:121], off, off offset:352
	s_waitcnt lgkmcnt(0)
	v_fma_f64 v[2:3], v[138:139], v[122:123], v[2:3]
	s_waitcnt vmcnt(4)
	s_delay_alu instid0(VALU_DEP_1)
	v_fma_f64 v[2:3], v[110:111], v[124:125], v[2:3]
	ds_load_2addr_b64 v[122:125], v1 offset0:89 offset1:90
	ds_load_2addr_b64 v[136:139], v1 offset0:91 offset1:92
	s_waitcnt lgkmcnt(1)
	v_fma_f64 v[2:3], v[112:113], v[122:123], v[2:3]
	scratch_load_b128 v[110:113], off, off offset:368
	s_waitcnt vmcnt(4)
	v_fma_f64 v[2:3], v[132:133], v[124:125], v[2:3]
	scratch_load_b128 v[122:125], off, off offset:384
	s_waitcnt lgkmcnt(0)
	v_fma_f64 v[2:3], v[134:135], v[136:137], v[2:3]
	ds_load_2addr_b64 v[130:133], v1 offset0:93 offset1:94
	ds_load_2addr_b64 v[134:137], v1 offset0:95 offset1:96
	s_waitcnt vmcnt(4)
	v_fma_f64 v[2:3], v[114:115], v[138:139], v[2:3]
	s_waitcnt lgkmcnt(1)
	s_delay_alu instid0(VALU_DEP_1) | instskip(SKIP_4) | instid1(VALU_DEP_1)
	v_fma_f64 v[2:3], v[116:117], v[130:131], v[2:3]
	scratch_load_b64 v[130:131], off, off offset:400
	s_waitcnt vmcnt(4)
	v_fma_f64 v[2:3], v[126:127], v[132:133], v[2:3]
	s_waitcnt lgkmcnt(0)
	v_fma_f64 v[2:3], v[128:129], v[134:135], v[2:3]
	ds_load_2addr_b64 v[114:117], v1 offset0:97 offset1:98
	ds_load_2addr_b64 v[126:129], v1 offset0:99 offset1:100
	s_waitcnt vmcnt(3)
	v_fma_f64 v[2:3], v[118:119], v[136:137], v[2:3]
	s_waitcnt lgkmcnt(1)
	s_delay_alu instid0(VALU_DEP_1) | instskip(SKIP_1) | instid1(VALU_DEP_1)
	v_fma_f64 v[2:3], v[120:121], v[114:115], v[2:3]
	s_waitcnt vmcnt(2)
	v_fma_f64 v[2:3], v[110:111], v[116:117], v[2:3]
	s_waitcnt lgkmcnt(0)
	s_delay_alu instid0(VALU_DEP_1) | instskip(SKIP_1) | instid1(VALU_DEP_1)
	v_fma_f64 v[2:3], v[112:113], v[126:127], v[2:3]
	s_waitcnt vmcnt(1)
	v_fma_f64 v[110:111], v[122:123], v[128:129], v[2:3]
	ds_load_2addr_b64 v[1:4], v1 offset0:101 offset1:102
	s_waitcnt lgkmcnt(0)
	v_fma_f64 v[1:2], v[124:125], v[1:2], v[110:111]
	s_waitcnt vmcnt(0)
	s_delay_alu instid0(VALU_DEP_1) | instskip(NEXT) | instid1(VALU_DEP_1)
	v_fma_f64 v[1:2], v[130:131], v[3:4], v[1:2]
	v_add_f64 v[1:2], v[108:109], -v[1:2]
	scratch_store_b64 off, v[1:2], off offset:192
	v_cmpx_lt_u32_e32 23, v0
	s_cbranch_execz .LBB50_269
; %bb.268:
	scratch_load_b64 v[1:2], off, off offset:184
	v_mov_b32_e32 v3, 0
	s_delay_alu instid0(VALU_DEP_1)
	v_mov_b32_e32 v4, v3
	scratch_store_b64 off, v[3:4], off offset:184
	s_waitcnt vmcnt(0)
	ds_store_b64 v5, v[1:2]
.LBB50_269:
	s_or_b32 exec_lo, exec_lo, s0
	s_waitcnt lgkmcnt(0)
	s_waitcnt_vscnt null, 0x0
	s_barrier
	buffer_gl0_inv
	s_clause 0x4
	scratch_load_b128 v[108:111], off, off offset:184
	scratch_load_b128 v[112:115], off, off offset:200
	;; [unrolled: 1-line block ×5, first 2 shown]
	v_mov_b32_e32 v1, 0
	ds_load_b128 v[128:131], v1 offset:608
	ds_load_b128 v[132:135], v1 offset:624
	scratch_load_b128 v[136:139], off, off offset:264
	s_mov_b32 s0, exec_lo
	s_waitcnt vmcnt(5) lgkmcnt(1)
	v_fma_f64 v[2:3], v[110:111], v[128:129], 0
	s_waitcnt vmcnt(4)
	s_delay_alu instid0(VALU_DEP_1) | instskip(SKIP_4) | instid1(VALU_DEP_1)
	v_fma_f64 v[2:3], v[112:113], v[130:131], v[2:3]
	scratch_load_b128 v[110:113], off, off offset:280
	s_waitcnt lgkmcnt(0)
	v_fma_f64 v[2:3], v[114:115], v[132:133], v[2:3]
	s_waitcnt vmcnt(4)
	v_fma_f64 v[2:3], v[116:117], v[134:135], v[2:3]
	ds_load_b128 v[114:117], v1 offset:640
	ds_load_b128 v[128:131], v1 offset:656
	scratch_load_b128 v[132:135], off, off offset:296
	s_waitcnt lgkmcnt(1)
	v_fma_f64 v[2:3], v[118:119], v[114:115], v[2:3]
	s_waitcnt vmcnt(4)
	s_delay_alu instid0(VALU_DEP_1) | instskip(SKIP_4) | instid1(VALU_DEP_1)
	v_fma_f64 v[2:3], v[120:121], v[116:117], v[2:3]
	scratch_load_b128 v[114:117], off, off offset:312
	s_waitcnt lgkmcnt(0)
	v_fma_f64 v[2:3], v[122:123], v[128:129], v[2:3]
	s_waitcnt vmcnt(4)
	v_fma_f64 v[2:3], v[124:125], v[130:131], v[2:3]
	ds_load_b128 v[118:121], v1 offset:672
	ds_load_b128 v[122:125], v1 offset:688
	s_waitcnt lgkmcnt(1)
	v_fma_f64 v[2:3], v[126:127], v[118:119], v[2:3]
	scratch_load_b128 v[126:129], off, off offset:328
	s_waitcnt vmcnt(4)
	v_fma_f64 v[2:3], v[136:137], v[120:121], v[2:3]
	scratch_load_b128 v[118:121], off, off offset:344
	s_waitcnt lgkmcnt(0)
	v_fma_f64 v[2:3], v[138:139], v[122:123], v[2:3]
	s_waitcnt vmcnt(4)
	s_delay_alu instid0(VALU_DEP_1)
	v_fma_f64 v[2:3], v[110:111], v[124:125], v[2:3]
	ds_load_b128 v[122:125], v1 offset:704
	ds_load_b128 v[136:139], v1 offset:720
	s_waitcnt lgkmcnt(1)
	v_fma_f64 v[2:3], v[112:113], v[122:123], v[2:3]
	scratch_load_b128 v[110:113], off, off offset:360
	s_waitcnt vmcnt(4)
	v_fma_f64 v[2:3], v[132:133], v[124:125], v[2:3]
	scratch_load_b128 v[122:125], off, off offset:376
	s_waitcnt lgkmcnt(0)
	v_fma_f64 v[2:3], v[134:135], v[136:137], v[2:3]
	ds_load_b128 v[130:133], v1 offset:736
	ds_load_b128 v[134:137], v1 offset:752
	s_waitcnt vmcnt(4)
	v_fma_f64 v[2:3], v[114:115], v[138:139], v[2:3]
	s_waitcnt lgkmcnt(1)
	s_delay_alu instid0(VALU_DEP_1) | instskip(SKIP_4) | instid1(VALU_DEP_1)
	v_fma_f64 v[2:3], v[116:117], v[130:131], v[2:3]
	scratch_load_b128 v[114:117], off, off offset:392
	s_waitcnt vmcnt(4)
	v_fma_f64 v[2:3], v[126:127], v[132:133], v[2:3]
	s_waitcnt lgkmcnt(0)
	v_fma_f64 v[2:3], v[128:129], v[134:135], v[2:3]
	ds_load_b128 v[126:129], v1 offset:768
	ds_load_b128 v[130:133], v1 offset:784
	s_waitcnt vmcnt(3)
	v_fma_f64 v[2:3], v[118:119], v[136:137], v[2:3]
	s_waitcnt lgkmcnt(1)
	s_delay_alu instid0(VALU_DEP_1) | instskip(SKIP_1) | instid1(VALU_DEP_1)
	v_fma_f64 v[2:3], v[120:121], v[126:127], v[2:3]
	s_waitcnt vmcnt(2)
	v_fma_f64 v[2:3], v[110:111], v[128:129], v[2:3]
	s_waitcnt lgkmcnt(0)
	s_delay_alu instid0(VALU_DEP_1)
	v_fma_f64 v[2:3], v[112:113], v[130:131], v[2:3]
	ds_load_b128 v[110:113], v1 offset:800
	ds_load_b64 v[118:119], v1 offset:816
	s_waitcnt vmcnt(1)
	v_fma_f64 v[2:3], v[122:123], v[132:133], v[2:3]
	s_waitcnt lgkmcnt(1)
	s_delay_alu instid0(VALU_DEP_1) | instskip(SKIP_1) | instid1(VALU_DEP_1)
	v_fma_f64 v[2:3], v[124:125], v[110:111], v[2:3]
	s_waitcnt vmcnt(0)
	v_fma_f64 v[2:3], v[114:115], v[112:113], v[2:3]
	s_waitcnt lgkmcnt(0)
	s_delay_alu instid0(VALU_DEP_1) | instskip(NEXT) | instid1(VALU_DEP_1)
	v_fma_f64 v[2:3], v[116:117], v[118:119], v[2:3]
	v_add_f64 v[2:3], v[108:109], -v[2:3]
	scratch_store_b64 off, v[2:3], off offset:184
	v_cmpx_lt_u32_e32 22, v0
	s_cbranch_execz .LBB50_271
; %bb.270:
	scratch_load_b64 v[3:4], off, off offset:176
	v_mov_b32_e32 v2, v1
	scratch_store_b64 off, v[1:2], off offset:176
	s_waitcnt vmcnt(0)
	ds_store_b64 v5, v[3:4]
.LBB50_271:
	s_or_b32 exec_lo, exec_lo, s0
	s_waitcnt lgkmcnt(0)
	s_waitcnt_vscnt null, 0x0
	s_barrier
	buffer_gl0_inv
	s_clause 0x4
	scratch_load_b128 v[108:111], off, off offset:176
	scratch_load_b128 v[112:115], off, off offset:192
	;; [unrolled: 1-line block ×5, first 2 shown]
	ds_load_2addr_b64 v[128:131], v1 offset0:75 offset1:76
	ds_load_2addr_b64 v[132:135], v1 offset0:77 offset1:78
	scratch_load_b128 v[136:139], off, off offset:256
	s_mov_b32 s0, exec_lo
	s_waitcnt vmcnt(5) lgkmcnt(1)
	v_fma_f64 v[2:3], v[110:111], v[128:129], 0
	s_waitcnt vmcnt(4)
	s_delay_alu instid0(VALU_DEP_1) | instskip(SKIP_4) | instid1(VALU_DEP_1)
	v_fma_f64 v[2:3], v[112:113], v[130:131], v[2:3]
	scratch_load_b128 v[110:113], off, off offset:272
	s_waitcnt lgkmcnt(0)
	v_fma_f64 v[2:3], v[114:115], v[132:133], v[2:3]
	s_waitcnt vmcnt(4)
	v_fma_f64 v[2:3], v[116:117], v[134:135], v[2:3]
	ds_load_2addr_b64 v[114:117], v1 offset0:79 offset1:80
	ds_load_2addr_b64 v[128:131], v1 offset0:81 offset1:82
	scratch_load_b128 v[132:135], off, off offset:288
	s_waitcnt lgkmcnt(1)
	v_fma_f64 v[2:3], v[118:119], v[114:115], v[2:3]
	s_waitcnt vmcnt(4)
	s_delay_alu instid0(VALU_DEP_1) | instskip(SKIP_4) | instid1(VALU_DEP_1)
	v_fma_f64 v[2:3], v[120:121], v[116:117], v[2:3]
	scratch_load_b128 v[114:117], off, off offset:304
	s_waitcnt lgkmcnt(0)
	v_fma_f64 v[2:3], v[122:123], v[128:129], v[2:3]
	s_waitcnt vmcnt(4)
	v_fma_f64 v[2:3], v[124:125], v[130:131], v[2:3]
	ds_load_2addr_b64 v[118:121], v1 offset0:83 offset1:84
	ds_load_2addr_b64 v[122:125], v1 offset0:85 offset1:86
	s_waitcnt lgkmcnt(1)
	v_fma_f64 v[2:3], v[126:127], v[118:119], v[2:3]
	scratch_load_b128 v[126:129], off, off offset:320
	s_waitcnt vmcnt(4)
	v_fma_f64 v[2:3], v[136:137], v[120:121], v[2:3]
	scratch_load_b128 v[118:121], off, off offset:336
	s_waitcnt lgkmcnt(0)
	v_fma_f64 v[2:3], v[138:139], v[122:123], v[2:3]
	s_waitcnt vmcnt(4)
	s_delay_alu instid0(VALU_DEP_1)
	v_fma_f64 v[2:3], v[110:111], v[124:125], v[2:3]
	ds_load_2addr_b64 v[122:125], v1 offset0:87 offset1:88
	ds_load_2addr_b64 v[136:139], v1 offset0:89 offset1:90
	s_waitcnt lgkmcnt(1)
	v_fma_f64 v[2:3], v[112:113], v[122:123], v[2:3]
	scratch_load_b128 v[110:113], off, off offset:352
	s_waitcnt vmcnt(4)
	v_fma_f64 v[2:3], v[132:133], v[124:125], v[2:3]
	scratch_load_b128 v[122:125], off, off offset:368
	s_waitcnt lgkmcnt(0)
	v_fma_f64 v[2:3], v[134:135], v[136:137], v[2:3]
	ds_load_2addr_b64 v[130:133], v1 offset0:91 offset1:92
	ds_load_2addr_b64 v[134:137], v1 offset0:93 offset1:94
	s_waitcnt vmcnt(4)
	v_fma_f64 v[2:3], v[114:115], v[138:139], v[2:3]
	s_waitcnt lgkmcnt(1)
	s_delay_alu instid0(VALU_DEP_1) | instskip(SKIP_4) | instid1(VALU_DEP_1)
	v_fma_f64 v[2:3], v[116:117], v[130:131], v[2:3]
	scratch_load_b128 v[114:117], off, off offset:384
	s_waitcnt vmcnt(4)
	v_fma_f64 v[2:3], v[126:127], v[132:133], v[2:3]
	s_waitcnt lgkmcnt(0)
	v_fma_f64 v[2:3], v[128:129], v[134:135], v[2:3]
	scratch_load_b64 v[134:135], off, off offset:400
	ds_load_2addr_b64 v[126:129], v1 offset0:95 offset1:96
	ds_load_2addr_b64 v[130:133], v1 offset0:97 offset1:98
	s_waitcnt vmcnt(4)
	v_fma_f64 v[2:3], v[118:119], v[136:137], v[2:3]
	s_waitcnt lgkmcnt(1)
	s_delay_alu instid0(VALU_DEP_1) | instskip(SKIP_1) | instid1(VALU_DEP_1)
	v_fma_f64 v[2:3], v[120:121], v[126:127], v[2:3]
	s_waitcnt vmcnt(3)
	v_fma_f64 v[2:3], v[110:111], v[128:129], v[2:3]
	s_waitcnt lgkmcnt(0)
	s_delay_alu instid0(VALU_DEP_1) | instskip(SKIP_1) | instid1(VALU_DEP_1)
	v_fma_f64 v[2:3], v[112:113], v[130:131], v[2:3]
	s_waitcnt vmcnt(2)
	v_fma_f64 v[118:119], v[122:123], v[132:133], v[2:3]
	ds_load_2addr_b64 v[110:113], v1 offset0:99 offset1:100
	ds_load_2addr_b64 v[1:4], v1 offset0:101 offset1:102
	s_waitcnt lgkmcnt(1)
	v_fma_f64 v[110:111], v[124:125], v[110:111], v[118:119]
	s_waitcnt vmcnt(1)
	s_delay_alu instid0(VALU_DEP_1) | instskip(SKIP_1) | instid1(VALU_DEP_1)
	v_fma_f64 v[110:111], v[114:115], v[112:113], v[110:111]
	s_waitcnt lgkmcnt(0)
	v_fma_f64 v[1:2], v[116:117], v[1:2], v[110:111]
	s_waitcnt vmcnt(0)
	s_delay_alu instid0(VALU_DEP_1) | instskip(NEXT) | instid1(VALU_DEP_1)
	v_fma_f64 v[1:2], v[134:135], v[3:4], v[1:2]
	v_add_f64 v[1:2], v[108:109], -v[1:2]
	scratch_store_b64 off, v[1:2], off offset:176
	v_cmpx_lt_u32_e32 21, v0
	s_cbranch_execz .LBB50_273
; %bb.272:
	scratch_load_b64 v[1:2], off, off offset:168
	v_mov_b32_e32 v3, 0
	s_delay_alu instid0(VALU_DEP_1)
	v_mov_b32_e32 v4, v3
	scratch_store_b64 off, v[3:4], off offset:168
	s_waitcnt vmcnt(0)
	ds_store_b64 v5, v[1:2]
.LBB50_273:
	s_or_b32 exec_lo, exec_lo, s0
	s_waitcnt lgkmcnt(0)
	s_waitcnt_vscnt null, 0x0
	s_barrier
	buffer_gl0_inv
	s_clause 0x4
	scratch_load_b128 v[108:111], off, off offset:168
	scratch_load_b128 v[112:115], off, off offset:184
	;; [unrolled: 1-line block ×5, first 2 shown]
	v_mov_b32_e32 v1, 0
	ds_load_b128 v[128:131], v1 offset:592
	ds_load_b128 v[132:135], v1 offset:608
	scratch_load_b128 v[136:139], off, off offset:248
	s_mov_b32 s0, exec_lo
	s_waitcnt vmcnt(5) lgkmcnt(1)
	v_fma_f64 v[2:3], v[110:111], v[128:129], 0
	s_waitcnt vmcnt(4)
	s_delay_alu instid0(VALU_DEP_1) | instskip(SKIP_4) | instid1(VALU_DEP_1)
	v_fma_f64 v[2:3], v[112:113], v[130:131], v[2:3]
	scratch_load_b128 v[110:113], off, off offset:264
	s_waitcnt lgkmcnt(0)
	v_fma_f64 v[2:3], v[114:115], v[132:133], v[2:3]
	s_waitcnt vmcnt(4)
	v_fma_f64 v[2:3], v[116:117], v[134:135], v[2:3]
	ds_load_b128 v[114:117], v1 offset:624
	ds_load_b128 v[128:131], v1 offset:640
	scratch_load_b128 v[132:135], off, off offset:280
	s_waitcnt lgkmcnt(1)
	v_fma_f64 v[2:3], v[118:119], v[114:115], v[2:3]
	s_waitcnt vmcnt(4)
	s_delay_alu instid0(VALU_DEP_1) | instskip(SKIP_4) | instid1(VALU_DEP_1)
	v_fma_f64 v[2:3], v[120:121], v[116:117], v[2:3]
	scratch_load_b128 v[114:117], off, off offset:296
	s_waitcnt lgkmcnt(0)
	v_fma_f64 v[2:3], v[122:123], v[128:129], v[2:3]
	s_waitcnt vmcnt(4)
	v_fma_f64 v[2:3], v[124:125], v[130:131], v[2:3]
	ds_load_b128 v[118:121], v1 offset:656
	ds_load_b128 v[122:125], v1 offset:672
	s_waitcnt lgkmcnt(1)
	v_fma_f64 v[2:3], v[126:127], v[118:119], v[2:3]
	scratch_load_b128 v[126:129], off, off offset:312
	s_waitcnt vmcnt(4)
	v_fma_f64 v[2:3], v[136:137], v[120:121], v[2:3]
	scratch_load_b128 v[118:121], off, off offset:328
	s_waitcnt lgkmcnt(0)
	v_fma_f64 v[2:3], v[138:139], v[122:123], v[2:3]
	s_waitcnt vmcnt(4)
	s_delay_alu instid0(VALU_DEP_1)
	v_fma_f64 v[2:3], v[110:111], v[124:125], v[2:3]
	ds_load_b128 v[122:125], v1 offset:688
	ds_load_b128 v[136:139], v1 offset:704
	s_waitcnt lgkmcnt(1)
	v_fma_f64 v[2:3], v[112:113], v[122:123], v[2:3]
	scratch_load_b128 v[110:113], off, off offset:344
	s_waitcnt vmcnt(4)
	v_fma_f64 v[2:3], v[132:133], v[124:125], v[2:3]
	scratch_load_b128 v[122:125], off, off offset:360
	s_waitcnt lgkmcnt(0)
	v_fma_f64 v[2:3], v[134:135], v[136:137], v[2:3]
	ds_load_b128 v[130:133], v1 offset:720
	ds_load_b128 v[134:137], v1 offset:736
	s_waitcnt vmcnt(4)
	v_fma_f64 v[2:3], v[114:115], v[138:139], v[2:3]
	s_waitcnt lgkmcnt(1)
	s_delay_alu instid0(VALU_DEP_1) | instskip(SKIP_4) | instid1(VALU_DEP_1)
	v_fma_f64 v[2:3], v[116:117], v[130:131], v[2:3]
	scratch_load_b128 v[114:117], off, off offset:376
	s_waitcnt vmcnt(4)
	v_fma_f64 v[2:3], v[126:127], v[132:133], v[2:3]
	s_waitcnt lgkmcnt(0)
	v_fma_f64 v[2:3], v[128:129], v[134:135], v[2:3]
	scratch_load_b128 v[126:129], off, off offset:392
	s_waitcnt vmcnt(4)
	v_fma_f64 v[2:3], v[118:119], v[136:137], v[2:3]
	ds_load_b128 v[130:133], v1 offset:752
	ds_load_b128 v[134:137], v1 offset:768
	s_waitcnt lgkmcnt(1)
	v_fma_f64 v[2:3], v[120:121], v[130:131], v[2:3]
	s_waitcnt vmcnt(3)
	s_delay_alu instid0(VALU_DEP_1) | instskip(SKIP_1) | instid1(VALU_DEP_1)
	v_fma_f64 v[2:3], v[110:111], v[132:133], v[2:3]
	s_waitcnt lgkmcnt(0)
	v_fma_f64 v[2:3], v[112:113], v[134:135], v[2:3]
	ds_load_b128 v[110:113], v1 offset:784
	ds_load_b128 v[118:121], v1 offset:800
	s_waitcnt vmcnt(2)
	v_fma_f64 v[2:3], v[122:123], v[136:137], v[2:3]
	s_waitcnt lgkmcnt(1)
	s_delay_alu instid0(VALU_DEP_1) | instskip(SKIP_4) | instid1(VALU_DEP_1)
	v_fma_f64 v[2:3], v[124:125], v[110:111], v[2:3]
	ds_load_b64 v[110:111], v1 offset:816
	s_waitcnt vmcnt(1)
	v_fma_f64 v[2:3], v[114:115], v[112:113], v[2:3]
	s_waitcnt lgkmcnt(1)
	v_fma_f64 v[2:3], v[116:117], v[118:119], v[2:3]
	s_waitcnt vmcnt(0)
	s_delay_alu instid0(VALU_DEP_1) | instskip(SKIP_1) | instid1(VALU_DEP_1)
	v_fma_f64 v[2:3], v[126:127], v[120:121], v[2:3]
	s_waitcnt lgkmcnt(0)
	v_fma_f64 v[2:3], v[128:129], v[110:111], v[2:3]
	s_delay_alu instid0(VALU_DEP_1)
	v_add_f64 v[2:3], v[108:109], -v[2:3]
	scratch_store_b64 off, v[2:3], off offset:168
	v_cmpx_lt_u32_e32 20, v0
	s_cbranch_execz .LBB50_275
; %bb.274:
	scratch_load_b64 v[3:4], off, off offset:160
	v_mov_b32_e32 v2, v1
	scratch_store_b64 off, v[1:2], off offset:160
	s_waitcnt vmcnt(0)
	ds_store_b64 v5, v[3:4]
.LBB50_275:
	s_or_b32 exec_lo, exec_lo, s0
	s_waitcnt lgkmcnt(0)
	s_waitcnt_vscnt null, 0x0
	s_barrier
	buffer_gl0_inv
	s_clause 0x4
	scratch_load_b128 v[108:111], off, off offset:160
	scratch_load_b128 v[112:115], off, off offset:176
	;; [unrolled: 1-line block ×5, first 2 shown]
	ds_load_2addr_b64 v[128:131], v1 offset0:73 offset1:74
	ds_load_2addr_b64 v[132:135], v1 offset0:75 offset1:76
	scratch_load_b128 v[136:139], off, off offset:240
	s_mov_b32 s0, exec_lo
	s_waitcnt vmcnt(5) lgkmcnt(1)
	v_fma_f64 v[2:3], v[110:111], v[128:129], 0
	s_waitcnt vmcnt(4)
	s_delay_alu instid0(VALU_DEP_1) | instskip(SKIP_4) | instid1(VALU_DEP_1)
	v_fma_f64 v[2:3], v[112:113], v[130:131], v[2:3]
	scratch_load_b128 v[110:113], off, off offset:256
	s_waitcnt lgkmcnt(0)
	v_fma_f64 v[2:3], v[114:115], v[132:133], v[2:3]
	s_waitcnt vmcnt(4)
	v_fma_f64 v[2:3], v[116:117], v[134:135], v[2:3]
	ds_load_2addr_b64 v[114:117], v1 offset0:77 offset1:78
	ds_load_2addr_b64 v[128:131], v1 offset0:79 offset1:80
	scratch_load_b128 v[132:135], off, off offset:272
	s_waitcnt lgkmcnt(1)
	v_fma_f64 v[2:3], v[118:119], v[114:115], v[2:3]
	s_waitcnt vmcnt(4)
	s_delay_alu instid0(VALU_DEP_1) | instskip(SKIP_4) | instid1(VALU_DEP_1)
	v_fma_f64 v[2:3], v[120:121], v[116:117], v[2:3]
	scratch_load_b128 v[114:117], off, off offset:288
	s_waitcnt lgkmcnt(0)
	v_fma_f64 v[2:3], v[122:123], v[128:129], v[2:3]
	s_waitcnt vmcnt(4)
	v_fma_f64 v[2:3], v[124:125], v[130:131], v[2:3]
	ds_load_2addr_b64 v[118:121], v1 offset0:81 offset1:82
	ds_load_2addr_b64 v[122:125], v1 offset0:83 offset1:84
	s_waitcnt lgkmcnt(1)
	v_fma_f64 v[2:3], v[126:127], v[118:119], v[2:3]
	scratch_load_b128 v[126:129], off, off offset:304
	s_waitcnt vmcnt(4)
	v_fma_f64 v[2:3], v[136:137], v[120:121], v[2:3]
	scratch_load_b128 v[118:121], off, off offset:320
	s_waitcnt lgkmcnt(0)
	v_fma_f64 v[2:3], v[138:139], v[122:123], v[2:3]
	s_waitcnt vmcnt(4)
	s_delay_alu instid0(VALU_DEP_1)
	v_fma_f64 v[2:3], v[110:111], v[124:125], v[2:3]
	ds_load_2addr_b64 v[122:125], v1 offset0:85 offset1:86
	ds_load_2addr_b64 v[136:139], v1 offset0:87 offset1:88
	s_waitcnt lgkmcnt(1)
	v_fma_f64 v[2:3], v[112:113], v[122:123], v[2:3]
	scratch_load_b128 v[110:113], off, off offset:336
	s_waitcnt vmcnt(4)
	v_fma_f64 v[2:3], v[132:133], v[124:125], v[2:3]
	scratch_load_b128 v[122:125], off, off offset:352
	s_waitcnt lgkmcnt(0)
	v_fma_f64 v[2:3], v[134:135], v[136:137], v[2:3]
	ds_load_2addr_b64 v[130:133], v1 offset0:89 offset1:90
	ds_load_2addr_b64 v[134:137], v1 offset0:91 offset1:92
	s_waitcnt vmcnt(4)
	v_fma_f64 v[2:3], v[114:115], v[138:139], v[2:3]
	s_waitcnt lgkmcnt(1)
	s_delay_alu instid0(VALU_DEP_1) | instskip(SKIP_4) | instid1(VALU_DEP_1)
	v_fma_f64 v[2:3], v[116:117], v[130:131], v[2:3]
	scratch_load_b128 v[114:117], off, off offset:368
	s_waitcnt vmcnt(4)
	v_fma_f64 v[2:3], v[126:127], v[132:133], v[2:3]
	s_waitcnt lgkmcnt(0)
	v_fma_f64 v[2:3], v[128:129], v[134:135], v[2:3]
	scratch_load_b128 v[126:129], off, off offset:384
	s_waitcnt vmcnt(4)
	v_fma_f64 v[2:3], v[118:119], v[136:137], v[2:3]
	ds_load_2addr_b64 v[130:133], v1 offset0:93 offset1:94
	ds_load_2addr_b64 v[134:137], v1 offset0:95 offset1:96
	s_waitcnt lgkmcnt(1)
	v_fma_f64 v[2:3], v[120:121], v[130:131], v[2:3]
	scratch_load_b64 v[130:131], off, off offset:400
	s_waitcnt vmcnt(4)
	v_fma_f64 v[2:3], v[110:111], v[132:133], v[2:3]
	s_waitcnt lgkmcnt(0)
	s_delay_alu instid0(VALU_DEP_1)
	v_fma_f64 v[2:3], v[112:113], v[134:135], v[2:3]
	ds_load_2addr_b64 v[110:113], v1 offset0:97 offset1:98
	ds_load_2addr_b64 v[118:121], v1 offset0:99 offset1:100
	s_waitcnt vmcnt(3)
	v_fma_f64 v[2:3], v[122:123], v[136:137], v[2:3]
	s_waitcnt lgkmcnt(1)
	s_delay_alu instid0(VALU_DEP_1) | instskip(SKIP_1) | instid1(VALU_DEP_1)
	v_fma_f64 v[2:3], v[124:125], v[110:111], v[2:3]
	s_waitcnt vmcnt(2)
	v_fma_f64 v[2:3], v[114:115], v[112:113], v[2:3]
	s_waitcnt lgkmcnt(0)
	s_delay_alu instid0(VALU_DEP_1) | instskip(SKIP_1) | instid1(VALU_DEP_1)
	v_fma_f64 v[2:3], v[116:117], v[118:119], v[2:3]
	s_waitcnt vmcnt(1)
	v_fma_f64 v[110:111], v[126:127], v[120:121], v[2:3]
	ds_load_2addr_b64 v[1:4], v1 offset0:101 offset1:102
	s_waitcnt lgkmcnt(0)
	v_fma_f64 v[1:2], v[128:129], v[1:2], v[110:111]
	s_waitcnt vmcnt(0)
	s_delay_alu instid0(VALU_DEP_1) | instskip(NEXT) | instid1(VALU_DEP_1)
	v_fma_f64 v[1:2], v[130:131], v[3:4], v[1:2]
	v_add_f64 v[1:2], v[108:109], -v[1:2]
	scratch_store_b64 off, v[1:2], off offset:160
	v_cmpx_lt_u32_e32 19, v0
	s_cbranch_execz .LBB50_277
; %bb.276:
	scratch_load_b64 v[1:2], off, off offset:152
	v_mov_b32_e32 v3, 0
	s_delay_alu instid0(VALU_DEP_1)
	v_mov_b32_e32 v4, v3
	scratch_store_b64 off, v[3:4], off offset:152
	s_waitcnt vmcnt(0)
	ds_store_b64 v5, v[1:2]
.LBB50_277:
	s_or_b32 exec_lo, exec_lo, s0
	s_waitcnt lgkmcnt(0)
	s_waitcnt_vscnt null, 0x0
	s_barrier
	buffer_gl0_inv
	s_clause 0x4
	scratch_load_b128 v[108:111], off, off offset:152
	scratch_load_b128 v[112:115], off, off offset:168
	;; [unrolled: 1-line block ×5, first 2 shown]
	v_mov_b32_e32 v1, 0
	ds_load_b128 v[128:131], v1 offset:576
	ds_load_b128 v[132:135], v1 offset:592
	scratch_load_b128 v[136:139], off, off offset:232
	s_mov_b32 s0, exec_lo
	s_waitcnt vmcnt(5) lgkmcnt(1)
	v_fma_f64 v[2:3], v[110:111], v[128:129], 0
	s_waitcnt vmcnt(4)
	s_delay_alu instid0(VALU_DEP_1) | instskip(SKIP_4) | instid1(VALU_DEP_1)
	v_fma_f64 v[2:3], v[112:113], v[130:131], v[2:3]
	scratch_load_b128 v[110:113], off, off offset:248
	s_waitcnt lgkmcnt(0)
	v_fma_f64 v[2:3], v[114:115], v[132:133], v[2:3]
	s_waitcnt vmcnt(4)
	v_fma_f64 v[2:3], v[116:117], v[134:135], v[2:3]
	ds_load_b128 v[114:117], v1 offset:608
	ds_load_b128 v[128:131], v1 offset:624
	scratch_load_b128 v[132:135], off, off offset:264
	s_waitcnt lgkmcnt(1)
	v_fma_f64 v[2:3], v[118:119], v[114:115], v[2:3]
	s_waitcnt vmcnt(4)
	s_delay_alu instid0(VALU_DEP_1) | instskip(SKIP_4) | instid1(VALU_DEP_1)
	v_fma_f64 v[2:3], v[120:121], v[116:117], v[2:3]
	scratch_load_b128 v[114:117], off, off offset:280
	s_waitcnt lgkmcnt(0)
	v_fma_f64 v[2:3], v[122:123], v[128:129], v[2:3]
	s_waitcnt vmcnt(4)
	v_fma_f64 v[2:3], v[124:125], v[130:131], v[2:3]
	ds_load_b128 v[118:121], v1 offset:640
	ds_load_b128 v[122:125], v1 offset:656
	s_waitcnt lgkmcnt(1)
	v_fma_f64 v[2:3], v[126:127], v[118:119], v[2:3]
	scratch_load_b128 v[126:129], off, off offset:296
	s_waitcnt vmcnt(4)
	v_fma_f64 v[2:3], v[136:137], v[120:121], v[2:3]
	scratch_load_b128 v[118:121], off, off offset:312
	s_waitcnt lgkmcnt(0)
	v_fma_f64 v[2:3], v[138:139], v[122:123], v[2:3]
	s_waitcnt vmcnt(4)
	s_delay_alu instid0(VALU_DEP_1)
	v_fma_f64 v[2:3], v[110:111], v[124:125], v[2:3]
	ds_load_b128 v[122:125], v1 offset:672
	ds_load_b128 v[136:139], v1 offset:688
	s_waitcnt lgkmcnt(1)
	v_fma_f64 v[2:3], v[112:113], v[122:123], v[2:3]
	scratch_load_b128 v[110:113], off, off offset:328
	s_waitcnt vmcnt(4)
	v_fma_f64 v[2:3], v[132:133], v[124:125], v[2:3]
	scratch_load_b128 v[122:125], off, off offset:344
	s_waitcnt lgkmcnt(0)
	v_fma_f64 v[2:3], v[134:135], v[136:137], v[2:3]
	ds_load_b128 v[130:133], v1 offset:704
	ds_load_b128 v[134:137], v1 offset:720
	s_waitcnt vmcnt(4)
	v_fma_f64 v[2:3], v[114:115], v[138:139], v[2:3]
	s_waitcnt lgkmcnt(1)
	s_delay_alu instid0(VALU_DEP_1) | instskip(SKIP_4) | instid1(VALU_DEP_1)
	v_fma_f64 v[2:3], v[116:117], v[130:131], v[2:3]
	scratch_load_b128 v[114:117], off, off offset:360
	s_waitcnt vmcnt(4)
	v_fma_f64 v[2:3], v[126:127], v[132:133], v[2:3]
	s_waitcnt lgkmcnt(0)
	v_fma_f64 v[2:3], v[128:129], v[134:135], v[2:3]
	scratch_load_b128 v[126:129], off, off offset:376
	s_waitcnt vmcnt(4)
	v_fma_f64 v[2:3], v[118:119], v[136:137], v[2:3]
	ds_load_b128 v[130:133], v1 offset:736
	ds_load_b128 v[134:137], v1 offset:752
	s_waitcnt lgkmcnt(1)
	v_fma_f64 v[2:3], v[120:121], v[130:131], v[2:3]
	scratch_load_b128 v[118:121], off, off offset:392
	s_waitcnt vmcnt(4)
	v_fma_f64 v[2:3], v[110:111], v[132:133], v[2:3]
	s_waitcnt lgkmcnt(0)
	s_delay_alu instid0(VALU_DEP_1)
	v_fma_f64 v[2:3], v[112:113], v[134:135], v[2:3]
	ds_load_b128 v[110:113], v1 offset:768
	ds_load_b128 v[130:133], v1 offset:784
	s_waitcnt vmcnt(3)
	v_fma_f64 v[2:3], v[122:123], v[136:137], v[2:3]
	s_waitcnt lgkmcnt(1)
	s_delay_alu instid0(VALU_DEP_1) | instskip(SKIP_1) | instid1(VALU_DEP_1)
	v_fma_f64 v[2:3], v[124:125], v[110:111], v[2:3]
	s_waitcnt vmcnt(2)
	v_fma_f64 v[2:3], v[114:115], v[112:113], v[2:3]
	ds_load_b128 v[110:113], v1 offset:800
	ds_load_b64 v[114:115], v1 offset:816
	s_waitcnt lgkmcnt(2)
	v_fma_f64 v[2:3], v[116:117], v[130:131], v[2:3]
	s_waitcnt vmcnt(1)
	s_delay_alu instid0(VALU_DEP_1) | instskip(SKIP_1) | instid1(VALU_DEP_1)
	v_fma_f64 v[2:3], v[126:127], v[132:133], v[2:3]
	s_waitcnt lgkmcnt(1)
	v_fma_f64 v[2:3], v[128:129], v[110:111], v[2:3]
	s_waitcnt vmcnt(0)
	s_delay_alu instid0(VALU_DEP_1) | instskip(SKIP_1) | instid1(VALU_DEP_1)
	v_fma_f64 v[2:3], v[118:119], v[112:113], v[2:3]
	s_waitcnt lgkmcnt(0)
	v_fma_f64 v[2:3], v[120:121], v[114:115], v[2:3]
	s_delay_alu instid0(VALU_DEP_1)
	v_add_f64 v[2:3], v[108:109], -v[2:3]
	scratch_store_b64 off, v[2:3], off offset:152
	v_cmpx_lt_u32_e32 18, v0
	s_cbranch_execz .LBB50_279
; %bb.278:
	scratch_load_b64 v[3:4], off, off offset:144
	v_mov_b32_e32 v2, v1
	scratch_store_b64 off, v[1:2], off offset:144
	s_waitcnt vmcnt(0)
	ds_store_b64 v5, v[3:4]
.LBB50_279:
	s_or_b32 exec_lo, exec_lo, s0
	s_waitcnt lgkmcnt(0)
	s_waitcnt_vscnt null, 0x0
	s_barrier
	buffer_gl0_inv
	s_clause 0x4
	scratch_load_b128 v[108:111], off, off offset:144
	scratch_load_b128 v[112:115], off, off offset:160
	;; [unrolled: 1-line block ×5, first 2 shown]
	ds_load_2addr_b64 v[128:131], v1 offset0:71 offset1:72
	ds_load_2addr_b64 v[132:135], v1 offset0:73 offset1:74
	scratch_load_b128 v[136:139], off, off offset:224
	s_mov_b32 s0, exec_lo
	s_waitcnt vmcnt(5) lgkmcnt(1)
	v_fma_f64 v[2:3], v[110:111], v[128:129], 0
	s_waitcnt vmcnt(4)
	s_delay_alu instid0(VALU_DEP_1) | instskip(SKIP_4) | instid1(VALU_DEP_1)
	v_fma_f64 v[2:3], v[112:113], v[130:131], v[2:3]
	scratch_load_b128 v[110:113], off, off offset:240
	s_waitcnt lgkmcnt(0)
	v_fma_f64 v[2:3], v[114:115], v[132:133], v[2:3]
	s_waitcnt vmcnt(4)
	v_fma_f64 v[2:3], v[116:117], v[134:135], v[2:3]
	ds_load_2addr_b64 v[114:117], v1 offset0:75 offset1:76
	ds_load_2addr_b64 v[128:131], v1 offset0:77 offset1:78
	scratch_load_b128 v[132:135], off, off offset:256
	s_waitcnt lgkmcnt(1)
	v_fma_f64 v[2:3], v[118:119], v[114:115], v[2:3]
	s_waitcnt vmcnt(4)
	s_delay_alu instid0(VALU_DEP_1) | instskip(SKIP_4) | instid1(VALU_DEP_1)
	v_fma_f64 v[2:3], v[120:121], v[116:117], v[2:3]
	scratch_load_b128 v[114:117], off, off offset:272
	s_waitcnt lgkmcnt(0)
	v_fma_f64 v[2:3], v[122:123], v[128:129], v[2:3]
	s_waitcnt vmcnt(4)
	v_fma_f64 v[2:3], v[124:125], v[130:131], v[2:3]
	ds_load_2addr_b64 v[118:121], v1 offset0:79 offset1:80
	ds_load_2addr_b64 v[122:125], v1 offset0:81 offset1:82
	s_waitcnt lgkmcnt(1)
	v_fma_f64 v[2:3], v[126:127], v[118:119], v[2:3]
	scratch_load_b128 v[126:129], off, off offset:288
	s_waitcnt vmcnt(4)
	v_fma_f64 v[2:3], v[136:137], v[120:121], v[2:3]
	scratch_load_b128 v[118:121], off, off offset:304
	s_waitcnt lgkmcnt(0)
	v_fma_f64 v[2:3], v[138:139], v[122:123], v[2:3]
	s_waitcnt vmcnt(4)
	s_delay_alu instid0(VALU_DEP_1)
	v_fma_f64 v[2:3], v[110:111], v[124:125], v[2:3]
	ds_load_2addr_b64 v[122:125], v1 offset0:83 offset1:84
	ds_load_2addr_b64 v[136:139], v1 offset0:85 offset1:86
	s_waitcnt lgkmcnt(1)
	v_fma_f64 v[2:3], v[112:113], v[122:123], v[2:3]
	scratch_load_b128 v[110:113], off, off offset:320
	s_waitcnt vmcnt(4)
	v_fma_f64 v[2:3], v[132:133], v[124:125], v[2:3]
	scratch_load_b128 v[122:125], off, off offset:336
	s_waitcnt lgkmcnt(0)
	v_fma_f64 v[2:3], v[134:135], v[136:137], v[2:3]
	ds_load_2addr_b64 v[130:133], v1 offset0:87 offset1:88
	ds_load_2addr_b64 v[134:137], v1 offset0:89 offset1:90
	s_waitcnt vmcnt(4)
	v_fma_f64 v[2:3], v[114:115], v[138:139], v[2:3]
	s_waitcnt lgkmcnt(1)
	s_delay_alu instid0(VALU_DEP_1) | instskip(SKIP_4) | instid1(VALU_DEP_1)
	v_fma_f64 v[2:3], v[116:117], v[130:131], v[2:3]
	scratch_load_b128 v[114:117], off, off offset:352
	s_waitcnt vmcnt(4)
	v_fma_f64 v[2:3], v[126:127], v[132:133], v[2:3]
	s_waitcnt lgkmcnt(0)
	v_fma_f64 v[2:3], v[128:129], v[134:135], v[2:3]
	scratch_load_b128 v[126:129], off, off offset:368
	s_waitcnt vmcnt(4)
	v_fma_f64 v[2:3], v[118:119], v[136:137], v[2:3]
	ds_load_2addr_b64 v[130:133], v1 offset0:91 offset1:92
	ds_load_2addr_b64 v[134:137], v1 offset0:93 offset1:94
	s_waitcnt lgkmcnt(1)
	v_fma_f64 v[2:3], v[120:121], v[130:131], v[2:3]
	scratch_load_b128 v[118:121], off, off offset:384
	s_waitcnt vmcnt(4)
	v_fma_f64 v[2:3], v[110:111], v[132:133], v[2:3]
	s_waitcnt lgkmcnt(0)
	s_delay_alu instid0(VALU_DEP_1)
	v_fma_f64 v[2:3], v[112:113], v[134:135], v[2:3]
	scratch_load_b64 v[134:135], off, off offset:400
	ds_load_2addr_b64 v[110:113], v1 offset0:95 offset1:96
	ds_load_2addr_b64 v[130:133], v1 offset0:97 offset1:98
	s_waitcnt vmcnt(4)
	v_fma_f64 v[2:3], v[122:123], v[136:137], v[2:3]
	s_waitcnt lgkmcnt(1)
	s_delay_alu instid0(VALU_DEP_1) | instskip(SKIP_1) | instid1(VALU_DEP_1)
	v_fma_f64 v[2:3], v[124:125], v[110:111], v[2:3]
	s_waitcnt vmcnt(3)
	v_fma_f64 v[2:3], v[114:115], v[112:113], v[2:3]
	s_waitcnt lgkmcnt(0)
	s_delay_alu instid0(VALU_DEP_1) | instskip(SKIP_1) | instid1(VALU_DEP_1)
	v_fma_f64 v[2:3], v[116:117], v[130:131], v[2:3]
	s_waitcnt vmcnt(2)
	v_fma_f64 v[114:115], v[126:127], v[132:133], v[2:3]
	ds_load_2addr_b64 v[110:113], v1 offset0:99 offset1:100
	ds_load_2addr_b64 v[1:4], v1 offset0:101 offset1:102
	s_waitcnt lgkmcnt(1)
	v_fma_f64 v[110:111], v[128:129], v[110:111], v[114:115]
	s_waitcnt vmcnt(1)
	s_delay_alu instid0(VALU_DEP_1) | instskip(SKIP_1) | instid1(VALU_DEP_1)
	v_fma_f64 v[110:111], v[118:119], v[112:113], v[110:111]
	s_waitcnt lgkmcnt(0)
	v_fma_f64 v[1:2], v[120:121], v[1:2], v[110:111]
	s_waitcnt vmcnt(0)
	s_delay_alu instid0(VALU_DEP_1) | instskip(NEXT) | instid1(VALU_DEP_1)
	v_fma_f64 v[1:2], v[134:135], v[3:4], v[1:2]
	v_add_f64 v[1:2], v[108:109], -v[1:2]
	scratch_store_b64 off, v[1:2], off offset:144
	v_cmpx_lt_u32_e32 17, v0
	s_cbranch_execz .LBB50_281
; %bb.280:
	scratch_load_b64 v[1:2], off, off offset:136
	v_mov_b32_e32 v3, 0
	s_delay_alu instid0(VALU_DEP_1)
	v_mov_b32_e32 v4, v3
	scratch_store_b64 off, v[3:4], off offset:136
	s_waitcnt vmcnt(0)
	ds_store_b64 v5, v[1:2]
.LBB50_281:
	s_or_b32 exec_lo, exec_lo, s0
	s_waitcnt lgkmcnt(0)
	s_waitcnt_vscnt null, 0x0
	s_barrier
	buffer_gl0_inv
	s_clause 0x4
	scratch_load_b128 v[108:111], off, off offset:136
	scratch_load_b128 v[112:115], off, off offset:152
	scratch_load_b128 v[116:119], off, off offset:168
	scratch_load_b128 v[120:123], off, off offset:184
	scratch_load_b128 v[124:127], off, off offset:200
	v_mov_b32_e32 v1, 0
	ds_load_b128 v[128:131], v1 offset:560
	ds_load_b128 v[132:135], v1 offset:576
	scratch_load_b128 v[136:139], off, off offset:216
	s_mov_b32 s0, exec_lo
	s_waitcnt vmcnt(5) lgkmcnt(1)
	v_fma_f64 v[2:3], v[110:111], v[128:129], 0
	s_waitcnt vmcnt(4)
	s_delay_alu instid0(VALU_DEP_1) | instskip(SKIP_4) | instid1(VALU_DEP_1)
	v_fma_f64 v[2:3], v[112:113], v[130:131], v[2:3]
	scratch_load_b128 v[110:113], off, off offset:232
	s_waitcnt lgkmcnt(0)
	v_fma_f64 v[2:3], v[114:115], v[132:133], v[2:3]
	s_waitcnt vmcnt(4)
	v_fma_f64 v[2:3], v[116:117], v[134:135], v[2:3]
	ds_load_b128 v[114:117], v1 offset:592
	ds_load_b128 v[128:131], v1 offset:608
	scratch_load_b128 v[132:135], off, off offset:248
	s_waitcnt lgkmcnt(1)
	v_fma_f64 v[2:3], v[118:119], v[114:115], v[2:3]
	s_waitcnt vmcnt(4)
	s_delay_alu instid0(VALU_DEP_1) | instskip(SKIP_4) | instid1(VALU_DEP_1)
	v_fma_f64 v[2:3], v[120:121], v[116:117], v[2:3]
	scratch_load_b128 v[114:117], off, off offset:264
	s_waitcnt lgkmcnt(0)
	v_fma_f64 v[2:3], v[122:123], v[128:129], v[2:3]
	s_waitcnt vmcnt(4)
	v_fma_f64 v[2:3], v[124:125], v[130:131], v[2:3]
	ds_load_b128 v[118:121], v1 offset:624
	ds_load_b128 v[122:125], v1 offset:640
	s_waitcnt lgkmcnt(1)
	v_fma_f64 v[2:3], v[126:127], v[118:119], v[2:3]
	scratch_load_b128 v[126:129], off, off offset:280
	s_waitcnt vmcnt(4)
	v_fma_f64 v[2:3], v[136:137], v[120:121], v[2:3]
	scratch_load_b128 v[118:121], off, off offset:296
	s_waitcnt lgkmcnt(0)
	v_fma_f64 v[2:3], v[138:139], v[122:123], v[2:3]
	s_waitcnt vmcnt(4)
	s_delay_alu instid0(VALU_DEP_1)
	v_fma_f64 v[2:3], v[110:111], v[124:125], v[2:3]
	ds_load_b128 v[122:125], v1 offset:656
	ds_load_b128 v[136:139], v1 offset:672
	s_waitcnt lgkmcnt(1)
	v_fma_f64 v[2:3], v[112:113], v[122:123], v[2:3]
	scratch_load_b128 v[110:113], off, off offset:312
	s_waitcnt vmcnt(4)
	v_fma_f64 v[2:3], v[132:133], v[124:125], v[2:3]
	scratch_load_b128 v[122:125], off, off offset:328
	s_waitcnt lgkmcnt(0)
	v_fma_f64 v[2:3], v[134:135], v[136:137], v[2:3]
	ds_load_b128 v[130:133], v1 offset:688
	ds_load_b128 v[134:137], v1 offset:704
	s_waitcnt vmcnt(4)
	v_fma_f64 v[2:3], v[114:115], v[138:139], v[2:3]
	s_waitcnt lgkmcnt(1)
	s_delay_alu instid0(VALU_DEP_1) | instskip(SKIP_4) | instid1(VALU_DEP_1)
	v_fma_f64 v[2:3], v[116:117], v[130:131], v[2:3]
	scratch_load_b128 v[114:117], off, off offset:344
	s_waitcnt vmcnt(4)
	v_fma_f64 v[2:3], v[126:127], v[132:133], v[2:3]
	s_waitcnt lgkmcnt(0)
	v_fma_f64 v[2:3], v[128:129], v[134:135], v[2:3]
	scratch_load_b128 v[126:129], off, off offset:360
	s_waitcnt vmcnt(4)
	v_fma_f64 v[2:3], v[118:119], v[136:137], v[2:3]
	ds_load_b128 v[130:133], v1 offset:720
	ds_load_b128 v[134:137], v1 offset:736
	s_waitcnt lgkmcnt(1)
	v_fma_f64 v[2:3], v[120:121], v[130:131], v[2:3]
	scratch_load_b128 v[118:121], off, off offset:376
	s_waitcnt vmcnt(4)
	v_fma_f64 v[2:3], v[110:111], v[132:133], v[2:3]
	s_waitcnt lgkmcnt(0)
	s_delay_alu instid0(VALU_DEP_1)
	v_fma_f64 v[2:3], v[112:113], v[134:135], v[2:3]
	scratch_load_b128 v[110:113], off, off offset:392
	s_waitcnt vmcnt(4)
	v_fma_f64 v[2:3], v[122:123], v[136:137], v[2:3]
	ds_load_b128 v[130:133], v1 offset:752
	ds_load_b128 v[134:137], v1 offset:768
	s_waitcnt lgkmcnt(1)
	v_fma_f64 v[2:3], v[124:125], v[130:131], v[2:3]
	s_waitcnt vmcnt(3)
	s_delay_alu instid0(VALU_DEP_1) | instskip(SKIP_1) | instid1(VALU_DEP_1)
	v_fma_f64 v[2:3], v[114:115], v[132:133], v[2:3]
	s_waitcnt lgkmcnt(0)
	v_fma_f64 v[2:3], v[116:117], v[134:135], v[2:3]
	ds_load_b128 v[114:117], v1 offset:784
	ds_load_b128 v[122:125], v1 offset:800
	s_waitcnt vmcnt(2)
	v_fma_f64 v[2:3], v[126:127], v[136:137], v[2:3]
	s_waitcnt lgkmcnt(1)
	s_delay_alu instid0(VALU_DEP_1) | instskip(SKIP_1) | instid1(VALU_DEP_1)
	v_fma_f64 v[2:3], v[128:129], v[114:115], v[2:3]
	s_waitcnt vmcnt(1)
	v_fma_f64 v[2:3], v[118:119], v[116:117], v[2:3]
	s_waitcnt lgkmcnt(0)
	s_delay_alu instid0(VALU_DEP_1) | instskip(SKIP_1) | instid1(VALU_DEP_1)
	v_fma_f64 v[2:3], v[120:121], v[122:123], v[2:3]
	s_waitcnt vmcnt(0)
	v_fma_f64 v[2:3], v[110:111], v[124:125], v[2:3]
	ds_load_b64 v[110:111], v1 offset:816
	s_waitcnt lgkmcnt(0)
	v_fma_f64 v[2:3], v[112:113], v[110:111], v[2:3]
	s_delay_alu instid0(VALU_DEP_1)
	v_add_f64 v[2:3], v[108:109], -v[2:3]
	scratch_store_b64 off, v[2:3], off offset:136
	v_cmpx_lt_u32_e32 16, v0
	s_cbranch_execz .LBB50_283
; %bb.282:
	scratch_load_b64 v[3:4], off, off offset:128
	v_mov_b32_e32 v2, v1
	scratch_store_b64 off, v[1:2], off offset:128
	s_waitcnt vmcnt(0)
	ds_store_b64 v5, v[3:4]
.LBB50_283:
	s_or_b32 exec_lo, exec_lo, s0
	s_waitcnt lgkmcnt(0)
	s_waitcnt_vscnt null, 0x0
	s_barrier
	buffer_gl0_inv
	s_clause 0x4
	scratch_load_b128 v[108:111], off, off offset:128
	scratch_load_b128 v[112:115], off, off offset:144
	;; [unrolled: 1-line block ×5, first 2 shown]
	ds_load_2addr_b64 v[128:131], v1 offset0:69 offset1:70
	ds_load_2addr_b64 v[132:135], v1 offset0:71 offset1:72
	scratch_load_b128 v[136:139], off, off offset:208
	s_mov_b32 s0, exec_lo
	s_waitcnt vmcnt(5) lgkmcnt(1)
	v_fma_f64 v[2:3], v[110:111], v[128:129], 0
	s_waitcnt vmcnt(4)
	s_delay_alu instid0(VALU_DEP_1) | instskip(SKIP_4) | instid1(VALU_DEP_1)
	v_fma_f64 v[2:3], v[112:113], v[130:131], v[2:3]
	scratch_load_b128 v[110:113], off, off offset:224
	s_waitcnt lgkmcnt(0)
	v_fma_f64 v[2:3], v[114:115], v[132:133], v[2:3]
	s_waitcnt vmcnt(4)
	v_fma_f64 v[2:3], v[116:117], v[134:135], v[2:3]
	ds_load_2addr_b64 v[114:117], v1 offset0:73 offset1:74
	ds_load_2addr_b64 v[128:131], v1 offset0:75 offset1:76
	scratch_load_b128 v[132:135], off, off offset:240
	s_waitcnt lgkmcnt(1)
	v_fma_f64 v[2:3], v[118:119], v[114:115], v[2:3]
	s_waitcnt vmcnt(4)
	s_delay_alu instid0(VALU_DEP_1) | instskip(SKIP_4) | instid1(VALU_DEP_1)
	v_fma_f64 v[2:3], v[120:121], v[116:117], v[2:3]
	scratch_load_b128 v[114:117], off, off offset:256
	s_waitcnt lgkmcnt(0)
	v_fma_f64 v[2:3], v[122:123], v[128:129], v[2:3]
	s_waitcnt vmcnt(4)
	v_fma_f64 v[2:3], v[124:125], v[130:131], v[2:3]
	ds_load_2addr_b64 v[118:121], v1 offset0:77 offset1:78
	ds_load_2addr_b64 v[122:125], v1 offset0:79 offset1:80
	s_waitcnt lgkmcnt(1)
	v_fma_f64 v[2:3], v[126:127], v[118:119], v[2:3]
	scratch_load_b128 v[126:129], off, off offset:272
	s_waitcnt vmcnt(4)
	v_fma_f64 v[2:3], v[136:137], v[120:121], v[2:3]
	scratch_load_b128 v[118:121], off, off offset:288
	s_waitcnt lgkmcnt(0)
	v_fma_f64 v[2:3], v[138:139], v[122:123], v[2:3]
	s_waitcnt vmcnt(4)
	s_delay_alu instid0(VALU_DEP_1)
	v_fma_f64 v[2:3], v[110:111], v[124:125], v[2:3]
	ds_load_2addr_b64 v[122:125], v1 offset0:81 offset1:82
	ds_load_2addr_b64 v[136:139], v1 offset0:83 offset1:84
	s_waitcnt lgkmcnt(1)
	v_fma_f64 v[2:3], v[112:113], v[122:123], v[2:3]
	scratch_load_b128 v[110:113], off, off offset:304
	s_waitcnt vmcnt(4)
	v_fma_f64 v[2:3], v[132:133], v[124:125], v[2:3]
	scratch_load_b128 v[122:125], off, off offset:320
	s_waitcnt lgkmcnt(0)
	v_fma_f64 v[2:3], v[134:135], v[136:137], v[2:3]
	ds_load_2addr_b64 v[130:133], v1 offset0:85 offset1:86
	ds_load_2addr_b64 v[134:137], v1 offset0:87 offset1:88
	s_waitcnt vmcnt(4)
	v_fma_f64 v[2:3], v[114:115], v[138:139], v[2:3]
	s_waitcnt lgkmcnt(1)
	s_delay_alu instid0(VALU_DEP_1) | instskip(SKIP_4) | instid1(VALU_DEP_1)
	v_fma_f64 v[2:3], v[116:117], v[130:131], v[2:3]
	scratch_load_b128 v[114:117], off, off offset:336
	s_waitcnt vmcnt(4)
	v_fma_f64 v[2:3], v[126:127], v[132:133], v[2:3]
	s_waitcnt lgkmcnt(0)
	v_fma_f64 v[2:3], v[128:129], v[134:135], v[2:3]
	scratch_load_b128 v[126:129], off, off offset:352
	s_waitcnt vmcnt(4)
	v_fma_f64 v[2:3], v[118:119], v[136:137], v[2:3]
	ds_load_2addr_b64 v[130:133], v1 offset0:89 offset1:90
	ds_load_2addr_b64 v[134:137], v1 offset0:91 offset1:92
	s_waitcnt lgkmcnt(1)
	v_fma_f64 v[2:3], v[120:121], v[130:131], v[2:3]
	scratch_load_b128 v[118:121], off, off offset:368
	s_waitcnt vmcnt(4)
	v_fma_f64 v[2:3], v[110:111], v[132:133], v[2:3]
	s_waitcnt lgkmcnt(0)
	s_delay_alu instid0(VALU_DEP_1)
	v_fma_f64 v[2:3], v[112:113], v[134:135], v[2:3]
	scratch_load_b128 v[110:113], off, off offset:384
	s_waitcnt vmcnt(4)
	v_fma_f64 v[2:3], v[122:123], v[136:137], v[2:3]
	ds_load_2addr_b64 v[130:133], v1 offset0:93 offset1:94
	ds_load_2addr_b64 v[134:137], v1 offset0:95 offset1:96
	s_waitcnt lgkmcnt(1)
	v_fma_f64 v[2:3], v[124:125], v[130:131], v[2:3]
	scratch_load_b64 v[130:131], off, off offset:400
	s_waitcnt vmcnt(4)
	v_fma_f64 v[2:3], v[114:115], v[132:133], v[2:3]
	s_waitcnt lgkmcnt(0)
	s_delay_alu instid0(VALU_DEP_1)
	v_fma_f64 v[2:3], v[116:117], v[134:135], v[2:3]
	ds_load_2addr_b64 v[114:117], v1 offset0:97 offset1:98
	ds_load_2addr_b64 v[122:125], v1 offset0:99 offset1:100
	s_waitcnt vmcnt(3)
	v_fma_f64 v[2:3], v[126:127], v[136:137], v[2:3]
	s_waitcnt lgkmcnt(1)
	s_delay_alu instid0(VALU_DEP_1) | instskip(SKIP_1) | instid1(VALU_DEP_1)
	v_fma_f64 v[2:3], v[128:129], v[114:115], v[2:3]
	s_waitcnt vmcnt(2)
	v_fma_f64 v[2:3], v[118:119], v[116:117], v[2:3]
	s_waitcnt lgkmcnt(0)
	s_delay_alu instid0(VALU_DEP_1) | instskip(SKIP_1) | instid1(VALU_DEP_1)
	v_fma_f64 v[2:3], v[120:121], v[122:123], v[2:3]
	s_waitcnt vmcnt(1)
	v_fma_f64 v[110:111], v[110:111], v[124:125], v[2:3]
	ds_load_2addr_b64 v[1:4], v1 offset0:101 offset1:102
	s_waitcnt lgkmcnt(0)
	v_fma_f64 v[1:2], v[112:113], v[1:2], v[110:111]
	s_waitcnt vmcnt(0)
	s_delay_alu instid0(VALU_DEP_1) | instskip(NEXT) | instid1(VALU_DEP_1)
	v_fma_f64 v[1:2], v[130:131], v[3:4], v[1:2]
	v_add_f64 v[1:2], v[108:109], -v[1:2]
	scratch_store_b64 off, v[1:2], off offset:128
	v_cmpx_lt_u32_e32 15, v0
	s_cbranch_execz .LBB50_285
; %bb.284:
	scratch_load_b64 v[1:2], off, off offset:120
	v_mov_b32_e32 v3, 0
	s_delay_alu instid0(VALU_DEP_1)
	v_mov_b32_e32 v4, v3
	scratch_store_b64 off, v[3:4], off offset:120
	s_waitcnt vmcnt(0)
	ds_store_b64 v5, v[1:2]
.LBB50_285:
	s_or_b32 exec_lo, exec_lo, s0
	s_waitcnt lgkmcnt(0)
	s_waitcnt_vscnt null, 0x0
	s_barrier
	buffer_gl0_inv
	s_clause 0x4
	scratch_load_b128 v[108:111], off, off offset:120
	scratch_load_b128 v[112:115], off, off offset:136
	;; [unrolled: 1-line block ×5, first 2 shown]
	v_mov_b32_e32 v1, 0
	ds_load_b128 v[128:131], v1 offset:544
	ds_load_b128 v[132:135], v1 offset:560
	scratch_load_b128 v[136:139], off, off offset:200
	s_mov_b32 s0, exec_lo
	s_waitcnt vmcnt(5) lgkmcnt(1)
	v_fma_f64 v[2:3], v[110:111], v[128:129], 0
	s_waitcnt vmcnt(4)
	s_delay_alu instid0(VALU_DEP_1) | instskip(SKIP_4) | instid1(VALU_DEP_1)
	v_fma_f64 v[2:3], v[112:113], v[130:131], v[2:3]
	scratch_load_b128 v[110:113], off, off offset:216
	s_waitcnt lgkmcnt(0)
	v_fma_f64 v[2:3], v[114:115], v[132:133], v[2:3]
	s_waitcnt vmcnt(4)
	v_fma_f64 v[2:3], v[116:117], v[134:135], v[2:3]
	ds_load_b128 v[114:117], v1 offset:576
	ds_load_b128 v[128:131], v1 offset:592
	scratch_load_b128 v[132:135], off, off offset:232
	s_waitcnt lgkmcnt(1)
	v_fma_f64 v[2:3], v[118:119], v[114:115], v[2:3]
	s_waitcnt vmcnt(4)
	s_delay_alu instid0(VALU_DEP_1) | instskip(SKIP_4) | instid1(VALU_DEP_1)
	v_fma_f64 v[2:3], v[120:121], v[116:117], v[2:3]
	scratch_load_b128 v[114:117], off, off offset:248
	s_waitcnt lgkmcnt(0)
	v_fma_f64 v[2:3], v[122:123], v[128:129], v[2:3]
	s_waitcnt vmcnt(4)
	v_fma_f64 v[2:3], v[124:125], v[130:131], v[2:3]
	ds_load_b128 v[118:121], v1 offset:608
	ds_load_b128 v[122:125], v1 offset:624
	s_waitcnt lgkmcnt(1)
	v_fma_f64 v[2:3], v[126:127], v[118:119], v[2:3]
	scratch_load_b128 v[126:129], off, off offset:264
	s_waitcnt vmcnt(4)
	v_fma_f64 v[2:3], v[136:137], v[120:121], v[2:3]
	scratch_load_b128 v[118:121], off, off offset:280
	s_waitcnt lgkmcnt(0)
	v_fma_f64 v[2:3], v[138:139], v[122:123], v[2:3]
	s_waitcnt vmcnt(4)
	s_delay_alu instid0(VALU_DEP_1)
	v_fma_f64 v[2:3], v[110:111], v[124:125], v[2:3]
	ds_load_b128 v[122:125], v1 offset:640
	ds_load_b128 v[136:139], v1 offset:656
	s_waitcnt lgkmcnt(1)
	v_fma_f64 v[2:3], v[112:113], v[122:123], v[2:3]
	scratch_load_b128 v[110:113], off, off offset:296
	s_waitcnt vmcnt(4)
	v_fma_f64 v[2:3], v[132:133], v[124:125], v[2:3]
	scratch_load_b128 v[122:125], off, off offset:312
	s_waitcnt lgkmcnt(0)
	v_fma_f64 v[2:3], v[134:135], v[136:137], v[2:3]
	ds_load_b128 v[130:133], v1 offset:672
	ds_load_b128 v[134:137], v1 offset:688
	s_waitcnt vmcnt(4)
	v_fma_f64 v[2:3], v[114:115], v[138:139], v[2:3]
	s_waitcnt lgkmcnt(1)
	s_delay_alu instid0(VALU_DEP_1) | instskip(SKIP_4) | instid1(VALU_DEP_1)
	v_fma_f64 v[2:3], v[116:117], v[130:131], v[2:3]
	scratch_load_b128 v[114:117], off, off offset:328
	s_waitcnt vmcnt(4)
	v_fma_f64 v[2:3], v[126:127], v[132:133], v[2:3]
	s_waitcnt lgkmcnt(0)
	v_fma_f64 v[2:3], v[128:129], v[134:135], v[2:3]
	scratch_load_b128 v[126:129], off, off offset:344
	s_waitcnt vmcnt(4)
	v_fma_f64 v[2:3], v[118:119], v[136:137], v[2:3]
	ds_load_b128 v[130:133], v1 offset:704
	ds_load_b128 v[134:137], v1 offset:720
	s_waitcnt lgkmcnt(1)
	v_fma_f64 v[2:3], v[120:121], v[130:131], v[2:3]
	scratch_load_b128 v[118:121], off, off offset:360
	s_waitcnt vmcnt(4)
	v_fma_f64 v[2:3], v[110:111], v[132:133], v[2:3]
	s_waitcnt lgkmcnt(0)
	s_delay_alu instid0(VALU_DEP_1)
	v_fma_f64 v[2:3], v[112:113], v[134:135], v[2:3]
	scratch_load_b128 v[110:113], off, off offset:376
	s_waitcnt vmcnt(4)
	v_fma_f64 v[2:3], v[122:123], v[136:137], v[2:3]
	ds_load_b128 v[130:133], v1 offset:736
	ds_load_b128 v[134:137], v1 offset:752
	s_waitcnt lgkmcnt(1)
	v_fma_f64 v[2:3], v[124:125], v[130:131], v[2:3]
	scratch_load_b128 v[122:125], off, off offset:392
	s_waitcnt vmcnt(4)
	v_fma_f64 v[2:3], v[114:115], v[132:133], v[2:3]
	s_waitcnt lgkmcnt(0)
	s_delay_alu instid0(VALU_DEP_1)
	v_fma_f64 v[2:3], v[116:117], v[134:135], v[2:3]
	ds_load_b128 v[114:117], v1 offset:768
	ds_load_b128 v[130:133], v1 offset:784
	s_waitcnt vmcnt(3)
	v_fma_f64 v[2:3], v[126:127], v[136:137], v[2:3]
	s_waitcnt lgkmcnt(1)
	s_delay_alu instid0(VALU_DEP_1) | instskip(SKIP_1) | instid1(VALU_DEP_1)
	v_fma_f64 v[2:3], v[128:129], v[114:115], v[2:3]
	s_waitcnt vmcnt(2)
	v_fma_f64 v[2:3], v[118:119], v[116:117], v[2:3]
	s_waitcnt lgkmcnt(0)
	s_delay_alu instid0(VALU_DEP_1) | instskip(SKIP_1) | instid1(VALU_DEP_1)
	v_fma_f64 v[2:3], v[120:121], v[130:131], v[2:3]
	s_waitcnt vmcnt(1)
	v_fma_f64 v[2:3], v[110:111], v[132:133], v[2:3]
	ds_load_b128 v[114:117], v1 offset:800
	ds_load_b64 v[110:111], v1 offset:816
	s_waitcnt lgkmcnt(1)
	v_fma_f64 v[2:3], v[112:113], v[114:115], v[2:3]
	s_waitcnt vmcnt(0)
	s_delay_alu instid0(VALU_DEP_1) | instskip(SKIP_1) | instid1(VALU_DEP_1)
	v_fma_f64 v[2:3], v[122:123], v[116:117], v[2:3]
	s_waitcnt lgkmcnt(0)
	v_fma_f64 v[2:3], v[124:125], v[110:111], v[2:3]
	s_delay_alu instid0(VALU_DEP_1)
	v_add_f64 v[2:3], v[108:109], -v[2:3]
	scratch_store_b64 off, v[2:3], off offset:120
	v_cmpx_lt_u32_e32 14, v0
	s_cbranch_execz .LBB50_287
; %bb.286:
	scratch_load_b64 v[3:4], off, off offset:112
	v_mov_b32_e32 v2, v1
	scratch_store_b64 off, v[1:2], off offset:112
	s_waitcnt vmcnt(0)
	ds_store_b64 v5, v[3:4]
.LBB50_287:
	s_or_b32 exec_lo, exec_lo, s0
	s_waitcnt lgkmcnt(0)
	s_waitcnt_vscnt null, 0x0
	s_barrier
	buffer_gl0_inv
	s_clause 0x4
	scratch_load_b128 v[108:111], off, off offset:112
	scratch_load_b128 v[112:115], off, off offset:128
	;; [unrolled: 1-line block ×5, first 2 shown]
	ds_load_2addr_b64 v[128:131], v1 offset0:67 offset1:68
	ds_load_2addr_b64 v[132:135], v1 offset0:69 offset1:70
	scratch_load_b128 v[136:139], off, off offset:192
	s_mov_b32 s0, exec_lo
	s_waitcnt vmcnt(5) lgkmcnt(1)
	v_fma_f64 v[2:3], v[110:111], v[128:129], 0
	s_waitcnt vmcnt(4)
	s_delay_alu instid0(VALU_DEP_1) | instskip(SKIP_4) | instid1(VALU_DEP_1)
	v_fma_f64 v[2:3], v[112:113], v[130:131], v[2:3]
	scratch_load_b128 v[110:113], off, off offset:208
	s_waitcnt lgkmcnt(0)
	v_fma_f64 v[2:3], v[114:115], v[132:133], v[2:3]
	s_waitcnt vmcnt(4)
	v_fma_f64 v[2:3], v[116:117], v[134:135], v[2:3]
	ds_load_2addr_b64 v[114:117], v1 offset0:71 offset1:72
	ds_load_2addr_b64 v[128:131], v1 offset0:73 offset1:74
	scratch_load_b128 v[132:135], off, off offset:224
	s_waitcnt lgkmcnt(1)
	v_fma_f64 v[2:3], v[118:119], v[114:115], v[2:3]
	s_waitcnt vmcnt(4)
	s_delay_alu instid0(VALU_DEP_1) | instskip(SKIP_4) | instid1(VALU_DEP_1)
	v_fma_f64 v[2:3], v[120:121], v[116:117], v[2:3]
	scratch_load_b128 v[114:117], off, off offset:240
	s_waitcnt lgkmcnt(0)
	v_fma_f64 v[2:3], v[122:123], v[128:129], v[2:3]
	s_waitcnt vmcnt(4)
	v_fma_f64 v[2:3], v[124:125], v[130:131], v[2:3]
	ds_load_2addr_b64 v[118:121], v1 offset0:75 offset1:76
	ds_load_2addr_b64 v[122:125], v1 offset0:77 offset1:78
	s_waitcnt lgkmcnt(1)
	v_fma_f64 v[2:3], v[126:127], v[118:119], v[2:3]
	scratch_load_b128 v[126:129], off, off offset:256
	s_waitcnt vmcnt(4)
	v_fma_f64 v[2:3], v[136:137], v[120:121], v[2:3]
	scratch_load_b128 v[118:121], off, off offset:272
	s_waitcnt lgkmcnt(0)
	v_fma_f64 v[2:3], v[138:139], v[122:123], v[2:3]
	s_waitcnt vmcnt(4)
	s_delay_alu instid0(VALU_DEP_1)
	v_fma_f64 v[2:3], v[110:111], v[124:125], v[2:3]
	ds_load_2addr_b64 v[122:125], v1 offset0:79 offset1:80
	ds_load_2addr_b64 v[136:139], v1 offset0:81 offset1:82
	s_waitcnt lgkmcnt(1)
	v_fma_f64 v[2:3], v[112:113], v[122:123], v[2:3]
	scratch_load_b128 v[110:113], off, off offset:288
	s_waitcnt vmcnt(4)
	v_fma_f64 v[2:3], v[132:133], v[124:125], v[2:3]
	scratch_load_b128 v[122:125], off, off offset:304
	s_waitcnt lgkmcnt(0)
	v_fma_f64 v[2:3], v[134:135], v[136:137], v[2:3]
	ds_load_2addr_b64 v[130:133], v1 offset0:83 offset1:84
	ds_load_2addr_b64 v[134:137], v1 offset0:85 offset1:86
	s_waitcnt vmcnt(4)
	v_fma_f64 v[2:3], v[114:115], v[138:139], v[2:3]
	s_waitcnt lgkmcnt(1)
	s_delay_alu instid0(VALU_DEP_1) | instskip(SKIP_4) | instid1(VALU_DEP_1)
	v_fma_f64 v[2:3], v[116:117], v[130:131], v[2:3]
	scratch_load_b128 v[114:117], off, off offset:320
	s_waitcnt vmcnt(4)
	v_fma_f64 v[2:3], v[126:127], v[132:133], v[2:3]
	s_waitcnt lgkmcnt(0)
	v_fma_f64 v[2:3], v[128:129], v[134:135], v[2:3]
	scratch_load_b128 v[126:129], off, off offset:336
	s_waitcnt vmcnt(4)
	v_fma_f64 v[2:3], v[118:119], v[136:137], v[2:3]
	ds_load_2addr_b64 v[130:133], v1 offset0:87 offset1:88
	ds_load_2addr_b64 v[134:137], v1 offset0:89 offset1:90
	s_waitcnt lgkmcnt(1)
	v_fma_f64 v[2:3], v[120:121], v[130:131], v[2:3]
	scratch_load_b128 v[118:121], off, off offset:352
	s_waitcnt vmcnt(4)
	v_fma_f64 v[2:3], v[110:111], v[132:133], v[2:3]
	s_waitcnt lgkmcnt(0)
	s_delay_alu instid0(VALU_DEP_1)
	v_fma_f64 v[2:3], v[112:113], v[134:135], v[2:3]
	scratch_load_b128 v[110:113], off, off offset:368
	s_waitcnt vmcnt(4)
	v_fma_f64 v[2:3], v[122:123], v[136:137], v[2:3]
	ds_load_2addr_b64 v[130:133], v1 offset0:91 offset1:92
	ds_load_2addr_b64 v[134:137], v1 offset0:93 offset1:94
	s_waitcnt lgkmcnt(1)
	v_fma_f64 v[2:3], v[124:125], v[130:131], v[2:3]
	scratch_load_b128 v[122:125], off, off offset:384
	s_waitcnt vmcnt(4)
	v_fma_f64 v[2:3], v[114:115], v[132:133], v[2:3]
	s_waitcnt lgkmcnt(0)
	s_delay_alu instid0(VALU_DEP_1)
	v_fma_f64 v[2:3], v[116:117], v[134:135], v[2:3]
	scratch_load_b64 v[134:135], off, off offset:400
	ds_load_2addr_b64 v[114:117], v1 offset0:95 offset1:96
	ds_load_2addr_b64 v[130:133], v1 offset0:97 offset1:98
	s_waitcnt vmcnt(4)
	v_fma_f64 v[2:3], v[126:127], v[136:137], v[2:3]
	s_waitcnt lgkmcnt(1)
	s_delay_alu instid0(VALU_DEP_1) | instskip(SKIP_1) | instid1(VALU_DEP_1)
	v_fma_f64 v[2:3], v[128:129], v[114:115], v[2:3]
	s_waitcnt vmcnt(3)
	v_fma_f64 v[2:3], v[118:119], v[116:117], v[2:3]
	s_waitcnt lgkmcnt(0)
	s_delay_alu instid0(VALU_DEP_1) | instskip(SKIP_1) | instid1(VALU_DEP_1)
	v_fma_f64 v[2:3], v[120:121], v[130:131], v[2:3]
	s_waitcnt vmcnt(2)
	v_fma_f64 v[110:111], v[110:111], v[132:133], v[2:3]
	ds_load_2addr_b64 v[114:117], v1 offset0:99 offset1:100
	ds_load_2addr_b64 v[1:4], v1 offset0:101 offset1:102
	s_waitcnt lgkmcnt(1)
	v_fma_f64 v[110:111], v[112:113], v[114:115], v[110:111]
	s_waitcnt vmcnt(1)
	s_delay_alu instid0(VALU_DEP_1) | instskip(SKIP_1) | instid1(VALU_DEP_1)
	v_fma_f64 v[110:111], v[122:123], v[116:117], v[110:111]
	s_waitcnt lgkmcnt(0)
	v_fma_f64 v[1:2], v[124:125], v[1:2], v[110:111]
	s_waitcnt vmcnt(0)
	s_delay_alu instid0(VALU_DEP_1) | instskip(NEXT) | instid1(VALU_DEP_1)
	v_fma_f64 v[1:2], v[134:135], v[3:4], v[1:2]
	v_add_f64 v[1:2], v[108:109], -v[1:2]
	scratch_store_b64 off, v[1:2], off offset:112
	v_cmpx_lt_u32_e32 13, v0
	s_cbranch_execz .LBB50_289
; %bb.288:
	scratch_load_b64 v[1:2], off, off offset:104
	v_mov_b32_e32 v3, 0
	s_delay_alu instid0(VALU_DEP_1)
	v_mov_b32_e32 v4, v3
	scratch_store_b64 off, v[3:4], off offset:104
	s_waitcnt vmcnt(0)
	ds_store_b64 v5, v[1:2]
.LBB50_289:
	s_or_b32 exec_lo, exec_lo, s0
	s_waitcnt lgkmcnt(0)
	s_waitcnt_vscnt null, 0x0
	s_barrier
	buffer_gl0_inv
	s_clause 0x4
	scratch_load_b128 v[108:111], off, off offset:104
	scratch_load_b128 v[112:115], off, off offset:120
	;; [unrolled: 1-line block ×5, first 2 shown]
	v_mov_b32_e32 v1, 0
	ds_load_b128 v[128:131], v1 offset:528
	ds_load_b128 v[132:135], v1 offset:544
	scratch_load_b128 v[136:139], off, off offset:184
	s_mov_b32 s0, exec_lo
	s_waitcnt vmcnt(5) lgkmcnt(1)
	v_fma_f64 v[2:3], v[110:111], v[128:129], 0
	s_waitcnt vmcnt(4)
	s_delay_alu instid0(VALU_DEP_1) | instskip(SKIP_4) | instid1(VALU_DEP_1)
	v_fma_f64 v[2:3], v[112:113], v[130:131], v[2:3]
	scratch_load_b128 v[110:113], off, off offset:200
	s_waitcnt lgkmcnt(0)
	v_fma_f64 v[2:3], v[114:115], v[132:133], v[2:3]
	s_waitcnt vmcnt(4)
	v_fma_f64 v[2:3], v[116:117], v[134:135], v[2:3]
	ds_load_b128 v[114:117], v1 offset:560
	ds_load_b128 v[128:131], v1 offset:576
	scratch_load_b128 v[132:135], off, off offset:216
	s_waitcnt lgkmcnt(1)
	v_fma_f64 v[2:3], v[118:119], v[114:115], v[2:3]
	s_waitcnt vmcnt(4)
	s_delay_alu instid0(VALU_DEP_1) | instskip(SKIP_4) | instid1(VALU_DEP_1)
	v_fma_f64 v[2:3], v[120:121], v[116:117], v[2:3]
	scratch_load_b128 v[114:117], off, off offset:232
	s_waitcnt lgkmcnt(0)
	v_fma_f64 v[2:3], v[122:123], v[128:129], v[2:3]
	s_waitcnt vmcnt(4)
	v_fma_f64 v[2:3], v[124:125], v[130:131], v[2:3]
	ds_load_b128 v[118:121], v1 offset:592
	ds_load_b128 v[122:125], v1 offset:608
	s_waitcnt lgkmcnt(1)
	v_fma_f64 v[2:3], v[126:127], v[118:119], v[2:3]
	scratch_load_b128 v[126:129], off, off offset:248
	s_waitcnt vmcnt(4)
	v_fma_f64 v[2:3], v[136:137], v[120:121], v[2:3]
	scratch_load_b128 v[118:121], off, off offset:264
	s_waitcnt lgkmcnt(0)
	v_fma_f64 v[2:3], v[138:139], v[122:123], v[2:3]
	s_waitcnt vmcnt(4)
	s_delay_alu instid0(VALU_DEP_1)
	v_fma_f64 v[2:3], v[110:111], v[124:125], v[2:3]
	ds_load_b128 v[122:125], v1 offset:624
	ds_load_b128 v[136:139], v1 offset:640
	s_waitcnt lgkmcnt(1)
	v_fma_f64 v[2:3], v[112:113], v[122:123], v[2:3]
	scratch_load_b128 v[110:113], off, off offset:280
	s_waitcnt vmcnt(4)
	v_fma_f64 v[2:3], v[132:133], v[124:125], v[2:3]
	scratch_load_b128 v[122:125], off, off offset:296
	s_waitcnt lgkmcnt(0)
	v_fma_f64 v[2:3], v[134:135], v[136:137], v[2:3]
	ds_load_b128 v[130:133], v1 offset:656
	ds_load_b128 v[134:137], v1 offset:672
	s_waitcnt vmcnt(4)
	v_fma_f64 v[2:3], v[114:115], v[138:139], v[2:3]
	s_waitcnt lgkmcnt(1)
	s_delay_alu instid0(VALU_DEP_1) | instskip(SKIP_4) | instid1(VALU_DEP_1)
	v_fma_f64 v[2:3], v[116:117], v[130:131], v[2:3]
	scratch_load_b128 v[114:117], off, off offset:312
	s_waitcnt vmcnt(4)
	v_fma_f64 v[2:3], v[126:127], v[132:133], v[2:3]
	s_waitcnt lgkmcnt(0)
	v_fma_f64 v[2:3], v[128:129], v[134:135], v[2:3]
	scratch_load_b128 v[126:129], off, off offset:328
	s_waitcnt vmcnt(4)
	v_fma_f64 v[2:3], v[118:119], v[136:137], v[2:3]
	ds_load_b128 v[130:133], v1 offset:688
	ds_load_b128 v[134:137], v1 offset:704
	s_waitcnt lgkmcnt(1)
	v_fma_f64 v[2:3], v[120:121], v[130:131], v[2:3]
	scratch_load_b128 v[118:121], off, off offset:344
	s_waitcnt vmcnt(4)
	v_fma_f64 v[2:3], v[110:111], v[132:133], v[2:3]
	s_waitcnt lgkmcnt(0)
	s_delay_alu instid0(VALU_DEP_1)
	v_fma_f64 v[2:3], v[112:113], v[134:135], v[2:3]
	scratch_load_b128 v[110:113], off, off offset:360
	s_waitcnt vmcnt(4)
	v_fma_f64 v[2:3], v[122:123], v[136:137], v[2:3]
	ds_load_b128 v[130:133], v1 offset:720
	ds_load_b128 v[134:137], v1 offset:736
	s_waitcnt lgkmcnt(1)
	v_fma_f64 v[2:3], v[124:125], v[130:131], v[2:3]
	scratch_load_b128 v[122:125], off, off offset:376
	s_waitcnt vmcnt(4)
	v_fma_f64 v[2:3], v[114:115], v[132:133], v[2:3]
	s_waitcnt lgkmcnt(0)
	s_delay_alu instid0(VALU_DEP_1)
	v_fma_f64 v[2:3], v[116:117], v[134:135], v[2:3]
	scratch_load_b128 v[114:117], off, off offset:392
	s_waitcnt vmcnt(4)
	v_fma_f64 v[2:3], v[126:127], v[136:137], v[2:3]
	ds_load_b128 v[130:133], v1 offset:752
	ds_load_b128 v[134:137], v1 offset:768
	s_waitcnt lgkmcnt(1)
	v_fma_f64 v[2:3], v[128:129], v[130:131], v[2:3]
	s_waitcnt vmcnt(3)
	s_delay_alu instid0(VALU_DEP_1) | instskip(SKIP_1) | instid1(VALU_DEP_1)
	v_fma_f64 v[2:3], v[118:119], v[132:133], v[2:3]
	s_waitcnt lgkmcnt(0)
	v_fma_f64 v[2:3], v[120:121], v[134:135], v[2:3]
	ds_load_b128 v[118:121], v1 offset:784
	ds_load_b128 v[126:129], v1 offset:800
	s_waitcnt vmcnt(2)
	v_fma_f64 v[2:3], v[110:111], v[136:137], v[2:3]
	ds_load_b64 v[110:111], v1 offset:816
	s_waitcnt lgkmcnt(2)
	v_fma_f64 v[2:3], v[112:113], v[118:119], v[2:3]
	s_waitcnt vmcnt(1)
	s_delay_alu instid0(VALU_DEP_1) | instskip(SKIP_1) | instid1(VALU_DEP_1)
	v_fma_f64 v[2:3], v[122:123], v[120:121], v[2:3]
	s_waitcnt lgkmcnt(1)
	v_fma_f64 v[2:3], v[124:125], v[126:127], v[2:3]
	s_waitcnt vmcnt(0)
	s_delay_alu instid0(VALU_DEP_1) | instskip(SKIP_1) | instid1(VALU_DEP_1)
	v_fma_f64 v[2:3], v[114:115], v[128:129], v[2:3]
	s_waitcnt lgkmcnt(0)
	v_fma_f64 v[2:3], v[116:117], v[110:111], v[2:3]
	s_delay_alu instid0(VALU_DEP_1)
	v_add_f64 v[2:3], v[108:109], -v[2:3]
	scratch_store_b64 off, v[2:3], off offset:104
	v_cmpx_lt_u32_e32 12, v0
	s_cbranch_execz .LBB50_291
; %bb.290:
	scratch_load_b64 v[3:4], off, off offset:96
	v_mov_b32_e32 v2, v1
	scratch_store_b64 off, v[1:2], off offset:96
	s_waitcnt vmcnt(0)
	ds_store_b64 v5, v[3:4]
.LBB50_291:
	s_or_b32 exec_lo, exec_lo, s0
	s_waitcnt lgkmcnt(0)
	s_waitcnt_vscnt null, 0x0
	s_barrier
	buffer_gl0_inv
	s_clause 0x4
	scratch_load_b128 v[108:111], off, off offset:96
	scratch_load_b128 v[112:115], off, off offset:112
	;; [unrolled: 1-line block ×5, first 2 shown]
	ds_load_2addr_b64 v[128:131], v1 offset0:65 offset1:66
	ds_load_2addr_b64 v[132:135], v1 offset0:67 offset1:68
	scratch_load_b128 v[136:139], off, off offset:176
	s_mov_b32 s0, exec_lo
	s_waitcnt vmcnt(5) lgkmcnt(1)
	v_fma_f64 v[2:3], v[110:111], v[128:129], 0
	s_waitcnt vmcnt(4)
	s_delay_alu instid0(VALU_DEP_1) | instskip(SKIP_4) | instid1(VALU_DEP_1)
	v_fma_f64 v[2:3], v[112:113], v[130:131], v[2:3]
	scratch_load_b128 v[110:113], off, off offset:192
	s_waitcnt lgkmcnt(0)
	v_fma_f64 v[2:3], v[114:115], v[132:133], v[2:3]
	s_waitcnt vmcnt(4)
	v_fma_f64 v[2:3], v[116:117], v[134:135], v[2:3]
	ds_load_2addr_b64 v[114:117], v1 offset0:69 offset1:70
	ds_load_2addr_b64 v[128:131], v1 offset0:71 offset1:72
	scratch_load_b128 v[132:135], off, off offset:208
	s_waitcnt lgkmcnt(1)
	v_fma_f64 v[2:3], v[118:119], v[114:115], v[2:3]
	s_waitcnt vmcnt(4)
	s_delay_alu instid0(VALU_DEP_1) | instskip(SKIP_4) | instid1(VALU_DEP_1)
	v_fma_f64 v[2:3], v[120:121], v[116:117], v[2:3]
	scratch_load_b128 v[114:117], off, off offset:224
	s_waitcnt lgkmcnt(0)
	v_fma_f64 v[2:3], v[122:123], v[128:129], v[2:3]
	s_waitcnt vmcnt(4)
	v_fma_f64 v[2:3], v[124:125], v[130:131], v[2:3]
	ds_load_2addr_b64 v[118:121], v1 offset0:73 offset1:74
	ds_load_2addr_b64 v[122:125], v1 offset0:75 offset1:76
	s_waitcnt lgkmcnt(1)
	v_fma_f64 v[2:3], v[126:127], v[118:119], v[2:3]
	scratch_load_b128 v[126:129], off, off offset:240
	s_waitcnt vmcnt(4)
	v_fma_f64 v[2:3], v[136:137], v[120:121], v[2:3]
	scratch_load_b128 v[118:121], off, off offset:256
	s_waitcnt lgkmcnt(0)
	v_fma_f64 v[2:3], v[138:139], v[122:123], v[2:3]
	s_waitcnt vmcnt(4)
	s_delay_alu instid0(VALU_DEP_1)
	v_fma_f64 v[2:3], v[110:111], v[124:125], v[2:3]
	ds_load_2addr_b64 v[122:125], v1 offset0:77 offset1:78
	ds_load_2addr_b64 v[136:139], v1 offset0:79 offset1:80
	s_waitcnt lgkmcnt(1)
	v_fma_f64 v[2:3], v[112:113], v[122:123], v[2:3]
	scratch_load_b128 v[110:113], off, off offset:272
	s_waitcnt vmcnt(4)
	v_fma_f64 v[2:3], v[132:133], v[124:125], v[2:3]
	scratch_load_b128 v[122:125], off, off offset:288
	s_waitcnt lgkmcnt(0)
	v_fma_f64 v[2:3], v[134:135], v[136:137], v[2:3]
	ds_load_2addr_b64 v[130:133], v1 offset0:81 offset1:82
	ds_load_2addr_b64 v[134:137], v1 offset0:83 offset1:84
	s_waitcnt vmcnt(4)
	v_fma_f64 v[2:3], v[114:115], v[138:139], v[2:3]
	s_waitcnt lgkmcnt(1)
	s_delay_alu instid0(VALU_DEP_1) | instskip(SKIP_4) | instid1(VALU_DEP_1)
	v_fma_f64 v[2:3], v[116:117], v[130:131], v[2:3]
	scratch_load_b128 v[114:117], off, off offset:304
	s_waitcnt vmcnt(4)
	v_fma_f64 v[2:3], v[126:127], v[132:133], v[2:3]
	s_waitcnt lgkmcnt(0)
	v_fma_f64 v[2:3], v[128:129], v[134:135], v[2:3]
	scratch_load_b128 v[126:129], off, off offset:320
	s_waitcnt vmcnt(4)
	v_fma_f64 v[2:3], v[118:119], v[136:137], v[2:3]
	ds_load_2addr_b64 v[130:133], v1 offset0:85 offset1:86
	ds_load_2addr_b64 v[134:137], v1 offset0:87 offset1:88
	s_waitcnt lgkmcnt(1)
	v_fma_f64 v[2:3], v[120:121], v[130:131], v[2:3]
	scratch_load_b128 v[118:121], off, off offset:336
	s_waitcnt vmcnt(4)
	v_fma_f64 v[2:3], v[110:111], v[132:133], v[2:3]
	s_waitcnt lgkmcnt(0)
	s_delay_alu instid0(VALU_DEP_1)
	v_fma_f64 v[2:3], v[112:113], v[134:135], v[2:3]
	scratch_load_b128 v[110:113], off, off offset:352
	s_waitcnt vmcnt(4)
	v_fma_f64 v[2:3], v[122:123], v[136:137], v[2:3]
	ds_load_2addr_b64 v[130:133], v1 offset0:89 offset1:90
	ds_load_2addr_b64 v[134:137], v1 offset0:91 offset1:92
	s_waitcnt lgkmcnt(1)
	v_fma_f64 v[2:3], v[124:125], v[130:131], v[2:3]
	scratch_load_b128 v[122:125], off, off offset:368
	s_waitcnt vmcnt(4)
	v_fma_f64 v[2:3], v[114:115], v[132:133], v[2:3]
	s_waitcnt lgkmcnt(0)
	s_delay_alu instid0(VALU_DEP_1)
	v_fma_f64 v[2:3], v[116:117], v[134:135], v[2:3]
	scratch_load_b128 v[114:117], off, off offset:384
	s_waitcnt vmcnt(4)
	v_fma_f64 v[2:3], v[126:127], v[136:137], v[2:3]
	ds_load_2addr_b64 v[130:133], v1 offset0:93 offset1:94
	ds_load_2addr_b64 v[134:137], v1 offset0:95 offset1:96
	s_waitcnt lgkmcnt(1)
	v_fma_f64 v[2:3], v[128:129], v[130:131], v[2:3]
	scratch_load_b64 v[130:131], off, off offset:400
	s_waitcnt vmcnt(4)
	v_fma_f64 v[2:3], v[118:119], v[132:133], v[2:3]
	s_waitcnt lgkmcnt(0)
	s_delay_alu instid0(VALU_DEP_1)
	v_fma_f64 v[2:3], v[120:121], v[134:135], v[2:3]
	ds_load_2addr_b64 v[118:121], v1 offset0:97 offset1:98
	ds_load_2addr_b64 v[126:129], v1 offset0:99 offset1:100
	s_waitcnt vmcnt(3)
	v_fma_f64 v[2:3], v[110:111], v[136:137], v[2:3]
	s_waitcnt lgkmcnt(1)
	s_delay_alu instid0(VALU_DEP_1) | instskip(SKIP_1) | instid1(VALU_DEP_1)
	v_fma_f64 v[2:3], v[112:113], v[118:119], v[2:3]
	s_waitcnt vmcnt(2)
	v_fma_f64 v[2:3], v[122:123], v[120:121], v[2:3]
	s_waitcnt lgkmcnt(0)
	s_delay_alu instid0(VALU_DEP_1) | instskip(SKIP_1) | instid1(VALU_DEP_1)
	v_fma_f64 v[2:3], v[124:125], v[126:127], v[2:3]
	s_waitcnt vmcnt(1)
	v_fma_f64 v[110:111], v[114:115], v[128:129], v[2:3]
	ds_load_2addr_b64 v[1:4], v1 offset0:101 offset1:102
	s_waitcnt lgkmcnt(0)
	v_fma_f64 v[1:2], v[116:117], v[1:2], v[110:111]
	s_waitcnt vmcnt(0)
	s_delay_alu instid0(VALU_DEP_1) | instskip(NEXT) | instid1(VALU_DEP_1)
	v_fma_f64 v[1:2], v[130:131], v[3:4], v[1:2]
	v_add_f64 v[1:2], v[108:109], -v[1:2]
	scratch_store_b64 off, v[1:2], off offset:96
	v_cmpx_lt_u32_e32 11, v0
	s_cbranch_execz .LBB50_293
; %bb.292:
	scratch_load_b64 v[1:2], off, off offset:88
	v_mov_b32_e32 v3, 0
	s_delay_alu instid0(VALU_DEP_1)
	v_mov_b32_e32 v4, v3
	scratch_store_b64 off, v[3:4], off offset:88
	s_waitcnt vmcnt(0)
	ds_store_b64 v5, v[1:2]
.LBB50_293:
	s_or_b32 exec_lo, exec_lo, s0
	s_waitcnt lgkmcnt(0)
	s_waitcnt_vscnt null, 0x0
	s_barrier
	buffer_gl0_inv
	s_clause 0x4
	scratch_load_b128 v[108:111], off, off offset:88
	scratch_load_b128 v[112:115], off, off offset:104
	;; [unrolled: 1-line block ×5, first 2 shown]
	v_mov_b32_e32 v1, 0
	ds_load_b128 v[128:131], v1 offset:512
	ds_load_b128 v[132:135], v1 offset:528
	scratch_load_b128 v[136:139], off, off offset:168
	s_mov_b32 s0, exec_lo
	s_waitcnt vmcnt(5) lgkmcnt(1)
	v_fma_f64 v[2:3], v[110:111], v[128:129], 0
	s_waitcnt vmcnt(4)
	s_delay_alu instid0(VALU_DEP_1) | instskip(SKIP_4) | instid1(VALU_DEP_1)
	v_fma_f64 v[2:3], v[112:113], v[130:131], v[2:3]
	scratch_load_b128 v[110:113], off, off offset:184
	s_waitcnt lgkmcnt(0)
	v_fma_f64 v[2:3], v[114:115], v[132:133], v[2:3]
	s_waitcnt vmcnt(4)
	v_fma_f64 v[2:3], v[116:117], v[134:135], v[2:3]
	ds_load_b128 v[114:117], v1 offset:544
	ds_load_b128 v[128:131], v1 offset:560
	scratch_load_b128 v[132:135], off, off offset:200
	s_waitcnt lgkmcnt(1)
	v_fma_f64 v[2:3], v[118:119], v[114:115], v[2:3]
	s_waitcnt vmcnt(4)
	s_delay_alu instid0(VALU_DEP_1) | instskip(SKIP_4) | instid1(VALU_DEP_1)
	v_fma_f64 v[2:3], v[120:121], v[116:117], v[2:3]
	scratch_load_b128 v[114:117], off, off offset:216
	s_waitcnt lgkmcnt(0)
	v_fma_f64 v[2:3], v[122:123], v[128:129], v[2:3]
	s_waitcnt vmcnt(4)
	v_fma_f64 v[2:3], v[124:125], v[130:131], v[2:3]
	ds_load_b128 v[118:121], v1 offset:576
	ds_load_b128 v[122:125], v1 offset:592
	s_waitcnt lgkmcnt(1)
	v_fma_f64 v[2:3], v[126:127], v[118:119], v[2:3]
	scratch_load_b128 v[126:129], off, off offset:232
	s_waitcnt vmcnt(4)
	v_fma_f64 v[2:3], v[136:137], v[120:121], v[2:3]
	scratch_load_b128 v[118:121], off, off offset:248
	s_waitcnt lgkmcnt(0)
	v_fma_f64 v[2:3], v[138:139], v[122:123], v[2:3]
	s_waitcnt vmcnt(4)
	s_delay_alu instid0(VALU_DEP_1)
	v_fma_f64 v[2:3], v[110:111], v[124:125], v[2:3]
	ds_load_b128 v[122:125], v1 offset:608
	ds_load_b128 v[136:139], v1 offset:624
	s_waitcnt lgkmcnt(1)
	v_fma_f64 v[2:3], v[112:113], v[122:123], v[2:3]
	scratch_load_b128 v[110:113], off, off offset:264
	s_waitcnt vmcnt(4)
	v_fma_f64 v[2:3], v[132:133], v[124:125], v[2:3]
	scratch_load_b128 v[122:125], off, off offset:280
	s_waitcnt lgkmcnt(0)
	v_fma_f64 v[2:3], v[134:135], v[136:137], v[2:3]
	ds_load_b128 v[130:133], v1 offset:640
	ds_load_b128 v[134:137], v1 offset:656
	s_waitcnt vmcnt(4)
	v_fma_f64 v[2:3], v[114:115], v[138:139], v[2:3]
	s_waitcnt lgkmcnt(1)
	s_delay_alu instid0(VALU_DEP_1) | instskip(SKIP_4) | instid1(VALU_DEP_1)
	v_fma_f64 v[2:3], v[116:117], v[130:131], v[2:3]
	scratch_load_b128 v[114:117], off, off offset:296
	s_waitcnt vmcnt(4)
	v_fma_f64 v[2:3], v[126:127], v[132:133], v[2:3]
	s_waitcnt lgkmcnt(0)
	v_fma_f64 v[2:3], v[128:129], v[134:135], v[2:3]
	scratch_load_b128 v[126:129], off, off offset:312
	s_waitcnt vmcnt(4)
	v_fma_f64 v[2:3], v[118:119], v[136:137], v[2:3]
	ds_load_b128 v[130:133], v1 offset:672
	ds_load_b128 v[134:137], v1 offset:688
	s_waitcnt lgkmcnt(1)
	v_fma_f64 v[2:3], v[120:121], v[130:131], v[2:3]
	scratch_load_b128 v[118:121], off, off offset:328
	s_waitcnt vmcnt(4)
	v_fma_f64 v[2:3], v[110:111], v[132:133], v[2:3]
	s_waitcnt lgkmcnt(0)
	s_delay_alu instid0(VALU_DEP_1)
	v_fma_f64 v[2:3], v[112:113], v[134:135], v[2:3]
	scratch_load_b128 v[110:113], off, off offset:344
	s_waitcnt vmcnt(4)
	v_fma_f64 v[2:3], v[122:123], v[136:137], v[2:3]
	ds_load_b128 v[130:133], v1 offset:704
	ds_load_b128 v[134:137], v1 offset:720
	s_waitcnt lgkmcnt(1)
	v_fma_f64 v[2:3], v[124:125], v[130:131], v[2:3]
	scratch_load_b128 v[122:125], off, off offset:360
	s_waitcnt vmcnt(4)
	v_fma_f64 v[2:3], v[114:115], v[132:133], v[2:3]
	s_waitcnt lgkmcnt(0)
	s_delay_alu instid0(VALU_DEP_1)
	;; [unrolled: 13-line block ×3, first 2 shown]
	v_fma_f64 v[2:3], v[120:121], v[134:135], v[2:3]
	ds_load_b128 v[118:121], v1 offset:768
	ds_load_b128 v[130:133], v1 offset:784
	s_waitcnt vmcnt(3)
	v_fma_f64 v[2:3], v[110:111], v[136:137], v[2:3]
	s_waitcnt lgkmcnt(1)
	s_delay_alu instid0(VALU_DEP_1) | instskip(SKIP_1) | instid1(VALU_DEP_1)
	v_fma_f64 v[2:3], v[112:113], v[118:119], v[2:3]
	s_waitcnt vmcnt(2)
	v_fma_f64 v[2:3], v[122:123], v[120:121], v[2:3]
	s_waitcnt lgkmcnt(0)
	s_delay_alu instid0(VALU_DEP_1) | instskip(SKIP_1) | instid1(VALU_DEP_1)
	v_fma_f64 v[2:3], v[124:125], v[130:131], v[2:3]
	s_waitcnt vmcnt(1)
	v_fma_f64 v[2:3], v[114:115], v[132:133], v[2:3]
	ds_load_b128 v[110:113], v1 offset:800
	ds_load_b64 v[114:115], v1 offset:816
	s_waitcnt lgkmcnt(1)
	v_fma_f64 v[2:3], v[116:117], v[110:111], v[2:3]
	s_waitcnt vmcnt(0)
	s_delay_alu instid0(VALU_DEP_1) | instskip(SKIP_1) | instid1(VALU_DEP_1)
	v_fma_f64 v[2:3], v[126:127], v[112:113], v[2:3]
	s_waitcnt lgkmcnt(0)
	v_fma_f64 v[2:3], v[128:129], v[114:115], v[2:3]
	s_delay_alu instid0(VALU_DEP_1)
	v_add_f64 v[2:3], v[108:109], -v[2:3]
	scratch_store_b64 off, v[2:3], off offset:88
	v_cmpx_lt_u32_e32 10, v0
	s_cbranch_execz .LBB50_295
; %bb.294:
	scratch_load_b64 v[3:4], off, off offset:80
	v_mov_b32_e32 v2, v1
	scratch_store_b64 off, v[1:2], off offset:80
	s_waitcnt vmcnt(0)
	ds_store_b64 v5, v[3:4]
.LBB50_295:
	s_or_b32 exec_lo, exec_lo, s0
	s_waitcnt lgkmcnt(0)
	s_waitcnt_vscnt null, 0x0
	s_barrier
	buffer_gl0_inv
	s_clause 0x4
	scratch_load_b128 v[108:111], off, off offset:80
	scratch_load_b128 v[112:115], off, off offset:96
	;; [unrolled: 1-line block ×5, first 2 shown]
	ds_load_2addr_b64 v[128:131], v1 offset0:63 offset1:64
	ds_load_2addr_b64 v[132:135], v1 offset0:65 offset1:66
	scratch_load_b128 v[136:139], off, off offset:160
	s_mov_b32 s0, exec_lo
	s_waitcnt vmcnt(5) lgkmcnt(1)
	v_fma_f64 v[2:3], v[110:111], v[128:129], 0
	s_waitcnt vmcnt(4)
	s_delay_alu instid0(VALU_DEP_1) | instskip(SKIP_4) | instid1(VALU_DEP_1)
	v_fma_f64 v[2:3], v[112:113], v[130:131], v[2:3]
	scratch_load_b128 v[110:113], off, off offset:176
	s_waitcnt lgkmcnt(0)
	v_fma_f64 v[2:3], v[114:115], v[132:133], v[2:3]
	s_waitcnt vmcnt(4)
	v_fma_f64 v[2:3], v[116:117], v[134:135], v[2:3]
	ds_load_2addr_b64 v[114:117], v1 offset0:67 offset1:68
	ds_load_2addr_b64 v[128:131], v1 offset0:69 offset1:70
	scratch_load_b128 v[132:135], off, off offset:192
	s_waitcnt lgkmcnt(1)
	v_fma_f64 v[2:3], v[118:119], v[114:115], v[2:3]
	s_waitcnt vmcnt(4)
	s_delay_alu instid0(VALU_DEP_1) | instskip(SKIP_4) | instid1(VALU_DEP_1)
	v_fma_f64 v[2:3], v[120:121], v[116:117], v[2:3]
	scratch_load_b128 v[114:117], off, off offset:208
	s_waitcnt lgkmcnt(0)
	v_fma_f64 v[2:3], v[122:123], v[128:129], v[2:3]
	s_waitcnt vmcnt(4)
	v_fma_f64 v[2:3], v[124:125], v[130:131], v[2:3]
	ds_load_2addr_b64 v[118:121], v1 offset0:71 offset1:72
	ds_load_2addr_b64 v[122:125], v1 offset0:73 offset1:74
	s_waitcnt lgkmcnt(1)
	v_fma_f64 v[2:3], v[126:127], v[118:119], v[2:3]
	scratch_load_b128 v[126:129], off, off offset:224
	s_waitcnt vmcnt(4)
	v_fma_f64 v[2:3], v[136:137], v[120:121], v[2:3]
	scratch_load_b128 v[118:121], off, off offset:240
	s_waitcnt lgkmcnt(0)
	v_fma_f64 v[2:3], v[138:139], v[122:123], v[2:3]
	s_waitcnt vmcnt(4)
	s_delay_alu instid0(VALU_DEP_1)
	v_fma_f64 v[2:3], v[110:111], v[124:125], v[2:3]
	ds_load_2addr_b64 v[122:125], v1 offset0:75 offset1:76
	ds_load_2addr_b64 v[136:139], v1 offset0:77 offset1:78
	s_waitcnt lgkmcnt(1)
	v_fma_f64 v[2:3], v[112:113], v[122:123], v[2:3]
	scratch_load_b128 v[110:113], off, off offset:256
	s_waitcnt vmcnt(4)
	v_fma_f64 v[2:3], v[132:133], v[124:125], v[2:3]
	scratch_load_b128 v[122:125], off, off offset:272
	s_waitcnt lgkmcnt(0)
	v_fma_f64 v[2:3], v[134:135], v[136:137], v[2:3]
	ds_load_2addr_b64 v[130:133], v1 offset0:79 offset1:80
	ds_load_2addr_b64 v[134:137], v1 offset0:81 offset1:82
	s_waitcnt vmcnt(4)
	v_fma_f64 v[2:3], v[114:115], v[138:139], v[2:3]
	s_waitcnt lgkmcnt(1)
	s_delay_alu instid0(VALU_DEP_1) | instskip(SKIP_4) | instid1(VALU_DEP_1)
	v_fma_f64 v[2:3], v[116:117], v[130:131], v[2:3]
	scratch_load_b128 v[114:117], off, off offset:288
	s_waitcnt vmcnt(4)
	v_fma_f64 v[2:3], v[126:127], v[132:133], v[2:3]
	s_waitcnt lgkmcnt(0)
	v_fma_f64 v[2:3], v[128:129], v[134:135], v[2:3]
	scratch_load_b128 v[126:129], off, off offset:304
	s_waitcnt vmcnt(4)
	v_fma_f64 v[2:3], v[118:119], v[136:137], v[2:3]
	ds_load_2addr_b64 v[130:133], v1 offset0:83 offset1:84
	ds_load_2addr_b64 v[134:137], v1 offset0:85 offset1:86
	s_waitcnt lgkmcnt(1)
	v_fma_f64 v[2:3], v[120:121], v[130:131], v[2:3]
	scratch_load_b128 v[118:121], off, off offset:320
	s_waitcnt vmcnt(4)
	v_fma_f64 v[2:3], v[110:111], v[132:133], v[2:3]
	s_waitcnt lgkmcnt(0)
	s_delay_alu instid0(VALU_DEP_1)
	v_fma_f64 v[2:3], v[112:113], v[134:135], v[2:3]
	scratch_load_b128 v[110:113], off, off offset:336
	s_waitcnt vmcnt(4)
	v_fma_f64 v[2:3], v[122:123], v[136:137], v[2:3]
	ds_load_2addr_b64 v[130:133], v1 offset0:87 offset1:88
	ds_load_2addr_b64 v[134:137], v1 offset0:89 offset1:90
	s_waitcnt lgkmcnt(1)
	v_fma_f64 v[2:3], v[124:125], v[130:131], v[2:3]
	scratch_load_b128 v[122:125], off, off offset:352
	s_waitcnt vmcnt(4)
	v_fma_f64 v[2:3], v[114:115], v[132:133], v[2:3]
	s_waitcnt lgkmcnt(0)
	s_delay_alu instid0(VALU_DEP_1)
	;; [unrolled: 13-line block ×3, first 2 shown]
	v_fma_f64 v[2:3], v[120:121], v[134:135], v[2:3]
	scratch_load_b64 v[134:135], off, off offset:400
	ds_load_2addr_b64 v[118:121], v1 offset0:95 offset1:96
	ds_load_2addr_b64 v[130:133], v1 offset0:97 offset1:98
	s_waitcnt vmcnt(4)
	v_fma_f64 v[2:3], v[110:111], v[136:137], v[2:3]
	s_waitcnt lgkmcnt(1)
	s_delay_alu instid0(VALU_DEP_1) | instskip(SKIP_1) | instid1(VALU_DEP_1)
	v_fma_f64 v[2:3], v[112:113], v[118:119], v[2:3]
	s_waitcnt vmcnt(3)
	v_fma_f64 v[2:3], v[122:123], v[120:121], v[2:3]
	s_waitcnt lgkmcnt(0)
	s_delay_alu instid0(VALU_DEP_1) | instskip(SKIP_1) | instid1(VALU_DEP_1)
	v_fma_f64 v[2:3], v[124:125], v[130:131], v[2:3]
	s_waitcnt vmcnt(2)
	v_fma_f64 v[114:115], v[114:115], v[132:133], v[2:3]
	ds_load_2addr_b64 v[110:113], v1 offset0:99 offset1:100
	ds_load_2addr_b64 v[1:4], v1 offset0:101 offset1:102
	s_waitcnt lgkmcnt(1)
	v_fma_f64 v[110:111], v[116:117], v[110:111], v[114:115]
	s_waitcnt vmcnt(1)
	s_delay_alu instid0(VALU_DEP_1) | instskip(SKIP_1) | instid1(VALU_DEP_1)
	v_fma_f64 v[110:111], v[126:127], v[112:113], v[110:111]
	s_waitcnt lgkmcnt(0)
	v_fma_f64 v[1:2], v[128:129], v[1:2], v[110:111]
	s_waitcnt vmcnt(0)
	s_delay_alu instid0(VALU_DEP_1) | instskip(NEXT) | instid1(VALU_DEP_1)
	v_fma_f64 v[1:2], v[134:135], v[3:4], v[1:2]
	v_add_f64 v[1:2], v[108:109], -v[1:2]
	scratch_store_b64 off, v[1:2], off offset:80
	v_cmpx_lt_u32_e32 9, v0
	s_cbranch_execz .LBB50_297
; %bb.296:
	scratch_load_b64 v[1:2], off, off offset:72
	v_mov_b32_e32 v3, 0
	s_delay_alu instid0(VALU_DEP_1)
	v_mov_b32_e32 v4, v3
	scratch_store_b64 off, v[3:4], off offset:72
	s_waitcnt vmcnt(0)
	ds_store_b64 v5, v[1:2]
.LBB50_297:
	s_or_b32 exec_lo, exec_lo, s0
	s_waitcnt lgkmcnt(0)
	s_waitcnt_vscnt null, 0x0
	s_barrier
	buffer_gl0_inv
	s_clause 0x4
	scratch_load_b128 v[108:111], off, off offset:72
	scratch_load_b128 v[112:115], off, off offset:88
	;; [unrolled: 1-line block ×5, first 2 shown]
	v_mov_b32_e32 v1, 0
	ds_load_b128 v[128:131], v1 offset:496
	ds_load_b128 v[132:135], v1 offset:512
	scratch_load_b128 v[136:139], off, off offset:152
	s_mov_b32 s0, exec_lo
	s_waitcnt vmcnt(5) lgkmcnt(1)
	v_fma_f64 v[2:3], v[110:111], v[128:129], 0
	s_waitcnt vmcnt(4)
	s_delay_alu instid0(VALU_DEP_1) | instskip(SKIP_4) | instid1(VALU_DEP_1)
	v_fma_f64 v[2:3], v[112:113], v[130:131], v[2:3]
	scratch_load_b128 v[110:113], off, off offset:168
	s_waitcnt lgkmcnt(0)
	v_fma_f64 v[2:3], v[114:115], v[132:133], v[2:3]
	s_waitcnt vmcnt(4)
	v_fma_f64 v[2:3], v[116:117], v[134:135], v[2:3]
	ds_load_b128 v[114:117], v1 offset:528
	ds_load_b128 v[128:131], v1 offset:544
	scratch_load_b128 v[132:135], off, off offset:184
	s_waitcnt lgkmcnt(1)
	v_fma_f64 v[2:3], v[118:119], v[114:115], v[2:3]
	s_waitcnt vmcnt(4)
	s_delay_alu instid0(VALU_DEP_1) | instskip(SKIP_4) | instid1(VALU_DEP_1)
	v_fma_f64 v[2:3], v[120:121], v[116:117], v[2:3]
	scratch_load_b128 v[114:117], off, off offset:200
	s_waitcnt lgkmcnt(0)
	v_fma_f64 v[2:3], v[122:123], v[128:129], v[2:3]
	s_waitcnt vmcnt(4)
	v_fma_f64 v[2:3], v[124:125], v[130:131], v[2:3]
	ds_load_b128 v[118:121], v1 offset:560
	ds_load_b128 v[122:125], v1 offset:576
	s_waitcnt lgkmcnt(1)
	v_fma_f64 v[2:3], v[126:127], v[118:119], v[2:3]
	scratch_load_b128 v[126:129], off, off offset:216
	s_waitcnt vmcnt(4)
	v_fma_f64 v[2:3], v[136:137], v[120:121], v[2:3]
	scratch_load_b128 v[118:121], off, off offset:232
	s_waitcnt lgkmcnt(0)
	v_fma_f64 v[2:3], v[138:139], v[122:123], v[2:3]
	s_waitcnt vmcnt(4)
	s_delay_alu instid0(VALU_DEP_1)
	v_fma_f64 v[2:3], v[110:111], v[124:125], v[2:3]
	ds_load_b128 v[122:125], v1 offset:592
	ds_load_b128 v[136:139], v1 offset:608
	s_waitcnt lgkmcnt(1)
	v_fma_f64 v[2:3], v[112:113], v[122:123], v[2:3]
	scratch_load_b128 v[110:113], off, off offset:248
	s_waitcnt vmcnt(4)
	v_fma_f64 v[2:3], v[132:133], v[124:125], v[2:3]
	scratch_load_b128 v[122:125], off, off offset:264
	s_waitcnt lgkmcnt(0)
	v_fma_f64 v[2:3], v[134:135], v[136:137], v[2:3]
	ds_load_b128 v[130:133], v1 offset:624
	ds_load_b128 v[134:137], v1 offset:640
	s_waitcnt vmcnt(4)
	v_fma_f64 v[2:3], v[114:115], v[138:139], v[2:3]
	s_waitcnt lgkmcnt(1)
	s_delay_alu instid0(VALU_DEP_1) | instskip(SKIP_4) | instid1(VALU_DEP_1)
	v_fma_f64 v[2:3], v[116:117], v[130:131], v[2:3]
	scratch_load_b128 v[114:117], off, off offset:280
	s_waitcnt vmcnt(4)
	v_fma_f64 v[2:3], v[126:127], v[132:133], v[2:3]
	s_waitcnt lgkmcnt(0)
	v_fma_f64 v[2:3], v[128:129], v[134:135], v[2:3]
	scratch_load_b128 v[126:129], off, off offset:296
	s_waitcnt vmcnt(4)
	v_fma_f64 v[2:3], v[118:119], v[136:137], v[2:3]
	ds_load_b128 v[130:133], v1 offset:656
	ds_load_b128 v[134:137], v1 offset:672
	s_waitcnt lgkmcnt(1)
	v_fma_f64 v[2:3], v[120:121], v[130:131], v[2:3]
	scratch_load_b128 v[118:121], off, off offset:312
	s_waitcnt vmcnt(4)
	v_fma_f64 v[2:3], v[110:111], v[132:133], v[2:3]
	s_waitcnt lgkmcnt(0)
	s_delay_alu instid0(VALU_DEP_1)
	v_fma_f64 v[2:3], v[112:113], v[134:135], v[2:3]
	scratch_load_b128 v[110:113], off, off offset:328
	s_waitcnt vmcnt(4)
	v_fma_f64 v[2:3], v[122:123], v[136:137], v[2:3]
	ds_load_b128 v[130:133], v1 offset:688
	ds_load_b128 v[134:137], v1 offset:704
	s_waitcnt lgkmcnt(1)
	v_fma_f64 v[2:3], v[124:125], v[130:131], v[2:3]
	scratch_load_b128 v[122:125], off, off offset:344
	s_waitcnt vmcnt(4)
	v_fma_f64 v[2:3], v[114:115], v[132:133], v[2:3]
	s_waitcnt lgkmcnt(0)
	s_delay_alu instid0(VALU_DEP_1)
	;; [unrolled: 13-line block ×3, first 2 shown]
	v_fma_f64 v[2:3], v[120:121], v[134:135], v[2:3]
	scratch_load_b128 v[118:121], off, off offset:392
	s_waitcnt vmcnt(4)
	v_fma_f64 v[2:3], v[110:111], v[136:137], v[2:3]
	ds_load_b128 v[130:133], v1 offset:752
	ds_load_b128 v[134:137], v1 offset:768
	s_waitcnt lgkmcnt(1)
	v_fma_f64 v[2:3], v[112:113], v[130:131], v[2:3]
	s_waitcnt vmcnt(3)
	s_delay_alu instid0(VALU_DEP_1) | instskip(SKIP_1) | instid1(VALU_DEP_1)
	v_fma_f64 v[2:3], v[122:123], v[132:133], v[2:3]
	s_waitcnt lgkmcnt(0)
	v_fma_f64 v[2:3], v[124:125], v[134:135], v[2:3]
	ds_load_b128 v[110:113], v1 offset:784
	ds_load_b128 v[122:125], v1 offset:800
	s_waitcnt vmcnt(2)
	v_fma_f64 v[2:3], v[114:115], v[136:137], v[2:3]
	s_waitcnt lgkmcnt(1)
	s_delay_alu instid0(VALU_DEP_1) | instskip(SKIP_4) | instid1(VALU_DEP_1)
	v_fma_f64 v[2:3], v[116:117], v[110:111], v[2:3]
	ds_load_b64 v[110:111], v1 offset:816
	s_waitcnt vmcnt(1)
	v_fma_f64 v[2:3], v[126:127], v[112:113], v[2:3]
	s_waitcnt lgkmcnt(1)
	v_fma_f64 v[2:3], v[128:129], v[122:123], v[2:3]
	s_waitcnt vmcnt(0)
	s_delay_alu instid0(VALU_DEP_1) | instskip(SKIP_1) | instid1(VALU_DEP_1)
	v_fma_f64 v[2:3], v[118:119], v[124:125], v[2:3]
	s_waitcnt lgkmcnt(0)
	v_fma_f64 v[2:3], v[120:121], v[110:111], v[2:3]
	s_delay_alu instid0(VALU_DEP_1)
	v_add_f64 v[2:3], v[108:109], -v[2:3]
	scratch_store_b64 off, v[2:3], off offset:72
	v_cmpx_lt_u32_e32 8, v0
	s_cbranch_execz .LBB50_299
; %bb.298:
	scratch_load_b64 v[3:4], off, off offset:64
	v_mov_b32_e32 v2, v1
	scratch_store_b64 off, v[1:2], off offset:64
	s_waitcnt vmcnt(0)
	ds_store_b64 v5, v[3:4]
.LBB50_299:
	s_or_b32 exec_lo, exec_lo, s0
	s_waitcnt lgkmcnt(0)
	s_waitcnt_vscnt null, 0x0
	s_barrier
	buffer_gl0_inv
	s_clause 0x4
	scratch_load_b128 v[108:111], off, off offset:64
	scratch_load_b128 v[112:115], off, off offset:80
	;; [unrolled: 1-line block ×5, first 2 shown]
	ds_load_2addr_b64 v[128:131], v1 offset0:61 offset1:62
	ds_load_2addr_b64 v[132:135], v1 offset0:63 offset1:64
	scratch_load_b128 v[136:139], off, off offset:144
	s_mov_b32 s0, exec_lo
	s_waitcnt vmcnt(5) lgkmcnt(1)
	v_fma_f64 v[2:3], v[110:111], v[128:129], 0
	s_waitcnt vmcnt(4)
	s_delay_alu instid0(VALU_DEP_1) | instskip(SKIP_4) | instid1(VALU_DEP_1)
	v_fma_f64 v[2:3], v[112:113], v[130:131], v[2:3]
	scratch_load_b128 v[110:113], off, off offset:160
	s_waitcnt lgkmcnt(0)
	v_fma_f64 v[2:3], v[114:115], v[132:133], v[2:3]
	s_waitcnt vmcnt(4)
	v_fma_f64 v[2:3], v[116:117], v[134:135], v[2:3]
	ds_load_2addr_b64 v[114:117], v1 offset0:65 offset1:66
	ds_load_2addr_b64 v[128:131], v1 offset0:67 offset1:68
	scratch_load_b128 v[132:135], off, off offset:176
	s_waitcnt lgkmcnt(1)
	v_fma_f64 v[2:3], v[118:119], v[114:115], v[2:3]
	s_waitcnt vmcnt(4)
	s_delay_alu instid0(VALU_DEP_1) | instskip(SKIP_4) | instid1(VALU_DEP_1)
	v_fma_f64 v[2:3], v[120:121], v[116:117], v[2:3]
	scratch_load_b128 v[114:117], off, off offset:192
	s_waitcnt lgkmcnt(0)
	v_fma_f64 v[2:3], v[122:123], v[128:129], v[2:3]
	s_waitcnt vmcnt(4)
	v_fma_f64 v[2:3], v[124:125], v[130:131], v[2:3]
	ds_load_2addr_b64 v[118:121], v1 offset0:69 offset1:70
	ds_load_2addr_b64 v[122:125], v1 offset0:71 offset1:72
	s_waitcnt lgkmcnt(1)
	v_fma_f64 v[2:3], v[126:127], v[118:119], v[2:3]
	scratch_load_b128 v[126:129], off, off offset:208
	s_waitcnt vmcnt(4)
	v_fma_f64 v[2:3], v[136:137], v[120:121], v[2:3]
	scratch_load_b128 v[118:121], off, off offset:224
	s_waitcnt lgkmcnt(0)
	v_fma_f64 v[2:3], v[138:139], v[122:123], v[2:3]
	s_waitcnt vmcnt(4)
	s_delay_alu instid0(VALU_DEP_1)
	v_fma_f64 v[2:3], v[110:111], v[124:125], v[2:3]
	ds_load_2addr_b64 v[122:125], v1 offset0:73 offset1:74
	ds_load_2addr_b64 v[136:139], v1 offset0:75 offset1:76
	s_waitcnt lgkmcnt(1)
	v_fma_f64 v[2:3], v[112:113], v[122:123], v[2:3]
	scratch_load_b128 v[110:113], off, off offset:240
	s_waitcnt vmcnt(4)
	v_fma_f64 v[2:3], v[132:133], v[124:125], v[2:3]
	scratch_load_b128 v[122:125], off, off offset:256
	s_waitcnt lgkmcnt(0)
	v_fma_f64 v[2:3], v[134:135], v[136:137], v[2:3]
	ds_load_2addr_b64 v[130:133], v1 offset0:77 offset1:78
	ds_load_2addr_b64 v[134:137], v1 offset0:79 offset1:80
	s_waitcnt vmcnt(4)
	v_fma_f64 v[2:3], v[114:115], v[138:139], v[2:3]
	s_waitcnt lgkmcnt(1)
	s_delay_alu instid0(VALU_DEP_1) | instskip(SKIP_4) | instid1(VALU_DEP_1)
	v_fma_f64 v[2:3], v[116:117], v[130:131], v[2:3]
	scratch_load_b128 v[114:117], off, off offset:272
	s_waitcnt vmcnt(4)
	v_fma_f64 v[2:3], v[126:127], v[132:133], v[2:3]
	s_waitcnt lgkmcnt(0)
	v_fma_f64 v[2:3], v[128:129], v[134:135], v[2:3]
	scratch_load_b128 v[126:129], off, off offset:288
	s_waitcnt vmcnt(4)
	v_fma_f64 v[2:3], v[118:119], v[136:137], v[2:3]
	ds_load_2addr_b64 v[130:133], v1 offset0:81 offset1:82
	ds_load_2addr_b64 v[134:137], v1 offset0:83 offset1:84
	s_waitcnt lgkmcnt(1)
	v_fma_f64 v[2:3], v[120:121], v[130:131], v[2:3]
	scratch_load_b128 v[118:121], off, off offset:304
	s_waitcnt vmcnt(4)
	v_fma_f64 v[2:3], v[110:111], v[132:133], v[2:3]
	s_waitcnt lgkmcnt(0)
	s_delay_alu instid0(VALU_DEP_1)
	v_fma_f64 v[2:3], v[112:113], v[134:135], v[2:3]
	scratch_load_b128 v[110:113], off, off offset:320
	s_waitcnt vmcnt(4)
	v_fma_f64 v[2:3], v[122:123], v[136:137], v[2:3]
	ds_load_2addr_b64 v[130:133], v1 offset0:85 offset1:86
	ds_load_2addr_b64 v[134:137], v1 offset0:87 offset1:88
	s_waitcnt lgkmcnt(1)
	v_fma_f64 v[2:3], v[124:125], v[130:131], v[2:3]
	scratch_load_b128 v[122:125], off, off offset:336
	s_waitcnt vmcnt(4)
	v_fma_f64 v[2:3], v[114:115], v[132:133], v[2:3]
	s_waitcnt lgkmcnt(0)
	s_delay_alu instid0(VALU_DEP_1)
	v_fma_f64 v[2:3], v[116:117], v[134:135], v[2:3]
	scratch_load_b128 v[114:117], off, off offset:352
	s_waitcnt vmcnt(4)
	v_fma_f64 v[2:3], v[126:127], v[136:137], v[2:3]
	ds_load_2addr_b64 v[130:133], v1 offset0:89 offset1:90
	ds_load_2addr_b64 v[134:137], v1 offset0:91 offset1:92
	s_waitcnt lgkmcnt(1)
	v_fma_f64 v[2:3], v[128:129], v[130:131], v[2:3]
	scratch_load_b128 v[126:129], off, off offset:368
	s_waitcnt vmcnt(4)
	v_fma_f64 v[2:3], v[118:119], v[132:133], v[2:3]
	s_waitcnt lgkmcnt(0)
	s_delay_alu instid0(VALU_DEP_1)
	v_fma_f64 v[2:3], v[120:121], v[134:135], v[2:3]
	scratch_load_b128 v[118:121], off, off offset:384
	s_waitcnt vmcnt(4)
	v_fma_f64 v[2:3], v[110:111], v[136:137], v[2:3]
	ds_load_2addr_b64 v[130:133], v1 offset0:93 offset1:94
	ds_load_2addr_b64 v[134:137], v1 offset0:95 offset1:96
	s_waitcnt lgkmcnt(1)
	v_fma_f64 v[2:3], v[112:113], v[130:131], v[2:3]
	scratch_load_b64 v[130:131], off, off offset:400
	s_waitcnt vmcnt(4)
	v_fma_f64 v[2:3], v[122:123], v[132:133], v[2:3]
	s_waitcnt lgkmcnt(0)
	s_delay_alu instid0(VALU_DEP_1)
	v_fma_f64 v[2:3], v[124:125], v[134:135], v[2:3]
	ds_load_2addr_b64 v[110:113], v1 offset0:97 offset1:98
	ds_load_2addr_b64 v[122:125], v1 offset0:99 offset1:100
	s_waitcnt vmcnt(3)
	v_fma_f64 v[2:3], v[114:115], v[136:137], v[2:3]
	s_waitcnt lgkmcnt(1)
	s_delay_alu instid0(VALU_DEP_1) | instskip(SKIP_1) | instid1(VALU_DEP_1)
	v_fma_f64 v[2:3], v[116:117], v[110:111], v[2:3]
	s_waitcnt vmcnt(2)
	v_fma_f64 v[2:3], v[126:127], v[112:113], v[2:3]
	s_waitcnt lgkmcnt(0)
	s_delay_alu instid0(VALU_DEP_1) | instskip(SKIP_1) | instid1(VALU_DEP_1)
	v_fma_f64 v[2:3], v[128:129], v[122:123], v[2:3]
	s_waitcnt vmcnt(1)
	v_fma_f64 v[110:111], v[118:119], v[124:125], v[2:3]
	ds_load_2addr_b64 v[1:4], v1 offset0:101 offset1:102
	s_waitcnt lgkmcnt(0)
	v_fma_f64 v[1:2], v[120:121], v[1:2], v[110:111]
	s_waitcnt vmcnt(0)
	s_delay_alu instid0(VALU_DEP_1) | instskip(NEXT) | instid1(VALU_DEP_1)
	v_fma_f64 v[1:2], v[130:131], v[3:4], v[1:2]
	v_add_f64 v[1:2], v[108:109], -v[1:2]
	scratch_store_b64 off, v[1:2], off offset:64
	v_cmpx_lt_u32_e32 7, v0
	s_cbranch_execz .LBB50_301
; %bb.300:
	scratch_load_b64 v[1:2], off, off offset:56
	v_mov_b32_e32 v3, 0
	s_delay_alu instid0(VALU_DEP_1)
	v_mov_b32_e32 v4, v3
	scratch_store_b64 off, v[3:4], off offset:56
	s_waitcnt vmcnt(0)
	ds_store_b64 v5, v[1:2]
.LBB50_301:
	s_or_b32 exec_lo, exec_lo, s0
	s_waitcnt lgkmcnt(0)
	s_waitcnt_vscnt null, 0x0
	s_barrier
	buffer_gl0_inv
	s_clause 0x4
	scratch_load_b128 v[108:111], off, off offset:56
	scratch_load_b128 v[112:115], off, off offset:72
	;; [unrolled: 1-line block ×5, first 2 shown]
	v_mov_b32_e32 v1, 0
	ds_load_b128 v[128:131], v1 offset:480
	ds_load_b128 v[132:135], v1 offset:496
	scratch_load_b128 v[136:139], off, off offset:136
	s_mov_b32 s0, exec_lo
	s_waitcnt vmcnt(5) lgkmcnt(1)
	v_fma_f64 v[2:3], v[110:111], v[128:129], 0
	s_waitcnt vmcnt(4)
	s_delay_alu instid0(VALU_DEP_1) | instskip(SKIP_4) | instid1(VALU_DEP_1)
	v_fma_f64 v[2:3], v[112:113], v[130:131], v[2:3]
	scratch_load_b128 v[110:113], off, off offset:152
	s_waitcnt lgkmcnt(0)
	v_fma_f64 v[2:3], v[114:115], v[132:133], v[2:3]
	s_waitcnt vmcnt(4)
	v_fma_f64 v[2:3], v[116:117], v[134:135], v[2:3]
	ds_load_b128 v[114:117], v1 offset:512
	ds_load_b128 v[128:131], v1 offset:528
	scratch_load_b128 v[132:135], off, off offset:168
	s_waitcnt lgkmcnt(1)
	v_fma_f64 v[2:3], v[118:119], v[114:115], v[2:3]
	s_waitcnt vmcnt(4)
	s_delay_alu instid0(VALU_DEP_1) | instskip(SKIP_4) | instid1(VALU_DEP_1)
	v_fma_f64 v[2:3], v[120:121], v[116:117], v[2:3]
	scratch_load_b128 v[114:117], off, off offset:184
	s_waitcnt lgkmcnt(0)
	v_fma_f64 v[2:3], v[122:123], v[128:129], v[2:3]
	s_waitcnt vmcnt(4)
	v_fma_f64 v[2:3], v[124:125], v[130:131], v[2:3]
	ds_load_b128 v[118:121], v1 offset:544
	ds_load_b128 v[122:125], v1 offset:560
	s_waitcnt lgkmcnt(1)
	v_fma_f64 v[2:3], v[126:127], v[118:119], v[2:3]
	scratch_load_b128 v[126:129], off, off offset:200
	s_waitcnt vmcnt(4)
	v_fma_f64 v[2:3], v[136:137], v[120:121], v[2:3]
	scratch_load_b128 v[118:121], off, off offset:216
	s_waitcnt lgkmcnt(0)
	v_fma_f64 v[2:3], v[138:139], v[122:123], v[2:3]
	s_waitcnt vmcnt(4)
	s_delay_alu instid0(VALU_DEP_1)
	v_fma_f64 v[2:3], v[110:111], v[124:125], v[2:3]
	ds_load_b128 v[122:125], v1 offset:576
	ds_load_b128 v[136:139], v1 offset:592
	s_waitcnt lgkmcnt(1)
	v_fma_f64 v[2:3], v[112:113], v[122:123], v[2:3]
	scratch_load_b128 v[110:113], off, off offset:232
	s_waitcnt vmcnt(4)
	v_fma_f64 v[2:3], v[132:133], v[124:125], v[2:3]
	scratch_load_b128 v[122:125], off, off offset:248
	s_waitcnt lgkmcnt(0)
	v_fma_f64 v[2:3], v[134:135], v[136:137], v[2:3]
	ds_load_b128 v[130:133], v1 offset:608
	ds_load_b128 v[134:137], v1 offset:624
	s_waitcnt vmcnt(4)
	v_fma_f64 v[2:3], v[114:115], v[138:139], v[2:3]
	s_waitcnt lgkmcnt(1)
	s_delay_alu instid0(VALU_DEP_1) | instskip(SKIP_4) | instid1(VALU_DEP_1)
	v_fma_f64 v[2:3], v[116:117], v[130:131], v[2:3]
	scratch_load_b128 v[114:117], off, off offset:264
	s_waitcnt vmcnt(4)
	v_fma_f64 v[2:3], v[126:127], v[132:133], v[2:3]
	s_waitcnt lgkmcnt(0)
	v_fma_f64 v[2:3], v[128:129], v[134:135], v[2:3]
	scratch_load_b128 v[126:129], off, off offset:280
	s_waitcnt vmcnt(4)
	v_fma_f64 v[2:3], v[118:119], v[136:137], v[2:3]
	ds_load_b128 v[130:133], v1 offset:640
	ds_load_b128 v[134:137], v1 offset:656
	s_waitcnt lgkmcnt(1)
	v_fma_f64 v[2:3], v[120:121], v[130:131], v[2:3]
	scratch_load_b128 v[118:121], off, off offset:296
	s_waitcnt vmcnt(4)
	v_fma_f64 v[2:3], v[110:111], v[132:133], v[2:3]
	s_waitcnt lgkmcnt(0)
	s_delay_alu instid0(VALU_DEP_1)
	v_fma_f64 v[2:3], v[112:113], v[134:135], v[2:3]
	scratch_load_b128 v[110:113], off, off offset:312
	s_waitcnt vmcnt(4)
	v_fma_f64 v[2:3], v[122:123], v[136:137], v[2:3]
	ds_load_b128 v[130:133], v1 offset:672
	ds_load_b128 v[134:137], v1 offset:688
	s_waitcnt lgkmcnt(1)
	v_fma_f64 v[2:3], v[124:125], v[130:131], v[2:3]
	scratch_load_b128 v[122:125], off, off offset:328
	s_waitcnt vmcnt(4)
	v_fma_f64 v[2:3], v[114:115], v[132:133], v[2:3]
	s_waitcnt lgkmcnt(0)
	s_delay_alu instid0(VALU_DEP_1)
	;; [unrolled: 13-line block ×4, first 2 shown]
	v_fma_f64 v[2:3], v[124:125], v[134:135], v[2:3]
	ds_load_b128 v[122:125], v1 offset:768
	ds_load_b128 v[130:133], v1 offset:784
	s_waitcnt vmcnt(3)
	v_fma_f64 v[2:3], v[114:115], v[136:137], v[2:3]
	s_waitcnt lgkmcnt(1)
	s_delay_alu instid0(VALU_DEP_1) | instskip(SKIP_1) | instid1(VALU_DEP_1)
	v_fma_f64 v[2:3], v[116:117], v[122:123], v[2:3]
	s_waitcnt vmcnt(2)
	v_fma_f64 v[2:3], v[126:127], v[124:125], v[2:3]
	s_waitcnt lgkmcnt(0)
	s_delay_alu instid0(VALU_DEP_1) | instskip(SKIP_1) | instid1(VALU_DEP_1)
	v_fma_f64 v[2:3], v[128:129], v[130:131], v[2:3]
	s_waitcnt vmcnt(1)
	v_fma_f64 v[2:3], v[118:119], v[132:133], v[2:3]
	ds_load_b128 v[114:117], v1 offset:800
	ds_load_b64 v[118:119], v1 offset:816
	s_waitcnt lgkmcnt(1)
	v_fma_f64 v[2:3], v[120:121], v[114:115], v[2:3]
	s_waitcnt vmcnt(0)
	s_delay_alu instid0(VALU_DEP_1) | instskip(SKIP_1) | instid1(VALU_DEP_1)
	v_fma_f64 v[2:3], v[110:111], v[116:117], v[2:3]
	s_waitcnt lgkmcnt(0)
	v_fma_f64 v[2:3], v[112:113], v[118:119], v[2:3]
	s_delay_alu instid0(VALU_DEP_1)
	v_add_f64 v[2:3], v[108:109], -v[2:3]
	scratch_store_b64 off, v[2:3], off offset:56
	v_cmpx_lt_u32_e32 6, v0
	s_cbranch_execz .LBB50_303
; %bb.302:
	scratch_load_b64 v[3:4], off, off offset:48
	v_mov_b32_e32 v2, v1
	scratch_store_b64 off, v[1:2], off offset:48
	s_waitcnt vmcnt(0)
	ds_store_b64 v5, v[3:4]
.LBB50_303:
	s_or_b32 exec_lo, exec_lo, s0
	s_waitcnt lgkmcnt(0)
	s_waitcnt_vscnt null, 0x0
	s_barrier
	buffer_gl0_inv
	s_clause 0x4
	scratch_load_b128 v[108:111], off, off offset:48
	scratch_load_b128 v[112:115], off, off offset:64
	;; [unrolled: 1-line block ×5, first 2 shown]
	ds_load_2addr_b64 v[128:131], v1 offset0:59 offset1:60
	ds_load_2addr_b64 v[132:135], v1 offset0:61 offset1:62
	scratch_load_b128 v[136:139], off, off offset:128
	s_mov_b32 s0, exec_lo
	s_waitcnt vmcnt(5) lgkmcnt(1)
	v_fma_f64 v[2:3], v[110:111], v[128:129], 0
	s_waitcnt vmcnt(4)
	s_delay_alu instid0(VALU_DEP_1) | instskip(SKIP_4) | instid1(VALU_DEP_1)
	v_fma_f64 v[2:3], v[112:113], v[130:131], v[2:3]
	scratch_load_b128 v[110:113], off, off offset:144
	s_waitcnt lgkmcnt(0)
	v_fma_f64 v[2:3], v[114:115], v[132:133], v[2:3]
	s_waitcnt vmcnt(4)
	v_fma_f64 v[2:3], v[116:117], v[134:135], v[2:3]
	ds_load_2addr_b64 v[114:117], v1 offset0:63 offset1:64
	ds_load_2addr_b64 v[128:131], v1 offset0:65 offset1:66
	scratch_load_b128 v[132:135], off, off offset:160
	s_waitcnt lgkmcnt(1)
	v_fma_f64 v[2:3], v[118:119], v[114:115], v[2:3]
	s_waitcnt vmcnt(4)
	s_delay_alu instid0(VALU_DEP_1) | instskip(SKIP_4) | instid1(VALU_DEP_1)
	v_fma_f64 v[2:3], v[120:121], v[116:117], v[2:3]
	scratch_load_b128 v[114:117], off, off offset:176
	s_waitcnt lgkmcnt(0)
	v_fma_f64 v[2:3], v[122:123], v[128:129], v[2:3]
	s_waitcnt vmcnt(4)
	v_fma_f64 v[2:3], v[124:125], v[130:131], v[2:3]
	ds_load_2addr_b64 v[118:121], v1 offset0:67 offset1:68
	ds_load_2addr_b64 v[122:125], v1 offset0:69 offset1:70
	s_waitcnt lgkmcnt(1)
	v_fma_f64 v[2:3], v[126:127], v[118:119], v[2:3]
	scratch_load_b128 v[126:129], off, off offset:192
	s_waitcnt vmcnt(4)
	v_fma_f64 v[2:3], v[136:137], v[120:121], v[2:3]
	scratch_load_b128 v[118:121], off, off offset:208
	s_waitcnt lgkmcnt(0)
	v_fma_f64 v[2:3], v[138:139], v[122:123], v[2:3]
	s_waitcnt vmcnt(4)
	s_delay_alu instid0(VALU_DEP_1)
	v_fma_f64 v[2:3], v[110:111], v[124:125], v[2:3]
	ds_load_2addr_b64 v[122:125], v1 offset0:71 offset1:72
	ds_load_2addr_b64 v[136:139], v1 offset0:73 offset1:74
	s_waitcnt lgkmcnt(1)
	v_fma_f64 v[2:3], v[112:113], v[122:123], v[2:3]
	scratch_load_b128 v[110:113], off, off offset:224
	s_waitcnt vmcnt(4)
	v_fma_f64 v[2:3], v[132:133], v[124:125], v[2:3]
	scratch_load_b128 v[122:125], off, off offset:240
	s_waitcnt lgkmcnt(0)
	v_fma_f64 v[2:3], v[134:135], v[136:137], v[2:3]
	ds_load_2addr_b64 v[130:133], v1 offset0:75 offset1:76
	ds_load_2addr_b64 v[134:137], v1 offset0:77 offset1:78
	s_waitcnt vmcnt(4)
	v_fma_f64 v[2:3], v[114:115], v[138:139], v[2:3]
	s_waitcnt lgkmcnt(1)
	s_delay_alu instid0(VALU_DEP_1) | instskip(SKIP_4) | instid1(VALU_DEP_1)
	v_fma_f64 v[2:3], v[116:117], v[130:131], v[2:3]
	scratch_load_b128 v[114:117], off, off offset:256
	s_waitcnt vmcnt(4)
	v_fma_f64 v[2:3], v[126:127], v[132:133], v[2:3]
	s_waitcnt lgkmcnt(0)
	v_fma_f64 v[2:3], v[128:129], v[134:135], v[2:3]
	scratch_load_b128 v[126:129], off, off offset:272
	s_waitcnt vmcnt(4)
	v_fma_f64 v[2:3], v[118:119], v[136:137], v[2:3]
	ds_load_2addr_b64 v[130:133], v1 offset0:79 offset1:80
	ds_load_2addr_b64 v[134:137], v1 offset0:81 offset1:82
	s_waitcnt lgkmcnt(1)
	v_fma_f64 v[2:3], v[120:121], v[130:131], v[2:3]
	scratch_load_b128 v[118:121], off, off offset:288
	s_waitcnt vmcnt(4)
	v_fma_f64 v[2:3], v[110:111], v[132:133], v[2:3]
	s_waitcnt lgkmcnt(0)
	s_delay_alu instid0(VALU_DEP_1)
	v_fma_f64 v[2:3], v[112:113], v[134:135], v[2:3]
	scratch_load_b128 v[110:113], off, off offset:304
	s_waitcnt vmcnt(4)
	v_fma_f64 v[2:3], v[122:123], v[136:137], v[2:3]
	ds_load_2addr_b64 v[130:133], v1 offset0:83 offset1:84
	ds_load_2addr_b64 v[134:137], v1 offset0:85 offset1:86
	s_waitcnt lgkmcnt(1)
	v_fma_f64 v[2:3], v[124:125], v[130:131], v[2:3]
	scratch_load_b128 v[122:125], off, off offset:320
	s_waitcnt vmcnt(4)
	v_fma_f64 v[2:3], v[114:115], v[132:133], v[2:3]
	s_waitcnt lgkmcnt(0)
	s_delay_alu instid0(VALU_DEP_1)
	;; [unrolled: 13-line block ×4, first 2 shown]
	v_fma_f64 v[2:3], v[124:125], v[134:135], v[2:3]
	scratch_load_b64 v[134:135], off, off offset:400
	ds_load_2addr_b64 v[122:125], v1 offset0:95 offset1:96
	ds_load_2addr_b64 v[130:133], v1 offset0:97 offset1:98
	s_waitcnt vmcnt(4)
	v_fma_f64 v[2:3], v[114:115], v[136:137], v[2:3]
	s_waitcnt lgkmcnt(1)
	s_delay_alu instid0(VALU_DEP_1) | instskip(SKIP_1) | instid1(VALU_DEP_1)
	v_fma_f64 v[2:3], v[116:117], v[122:123], v[2:3]
	s_waitcnt vmcnt(3)
	v_fma_f64 v[2:3], v[126:127], v[124:125], v[2:3]
	s_waitcnt lgkmcnt(0)
	s_delay_alu instid0(VALU_DEP_1) | instskip(SKIP_1) | instid1(VALU_DEP_1)
	v_fma_f64 v[2:3], v[128:129], v[130:131], v[2:3]
	s_waitcnt vmcnt(2)
	v_fma_f64 v[118:119], v[118:119], v[132:133], v[2:3]
	ds_load_2addr_b64 v[114:117], v1 offset0:99 offset1:100
	ds_load_2addr_b64 v[1:4], v1 offset0:101 offset1:102
	s_waitcnt lgkmcnt(1)
	v_fma_f64 v[114:115], v[120:121], v[114:115], v[118:119]
	s_waitcnt vmcnt(1)
	s_delay_alu instid0(VALU_DEP_1) | instskip(SKIP_1) | instid1(VALU_DEP_1)
	v_fma_f64 v[110:111], v[110:111], v[116:117], v[114:115]
	s_waitcnt lgkmcnt(0)
	v_fma_f64 v[1:2], v[112:113], v[1:2], v[110:111]
	s_waitcnt vmcnt(0)
	s_delay_alu instid0(VALU_DEP_1) | instskip(NEXT) | instid1(VALU_DEP_1)
	v_fma_f64 v[1:2], v[134:135], v[3:4], v[1:2]
	v_add_f64 v[1:2], v[108:109], -v[1:2]
	scratch_store_b64 off, v[1:2], off offset:48
	v_cmpx_lt_u32_e32 5, v0
	s_cbranch_execz .LBB50_305
; %bb.304:
	scratch_load_b64 v[1:2], off, off offset:40
	v_mov_b32_e32 v3, 0
	s_delay_alu instid0(VALU_DEP_1)
	v_mov_b32_e32 v4, v3
	scratch_store_b64 off, v[3:4], off offset:40
	s_waitcnt vmcnt(0)
	ds_store_b64 v5, v[1:2]
.LBB50_305:
	s_or_b32 exec_lo, exec_lo, s0
	s_waitcnt lgkmcnt(0)
	s_waitcnt_vscnt null, 0x0
	s_barrier
	buffer_gl0_inv
	s_clause 0x4
	scratch_load_b128 v[1:4], off, off offset:40
	scratch_load_b128 v[109:112], off, off offset:56
	;; [unrolled: 1-line block ×5, first 2 shown]
	v_mov_b32_e32 v108, 0
	ds_load_b128 v[125:128], v108 offset:464
	ds_load_b128 v[129:132], v108 offset:480
	scratch_load_b128 v[133:136], off, off offset:120
	s_mov_b32 s0, exec_lo
	s_waitcnt vmcnt(5) lgkmcnt(1)
	v_fma_f64 v[3:4], v[3:4], v[125:126], 0
	s_waitcnt vmcnt(4)
	s_delay_alu instid0(VALU_DEP_1) | instskip(SKIP_1) | instid1(VALU_DEP_1)
	v_fma_f64 v[3:4], v[109:110], v[127:128], v[3:4]
	s_waitcnt lgkmcnt(0)
	v_fma_f64 v[3:4], v[111:112], v[129:130], v[3:4]
	scratch_load_b128 v[109:112], off, off offset:136
	s_waitcnt vmcnt(4)
	v_fma_f64 v[3:4], v[113:114], v[131:132], v[3:4]
	ds_load_b128 v[125:128], v108 offset:496
	ds_load_b128 v[129:132], v108 offset:512
	s_waitcnt lgkmcnt(1)
	v_fma_f64 v[3:4], v[115:116], v[125:126], v[3:4]
	scratch_load_b128 v[113:116], off, off offset:152
	s_waitcnt vmcnt(4)
	v_fma_f64 v[3:4], v[117:118], v[127:128], v[3:4]
	s_waitcnt lgkmcnt(0)
	s_delay_alu instid0(VALU_DEP_1)
	v_fma_f64 v[3:4], v[119:120], v[129:130], v[3:4]
	scratch_load_b128 v[117:120], off, off offset:168
	s_waitcnt vmcnt(4)
	v_fma_f64 v[3:4], v[121:122], v[131:132], v[3:4]
	ds_load_b128 v[125:128], v108 offset:528
	ds_load_b128 v[129:132], v108 offset:544
	s_waitcnt lgkmcnt(1)
	v_fma_f64 v[3:4], v[123:124], v[125:126], v[3:4]
	scratch_load_b128 v[121:124], off, off offset:184
	s_waitcnt vmcnt(4)
	v_fma_f64 v[3:4], v[133:134], v[127:128], v[3:4]
	scratch_load_b128 v[125:128], off, off offset:200
	s_waitcnt lgkmcnt(0)
	v_fma_f64 v[3:4], v[135:136], v[129:130], v[3:4]
	s_waitcnt vmcnt(4)
	s_delay_alu instid0(VALU_DEP_1)
	v_fma_f64 v[3:4], v[109:110], v[131:132], v[3:4]
	ds_load_b128 v[129:132], v108 offset:560
	ds_load_b128 v[133:136], v108 offset:576
	s_waitcnt lgkmcnt(1)
	v_fma_f64 v[3:4], v[111:112], v[129:130], v[3:4]
	scratch_load_b128 v[109:112], off, off offset:216
	s_waitcnt vmcnt(4)
	v_fma_f64 v[3:4], v[113:114], v[131:132], v[3:4]
	s_waitcnt lgkmcnt(0)
	s_delay_alu instid0(VALU_DEP_1)
	v_fma_f64 v[3:4], v[115:116], v[133:134], v[3:4]
	scratch_load_b128 v[113:116], off, off offset:232
	s_waitcnt vmcnt(4)
	v_fma_f64 v[3:4], v[117:118], v[135:136], v[3:4]
	ds_load_b128 v[129:132], v108 offset:592
	ds_load_b128 v[133:136], v108 offset:608
	s_waitcnt lgkmcnt(1)
	v_fma_f64 v[3:4], v[119:120], v[129:130], v[3:4]
	scratch_load_b128 v[117:120], off, off offset:248
	s_waitcnt vmcnt(4)
	v_fma_f64 v[3:4], v[121:122], v[131:132], v[3:4]
	s_waitcnt lgkmcnt(0)
	s_delay_alu instid0(VALU_DEP_1)
	v_fma_f64 v[3:4], v[123:124], v[133:134], v[3:4]
	scratch_load_b128 v[121:124], off, off offset:264
	s_waitcnt vmcnt(4)
	;; [unrolled: 13-line block ×6, first 2 shown]
	v_fma_f64 v[3:4], v[117:118], v[135:136], v[3:4]
	ds_load_b128 v[129:132], v108 offset:752
	ds_load_b128 v[133:136], v108 offset:768
	s_waitcnt lgkmcnt(1)
	v_fma_f64 v[3:4], v[119:120], v[129:130], v[3:4]
	s_waitcnt vmcnt(3)
	s_delay_alu instid0(VALU_DEP_1) | instskip(SKIP_1) | instid1(VALU_DEP_1)
	v_fma_f64 v[3:4], v[121:122], v[131:132], v[3:4]
	s_waitcnt lgkmcnt(0)
	v_fma_f64 v[3:4], v[123:124], v[133:134], v[3:4]
	ds_load_b128 v[117:120], v108 offset:784
	ds_load_b128 v[121:124], v108 offset:800
	s_waitcnt vmcnt(2)
	v_fma_f64 v[3:4], v[125:126], v[135:136], v[3:4]
	s_waitcnt lgkmcnt(1)
	s_delay_alu instid0(VALU_DEP_1) | instskip(SKIP_1) | instid1(VALU_DEP_1)
	v_fma_f64 v[3:4], v[127:128], v[117:118], v[3:4]
	s_waitcnt vmcnt(1)
	v_fma_f64 v[3:4], v[109:110], v[119:120], v[3:4]
	ds_load_b64 v[109:110], v108 offset:816
	s_waitcnt lgkmcnt(1)
	v_fma_f64 v[3:4], v[111:112], v[121:122], v[3:4]
	s_waitcnt vmcnt(0)
	s_delay_alu instid0(VALU_DEP_1) | instskip(SKIP_1) | instid1(VALU_DEP_1)
	v_fma_f64 v[3:4], v[113:114], v[123:124], v[3:4]
	s_waitcnt lgkmcnt(0)
	v_fma_f64 v[3:4], v[115:116], v[109:110], v[3:4]
	s_delay_alu instid0(VALU_DEP_1)
	v_add_f64 v[1:2], v[1:2], -v[3:4]
	scratch_store_b64 off, v[1:2], off offset:40
	v_cmpx_lt_u32_e32 4, v0
	s_cbranch_execz .LBB50_307
; %bb.306:
	scratch_load_b64 v[1:2], off, off offset:32
	v_mov_b32_e32 v109, v108
	scratch_store_b64 off, v[108:109], off offset:32
	s_waitcnt vmcnt(0)
	ds_store_b64 v5, v[1:2]
.LBB50_307:
	s_or_b32 exec_lo, exec_lo, s0
	s_waitcnt lgkmcnt(0)
	s_waitcnt_vscnt null, 0x0
	s_barrier
	buffer_gl0_inv
	s_clause 0x4
	scratch_load_b128 v[1:4], off, off offset:32
	scratch_load_b128 v[109:112], off, off offset:48
	;; [unrolled: 1-line block ×5, first 2 shown]
	ds_load_2addr_b64 v[125:128], v108 offset0:57 offset1:58
	ds_load_2addr_b64 v[129:132], v108 offset0:59 offset1:60
	scratch_load_b128 v[133:136], off, off offset:112
	s_mov_b32 s0, exec_lo
	s_waitcnt vmcnt(5) lgkmcnt(1)
	v_fma_f64 v[3:4], v[3:4], v[125:126], 0
	s_waitcnt vmcnt(4)
	s_delay_alu instid0(VALU_DEP_1) | instskip(SKIP_1) | instid1(VALU_DEP_1)
	v_fma_f64 v[3:4], v[109:110], v[127:128], v[3:4]
	s_waitcnt lgkmcnt(0)
	v_fma_f64 v[3:4], v[111:112], v[129:130], v[3:4]
	scratch_load_b128 v[109:112], off, off offset:128
	s_waitcnt vmcnt(4)
	v_fma_f64 v[3:4], v[113:114], v[131:132], v[3:4]
	ds_load_2addr_b64 v[125:128], v108 offset0:61 offset1:62
	ds_load_2addr_b64 v[129:132], v108 offset0:63 offset1:64
	s_waitcnt lgkmcnt(1)
	v_fma_f64 v[3:4], v[115:116], v[125:126], v[3:4]
	scratch_load_b128 v[113:116], off, off offset:144
	s_waitcnt vmcnt(4)
	v_fma_f64 v[3:4], v[117:118], v[127:128], v[3:4]
	s_waitcnt lgkmcnt(0)
	s_delay_alu instid0(VALU_DEP_1)
	v_fma_f64 v[3:4], v[119:120], v[129:130], v[3:4]
	scratch_load_b128 v[117:120], off, off offset:160
	s_waitcnt vmcnt(4)
	v_fma_f64 v[3:4], v[121:122], v[131:132], v[3:4]
	ds_load_2addr_b64 v[125:128], v108 offset0:65 offset1:66
	ds_load_2addr_b64 v[129:132], v108 offset0:67 offset1:68
	s_waitcnt lgkmcnt(1)
	v_fma_f64 v[3:4], v[123:124], v[125:126], v[3:4]
	scratch_load_b128 v[121:124], off, off offset:176
	s_waitcnt vmcnt(4)
	v_fma_f64 v[3:4], v[133:134], v[127:128], v[3:4]
	scratch_load_b128 v[125:128], off, off offset:192
	s_waitcnt lgkmcnt(0)
	v_fma_f64 v[3:4], v[135:136], v[129:130], v[3:4]
	s_waitcnt vmcnt(4)
	s_delay_alu instid0(VALU_DEP_1)
	v_fma_f64 v[3:4], v[109:110], v[131:132], v[3:4]
	ds_load_2addr_b64 v[129:132], v108 offset0:69 offset1:70
	ds_load_2addr_b64 v[133:136], v108 offset0:71 offset1:72
	s_waitcnt lgkmcnt(1)
	v_fma_f64 v[3:4], v[111:112], v[129:130], v[3:4]
	scratch_load_b128 v[109:112], off, off offset:208
	s_waitcnt vmcnt(4)
	v_fma_f64 v[3:4], v[113:114], v[131:132], v[3:4]
	s_waitcnt lgkmcnt(0)
	s_delay_alu instid0(VALU_DEP_1)
	v_fma_f64 v[3:4], v[115:116], v[133:134], v[3:4]
	scratch_load_b128 v[113:116], off, off offset:224
	s_waitcnt vmcnt(4)
	v_fma_f64 v[3:4], v[117:118], v[135:136], v[3:4]
	ds_load_2addr_b64 v[129:132], v108 offset0:73 offset1:74
	ds_load_2addr_b64 v[133:136], v108 offset0:75 offset1:76
	s_waitcnt lgkmcnt(1)
	v_fma_f64 v[3:4], v[119:120], v[129:130], v[3:4]
	scratch_load_b128 v[117:120], off, off offset:240
	s_waitcnt vmcnt(4)
	v_fma_f64 v[3:4], v[121:122], v[131:132], v[3:4]
	s_waitcnt lgkmcnt(0)
	s_delay_alu instid0(VALU_DEP_1)
	v_fma_f64 v[3:4], v[123:124], v[133:134], v[3:4]
	scratch_load_b128 v[121:124], off, off offset:256
	s_waitcnt vmcnt(4)
	;; [unrolled: 13-line block ×6, first 2 shown]
	v_fma_f64 v[3:4], v[117:118], v[135:136], v[3:4]
	ds_load_2addr_b64 v[129:132], v108 offset0:93 offset1:94
	ds_load_2addr_b64 v[133:136], v108 offset0:95 offset1:96
	s_waitcnt lgkmcnt(1)
	v_fma_f64 v[3:4], v[119:120], v[129:130], v[3:4]
	scratch_load_b64 v[129:130], off, off offset:400
	s_waitcnt vmcnt(4)
	v_fma_f64 v[3:4], v[121:122], v[131:132], v[3:4]
	s_waitcnt lgkmcnt(0)
	s_delay_alu instid0(VALU_DEP_1)
	v_fma_f64 v[3:4], v[123:124], v[133:134], v[3:4]
	ds_load_2addr_b64 v[117:120], v108 offset0:97 offset1:98
	ds_load_2addr_b64 v[121:124], v108 offset0:99 offset1:100
	s_waitcnt vmcnt(3)
	v_fma_f64 v[3:4], v[125:126], v[135:136], v[3:4]
	s_waitcnt lgkmcnt(1)
	s_delay_alu instid0(VALU_DEP_1) | instskip(SKIP_1) | instid1(VALU_DEP_1)
	v_fma_f64 v[3:4], v[127:128], v[117:118], v[3:4]
	s_waitcnt vmcnt(2)
	v_fma_f64 v[3:4], v[109:110], v[119:120], v[3:4]
	s_waitcnt lgkmcnt(0)
	s_delay_alu instid0(VALU_DEP_1) | instskip(SKIP_4) | instid1(VALU_DEP_1)
	v_fma_f64 v[3:4], v[111:112], v[121:122], v[3:4]
	ds_load_2addr_b64 v[108:111], v108 offset0:101 offset1:102
	s_waitcnt vmcnt(1)
	v_fma_f64 v[3:4], v[113:114], v[123:124], v[3:4]
	s_waitcnt lgkmcnt(0)
	v_fma_f64 v[3:4], v[115:116], v[108:109], v[3:4]
	s_waitcnt vmcnt(0)
	s_delay_alu instid0(VALU_DEP_1) | instskip(NEXT) | instid1(VALU_DEP_1)
	v_fma_f64 v[3:4], v[129:130], v[110:111], v[3:4]
	v_add_f64 v[1:2], v[1:2], -v[3:4]
	scratch_store_b64 off, v[1:2], off offset:32
	v_cmpx_lt_u32_e32 3, v0
	s_cbranch_execz .LBB50_309
; %bb.308:
	scratch_load_b64 v[1:2], off, off offset:24
	v_mov_b32_e32 v3, 0
	s_delay_alu instid0(VALU_DEP_1)
	v_mov_b32_e32 v4, v3
	scratch_store_b64 off, v[3:4], off offset:24
	s_waitcnt vmcnt(0)
	ds_store_b64 v5, v[1:2]
.LBB50_309:
	s_or_b32 exec_lo, exec_lo, s0
	s_waitcnt lgkmcnt(0)
	s_waitcnt_vscnt null, 0x0
	s_barrier
	buffer_gl0_inv
	s_clause 0x4
	scratch_load_b128 v[1:4], off, off offset:24
	scratch_load_b128 v[109:112], off, off offset:40
	;; [unrolled: 1-line block ×5, first 2 shown]
	v_mov_b32_e32 v108, 0
	ds_load_b128 v[125:128], v108 offset:448
	ds_load_b128 v[129:132], v108 offset:464
	scratch_load_b128 v[133:136], off, off offset:104
	s_mov_b32 s0, exec_lo
	s_waitcnt vmcnt(5) lgkmcnt(1)
	v_fma_f64 v[3:4], v[3:4], v[125:126], 0
	s_waitcnt vmcnt(4)
	s_delay_alu instid0(VALU_DEP_1) | instskip(SKIP_1) | instid1(VALU_DEP_1)
	v_fma_f64 v[3:4], v[109:110], v[127:128], v[3:4]
	s_waitcnt lgkmcnt(0)
	v_fma_f64 v[3:4], v[111:112], v[129:130], v[3:4]
	scratch_load_b128 v[109:112], off, off offset:120
	s_waitcnt vmcnt(4)
	v_fma_f64 v[3:4], v[113:114], v[131:132], v[3:4]
	ds_load_b128 v[125:128], v108 offset:480
	ds_load_b128 v[129:132], v108 offset:496
	s_waitcnt lgkmcnt(1)
	v_fma_f64 v[3:4], v[115:116], v[125:126], v[3:4]
	scratch_load_b128 v[113:116], off, off offset:136
	s_waitcnt vmcnt(4)
	v_fma_f64 v[3:4], v[117:118], v[127:128], v[3:4]
	s_waitcnt lgkmcnt(0)
	s_delay_alu instid0(VALU_DEP_1)
	v_fma_f64 v[3:4], v[119:120], v[129:130], v[3:4]
	scratch_load_b128 v[117:120], off, off offset:152
	s_waitcnt vmcnt(4)
	v_fma_f64 v[3:4], v[121:122], v[131:132], v[3:4]
	ds_load_b128 v[125:128], v108 offset:512
	ds_load_b128 v[129:132], v108 offset:528
	s_waitcnt lgkmcnt(1)
	v_fma_f64 v[3:4], v[123:124], v[125:126], v[3:4]
	scratch_load_b128 v[121:124], off, off offset:168
	s_waitcnt vmcnt(4)
	v_fma_f64 v[3:4], v[133:134], v[127:128], v[3:4]
	scratch_load_b128 v[125:128], off, off offset:184
	s_waitcnt lgkmcnt(0)
	v_fma_f64 v[3:4], v[135:136], v[129:130], v[3:4]
	s_waitcnt vmcnt(4)
	s_delay_alu instid0(VALU_DEP_1)
	v_fma_f64 v[3:4], v[109:110], v[131:132], v[3:4]
	ds_load_b128 v[129:132], v108 offset:544
	ds_load_b128 v[133:136], v108 offset:560
	s_waitcnt lgkmcnt(1)
	v_fma_f64 v[3:4], v[111:112], v[129:130], v[3:4]
	scratch_load_b128 v[109:112], off, off offset:200
	s_waitcnt vmcnt(4)
	v_fma_f64 v[3:4], v[113:114], v[131:132], v[3:4]
	s_waitcnt lgkmcnt(0)
	s_delay_alu instid0(VALU_DEP_1)
	v_fma_f64 v[3:4], v[115:116], v[133:134], v[3:4]
	scratch_load_b128 v[113:116], off, off offset:216
	s_waitcnt vmcnt(4)
	v_fma_f64 v[3:4], v[117:118], v[135:136], v[3:4]
	ds_load_b128 v[129:132], v108 offset:576
	ds_load_b128 v[133:136], v108 offset:592
	s_waitcnt lgkmcnt(1)
	v_fma_f64 v[3:4], v[119:120], v[129:130], v[3:4]
	scratch_load_b128 v[117:120], off, off offset:232
	s_waitcnt vmcnt(4)
	v_fma_f64 v[3:4], v[121:122], v[131:132], v[3:4]
	s_waitcnt lgkmcnt(0)
	s_delay_alu instid0(VALU_DEP_1)
	v_fma_f64 v[3:4], v[123:124], v[133:134], v[3:4]
	scratch_load_b128 v[121:124], off, off offset:248
	s_waitcnt vmcnt(4)
	;; [unrolled: 13-line block ×6, first 2 shown]
	v_fma_f64 v[3:4], v[117:118], v[135:136], v[3:4]
	ds_load_b128 v[129:132], v108 offset:736
	ds_load_b128 v[133:136], v108 offset:752
	s_waitcnt lgkmcnt(1)
	v_fma_f64 v[3:4], v[119:120], v[129:130], v[3:4]
	scratch_load_b128 v[117:120], off, off offset:392
	s_waitcnt vmcnt(4)
	v_fma_f64 v[3:4], v[121:122], v[131:132], v[3:4]
	s_waitcnt lgkmcnt(0)
	s_delay_alu instid0(VALU_DEP_1)
	v_fma_f64 v[3:4], v[123:124], v[133:134], v[3:4]
	ds_load_b128 v[121:124], v108 offset:768
	ds_load_b128 v[129:132], v108 offset:784
	s_waitcnt vmcnt(3)
	v_fma_f64 v[3:4], v[125:126], v[135:136], v[3:4]
	s_waitcnt lgkmcnt(1)
	s_delay_alu instid0(VALU_DEP_1) | instskip(SKIP_1) | instid1(VALU_DEP_1)
	v_fma_f64 v[3:4], v[127:128], v[121:122], v[3:4]
	s_waitcnt vmcnt(2)
	v_fma_f64 v[3:4], v[109:110], v[123:124], v[3:4]
	s_waitcnt lgkmcnt(0)
	s_delay_alu instid0(VALU_DEP_1) | instskip(SKIP_1) | instid1(VALU_DEP_1)
	v_fma_f64 v[3:4], v[111:112], v[129:130], v[3:4]
	s_waitcnt vmcnt(1)
	v_fma_f64 v[3:4], v[113:114], v[131:132], v[3:4]
	ds_load_b128 v[109:112], v108 offset:800
	ds_load_b64 v[113:114], v108 offset:816
	s_waitcnt lgkmcnt(1)
	v_fma_f64 v[3:4], v[115:116], v[109:110], v[3:4]
	s_waitcnt vmcnt(0)
	s_delay_alu instid0(VALU_DEP_1) | instskip(SKIP_1) | instid1(VALU_DEP_1)
	v_fma_f64 v[3:4], v[117:118], v[111:112], v[3:4]
	s_waitcnt lgkmcnt(0)
	v_fma_f64 v[3:4], v[119:120], v[113:114], v[3:4]
	s_delay_alu instid0(VALU_DEP_1)
	v_add_f64 v[1:2], v[1:2], -v[3:4]
	scratch_store_b64 off, v[1:2], off offset:24
	v_cmpx_lt_u32_e32 2, v0
	s_cbranch_execz .LBB50_311
; %bb.310:
	scratch_load_b64 v[1:2], off, off offset:16
	v_mov_b32_e32 v109, v108
	scratch_store_b64 off, v[108:109], off offset:16
	s_waitcnt vmcnt(0)
	ds_store_b64 v5, v[1:2]
.LBB50_311:
	s_or_b32 exec_lo, exec_lo, s0
	s_waitcnt lgkmcnt(0)
	s_waitcnt_vscnt null, 0x0
	s_barrier
	buffer_gl0_inv
	s_clause 0x4
	scratch_load_b128 v[1:4], off, off offset:16
	scratch_load_b128 v[109:112], off, off offset:32
	;; [unrolled: 1-line block ×5, first 2 shown]
	ds_load_2addr_b64 v[125:128], v108 offset0:55 offset1:56
	ds_load_2addr_b64 v[129:132], v108 offset0:57 offset1:58
	scratch_load_b128 v[133:136], off, off offset:96
	s_mov_b32 s0, exec_lo
	s_waitcnt vmcnt(5) lgkmcnt(1)
	v_fma_f64 v[3:4], v[3:4], v[125:126], 0
	s_waitcnt vmcnt(4)
	s_delay_alu instid0(VALU_DEP_1) | instskip(SKIP_1) | instid1(VALU_DEP_1)
	v_fma_f64 v[3:4], v[109:110], v[127:128], v[3:4]
	s_waitcnt lgkmcnt(0)
	v_fma_f64 v[3:4], v[111:112], v[129:130], v[3:4]
	scratch_load_b128 v[109:112], off, off offset:112
	s_waitcnt vmcnt(4)
	v_fma_f64 v[3:4], v[113:114], v[131:132], v[3:4]
	ds_load_2addr_b64 v[125:128], v108 offset0:59 offset1:60
	ds_load_2addr_b64 v[129:132], v108 offset0:61 offset1:62
	s_waitcnt lgkmcnt(1)
	v_fma_f64 v[3:4], v[115:116], v[125:126], v[3:4]
	scratch_load_b128 v[113:116], off, off offset:128
	s_waitcnt vmcnt(4)
	v_fma_f64 v[3:4], v[117:118], v[127:128], v[3:4]
	s_waitcnt lgkmcnt(0)
	s_delay_alu instid0(VALU_DEP_1)
	v_fma_f64 v[3:4], v[119:120], v[129:130], v[3:4]
	scratch_load_b128 v[117:120], off, off offset:144
	s_waitcnt vmcnt(4)
	v_fma_f64 v[3:4], v[121:122], v[131:132], v[3:4]
	ds_load_2addr_b64 v[125:128], v108 offset0:63 offset1:64
	ds_load_2addr_b64 v[129:132], v108 offset0:65 offset1:66
	s_waitcnt lgkmcnt(1)
	v_fma_f64 v[3:4], v[123:124], v[125:126], v[3:4]
	scratch_load_b128 v[121:124], off, off offset:160
	s_waitcnt vmcnt(4)
	v_fma_f64 v[3:4], v[133:134], v[127:128], v[3:4]
	scratch_load_b128 v[125:128], off, off offset:176
	s_waitcnt lgkmcnt(0)
	v_fma_f64 v[3:4], v[135:136], v[129:130], v[3:4]
	s_waitcnt vmcnt(4)
	s_delay_alu instid0(VALU_DEP_1)
	v_fma_f64 v[3:4], v[109:110], v[131:132], v[3:4]
	ds_load_2addr_b64 v[129:132], v108 offset0:67 offset1:68
	ds_load_2addr_b64 v[133:136], v108 offset0:69 offset1:70
	s_waitcnt lgkmcnt(1)
	v_fma_f64 v[3:4], v[111:112], v[129:130], v[3:4]
	scratch_load_b128 v[109:112], off, off offset:192
	s_waitcnt vmcnt(4)
	v_fma_f64 v[3:4], v[113:114], v[131:132], v[3:4]
	s_waitcnt lgkmcnt(0)
	s_delay_alu instid0(VALU_DEP_1)
	v_fma_f64 v[3:4], v[115:116], v[133:134], v[3:4]
	scratch_load_b128 v[113:116], off, off offset:208
	s_waitcnt vmcnt(4)
	v_fma_f64 v[3:4], v[117:118], v[135:136], v[3:4]
	ds_load_2addr_b64 v[129:132], v108 offset0:71 offset1:72
	ds_load_2addr_b64 v[133:136], v108 offset0:73 offset1:74
	s_waitcnt lgkmcnt(1)
	v_fma_f64 v[3:4], v[119:120], v[129:130], v[3:4]
	scratch_load_b128 v[117:120], off, off offset:224
	s_waitcnt vmcnt(4)
	v_fma_f64 v[3:4], v[121:122], v[131:132], v[3:4]
	s_waitcnt lgkmcnt(0)
	s_delay_alu instid0(VALU_DEP_1)
	v_fma_f64 v[3:4], v[123:124], v[133:134], v[3:4]
	scratch_load_b128 v[121:124], off, off offset:240
	s_waitcnt vmcnt(4)
	;; [unrolled: 13-line block ×6, first 2 shown]
	v_fma_f64 v[3:4], v[117:118], v[135:136], v[3:4]
	ds_load_2addr_b64 v[129:132], v108 offset0:91 offset1:92
	ds_load_2addr_b64 v[133:136], v108 offset0:93 offset1:94
	s_waitcnt lgkmcnt(1)
	v_fma_f64 v[3:4], v[119:120], v[129:130], v[3:4]
	scratch_load_b128 v[117:120], off, off offset:384
	s_waitcnt vmcnt(4)
	v_fma_f64 v[3:4], v[121:122], v[131:132], v[3:4]
	s_waitcnt lgkmcnt(0)
	s_delay_alu instid0(VALU_DEP_1)
	v_fma_f64 v[3:4], v[123:124], v[133:134], v[3:4]
	scratch_load_b64 v[133:134], off, off offset:400
	ds_load_2addr_b64 v[121:124], v108 offset0:95 offset1:96
	ds_load_2addr_b64 v[129:132], v108 offset0:97 offset1:98
	s_waitcnt vmcnt(4)
	v_fma_f64 v[3:4], v[125:126], v[135:136], v[3:4]
	s_waitcnt lgkmcnt(1)
	s_delay_alu instid0(VALU_DEP_1) | instskip(SKIP_1) | instid1(VALU_DEP_1)
	v_fma_f64 v[3:4], v[127:128], v[121:122], v[3:4]
	s_waitcnt vmcnt(3)
	v_fma_f64 v[3:4], v[109:110], v[123:124], v[3:4]
	s_waitcnt lgkmcnt(0)
	s_delay_alu instid0(VALU_DEP_1)
	v_fma_f64 v[3:4], v[111:112], v[129:130], v[3:4]
	ds_load_2addr_b64 v[109:112], v108 offset0:99 offset1:100
	ds_load_2addr_b64 v[121:124], v108 offset0:101 offset1:102
	s_waitcnt vmcnt(2)
	v_fma_f64 v[3:4], v[113:114], v[131:132], v[3:4]
	s_waitcnt lgkmcnt(1)
	s_delay_alu instid0(VALU_DEP_1) | instskip(SKIP_1) | instid1(VALU_DEP_1)
	v_fma_f64 v[3:4], v[115:116], v[109:110], v[3:4]
	s_waitcnt vmcnt(1)
	v_fma_f64 v[3:4], v[117:118], v[111:112], v[3:4]
	s_waitcnt lgkmcnt(0)
	s_delay_alu instid0(VALU_DEP_1) | instskip(SKIP_1) | instid1(VALU_DEP_1)
	v_fma_f64 v[3:4], v[119:120], v[121:122], v[3:4]
	s_waitcnt vmcnt(0)
	v_fma_f64 v[3:4], v[133:134], v[123:124], v[3:4]
	s_delay_alu instid0(VALU_DEP_1)
	v_add_f64 v[1:2], v[1:2], -v[3:4]
	scratch_store_b64 off, v[1:2], off offset:16
	v_cmpx_lt_u32_e32 1, v0
	s_cbranch_execz .LBB50_313
; %bb.312:
	scratch_load_b64 v[1:2], off, off offset:8
	v_mov_b32_e32 v3, 0
	s_delay_alu instid0(VALU_DEP_1)
	v_mov_b32_e32 v4, v3
	scratch_store_b64 off, v[3:4], off offset:8
	s_waitcnt vmcnt(0)
	ds_store_b64 v5, v[1:2]
.LBB50_313:
	s_or_b32 exec_lo, exec_lo, s0
	s_waitcnt lgkmcnt(0)
	s_waitcnt_vscnt null, 0x0
	s_barrier
	buffer_gl0_inv
	s_clause 0x4
	scratch_load_b128 v[1:4], off, off offset:8
	scratch_load_b128 v[109:112], off, off offset:24
	;; [unrolled: 1-line block ×5, first 2 shown]
	v_mov_b32_e32 v108, 0
	ds_load_b128 v[125:128], v108 offset:432
	ds_load_b128 v[129:132], v108 offset:448
	scratch_load_b128 v[133:136], off, off offset:88
	s_mov_b32 s0, exec_lo
	s_waitcnt vmcnt(5) lgkmcnt(1)
	v_fma_f64 v[3:4], v[3:4], v[125:126], 0
	s_waitcnt vmcnt(4)
	s_delay_alu instid0(VALU_DEP_1) | instskip(SKIP_1) | instid1(VALU_DEP_1)
	v_fma_f64 v[3:4], v[109:110], v[127:128], v[3:4]
	s_waitcnt lgkmcnt(0)
	v_fma_f64 v[3:4], v[111:112], v[129:130], v[3:4]
	scratch_load_b128 v[109:112], off, off offset:104
	s_waitcnt vmcnt(4)
	v_fma_f64 v[3:4], v[113:114], v[131:132], v[3:4]
	ds_load_b128 v[125:128], v108 offset:464
	ds_load_b128 v[129:132], v108 offset:480
	s_waitcnt lgkmcnt(1)
	v_fma_f64 v[3:4], v[115:116], v[125:126], v[3:4]
	scratch_load_b128 v[113:116], off, off offset:120
	s_waitcnt vmcnt(4)
	v_fma_f64 v[3:4], v[117:118], v[127:128], v[3:4]
	s_waitcnt lgkmcnt(0)
	s_delay_alu instid0(VALU_DEP_1)
	v_fma_f64 v[3:4], v[119:120], v[129:130], v[3:4]
	scratch_load_b128 v[117:120], off, off offset:136
	s_waitcnt vmcnt(4)
	v_fma_f64 v[3:4], v[121:122], v[131:132], v[3:4]
	ds_load_b128 v[125:128], v108 offset:496
	ds_load_b128 v[129:132], v108 offset:512
	s_waitcnt lgkmcnt(1)
	v_fma_f64 v[3:4], v[123:124], v[125:126], v[3:4]
	scratch_load_b128 v[121:124], off, off offset:152
	s_waitcnt vmcnt(4)
	v_fma_f64 v[3:4], v[133:134], v[127:128], v[3:4]
	scratch_load_b128 v[125:128], off, off offset:168
	s_waitcnt lgkmcnt(0)
	v_fma_f64 v[3:4], v[135:136], v[129:130], v[3:4]
	s_waitcnt vmcnt(4)
	s_delay_alu instid0(VALU_DEP_1)
	v_fma_f64 v[3:4], v[109:110], v[131:132], v[3:4]
	ds_load_b128 v[129:132], v108 offset:528
	ds_load_b128 v[133:136], v108 offset:544
	s_waitcnt lgkmcnt(1)
	v_fma_f64 v[3:4], v[111:112], v[129:130], v[3:4]
	scratch_load_b128 v[109:112], off, off offset:184
	s_waitcnt vmcnt(4)
	v_fma_f64 v[3:4], v[113:114], v[131:132], v[3:4]
	s_waitcnt lgkmcnt(0)
	s_delay_alu instid0(VALU_DEP_1)
	v_fma_f64 v[3:4], v[115:116], v[133:134], v[3:4]
	scratch_load_b128 v[113:116], off, off offset:200
	s_waitcnt vmcnt(4)
	v_fma_f64 v[3:4], v[117:118], v[135:136], v[3:4]
	ds_load_b128 v[129:132], v108 offset:560
	ds_load_b128 v[133:136], v108 offset:576
	s_waitcnt lgkmcnt(1)
	v_fma_f64 v[3:4], v[119:120], v[129:130], v[3:4]
	scratch_load_b128 v[117:120], off, off offset:216
	s_waitcnt vmcnt(4)
	v_fma_f64 v[3:4], v[121:122], v[131:132], v[3:4]
	s_waitcnt lgkmcnt(0)
	s_delay_alu instid0(VALU_DEP_1)
	v_fma_f64 v[3:4], v[123:124], v[133:134], v[3:4]
	scratch_load_b128 v[121:124], off, off offset:232
	s_waitcnt vmcnt(4)
	;; [unrolled: 13-line block ×7, first 2 shown]
	v_fma_f64 v[3:4], v[125:126], v[135:136], v[3:4]
	ds_load_b128 v[129:132], v108 offset:752
	ds_load_b128 v[133:136], v108 offset:768
	s_waitcnt lgkmcnt(1)
	v_fma_f64 v[3:4], v[127:128], v[129:130], v[3:4]
	s_waitcnt vmcnt(3)
	s_delay_alu instid0(VALU_DEP_1) | instskip(SKIP_1) | instid1(VALU_DEP_1)
	v_fma_f64 v[3:4], v[109:110], v[131:132], v[3:4]
	s_waitcnt lgkmcnt(0)
	v_fma_f64 v[3:4], v[111:112], v[133:134], v[3:4]
	ds_load_b128 v[109:112], v108 offset:784
	ds_load_b128 v[125:128], v108 offset:800
	s_waitcnt vmcnt(2)
	v_fma_f64 v[3:4], v[113:114], v[135:136], v[3:4]
	s_waitcnt lgkmcnt(1)
	s_delay_alu instid0(VALU_DEP_1) | instskip(SKIP_4) | instid1(VALU_DEP_1)
	v_fma_f64 v[3:4], v[115:116], v[109:110], v[3:4]
	ds_load_b64 v[109:110], v108 offset:816
	s_waitcnt vmcnt(1)
	v_fma_f64 v[3:4], v[117:118], v[111:112], v[3:4]
	s_waitcnt lgkmcnt(1)
	v_fma_f64 v[3:4], v[119:120], v[125:126], v[3:4]
	s_waitcnt vmcnt(0)
	s_delay_alu instid0(VALU_DEP_1) | instskip(SKIP_1) | instid1(VALU_DEP_1)
	v_fma_f64 v[3:4], v[121:122], v[127:128], v[3:4]
	s_waitcnt lgkmcnt(0)
	v_fma_f64 v[3:4], v[123:124], v[109:110], v[3:4]
	s_delay_alu instid0(VALU_DEP_1)
	v_add_f64 v[1:2], v[1:2], -v[3:4]
	scratch_store_b64 off, v[1:2], off offset:8
	v_cmpx_ne_u32_e32 0, v0
	s_cbranch_execz .LBB50_315
; %bb.314:
	scratch_load_b64 v[0:1], off, off
	v_mov_b32_e32 v109, v108
	scratch_store_b64 off, v[108:109], off
	s_waitcnt vmcnt(0)
	ds_store_b64 v5, v[0:1]
.LBB50_315:
	s_or_b32 exec_lo, exec_lo, s0
	s_waitcnt lgkmcnt(0)
	s_waitcnt_vscnt null, 0x0
	s_barrier
	buffer_gl0_inv
	s_clause 0x4
	scratch_load_b128 v[0:3], off, off
	scratch_load_b128 v[109:112], off, off offset:16
	scratch_load_b128 v[113:116], off, off offset:32
	;; [unrolled: 1-line block ×4, first 2 shown]
	ds_load_2addr_b64 v[125:128], v108 offset0:53 offset1:54
	ds_load_2addr_b64 v[129:132], v108 offset0:55 offset1:56
	s_and_b32 vcc_lo, exec_lo, s16
	s_waitcnt vmcnt(4) lgkmcnt(1)
	v_fma_f64 v[125:126], v[2:3], v[125:126], 0
	scratch_load_b128 v[2:5], off, off offset:80
	s_waitcnt vmcnt(4)
	v_fma_f64 v[109:110], v[109:110], v[127:128], v[125:126]
	s_waitcnt lgkmcnt(0)
	s_delay_alu instid0(VALU_DEP_1)
	v_fma_f64 v[125:126], v[111:112], v[129:130], v[109:110]
	scratch_load_b128 v[109:112], off, off offset:96
	s_waitcnt vmcnt(4)
	v_fma_f64 v[113:114], v[113:114], v[131:132], v[125:126]
	ds_load_2addr_b64 v[125:128], v108 offset0:57 offset1:58
	ds_load_2addr_b64 v[129:132], v108 offset0:59 offset1:60
	s_waitcnt lgkmcnt(1)
	v_fma_f64 v[125:126], v[115:116], v[125:126], v[113:114]
	scratch_load_b128 v[113:116], off, off offset:112
	s_waitcnt vmcnt(4)
	v_fma_f64 v[117:118], v[117:118], v[127:128], v[125:126]
	s_waitcnt lgkmcnt(0)
	s_delay_alu instid0(VALU_DEP_1)
	v_fma_f64 v[125:126], v[119:120], v[129:130], v[117:118]
	scratch_load_b128 v[117:120], off, off offset:128
	s_waitcnt vmcnt(4)
	v_fma_f64 v[121:122], v[121:122], v[131:132], v[125:126]
	ds_load_2addr_b64 v[125:128], v108 offset0:61 offset1:62
	ds_load_2addr_b64 v[129:132], v108 offset0:63 offset1:64
	s_waitcnt lgkmcnt(1)
	;; [unrolled: 13-line block ×7, first 2 shown]
	v_fma_f64 v[125:126], v[123:124], v[125:126], v[121:122]
	scratch_load_b128 v[121:124], off, off offset:304
	s_waitcnt vmcnt(4)
	v_fma_f64 v[2:3], v[2:3], v[127:128], v[125:126]
	scratch_load_b128 v[125:128], off, off offset:320
	s_waitcnt lgkmcnt(0)
	v_fma_f64 v[2:3], v[4:5], v[129:130], v[2:3]
	s_waitcnt vmcnt(4)
	s_delay_alu instid0(VALU_DEP_1)
	v_fma_f64 v[109:110], v[109:110], v[131:132], v[2:3]
	ds_load_2addr_b64 v[2:5], v108 offset0:85 offset1:86
	ds_load_2addr_b64 v[129:132], v108 offset0:87 offset1:88
	s_waitcnt lgkmcnt(1)
	v_fma_f64 v[2:3], v[111:112], v[2:3], v[109:110]
	scratch_load_b128 v[109:112], off, off offset:336
	s_waitcnt vmcnt(4)
	v_fma_f64 v[2:3], v[113:114], v[4:5], v[2:3]
	s_waitcnt lgkmcnt(0)
	s_delay_alu instid0(VALU_DEP_1)
	v_fma_f64 v[2:3], v[115:116], v[129:130], v[2:3]
	scratch_load_b128 v[113:116], off, off offset:352
	s_waitcnt vmcnt(4)
	v_fma_f64 v[117:118], v[117:118], v[131:132], v[2:3]
	ds_load_2addr_b64 v[2:5], v108 offset0:89 offset1:90
	ds_load_2addr_b64 v[129:132], v108 offset0:91 offset1:92
	s_waitcnt lgkmcnt(1)
	v_fma_f64 v[2:3], v[119:120], v[2:3], v[117:118]
	scratch_load_b128 v[117:120], off, off offset:368
	s_waitcnt vmcnt(4)
	v_fma_f64 v[2:3], v[121:122], v[4:5], v[2:3]
	s_waitcnt lgkmcnt(0)
	s_delay_alu instid0(VALU_DEP_1)
	v_fma_f64 v[121:122], v[123:124], v[129:130], v[2:3]
	scratch_load_b128 v[2:5], off, off offset:384
	s_waitcnt vmcnt(4)
	v_fma_f64 v[125:126], v[125:126], v[131:132], v[121:122]
	ds_load_2addr_b64 v[121:124], v108 offset0:93 offset1:94
	ds_load_2addr_b64 v[129:132], v108 offset0:95 offset1:96
	s_waitcnt lgkmcnt(1)
	v_fma_f64 v[121:122], v[127:128], v[121:122], v[125:126]
	scratch_load_b64 v[125:126], off, off offset:400
	s_waitcnt vmcnt(4)
	v_fma_f64 v[109:110], v[109:110], v[123:124], v[121:122]
	s_waitcnt lgkmcnt(0)
	s_delay_alu instid0(VALU_DEP_1) | instskip(SKIP_1) | instid1(VALU_DEP_1)
	v_fma_f64 v[109:110], v[111:112], v[129:130], v[109:110]
	s_waitcnt vmcnt(3)
	v_fma_f64 v[113:114], v[113:114], v[131:132], v[109:110]
	ds_load_2addr_b64 v[109:112], v108 offset0:97 offset1:98
	ds_load_2addr_b64 v[121:124], v108 offset0:99 offset1:100
	s_waitcnt lgkmcnt(1)
	v_fma_f64 v[109:110], v[115:116], v[109:110], v[113:114]
	s_waitcnt vmcnt(2)
	s_delay_alu instid0(VALU_DEP_1) | instskip(SKIP_1) | instid1(VALU_DEP_1)
	v_fma_f64 v[109:110], v[117:118], v[111:112], v[109:110]
	s_waitcnt lgkmcnt(0)
	v_fma_f64 v[109:110], v[119:120], v[121:122], v[109:110]
	s_waitcnt vmcnt(1)
	s_delay_alu instid0(VALU_DEP_1) | instskip(SKIP_4) | instid1(VALU_DEP_1)
	v_fma_f64 v[2:3], v[2:3], v[123:124], v[109:110]
	ds_load_2addr_b64 v[108:111], v108 offset0:101 offset1:102
	s_waitcnt lgkmcnt(0)
	v_fma_f64 v[2:3], v[4:5], v[108:109], v[2:3]
	s_waitcnt vmcnt(0)
	v_fma_f64 v[2:3], v[125:126], v[110:111], v[2:3]
	s_delay_alu instid0(VALU_DEP_1)
	v_add_f64 v[0:1], v[0:1], -v[2:3]
	scratch_store_b64 off, v[0:1], off
	s_cbranch_vccz .LBB50_417
; %bb.316:
	v_dual_mov_b32 v0, s12 :: v_dual_mov_b32 v1, s13
	s_mov_b32 s0, exec_lo
	flat_load_b32 v0, v[0:1] offset:196
	s_waitcnt vmcnt(0) lgkmcnt(0)
	v_cmpx_ne_u32_e32 50, v0
	s_cbranch_execz .LBB50_318
; %bb.317:
	v_lshl_add_u32 v2, v0, 3, 0
	scratch_load_b64 v[0:1], v2, off offset:-8
	s_waitcnt vmcnt(0)
	scratch_store_b64 off, v[0:1], off offset:392
	scratch_store_b64 v2, v[4:5], off offset:-8
.LBB50_318:
	s_or_b32 exec_lo, exec_lo, s0
	v_dual_mov_b32 v0, s12 :: v_dual_mov_b32 v1, s13
	s_mov_b32 s0, exec_lo
	flat_load_b32 v0, v[0:1] offset:192
	s_waitcnt vmcnt(0) lgkmcnt(0)
	v_cmpx_ne_u32_e32 49, v0
	s_cbranch_execz .LBB50_320
; %bb.319:
	v_lshl_add_u32 v4, v0, 3, 0
	scratch_load_b64 v[0:1], v4, off offset:-8
	scratch_load_b64 v[2:3], off, off offset:384
	s_waitcnt vmcnt(1)
	scratch_store_b64 off, v[0:1], off offset:384
	s_waitcnt vmcnt(0)
	scratch_store_b64 v4, v[2:3], off offset:-8
.LBB50_320:
	s_or_b32 exec_lo, exec_lo, s0
	v_dual_mov_b32 v0, s12 :: v_dual_mov_b32 v1, s13
	s_mov_b32 s0, exec_lo
	flat_load_b32 v0, v[0:1] offset:188
	s_waitcnt vmcnt(0) lgkmcnt(0)
	v_cmpx_ne_u32_e32 48, v0
	s_cbranch_execz .LBB50_322
; %bb.321:
	v_lshl_add_u32 v4, v0, 3, 0
	scratch_load_b64 v[0:1], v4, off offset:-8
	scratch_load_b64 v[2:3], off, off offset:376
	s_waitcnt vmcnt(1)
	scratch_store_b64 off, v[0:1], off offset:376
	s_waitcnt vmcnt(0)
	scratch_store_b64 v4, v[2:3], off offset:-8
.LBB50_322:
	;; [unrolled: 16-line block ×48, first 2 shown]
	s_or_b32 exec_lo, exec_lo, s0
	v_dual_mov_b32 v0, s12 :: v_dual_mov_b32 v1, s13
	s_mov_b32 s0, exec_lo
	flat_load_b32 v2, v[0:1]
	scratch_load_b64 v[0:1], off, off
	s_waitcnt vmcnt(1) lgkmcnt(0)
	v_cmpx_ne_u32_e32 1, v2
	s_cbranch_execz .LBB50_416
; %bb.415:
	v_lshl_add_u32 v4, v2, 3, 0
	scratch_load_b64 v[2:3], v4, off offset:-8
	s_waitcnt vmcnt(0)
	scratch_store_b64 off, v[2:3], off
	scratch_store_b64 v4, v[0:1], off offset:-8
	scratch_load_b64 v[0:1], off, off
.LBB50_416:
	s_or_b32 exec_lo, exec_lo, s0
.LBB50_417:
	s_clause 0x7
	scratch_load_b128 v[2:5], off, off offset:8
	scratch_load_b128 v[108:111], off, off offset:24
	;; [unrolled: 1-line block ×8, first 2 shown]
	s_waitcnt vmcnt(8)
	global_store_b64 v[24:25], v[0:1], off
	s_clause 0x1
	scratch_load_b128 v[136:139], off, off offset:136
	scratch_load_b128 v[140:143], off, off offset:152
	s_waitcnt vmcnt(9)
	s_clause 0x1
	global_store_b64 v[8:9], v[2:3], off
	global_store_b64 v[48:49], v[4:5], off
	s_clause 0x1
	scratch_load_b128 v[0:3], off, off offset:168
	scratch_load_b128 v[144:147], off, off offset:184
	s_waitcnt vmcnt(10)
	s_clause 0x1
	global_store_b64 v[38:39], v[108:109], off
	;; [unrolled: 7-line block ×8, first 2 shown]
	global_store_b64 v[16:17], v[134:135], off
	scratch_load_b128 v[12:15], off, off offset:392
	s_waitcnt vmcnt(16)
	s_clause 0x1
	global_store_b64 v[10:11], v[136:137], off
	global_store_b64 v[30:31], v[138:139], off
	s_waitcnt vmcnt(15)
	s_clause 0x1
	global_store_b64 v[42:43], v[140:141], off
	global_store_b64 v[44:45], v[142:143], off
	;; [unrolled: 4-line block ×17, first 2 shown]
	s_endpgm
	.section	.rodata,"a",@progbits
	.p2align	6, 0x0
	.amdhsa_kernel _ZN9rocsolver6v33100L18getri_kernel_smallILi51EdPdEEvT1_iilPiilS4_bb
		.amdhsa_group_segment_fixed_size 824
		.amdhsa_private_segment_fixed_size 416
		.amdhsa_kernarg_size 60
		.amdhsa_user_sgpr_count 15
		.amdhsa_user_sgpr_dispatch_ptr 0
		.amdhsa_user_sgpr_queue_ptr 0
		.amdhsa_user_sgpr_kernarg_segment_ptr 1
		.amdhsa_user_sgpr_dispatch_id 0
		.amdhsa_user_sgpr_private_segment_size 0
		.amdhsa_wavefront_size32 1
		.amdhsa_uses_dynamic_stack 0
		.amdhsa_enable_private_segment 1
		.amdhsa_system_sgpr_workgroup_id_x 1
		.amdhsa_system_sgpr_workgroup_id_y 0
		.amdhsa_system_sgpr_workgroup_id_z 0
		.amdhsa_system_sgpr_workgroup_info 0
		.amdhsa_system_vgpr_workitem_id 0
		.amdhsa_next_free_vgpr 152
		.amdhsa_next_free_sgpr 18
		.amdhsa_reserve_vcc 1
		.amdhsa_float_round_mode_32 0
		.amdhsa_float_round_mode_16_64 0
		.amdhsa_float_denorm_mode_32 3
		.amdhsa_float_denorm_mode_16_64 3
		.amdhsa_dx10_clamp 1
		.amdhsa_ieee_mode 1
		.amdhsa_fp16_overflow 0
		.amdhsa_workgroup_processor_mode 1
		.amdhsa_memory_ordered 1
		.amdhsa_forward_progress 0
		.amdhsa_shared_vgpr_count 0
		.amdhsa_exception_fp_ieee_invalid_op 0
		.amdhsa_exception_fp_denorm_src 0
		.amdhsa_exception_fp_ieee_div_zero 0
		.amdhsa_exception_fp_ieee_overflow 0
		.amdhsa_exception_fp_ieee_underflow 0
		.amdhsa_exception_fp_ieee_inexact 0
		.amdhsa_exception_int_div_zero 0
	.end_amdhsa_kernel
	.section	.text._ZN9rocsolver6v33100L18getri_kernel_smallILi51EdPdEEvT1_iilPiilS4_bb,"axG",@progbits,_ZN9rocsolver6v33100L18getri_kernel_smallILi51EdPdEEvT1_iilPiilS4_bb,comdat
.Lfunc_end50:
	.size	_ZN9rocsolver6v33100L18getri_kernel_smallILi51EdPdEEvT1_iilPiilS4_bb, .Lfunc_end50-_ZN9rocsolver6v33100L18getri_kernel_smallILi51EdPdEEvT1_iilPiilS4_bb
                                        ; -- End function
	.section	.AMDGPU.csdata,"",@progbits
; Kernel info:
; codeLenInByte = 49756
; NumSgprs: 20
; NumVgprs: 152
; ScratchSize: 416
; MemoryBound: 0
; FloatMode: 240
; IeeeMode: 1
; LDSByteSize: 824 bytes/workgroup (compile time only)
; SGPRBlocks: 2
; VGPRBlocks: 18
; NumSGPRsForWavesPerEU: 20
; NumVGPRsForWavesPerEU: 152
; Occupancy: 9
; WaveLimiterHint : 1
; COMPUTE_PGM_RSRC2:SCRATCH_EN: 1
; COMPUTE_PGM_RSRC2:USER_SGPR: 15
; COMPUTE_PGM_RSRC2:TRAP_HANDLER: 0
; COMPUTE_PGM_RSRC2:TGID_X_EN: 1
; COMPUTE_PGM_RSRC2:TGID_Y_EN: 0
; COMPUTE_PGM_RSRC2:TGID_Z_EN: 0
; COMPUTE_PGM_RSRC2:TIDIG_COMP_CNT: 0
	.section	.text._ZN9rocsolver6v33100L18getri_kernel_smallILi52EdPdEEvT1_iilPiilS4_bb,"axG",@progbits,_ZN9rocsolver6v33100L18getri_kernel_smallILi52EdPdEEvT1_iilPiilS4_bb,comdat
	.globl	_ZN9rocsolver6v33100L18getri_kernel_smallILi52EdPdEEvT1_iilPiilS4_bb ; -- Begin function _ZN9rocsolver6v33100L18getri_kernel_smallILi52EdPdEEvT1_iilPiilS4_bb
	.p2align	8
	.type	_ZN9rocsolver6v33100L18getri_kernel_smallILi52EdPdEEvT1_iilPiilS4_bb,@function
_ZN9rocsolver6v33100L18getri_kernel_smallILi52EdPdEEvT1_iilPiilS4_bb: ; @_ZN9rocsolver6v33100L18getri_kernel_smallILi52EdPdEEvT1_iilPiilS4_bb
; %bb.0:
	s_mov_b32 s2, exec_lo
	v_cmpx_gt_u32_e32 52, v0
	s_cbranch_execz .LBB51_218
; %bb.1:
	s_clause 0x2
	s_load_b32 s17, s[0:1], 0x38
	s_load_b128 s[8:11], s[0:1], 0x10
	s_load_b128 s[4:7], s[0:1], 0x28
	s_mov_b32 s14, s15
                                        ; implicit-def: $sgpr12_sgpr13
	s_waitcnt lgkmcnt(0)
	s_bitcmp1_b32 s17, 8
	s_cselect_b32 s16, -1, 0
	s_bfe_u32 s2, s17, 0x10008
	s_ashr_i32 s15, s15, 31
	s_cmp_eq_u32 s2, 0
	s_cbranch_scc1 .LBB51_3
; %bb.2:
	s_load_b32 s2, s[0:1], 0x20
	s_mul_i32 s3, s14, s5
	s_mul_hi_u32 s5, s14, s4
	s_mul_i32 s12, s15, s4
	s_add_i32 s3, s5, s3
	s_mul_i32 s4, s14, s4
	s_add_i32 s5, s3, s12
	s_delay_alu instid0(SALU_CYCLE_1)
	s_lshl_b64 s[4:5], s[4:5], 2
	s_waitcnt lgkmcnt(0)
	s_ashr_i32 s3, s2, 31
	s_add_u32 s4, s10, s4
	s_addc_u32 s5, s11, s5
	s_lshl_b64 s[2:3], s[2:3], 2
	s_delay_alu instid0(SALU_CYCLE_1)
	s_add_u32 s12, s4, s2
	s_addc_u32 s13, s5, s3
.LBB51_3:
	s_load_b128 s[0:3], s[0:1], 0x0
	s_mul_i32 s4, s14, s9
	s_mul_hi_u32 s5, s14, s8
	s_mul_i32 s9, s15, s8
	s_add_i32 s5, s5, s4
	s_mul_i32 s4, s14, s8
	s_add_i32 s5, s5, s9
	v_lshlrev_b32_e32 v3, 3, v0
	s_lshl_b64 s[4:5], s[4:5], 3
	s_waitcnt lgkmcnt(0)
	v_add3_u32 v1, s3, s3, v0
	s_ashr_i32 s9, s2, 31
	s_mov_b32 s8, s2
	s_add_u32 s2, s0, s4
	s_addc_u32 s5, s1, s5
	s_lshl_b64 s[0:1], s[8:9], 3
	v_ashrrev_i32_e32 v2, 31, v1
	s_add_u32 s0, s2, s0
	v_add_nc_u32_e32 v4, s3, v1
	s_addc_u32 s1, s5, s1
	v_add_co_u32 v40, s2, s0, v3
	s_mov_b32 s4, s3
	s_ashr_i32 s5, s3, 31
	v_add_co_ci_u32_e64 v41, null, s1, 0, s2
	v_lshlrev_b64 v[1:2], 3, v[1:2]
	s_lshl_b64 s[4:5], s[4:5], 3
	v_ashrrev_i32_e32 v5, 31, v4
	v_add_co_u32 v28, vcc_lo, v40, s4
	v_add_co_ci_u32_e32 v29, vcc_lo, s5, v41, vcc_lo
	s_delay_alu instid0(VALU_DEP_4) | instskip(SKIP_4) | instid1(VALU_DEP_3)
	v_add_co_u32 v18, vcc_lo, s0, v1
	v_add_nc_u32_e32 v1, s3, v4
	v_lshlrev_b64 v[5:6], 3, v[4:5]
	v_add_co_ci_u32_e32 v19, vcc_lo, s1, v2, vcc_lo
	s_bitcmp0_b32 s17, 0
	v_add_nc_u32_e32 v4, s3, v1
	v_ashrrev_i32_e32 v2, 31, v1
	s_delay_alu instid0(VALU_DEP_4) | instskip(SKIP_1) | instid1(VALU_DEP_4)
	v_add_co_u32 v12, vcc_lo, s0, v5
	v_add_co_ci_u32_e32 v13, vcc_lo, s1, v6, vcc_lo
	v_add_nc_u32_e32 v6, s3, v4
	v_ashrrev_i32_e32 v5, 31, v4
	v_lshlrev_b64 v[1:2], 3, v[1:2]
	s_clause 0x3
	global_load_b64 v[24:25], v3, s[0:1]
	global_load_b64 v[26:27], v[28:29], off
	global_load_b64 v[46:47], v[18:19], off
	;; [unrolled: 1-line block ×3, first 2 shown]
	v_add_nc_u32_e32 v8, s3, v6
	v_lshlrev_b64 v[4:5], 3, v[4:5]
	v_ashrrev_i32_e32 v7, 31, v6
	v_add_co_u32 v20, vcc_lo, s0, v1
	s_delay_alu instid0(VALU_DEP_4) | instskip(SKIP_1) | instid1(VALU_DEP_4)
	v_ashrrev_i32_e32 v9, 31, v8
	v_add_co_ci_u32_e32 v21, vcc_lo, s1, v2, vcc_lo
	v_lshlrev_b64 v[1:2], 3, v[6:7]
	v_add_co_u32 v14, vcc_lo, s0, v4
	v_add_co_ci_u32_e32 v15, vcc_lo, s1, v5, vcc_lo
	v_lshlrev_b64 v[4:5], 3, v[8:9]
	s_delay_alu instid0(VALU_DEP_4)
	v_add_co_u32 v16, vcc_lo, s0, v1
	v_add_co_ci_u32_e32 v17, vcc_lo, s1, v2, vcc_lo
	s_clause 0x1
	global_load_b64 v[52:53], v[20:21], off
	global_load_b64 v[54:55], v[14:15], off
	v_add_co_u32 v10, vcc_lo, s0, v4
	v_add_co_ci_u32_e32 v11, vcc_lo, s1, v5, vcc_lo
	s_clause 0x1
	global_load_b64 v[56:57], v[16:17], off
	global_load_b64 v[58:59], v[10:11], off
	v_add_nc_u32_e32 v1, s3, v8
	s_delay_alu instid0(VALU_DEP_1) | instskip(SKIP_1) | instid1(VALU_DEP_2)
	v_add_nc_u32_e32 v4, s3, v1
	v_ashrrev_i32_e32 v2, 31, v1
	v_add_nc_u32_e32 v6, s3, v4
	s_delay_alu instid0(VALU_DEP_2) | instskip(SKIP_1) | instid1(VALU_DEP_3)
	v_lshlrev_b64 v[1:2], 3, v[1:2]
	v_ashrrev_i32_e32 v5, 31, v4
	v_add_nc_u32_e32 v8, s3, v6
	v_ashrrev_i32_e32 v7, 31, v6
	s_delay_alu instid0(VALU_DEP_4) | instskip(NEXT) | instid1(VALU_DEP_4)
	v_add_co_u32 v50, vcc_lo, s0, v1
	v_lshlrev_b64 v[4:5], 3, v[4:5]
	s_delay_alu instid0(VALU_DEP_4) | instskip(SKIP_3) | instid1(VALU_DEP_4)
	v_add_nc_u32_e32 v22, s3, v8
	v_ashrrev_i32_e32 v9, 31, v8
	v_add_co_ci_u32_e32 v51, vcc_lo, s1, v2, vcc_lo
	v_lshlrev_b64 v[6:7], 3, v[6:7]
	v_add_nc_u32_e32 v30, s3, v22
	v_add_co_u32 v44, vcc_lo, s0, v4
	v_add_co_ci_u32_e32 v45, vcc_lo, s1, v5, vcc_lo
	s_delay_alu instid0(VALU_DEP_3) | instskip(SKIP_3) | instid1(VALU_DEP_4)
	v_add_nc_u32_e32 v32, s3, v30
	v_lshlrev_b64 v[4:5], 3, v[8:9]
	v_add_co_u32 v36, vcc_lo, s0, v6
	v_add_co_ci_u32_e32 v37, vcc_lo, s1, v7, vcc_lo
	v_add_nc_u32_e32 v34, s3, v32
	s_delay_alu instid0(VALU_DEP_4) | instskip(SKIP_2) | instid1(VALU_DEP_4)
	v_add_co_u32 v42, vcc_lo, s0, v4
	v_ashrrev_i32_e32 v23, 31, v22
	v_ashrrev_i32_e32 v31, 31, v30
	v_add_nc_u32_e32 v72, s3, v34
	v_ashrrev_i32_e32 v33, 31, v32
	s_clause 0x1
	global_load_b64 v[60:61], v[50:51], off
	global_load_b64 v[62:63], v[44:45], off
	v_lshlrev_b64 v[6:7], 3, v[22:23]
	v_add_nc_u32_e32 v74, s3, v72
	v_lshlrev_b64 v[8:9], 3, v[30:31]
	v_add_co_ci_u32_e32 v43, vcc_lo, s1, v5, vcc_lo
	v_ashrrev_i32_e32 v35, 31, v34
	s_delay_alu instid0(VALU_DEP_4) | instskip(SKIP_3) | instid1(VALU_DEP_4)
	v_add_nc_u32_e32 v80, s3, v74
	v_add_co_u32 v38, vcc_lo, s0, v6
	v_lshlrev_b64 v[5:6], 3, v[32:33]
	v_add_co_ci_u32_e32 v39, vcc_lo, s1, v7, vcc_lo
	v_add_nc_u32_e32 v82, s3, v80
	v_add_co_u32 v32, vcc_lo, s0, v8
	v_ashrrev_i32_e32 v73, 31, v72
	v_add_co_ci_u32_e32 v33, vcc_lo, s1, v9, vcc_lo
	s_delay_alu instid0(VALU_DEP_4)
	v_add_nc_u32_e32 v84, s3, v82
	v_lshlrev_b64 v[7:8], 3, v[34:35]
	v_add_co_u32 v34, vcc_lo, s0, v5
	s_clause 0x1
	global_load_b64 v[64:65], v[36:37], off
	global_load_b64 v[66:67], v[42:43], off
	v_add_nc_u32_e32 v86, s3, v84
	v_add_co_ci_u32_e32 v35, vcc_lo, s1, v6, vcc_lo
	v_lshlrev_b64 v[5:6], 3, v[72:73]
	s_clause 0x1
	global_load_b64 v[68:69], v[38:39], off
	global_load_b64 v[70:71], v[32:33], off
	v_add_nc_u32_e32 v88, s3, v86
	v_add_co_u32 v30, vcc_lo, s0, v7
	v_ashrrev_i32_e32 v75, 31, v74
	v_add_co_ci_u32_e32 v31, vcc_lo, s1, v8, vcc_lo
	s_delay_alu instid0(VALU_DEP_4) | instskip(SKIP_1) | instid1(VALU_DEP_4)
	v_add_nc_u32_e32 v90, s3, v88
	v_ashrrev_i32_e32 v81, 31, v80
	v_lshlrev_b64 v[8:9], 3, v[74:75]
	v_ashrrev_i32_e32 v83, 31, v82
	v_ashrrev_i32_e32 v85, 31, v84
	v_add_nc_u32_e32 v92, s3, v90
	v_ashrrev_i32_e32 v87, 31, v86
	v_ashrrev_i32_e32 v89, 31, v88
	;; [unrolled: 1-line block ×3, first 2 shown]
	s_delay_alu instid0(VALU_DEP_4) | instskip(SKIP_1) | instid1(VALU_DEP_2)
	v_add_nc_u32_e32 v94, s3, v92
	v_ashrrev_i32_e32 v93, 31, v92
	v_add_nc_u32_e32 v96, s3, v94
	v_ashrrev_i32_e32 v95, 31, v94
	s_delay_alu instid0(VALU_DEP_2) | instskip(SKIP_1) | instid1(VALU_DEP_2)
	v_add_nc_u32_e32 v98, s3, v96
	v_ashrrev_i32_e32 v97, 31, v96
	v_add_nc_u32_e32 v100, s3, v98
	v_ashrrev_i32_e32 v99, 31, v98
	s_delay_alu instid0(VALU_DEP_2) | instskip(SKIP_1) | instid1(VALU_DEP_2)
	;; [unrolled: 5-line block ×9, first 2 shown]
	v_add_nc_u32_e32 v1, s3, v134
	v_ashrrev_i32_e32 v135, 31, v134
	v_add_nc_u32_e32 v136, s3, v1
	v_ashrrev_i32_e32 v2, 31, v1
	s_delay_alu instid0(VALU_DEP_2) | instskip(NEXT) | instid1(VALU_DEP_2)
	v_add_nc_u32_e32 v138, s3, v136
	v_lshlrev_b64 v[1:2], 3, v[1:2]
	v_ashrrev_i32_e32 v137, 31, v136
	s_delay_alu instid0(VALU_DEP_3) | instskip(SKIP_1) | instid1(VALU_DEP_2)
	v_add_nc_u32_e32 v140, s3, v138
	v_ashrrev_i32_e32 v139, 31, v138
	v_add_nc_u32_e32 v4, s3, v140
	v_ashrrev_i32_e32 v141, 31, v140
	s_delay_alu instid0(VALU_DEP_2) | instskip(NEXT) | instid1(VALU_DEP_1)
	v_add_nc_u32_e32 v142, s3, v4
	v_add_nc_u32_e32 v144, s3, v142
	v_ashrrev_i32_e32 v143, 31, v142
	s_delay_alu instid0(VALU_DEP_2) | instskip(SKIP_1) | instid1(VALU_DEP_2)
	v_add_nc_u32_e32 v146, s3, v144
	v_ashrrev_i32_e32 v145, 31, v144
	v_add_nc_u32_e32 v22, s3, v146
	v_ashrrev_i32_e32 v147, 31, v146
	s_delay_alu instid0(VALU_DEP_2) | instskip(NEXT) | instid1(VALU_DEP_1)
	v_ashrrev_i32_e32 v23, 31, v22
	v_lshlrev_b64 v[72:73], 3, v[22:23]
	v_add_co_u32 v22, vcc_lo, s0, v5
	v_add_co_ci_u32_e32 v23, vcc_lo, s1, v6, vcc_lo
	v_ashrrev_i32_e32 v5, 31, v4
	s_delay_alu instid0(VALU_DEP_4)
	v_add_co_u32 v6, vcc_lo, s0, v72
	v_add_co_ci_u32_e32 v7, vcc_lo, s1, v73, vcc_lo
	v_add_co_u32 v8, vcc_lo, s0, v8
	v_add_co_ci_u32_e32 v9, vcc_lo, s1, v9, vcc_lo
	global_load_b64 v[112:113], v[6:7], off
	s_waitcnt vmcnt(13)
	scratch_store_b128 off, v[24:27], off
	s_waitcnt vmcnt(11)
	scratch_store_b128 off, v[46:49], off offset:16
	v_lshlrev_b64 v[24:25], 3, v[80:81]
	s_clause 0x3
	global_load_b64 v[72:73], v[34:35], off
	global_load_b64 v[74:75], v[30:31], off
	;; [unrolled: 1-line block ×4, first 2 shown]
	v_lshlrev_b64 v[26:27], 3, v[82:83]
	v_lshlrev_b64 v[46:47], 3, v[84:85]
	;; [unrolled: 1-line block ×3, first 2 shown]
	v_add_co_u32 v24, vcc_lo, s0, v24
	v_add_co_ci_u32_e32 v25, vcc_lo, s1, v25, vcc_lo
	v_add_co_u32 v26, vcc_lo, s0, v26
	v_add_co_ci_u32_e32 v27, vcc_lo, s1, v27, vcc_lo
	;; [unrolled: 2-line block ×4, first 2 shown]
	s_waitcnt vmcnt(13)
	scratch_store_b128 off, v[52:55], off offset:32
	s_clause 0x1
	global_load_b64 v[80:81], v[24:25], off
	global_load_b64 v[82:83], v[26:27], off
	v_lshlrev_b64 v[52:53], 3, v[88:89]
	v_lshlrev_b64 v[54:55], 3, v[90:91]
	s_waitcnt vmcnt(13)
	scratch_store_b128 off, v[56:59], off offset:48
	s_clause 0x1
	global_load_b64 v[84:85], v[46:47], off
	global_load_b64 v[86:87], v[48:49], off
	v_lshlrev_b64 v[56:57], 3, v[92:93]
	v_lshlrev_b64 v[58:59], 3, v[94:95]
	v_add_co_u32 v52, vcc_lo, s0, v52
	v_add_co_ci_u32_e32 v53, vcc_lo, s1, v53, vcc_lo
	v_add_co_u32 v54, vcc_lo, s0, v54
	v_add_co_ci_u32_e32 v55, vcc_lo, s1, v55, vcc_lo
	;; [unrolled: 2-line block ×4, first 2 shown]
	s_waitcnt vmcnt(13)
	scratch_store_b128 off, v[60:63], off offset:64
	v_lshlrev_b64 v[60:61], 3, v[96:97]
	s_clause 0x1
	global_load_b64 v[88:89], v[52:53], off
	global_load_b64 v[90:91], v[54:55], off
	v_lshlrev_b64 v[62:63], 3, v[98:99]
	global_load_b64 v[92:93], v[56:57], off
	v_add_co_u32 v60, vcc_lo, s0, v60
	v_add_co_ci_u32_e32 v61, vcc_lo, s1, v61, vcc_lo
	v_add_co_u32 v62, vcc_lo, s0, v62
	v_add_co_ci_u32_e32 v63, vcc_lo, s1, v63, vcc_lo
	s_waitcnt vmcnt(14)
	scratch_store_b128 off, v[64:67], off offset:80
	v_lshlrev_b64 v[64:65], 3, v[100:101]
	v_lshlrev_b64 v[66:67], 3, v[102:103]
	s_waitcnt vmcnt(12)
	scratch_store_b128 off, v[68:71], off offset:96
	s_clause 0x2
	global_load_b64 v[94:95], v[58:59], off
	global_load_b64 v[96:97], v[60:61], off
	;; [unrolled: 1-line block ×3, first 2 shown]
	v_add_co_u32 v64, vcc_lo, s0, v64
	v_lshlrev_b64 v[68:69], 3, v[104:105]
	v_add_co_ci_u32_e32 v65, vcc_lo, s1, v65, vcc_lo
	v_add_co_u32 v66, vcc_lo, s0, v66
	v_lshlrev_b64 v[70:71], 3, v[106:107]
	v_add_co_ci_u32_e32 v67, vcc_lo, s1, v67, vcc_lo
	v_add_co_u32 v68, vcc_lo, s0, v68
	v_add_co_ci_u32_e32 v69, vcc_lo, s1, v69, vcc_lo
	s_delay_alu instid0(VALU_DEP_4)
	v_add_co_u32 v70, vcc_lo, s0, v70
	v_add_co_ci_u32_e32 v71, vcc_lo, s1, v71, vcc_lo
	global_load_b64 v[100:101], v[64:65], off
	s_waitcnt vmcnt(13)
	scratch_store_b128 off, v[72:75], off offset:112
	v_lshlrev_b64 v[72:73], 3, v[108:109]
	s_waitcnt vmcnt(11)
	scratch_store_b128 off, v[76:79], off offset:128
	s_clause 0x2
	global_load_b64 v[102:103], v[66:67], off
	global_load_b64 v[104:105], v[68:69], off
	;; [unrolled: 1-line block ×3, first 2 shown]
	v_lshlrev_b64 v[74:75], 3, v[110:111]
	v_lshlrev_b64 v[76:77], 3, v[114:115]
	;; [unrolled: 1-line block ×3, first 2 shown]
	v_add_co_u32 v72, vcc_lo, s0, v72
	v_add_co_ci_u32_e32 v73, vcc_lo, s1, v73, vcc_lo
	v_add_co_u32 v74, vcc_lo, s0, v74
	v_add_co_ci_u32_e32 v75, vcc_lo, s1, v75, vcc_lo
	;; [unrolled: 2-line block ×4, first 2 shown]
	s_clause 0x1
	global_load_b64 v[114:115], v[72:73], off
	global_load_b64 v[116:117], v[74:75], off
	s_waitcnt vmcnt(14)
	scratch_store_b128 off, v[80:83], off offset:144
	v_lshlrev_b64 v[80:81], 3, v[122:123]
	v_lshlrev_b64 v[82:83], 3, v[124:125]
	s_waitcnt vmcnt(12)
	scratch_store_b128 off, v[84:87], off offset:160
	s_clause 0x1
	global_load_b64 v[118:119], v[76:77], off
	global_load_b64 v[120:121], v[78:79], off
	v_lshlrev_b64 v[84:85], 3, v[126:127]
	v_lshlrev_b64 v[86:87], 3, v[128:129]
	v_add_co_u32 v80, vcc_lo, s0, v80
	v_add_co_ci_u32_e32 v81, vcc_lo, s1, v81, vcc_lo
	v_add_co_u32 v82, vcc_lo, s0, v82
	v_add_co_ci_u32_e32 v83, vcc_lo, s1, v83, vcc_lo
	;; [unrolled: 2-line block ×4, first 2 shown]
	v_lshlrev_b64 v[108:109], 3, v[134:135]
	global_load_b64 v[122:123], v[80:81], off
	s_waitcnt vmcnt(13)
	scratch_store_b128 off, v[88:91], off offset:176
	v_lshlrev_b64 v[88:89], 3, v[130:131]
	v_lshlrev_b64 v[90:91], 3, v[132:133]
	s_waitcnt vmcnt(11)
	scratch_store_b128 off, v[92:95], off offset:192
	s_waitcnt vmcnt(9)
	scratch_store_b128 off, v[96:99], off offset:208
	v_add_co_u32 v88, vcc_lo, s0, v88
	v_add_co_ci_u32_e32 v89, vcc_lo, s1, v89, vcc_lo
	v_add_co_u32 v90, vcc_lo, s0, v90
	v_add_co_ci_u32_e32 v91, vcc_lo, s1, v91, vcc_lo
	;; [unrolled: 2-line block ×3, first 2 shown]
	v_lshlrev_b64 v[96:97], 3, v[136:137]
	v_add_co_u32 v94, vcc_lo, s0, v1
	v_add_co_ci_u32_e32 v95, vcc_lo, s1, v2, vcc_lo
	v_lshlrev_b64 v[1:2], 3, v[138:139]
	s_delay_alu instid0(VALU_DEP_4) | instskip(SKIP_2) | instid1(VALU_DEP_4)
	v_add_co_u32 v96, vcc_lo, s0, v96
	v_add_co_ci_u32_e32 v97, vcc_lo, s1, v97, vcc_lo
	v_lshlrev_b64 v[108:109], 3, v[140:141]
	v_add_co_u32 v98, vcc_lo, s0, v1
	v_add_co_ci_u32_e32 v99, vcc_lo, s1, v2, vcc_lo
	v_lshlrev_b64 v[1:2], 3, v[4:5]
	s_clause 0x3
	global_load_b64 v[124:125], v[82:83], off
	global_load_b64 v[126:127], v[84:85], off
	global_load_b64 v[128:129], v[86:87], off
	global_load_b64 v[130:131], v[88:89], off
	v_lshlrev_b64 v[4:5], 3, v[142:143]
	s_waitcnt vmcnt(11)
	scratch_store_b128 off, v[100:103], off offset:224
	s_waitcnt vmcnt(9)
	scratch_store_b128 off, v[104:107], off offset:240
	v_add_co_u32 v100, vcc_lo, s0, v108
	v_add_co_ci_u32_e32 v101, vcc_lo, s1, v109, vcc_lo
	v_add_co_u32 v102, vcc_lo, s0, v1
	v_add_co_ci_u32_e32 v103, vcc_lo, s1, v2, vcc_lo
	v_lshlrev_b64 v[1:2], 3, v[144:145]
	v_add_co_u32 v104, vcc_lo, s0, v4
	v_add_co_ci_u32_e32 v105, vcc_lo, s1, v5, vcc_lo
	v_lshlrev_b64 v[4:5], 3, v[146:147]
	s_delay_alu instid0(VALU_DEP_4)
	v_add_co_u32 v106, vcc_lo, s0, v1
	v_add_co_ci_u32_e32 v107, vcc_lo, s1, v2, vcc_lo
	s_clause 0x3
	global_load_b64 v[132:133], v[90:91], off
	global_load_b64 v[134:135], v[92:93], off
	;; [unrolled: 1-line block ×4, first 2 shown]
	v_add_co_u32 v108, vcc_lo, s0, v4
	v_add_co_ci_u32_e32 v109, vcc_lo, s1, v5, vcc_lo
	s_waitcnt vmcnt(11)
	scratch_store_b128 off, v[114:117], off offset:256
	s_clause 0x2
	global_load_b64 v[140:141], v[98:99], off
	global_load_b64 v[114:115], v[100:101], off
	;; [unrolled: 1-line block ×3, first 2 shown]
	s_waitcnt vmcnt(12)
	scratch_store_b128 off, v[118:121], off offset:272
	s_clause 0x2
	global_load_b64 v[118:119], v[104:105], off
	global_load_b64 v[120:121], v[106:107], off
	;; [unrolled: 1-line block ×3, first 2 shown]
	s_mov_b32 s1, -1
	s_waitcnt vmcnt(13)
	scratch_store_b128 off, v[122:125], off offset:288
	s_waitcnt vmcnt(11)
	scratch_store_b128 off, v[126:129], off offset:304
	;; [unrolled: 2-line block ×8, first 2 shown]
	s_cbranch_scc1 .LBB51_216
; %bb.4:
	v_cmp_eq_u32_e64 s0, 0, v0
	s_delay_alu instid0(VALU_DEP_1)
	s_and_saveexec_b32 s1, s0
	s_cbranch_execz .LBB51_6
; %bb.5:
	v_mov_b32_e32 v1, 0
	ds_store_b32 v1, v1 offset:832
.LBB51_6:
	s_or_b32 exec_lo, exec_lo, s1
	s_waitcnt lgkmcnt(0)
	s_waitcnt_vscnt null, 0x0
	s_barrier
	buffer_gl0_inv
	scratch_load_b64 v[1:2], v3, off
	s_mov_b32 s2, exec_lo
	s_waitcnt vmcnt(0)
	v_cmpx_eq_f64_e32 0, v[1:2]
	s_cbranch_execz .LBB51_10
; %bb.7:
	v_mov_b32_e32 v1, 0
	s_mov_b32 s3, 0
	ds_load_b32 v2, v1 offset:832
	s_waitcnt lgkmcnt(0)
	v_readfirstlane_b32 s1, v2
	v_add_nc_u32_e32 v2, 1, v0
	s_delay_alu instid0(VALU_DEP_2) | instskip(NEXT) | instid1(VALU_DEP_1)
	s_cmp_eq_u32 s1, 0
	v_cmp_gt_i32_e32 vcc_lo, s1, v2
	s_cselect_b32 s4, -1, 0
	s_delay_alu instid0(SALU_CYCLE_1) | instskip(NEXT) | instid1(SALU_CYCLE_1)
	s_or_b32 s4, s4, vcc_lo
	s_and_b32 exec_lo, exec_lo, s4
	s_cbranch_execz .LBB51_10
; %bb.8:
	v_mov_b32_e32 v4, s1
.LBB51_9:                               ; =>This Inner Loop Header: Depth=1
	ds_cmpstore_rtn_b32 v4, v1, v2, v4 offset:832
	s_waitcnt lgkmcnt(0)
	v_cmp_ne_u32_e32 vcc_lo, 0, v4
	v_cmp_le_i32_e64 s1, v4, v2
	s_delay_alu instid0(VALU_DEP_1) | instskip(NEXT) | instid1(SALU_CYCLE_1)
	s_and_b32 s1, vcc_lo, s1
	s_and_b32 s1, exec_lo, s1
	s_delay_alu instid0(SALU_CYCLE_1) | instskip(NEXT) | instid1(SALU_CYCLE_1)
	s_or_b32 s3, s1, s3
	s_and_not1_b32 exec_lo, exec_lo, s3
	s_cbranch_execnz .LBB51_9
.LBB51_10:
	s_or_b32 exec_lo, exec_lo, s2
	v_mov_b32_e32 v1, 0
	s_barrier
	buffer_gl0_inv
	ds_load_b32 v2, v1 offset:832
	s_and_saveexec_b32 s1, s0
	s_cbranch_execz .LBB51_12
; %bb.11:
	s_lshl_b64 s[2:3], s[14:15], 2
	s_delay_alu instid0(SALU_CYCLE_1)
	s_add_u32 s2, s6, s2
	s_addc_u32 s3, s7, s3
	s_waitcnt lgkmcnt(0)
	global_store_b32 v1, v2, s[2:3]
.LBB51_12:
	s_or_b32 exec_lo, exec_lo, s1
	s_waitcnt lgkmcnt(0)
	v_cmp_ne_u32_e32 vcc_lo, 0, v2
	s_mov_b32 s1, 0
	s_cbranch_vccnz .LBB51_216
; %bb.13:
	v_add_nc_u32_e32 v4, 0, v3
	v_add_nc_u32_e32 v5, 0x1a0, v3
	scratch_load_b64 v[1:2], v4, off
	s_waitcnt vmcnt(0)
	v_div_scale_f64 v[110:111], null, v[1:2], v[1:2], 1.0
	v_div_scale_f64 v[116:117], vcc_lo, 1.0, v[1:2], 1.0
	s_delay_alu instid0(VALU_DEP_2) | instskip(SKIP_2) | instid1(VALU_DEP_1)
	v_rcp_f64_e32 v[112:113], v[110:111]
	s_waitcnt_depctr 0xfff
	v_fma_f64 v[114:115], -v[110:111], v[112:113], 1.0
	v_fma_f64 v[112:113], v[112:113], v[114:115], v[112:113]
	s_delay_alu instid0(VALU_DEP_1) | instskip(NEXT) | instid1(VALU_DEP_1)
	v_fma_f64 v[114:115], -v[110:111], v[112:113], 1.0
	v_fma_f64 v[112:113], v[112:113], v[114:115], v[112:113]
	s_delay_alu instid0(VALU_DEP_1) | instskip(NEXT) | instid1(VALU_DEP_1)
	v_mul_f64 v[114:115], v[116:117], v[112:113]
	v_fma_f64 v[110:111], -v[110:111], v[114:115], v[116:117]
	s_delay_alu instid0(VALU_DEP_1) | instskip(NEXT) | instid1(VALU_DEP_1)
	v_div_fmas_f64 v[110:111], v[110:111], v[112:113], v[114:115]
	v_div_fixup_f64 v[1:2], v[110:111], v[1:2], 1.0
	scratch_store_b64 v4, v[1:2], off
	scratch_load_b64 v[110:111], off, off offset:8
	v_xor_b32_e32 v2, 0x80000000, v2
	s_waitcnt vmcnt(0)
	ds_store_2addr_b64 v3, v[1:2], v[110:111] offset1:52
	s_waitcnt lgkmcnt(0)
	s_waitcnt_vscnt null, 0x0
	s_barrier
	buffer_gl0_inv
	s_and_saveexec_b32 s1, s0
	s_cbranch_execz .LBB51_15
; %bb.14:
	scratch_load_b64 v[1:2], v4, off
	ds_load_b64 v[110:111], v5
	s_waitcnt vmcnt(0) lgkmcnt(0)
	v_fma_f64 v[1:2], v[1:2], v[110:111], 0
	v_mov_b32_e32 v110, 0
	ds_load_b64 v[110:111], v110 offset:8
	s_waitcnt lgkmcnt(0)
	v_mul_f64 v[1:2], v[1:2], v[110:111]
	scratch_store_b64 off, v[1:2], off offset:8
.LBB51_15:
	s_or_b32 exec_lo, exec_lo, s1
	s_waitcnt_vscnt null, 0x0
	s_barrier
	buffer_gl0_inv
	scratch_load_b64 v[1:2], off, off offset:16
	s_mov_b32 s1, exec_lo
	s_waitcnt vmcnt(0)
	ds_store_b64 v5, v[1:2]
	s_waitcnt lgkmcnt(0)
	s_barrier
	buffer_gl0_inv
	v_cmpx_gt_u32_e32 2, v0
	s_cbranch_execz .LBB51_19
; %bb.16:
	scratch_load_b64 v[1:2], v4, off
	ds_load_b64 v[110:111], v5
	s_waitcnt vmcnt(0) lgkmcnt(0)
	v_fma_f64 v[1:2], v[1:2], v[110:111], 0
	s_and_saveexec_b32 s2, s0
	s_cbranch_execz .LBB51_18
; %bb.17:
	scratch_load_b64 v[110:111], off, off offset:8
	v_mov_b32_e32 v112, 0
	ds_load_b64 v[112:113], v112 offset:424
	s_waitcnt vmcnt(0) lgkmcnt(0)
	v_fma_f64 v[1:2], v[110:111], v[112:113], v[1:2]
.LBB51_18:
	s_or_b32 exec_lo, exec_lo, s2
	v_mov_b32_e32 v110, 0
	ds_load_b64 v[110:111], v110 offset:16
	s_waitcnt lgkmcnt(0)
	v_mul_f64 v[1:2], v[1:2], v[110:111]
	scratch_store_b64 off, v[1:2], off offset:16
.LBB51_19:
	s_or_b32 exec_lo, exec_lo, s1
	s_waitcnt_vscnt null, 0x0
	s_barrier
	buffer_gl0_inv
	scratch_load_b64 v[1:2], off, off offset:24
	v_add_nc_u32_e32 v110, -1, v0
	s_mov_b32 s0, exec_lo
	s_waitcnt vmcnt(0)
	ds_store_b64 v5, v[1:2]
	s_waitcnt lgkmcnt(0)
	s_barrier
	buffer_gl0_inv
	v_cmpx_gt_u32_e32 3, v0
	s_cbranch_execz .LBB51_23
; %bb.20:
	v_dual_mov_b32 v1, 0 :: v_dual_add_nc_u32 v112, 0x1a0, v3
	v_dual_mov_b32 v2, 0 :: v_dual_add_nc_u32 v111, -1, v0
	v_add_nc_u32_e32 v113, 0, v3
	s_mov_b32 s1, 0
.LBB51_21:                              ; =>This Inner Loop Header: Depth=1
	scratch_load_b64 v[114:115], v113, off
	ds_load_b64 v[116:117], v112
	v_add_nc_u32_e32 v111, 1, v111
	v_add_nc_u32_e32 v112, 8, v112
	v_add_nc_u32_e32 v113, 8, v113
	s_delay_alu instid0(VALU_DEP_3)
	v_cmp_lt_u32_e32 vcc_lo, 1, v111
	s_or_b32 s1, vcc_lo, s1
	s_waitcnt vmcnt(0) lgkmcnt(0)
	v_fma_f64 v[1:2], v[114:115], v[116:117], v[1:2]
	s_and_not1_b32 exec_lo, exec_lo, s1
	s_cbranch_execnz .LBB51_21
; %bb.22:
	s_or_b32 exec_lo, exec_lo, s1
	v_mov_b32_e32 v111, 0
	ds_load_b64 v[111:112], v111 offset:24
	s_waitcnt lgkmcnt(0)
	v_mul_f64 v[1:2], v[1:2], v[111:112]
	scratch_store_b64 off, v[1:2], off offset:24
.LBB51_23:
	s_or_b32 exec_lo, exec_lo, s0
	s_waitcnt_vscnt null, 0x0
	s_barrier
	buffer_gl0_inv
	scratch_load_b64 v[1:2], off, off offset:32
	s_mov_b32 s0, exec_lo
	s_waitcnt vmcnt(0)
	ds_store_b64 v5, v[1:2]
	s_waitcnt lgkmcnt(0)
	s_barrier
	buffer_gl0_inv
	v_cmpx_gt_u32_e32 4, v0
	s_cbranch_execz .LBB51_27
; %bb.24:
	v_dual_mov_b32 v1, 0 :: v_dual_add_nc_u32 v112, 0x1a0, v3
	v_dual_mov_b32 v2, 0 :: v_dual_add_nc_u32 v111, -1, v0
	v_add_nc_u32_e32 v113, 0, v3
	s_mov_b32 s1, 0
.LBB51_25:                              ; =>This Inner Loop Header: Depth=1
	scratch_load_b64 v[114:115], v113, off
	ds_load_b64 v[116:117], v112
	v_add_nc_u32_e32 v111, 1, v111
	v_add_nc_u32_e32 v112, 8, v112
	v_add_nc_u32_e32 v113, 8, v113
	s_delay_alu instid0(VALU_DEP_3)
	v_cmp_lt_u32_e32 vcc_lo, 2, v111
	s_or_b32 s1, vcc_lo, s1
	s_waitcnt vmcnt(0) lgkmcnt(0)
	v_fma_f64 v[1:2], v[114:115], v[116:117], v[1:2]
	s_and_not1_b32 exec_lo, exec_lo, s1
	s_cbranch_execnz .LBB51_25
; %bb.26:
	s_or_b32 exec_lo, exec_lo, s1
	v_mov_b32_e32 v111, 0
	ds_load_b64 v[111:112], v111 offset:32
	s_waitcnt lgkmcnt(0)
	v_mul_f64 v[1:2], v[1:2], v[111:112]
	scratch_store_b64 off, v[1:2], off offset:32
.LBB51_27:
	s_or_b32 exec_lo, exec_lo, s0
	s_waitcnt_vscnt null, 0x0
	s_barrier
	buffer_gl0_inv
	scratch_load_b64 v[1:2], off, off offset:40
	;; [unrolled: 39-line block ×20, first 2 shown]
	s_mov_b32 s0, exec_lo
	s_waitcnt vmcnt(0)
	ds_store_b64 v5, v[1:2]
	s_waitcnt lgkmcnt(0)
	s_barrier
	buffer_gl0_inv
	v_cmpx_gt_u32_e32 23, v0
	s_cbranch_execz .LBB51_103
; %bb.100:
	v_dual_mov_b32 v1, 0 :: v_dual_add_nc_u32 v112, 0x1a0, v3
	v_dual_mov_b32 v2, 0 :: v_dual_add_nc_u32 v111, -1, v0
	v_add_nc_u32_e32 v113, 0, v3
	s_mov_b32 s1, 0
.LBB51_101:                             ; =>This Inner Loop Header: Depth=1
	scratch_load_b64 v[114:115], v113, off
	ds_load_b64 v[116:117], v112
	v_add_nc_u32_e32 v111, 1, v111
	v_add_nc_u32_e32 v112, 8, v112
	v_add_nc_u32_e32 v113, 8, v113
	s_delay_alu instid0(VALU_DEP_3)
	v_cmp_lt_u32_e32 vcc_lo, 21, v111
	s_or_b32 s1, vcc_lo, s1
	s_waitcnt vmcnt(0) lgkmcnt(0)
	v_fma_f64 v[1:2], v[114:115], v[116:117], v[1:2]
	s_and_not1_b32 exec_lo, exec_lo, s1
	s_cbranch_execnz .LBB51_101
; %bb.102:
	s_or_b32 exec_lo, exec_lo, s1
	v_mov_b32_e32 v111, 0
	ds_load_b64 v[111:112], v111 offset:184
	s_waitcnt lgkmcnt(0)
	v_mul_f64 v[1:2], v[1:2], v[111:112]
	scratch_store_b64 off, v[1:2], off offset:184
.LBB51_103:
	s_or_b32 exec_lo, exec_lo, s0
	s_waitcnt_vscnt null, 0x0
	s_barrier
	buffer_gl0_inv
	scratch_load_b64 v[1:2], off, off offset:192
	s_mov_b32 s0, exec_lo
	s_waitcnt vmcnt(0)
	ds_store_b64 v5, v[1:2]
	s_waitcnt lgkmcnt(0)
	s_barrier
	buffer_gl0_inv
	v_cmpx_gt_u32_e32 24, v0
	s_cbranch_execz .LBB51_107
; %bb.104:
	v_dual_mov_b32 v1, 0 :: v_dual_add_nc_u32 v112, 0x1a0, v3
	v_dual_mov_b32 v2, 0 :: v_dual_add_nc_u32 v111, -1, v0
	v_add_nc_u32_e32 v113, 0, v3
	s_mov_b32 s1, 0
.LBB51_105:                             ; =>This Inner Loop Header: Depth=1
	scratch_load_b64 v[114:115], v113, off
	ds_load_b64 v[116:117], v112
	v_add_nc_u32_e32 v111, 1, v111
	v_add_nc_u32_e32 v112, 8, v112
	v_add_nc_u32_e32 v113, 8, v113
	s_delay_alu instid0(VALU_DEP_3)
	v_cmp_lt_u32_e32 vcc_lo, 22, v111
	s_or_b32 s1, vcc_lo, s1
	s_waitcnt vmcnt(0) lgkmcnt(0)
	v_fma_f64 v[1:2], v[114:115], v[116:117], v[1:2]
	s_and_not1_b32 exec_lo, exec_lo, s1
	s_cbranch_execnz .LBB51_105
; %bb.106:
	s_or_b32 exec_lo, exec_lo, s1
	v_mov_b32_e32 v111, 0
	ds_load_b64 v[111:112], v111 offset:192
	s_waitcnt lgkmcnt(0)
	v_mul_f64 v[1:2], v[1:2], v[111:112]
	scratch_store_b64 off, v[1:2], off offset:192
.LBB51_107:
	s_or_b32 exec_lo, exec_lo, s0
	s_waitcnt_vscnt null, 0x0
	s_barrier
	buffer_gl0_inv
	scratch_load_b64 v[1:2], off, off offset:200
	;; [unrolled: 39-line block ×28, first 2 shown]
	s_mov_b32 s0, exec_lo
	s_waitcnt vmcnt(0)
	ds_store_b64 v5, v[1:2]
	s_waitcnt lgkmcnt(0)
	s_barrier
	buffer_gl0_inv
	v_cmpx_ne_u32_e32 51, v0
	s_cbranch_execz .LBB51_215
; %bb.212:
	v_mov_b32_e32 v1, 0
	v_mov_b32_e32 v2, 0
	s_mov_b32 s1, 0
.LBB51_213:                             ; =>This Inner Loop Header: Depth=1
	scratch_load_b64 v[111:112], v4, off
	ds_load_b64 v[113:114], v5
	v_add_nc_u32_e32 v110, 1, v110
	v_add_nc_u32_e32 v5, 8, v5
	;; [unrolled: 1-line block ×3, first 2 shown]
	s_delay_alu instid0(VALU_DEP_3)
	v_cmp_lt_u32_e32 vcc_lo, 49, v110
	s_or_b32 s1, vcc_lo, s1
	s_waitcnt vmcnt(0) lgkmcnt(0)
	v_fma_f64 v[1:2], v[111:112], v[113:114], v[1:2]
	s_and_not1_b32 exec_lo, exec_lo, s1
	s_cbranch_execnz .LBB51_213
; %bb.214:
	s_or_b32 exec_lo, exec_lo, s1
	v_mov_b32_e32 v3, 0
	ds_load_b64 v[3:4], v3 offset:408
	s_waitcnt lgkmcnt(0)
	v_mul_f64 v[1:2], v[1:2], v[3:4]
	scratch_store_b64 off, v[1:2], off offset:408
.LBB51_215:
	s_or_b32 exec_lo, exec_lo, s0
	s_mov_b32 s1, -1
	s_waitcnt_vscnt null, 0x0
	s_barrier
	buffer_gl0_inv
.LBB51_216:
	s_and_b32 vcc_lo, exec_lo, s1
	s_cbranch_vccz .LBB51_218
; %bb.217:
	s_lshl_b64 s[0:1], s[14:15], 2
	v_mov_b32_e32 v1, 0
	s_add_u32 s0, s6, s0
	s_addc_u32 s1, s7, s1
	global_load_b32 v1, v1, s[0:1]
	s_waitcnt vmcnt(0)
	v_cmp_ne_u32_e32 vcc_lo, 0, v1
	s_cbranch_vccz .LBB51_219
.LBB51_218:
	s_endpgm
.LBB51_219:
	v_lshl_add_u32 v5, v0, 3, 0x1a0
	s_mov_b32 s0, exec_lo
	v_cmpx_eq_u32_e32 51, v0
	s_cbranch_execz .LBB51_221
; %bb.220:
	scratch_load_b64 v[1:2], off, off offset:400
	v_mov_b32_e32 v3, 0
	s_delay_alu instid0(VALU_DEP_1)
	v_mov_b32_e32 v4, v3
	scratch_store_b64 off, v[3:4], off offset:400
	s_waitcnt vmcnt(0)
	ds_store_b64 v5, v[1:2]
.LBB51_221:
	s_or_b32 exec_lo, exec_lo, s0
	s_waitcnt lgkmcnt(0)
	s_waitcnt_vscnt null, 0x0
	s_barrier
	buffer_gl0_inv
	scratch_load_b128 v[110:113], off, off offset:400
	v_mov_b32_e32 v1, 0
	s_mov_b32 s0, exec_lo
	ds_load_b64 v[2:3], v1 offset:824
	s_waitcnt vmcnt(0) lgkmcnt(0)
	v_fma_f64 v[2:3], v[112:113], v[2:3], 0
	s_delay_alu instid0(VALU_DEP_1)
	v_add_f64 v[2:3], v[110:111], -v[2:3]
	scratch_store_b64 off, v[2:3], off offset:400
	v_cmpx_lt_u32_e32 49, v0
	s_cbranch_execz .LBB51_223
; %bb.222:
	scratch_load_b64 v[3:4], off, off offset:392
	v_mov_b32_e32 v2, v1
	scratch_store_b64 off, v[1:2], off offset:392
	s_waitcnt vmcnt(0)
	ds_store_b64 v5, v[3:4]
.LBB51_223:
	s_or_b32 exec_lo, exec_lo, s0
	s_waitcnt lgkmcnt(0)
	s_waitcnt_vscnt null, 0x0
	s_barrier
	buffer_gl0_inv
	s_clause 0x1
	scratch_load_b128 v[110:113], off, off offset:392
	scratch_load_b64 v[114:115], off, off offset:408
	ds_load_b128 v[1:4], v1 offset:816
	s_mov_b32 s0, exec_lo
	s_waitcnt vmcnt(1) lgkmcnt(0)
	v_fma_f64 v[1:2], v[112:113], v[1:2], 0
	s_waitcnt vmcnt(0)
	s_delay_alu instid0(VALU_DEP_1) | instskip(NEXT) | instid1(VALU_DEP_1)
	v_fma_f64 v[1:2], v[114:115], v[3:4], v[1:2]
	v_add_f64 v[1:2], v[110:111], -v[1:2]
	scratch_store_b64 off, v[1:2], off offset:392
	v_cmpx_lt_u32_e32 48, v0
	s_cbranch_execz .LBB51_225
; %bb.224:
	scratch_load_b64 v[1:2], off, off offset:384
	v_mov_b32_e32 v3, 0
	s_delay_alu instid0(VALU_DEP_1)
	v_mov_b32_e32 v4, v3
	scratch_store_b64 off, v[3:4], off offset:384
	s_waitcnt vmcnt(0)
	ds_store_b64 v5, v[1:2]
.LBB51_225:
	s_or_b32 exec_lo, exec_lo, s0
	s_waitcnt lgkmcnt(0)
	s_waitcnt_vscnt null, 0x0
	s_barrier
	buffer_gl0_inv
	s_clause 0x1
	scratch_load_b128 v[110:113], off, off offset:384
	scratch_load_b128 v[114:117], off, off offset:400
	v_mov_b32_e32 v1, 0
	s_mov_b32 s0, exec_lo
	ds_load_2addr_b64 v[118:121], v1 offset0:101 offset1:102
	s_waitcnt vmcnt(1) lgkmcnt(0)
	v_fma_f64 v[2:3], v[112:113], v[118:119], 0
	ds_load_b64 v[112:113], v1 offset:824
	s_waitcnt vmcnt(0)
	v_fma_f64 v[2:3], v[114:115], v[120:121], v[2:3]
	s_waitcnt lgkmcnt(0)
	s_delay_alu instid0(VALU_DEP_1) | instskip(NEXT) | instid1(VALU_DEP_1)
	v_fma_f64 v[2:3], v[116:117], v[112:113], v[2:3]
	v_add_f64 v[2:3], v[110:111], -v[2:3]
	scratch_store_b64 off, v[2:3], off offset:384
	v_cmpx_lt_u32_e32 47, v0
	s_cbranch_execz .LBB51_227
; %bb.226:
	scratch_load_b64 v[3:4], off, off offset:376
	v_mov_b32_e32 v2, v1
	scratch_store_b64 off, v[1:2], off offset:376
	s_waitcnt vmcnt(0)
	ds_store_b64 v5, v[3:4]
.LBB51_227:
	s_or_b32 exec_lo, exec_lo, s0
	s_waitcnt lgkmcnt(0)
	s_waitcnt_vscnt null, 0x0
	s_barrier
	buffer_gl0_inv
	s_clause 0x2
	scratch_load_b128 v[110:113], off, off offset:376
	scratch_load_b128 v[114:117], off, off offset:392
	scratch_load_b64 v[122:123], off, off offset:408
	ds_load_b128 v[118:121], v1 offset:800
	ds_load_b128 v[1:4], v1 offset:816
	s_mov_b32 s0, exec_lo
	s_waitcnt vmcnt(2) lgkmcnt(1)
	v_fma_f64 v[112:113], v[112:113], v[118:119], 0
	s_waitcnt vmcnt(1)
	s_delay_alu instid0(VALU_DEP_1) | instskip(SKIP_1) | instid1(VALU_DEP_1)
	v_fma_f64 v[112:113], v[114:115], v[120:121], v[112:113]
	s_waitcnt lgkmcnt(0)
	v_fma_f64 v[1:2], v[116:117], v[1:2], v[112:113]
	s_waitcnt vmcnt(0)
	s_delay_alu instid0(VALU_DEP_1) | instskip(NEXT) | instid1(VALU_DEP_1)
	v_fma_f64 v[1:2], v[122:123], v[3:4], v[1:2]
	v_add_f64 v[1:2], v[110:111], -v[1:2]
	scratch_store_b64 off, v[1:2], off offset:376
	v_cmpx_lt_u32_e32 46, v0
	s_cbranch_execz .LBB51_229
; %bb.228:
	scratch_load_b64 v[1:2], off, off offset:368
	v_mov_b32_e32 v3, 0
	s_delay_alu instid0(VALU_DEP_1)
	v_mov_b32_e32 v4, v3
	scratch_store_b64 off, v[3:4], off offset:368
	s_waitcnt vmcnt(0)
	ds_store_b64 v5, v[1:2]
.LBB51_229:
	s_or_b32 exec_lo, exec_lo, s0
	s_waitcnt lgkmcnt(0)
	s_waitcnt_vscnt null, 0x0
	s_barrier
	buffer_gl0_inv
	s_clause 0x2
	scratch_load_b128 v[110:113], off, off offset:368
	scratch_load_b128 v[114:117], off, off offset:384
	;; [unrolled: 1-line block ×3, first 2 shown]
	v_mov_b32_e32 v1, 0
	ds_load_2addr_b64 v[122:125], v1 offset0:99 offset1:100
	ds_load_2addr_b64 v[126:129], v1 offset0:101 offset1:102
	s_mov_b32 s0, exec_lo
	s_waitcnt vmcnt(2) lgkmcnt(1)
	v_fma_f64 v[2:3], v[112:113], v[122:123], 0
	ds_load_b64 v[112:113], v1 offset:824
	s_waitcnt vmcnt(1)
	v_fma_f64 v[2:3], v[114:115], v[124:125], v[2:3]
	s_waitcnt lgkmcnt(1)
	s_delay_alu instid0(VALU_DEP_1) | instskip(SKIP_1) | instid1(VALU_DEP_1)
	v_fma_f64 v[2:3], v[116:117], v[126:127], v[2:3]
	s_waitcnt vmcnt(0)
	v_fma_f64 v[2:3], v[118:119], v[128:129], v[2:3]
	s_waitcnt lgkmcnt(0)
	s_delay_alu instid0(VALU_DEP_1) | instskip(NEXT) | instid1(VALU_DEP_1)
	v_fma_f64 v[2:3], v[120:121], v[112:113], v[2:3]
	v_add_f64 v[2:3], v[110:111], -v[2:3]
	scratch_store_b64 off, v[2:3], off offset:368
	v_cmpx_lt_u32_e32 45, v0
	s_cbranch_execz .LBB51_231
; %bb.230:
	scratch_load_b64 v[3:4], off, off offset:360
	v_mov_b32_e32 v2, v1
	scratch_store_b64 off, v[1:2], off offset:360
	s_waitcnt vmcnt(0)
	ds_store_b64 v5, v[3:4]
.LBB51_231:
	s_or_b32 exec_lo, exec_lo, s0
	s_waitcnt lgkmcnt(0)
	s_waitcnt_vscnt null, 0x0
	s_barrier
	buffer_gl0_inv
	s_clause 0x3
	scratch_load_b128 v[110:113], off, off offset:360
	scratch_load_b128 v[114:117], off, off offset:376
	;; [unrolled: 1-line block ×3, first 2 shown]
	scratch_load_b64 v[130:131], off, off offset:408
	ds_load_b128 v[122:125], v1 offset:784
	ds_load_b128 v[126:129], v1 offset:800
	s_mov_b32 s0, exec_lo
	s_waitcnt vmcnt(3) lgkmcnt(1)
	v_fma_f64 v[2:3], v[112:113], v[122:123], 0
	s_waitcnt vmcnt(2)
	s_delay_alu instid0(VALU_DEP_1) | instskip(SKIP_1) | instid1(VALU_DEP_1)
	v_fma_f64 v[2:3], v[114:115], v[124:125], v[2:3]
	s_waitcnt lgkmcnt(0)
	v_fma_f64 v[2:3], v[116:117], v[126:127], v[2:3]
	s_waitcnt vmcnt(1)
	s_delay_alu instid0(VALU_DEP_1) | instskip(SKIP_4) | instid1(VALU_DEP_1)
	v_fma_f64 v[112:113], v[118:119], v[128:129], v[2:3]
	ds_load_b128 v[1:4], v1 offset:816
	s_waitcnt lgkmcnt(0)
	v_fma_f64 v[1:2], v[120:121], v[1:2], v[112:113]
	s_waitcnt vmcnt(0)
	v_fma_f64 v[1:2], v[130:131], v[3:4], v[1:2]
	s_delay_alu instid0(VALU_DEP_1)
	v_add_f64 v[1:2], v[110:111], -v[1:2]
	scratch_store_b64 off, v[1:2], off offset:360
	v_cmpx_lt_u32_e32 44, v0
	s_cbranch_execz .LBB51_233
; %bb.232:
	scratch_load_b64 v[1:2], off, off offset:352
	v_mov_b32_e32 v3, 0
	s_delay_alu instid0(VALU_DEP_1)
	v_mov_b32_e32 v4, v3
	scratch_store_b64 off, v[3:4], off offset:352
	s_waitcnt vmcnt(0)
	ds_store_b64 v5, v[1:2]
.LBB51_233:
	s_or_b32 exec_lo, exec_lo, s0
	s_waitcnt lgkmcnt(0)
	s_waitcnt_vscnt null, 0x0
	s_barrier
	buffer_gl0_inv
	s_clause 0x3
	scratch_load_b128 v[110:113], off, off offset:352
	scratch_load_b128 v[114:117], off, off offset:368
	;; [unrolled: 1-line block ×4, first 2 shown]
	v_mov_b32_e32 v1, 0
	ds_load_2addr_b64 v[126:129], v1 offset0:97 offset1:98
	ds_load_2addr_b64 v[130:133], v1 offset0:99 offset1:100
	s_mov_b32 s0, exec_lo
	s_waitcnt vmcnt(3) lgkmcnt(1)
	v_fma_f64 v[2:3], v[112:113], v[126:127], 0
	s_waitcnt vmcnt(2)
	s_delay_alu instid0(VALU_DEP_1) | instskip(SKIP_1) | instid1(VALU_DEP_1)
	v_fma_f64 v[2:3], v[114:115], v[128:129], v[2:3]
	s_waitcnt lgkmcnt(0)
	v_fma_f64 v[2:3], v[116:117], v[130:131], v[2:3]
	ds_load_2addr_b64 v[112:115], v1 offset0:101 offset1:102
	ds_load_b64 v[116:117], v1 offset:824
	s_waitcnt vmcnt(1)
	v_fma_f64 v[2:3], v[118:119], v[132:133], v[2:3]
	s_waitcnt lgkmcnt(1)
	s_delay_alu instid0(VALU_DEP_1) | instskip(SKIP_1) | instid1(VALU_DEP_1)
	v_fma_f64 v[2:3], v[120:121], v[112:113], v[2:3]
	s_waitcnt vmcnt(0)
	v_fma_f64 v[2:3], v[122:123], v[114:115], v[2:3]
	s_waitcnt lgkmcnt(0)
	s_delay_alu instid0(VALU_DEP_1) | instskip(NEXT) | instid1(VALU_DEP_1)
	v_fma_f64 v[2:3], v[124:125], v[116:117], v[2:3]
	v_add_f64 v[2:3], v[110:111], -v[2:3]
	scratch_store_b64 off, v[2:3], off offset:352
	v_cmpx_lt_u32_e32 43, v0
	s_cbranch_execz .LBB51_235
; %bb.234:
	scratch_load_b64 v[3:4], off, off offset:344
	v_mov_b32_e32 v2, v1
	scratch_store_b64 off, v[1:2], off offset:344
	s_waitcnt vmcnt(0)
	ds_store_b64 v5, v[3:4]
.LBB51_235:
	s_or_b32 exec_lo, exec_lo, s0
	s_waitcnt lgkmcnt(0)
	s_waitcnt_vscnt null, 0x0
	s_barrier
	buffer_gl0_inv
	s_clause 0x4
	scratch_load_b128 v[110:113], off, off offset:344
	scratch_load_b128 v[114:117], off, off offset:360
	;; [unrolled: 1-line block ×4, first 2 shown]
	scratch_load_b64 v[134:135], off, off offset:408
	ds_load_b128 v[126:129], v1 offset:768
	ds_load_b128 v[130:133], v1 offset:784
	s_mov_b32 s0, exec_lo
	s_waitcnt vmcnt(4) lgkmcnt(1)
	v_fma_f64 v[2:3], v[112:113], v[126:127], 0
	s_waitcnt vmcnt(3)
	s_delay_alu instid0(VALU_DEP_1) | instskip(SKIP_1) | instid1(VALU_DEP_1)
	v_fma_f64 v[2:3], v[114:115], v[128:129], v[2:3]
	s_waitcnt lgkmcnt(0)
	v_fma_f64 v[2:3], v[116:117], v[130:131], v[2:3]
	s_waitcnt vmcnt(2)
	s_delay_alu instid0(VALU_DEP_1)
	v_fma_f64 v[116:117], v[118:119], v[132:133], v[2:3]
	ds_load_b128 v[112:115], v1 offset:800
	ds_load_b128 v[1:4], v1 offset:816
	s_waitcnt lgkmcnt(1)
	v_fma_f64 v[112:113], v[120:121], v[112:113], v[116:117]
	s_waitcnt vmcnt(1)
	s_delay_alu instid0(VALU_DEP_1) | instskip(SKIP_1) | instid1(VALU_DEP_1)
	v_fma_f64 v[112:113], v[122:123], v[114:115], v[112:113]
	s_waitcnt lgkmcnt(0)
	v_fma_f64 v[1:2], v[124:125], v[1:2], v[112:113]
	s_waitcnt vmcnt(0)
	s_delay_alu instid0(VALU_DEP_1) | instskip(NEXT) | instid1(VALU_DEP_1)
	v_fma_f64 v[1:2], v[134:135], v[3:4], v[1:2]
	v_add_f64 v[1:2], v[110:111], -v[1:2]
	scratch_store_b64 off, v[1:2], off offset:344
	v_cmpx_lt_u32_e32 42, v0
	s_cbranch_execz .LBB51_237
; %bb.236:
	scratch_load_b64 v[1:2], off, off offset:336
	v_mov_b32_e32 v3, 0
	s_delay_alu instid0(VALU_DEP_1)
	v_mov_b32_e32 v4, v3
	scratch_store_b64 off, v[3:4], off offset:336
	s_waitcnt vmcnt(0)
	ds_store_b64 v5, v[1:2]
.LBB51_237:
	s_or_b32 exec_lo, exec_lo, s0
	s_waitcnt lgkmcnt(0)
	s_waitcnt_vscnt null, 0x0
	s_barrier
	buffer_gl0_inv
	s_clause 0x4
	scratch_load_b128 v[110:113], off, off offset:336
	scratch_load_b128 v[114:117], off, off offset:352
	;; [unrolled: 1-line block ×5, first 2 shown]
	v_mov_b32_e32 v1, 0
	ds_load_2addr_b64 v[130:133], v1 offset0:95 offset1:96
	ds_load_2addr_b64 v[134:137], v1 offset0:97 offset1:98
	s_mov_b32 s0, exec_lo
	s_waitcnt vmcnt(4) lgkmcnt(1)
	v_fma_f64 v[2:3], v[112:113], v[130:131], 0
	s_waitcnt vmcnt(3)
	s_delay_alu instid0(VALU_DEP_1) | instskip(SKIP_1) | instid1(VALU_DEP_1)
	v_fma_f64 v[2:3], v[114:115], v[132:133], v[2:3]
	s_waitcnt lgkmcnt(0)
	v_fma_f64 v[2:3], v[116:117], v[134:135], v[2:3]
	s_waitcnt vmcnt(2)
	s_delay_alu instid0(VALU_DEP_1)
	v_fma_f64 v[2:3], v[118:119], v[136:137], v[2:3]
	ds_load_2addr_b64 v[112:115], v1 offset0:99 offset1:100
	ds_load_2addr_b64 v[116:119], v1 offset0:101 offset1:102
	s_waitcnt lgkmcnt(1)
	v_fma_f64 v[2:3], v[120:121], v[112:113], v[2:3]
	ds_load_b64 v[112:113], v1 offset:824
	s_waitcnt vmcnt(1)
	v_fma_f64 v[2:3], v[122:123], v[114:115], v[2:3]
	s_waitcnt lgkmcnt(1)
	s_delay_alu instid0(VALU_DEP_1) | instskip(SKIP_1) | instid1(VALU_DEP_1)
	v_fma_f64 v[2:3], v[124:125], v[116:117], v[2:3]
	s_waitcnt vmcnt(0)
	v_fma_f64 v[2:3], v[126:127], v[118:119], v[2:3]
	s_waitcnt lgkmcnt(0)
	s_delay_alu instid0(VALU_DEP_1) | instskip(NEXT) | instid1(VALU_DEP_1)
	v_fma_f64 v[2:3], v[128:129], v[112:113], v[2:3]
	v_add_f64 v[2:3], v[110:111], -v[2:3]
	scratch_store_b64 off, v[2:3], off offset:336
	v_cmpx_lt_u32_e32 41, v0
	s_cbranch_execz .LBB51_239
; %bb.238:
	scratch_load_b64 v[3:4], off, off offset:328
	v_mov_b32_e32 v2, v1
	scratch_store_b64 off, v[1:2], off offset:328
	s_waitcnt vmcnt(0)
	ds_store_b64 v5, v[3:4]
.LBB51_239:
	s_or_b32 exec_lo, exec_lo, s0
	s_waitcnt lgkmcnt(0)
	s_waitcnt_vscnt null, 0x0
	s_barrier
	buffer_gl0_inv
	s_clause 0x4
	scratch_load_b128 v[110:113], off, off offset:328
	scratch_load_b128 v[114:117], off, off offset:344
	;; [unrolled: 1-line block ×5, first 2 shown]
	ds_load_b128 v[130:133], v1 offset:752
	ds_load_b128 v[134:137], v1 offset:768
	s_mov_b32 s0, exec_lo
	s_waitcnt vmcnt(4) lgkmcnt(1)
	v_fma_f64 v[2:3], v[112:113], v[130:131], 0
	scratch_load_b64 v[130:131], off, off offset:408
	s_waitcnt vmcnt(4)
	v_fma_f64 v[2:3], v[114:115], v[132:133], v[2:3]
	s_waitcnt lgkmcnt(0)
	s_delay_alu instid0(VALU_DEP_1) | instskip(SKIP_1) | instid1(VALU_DEP_1)
	v_fma_f64 v[2:3], v[116:117], v[134:135], v[2:3]
	s_waitcnt vmcnt(3)
	v_fma_f64 v[2:3], v[118:119], v[136:137], v[2:3]
	ds_load_b128 v[112:115], v1 offset:784
	ds_load_b128 v[116:119], v1 offset:800
	s_waitcnt lgkmcnt(1)
	v_fma_f64 v[2:3], v[120:121], v[112:113], v[2:3]
	s_waitcnt vmcnt(2)
	s_delay_alu instid0(VALU_DEP_1) | instskip(SKIP_1) | instid1(VALU_DEP_1)
	v_fma_f64 v[2:3], v[122:123], v[114:115], v[2:3]
	s_waitcnt lgkmcnt(0)
	v_fma_f64 v[2:3], v[124:125], v[116:117], v[2:3]
	s_waitcnt vmcnt(1)
	s_delay_alu instid0(VALU_DEP_1) | instskip(SKIP_4) | instid1(VALU_DEP_1)
	v_fma_f64 v[112:113], v[126:127], v[118:119], v[2:3]
	ds_load_b128 v[1:4], v1 offset:816
	s_waitcnt lgkmcnt(0)
	v_fma_f64 v[1:2], v[128:129], v[1:2], v[112:113]
	s_waitcnt vmcnt(0)
	v_fma_f64 v[1:2], v[130:131], v[3:4], v[1:2]
	s_delay_alu instid0(VALU_DEP_1)
	v_add_f64 v[1:2], v[110:111], -v[1:2]
	scratch_store_b64 off, v[1:2], off offset:328
	v_cmpx_lt_u32_e32 40, v0
	s_cbranch_execz .LBB51_241
; %bb.240:
	scratch_load_b64 v[1:2], off, off offset:320
	v_mov_b32_e32 v3, 0
	s_delay_alu instid0(VALU_DEP_1)
	v_mov_b32_e32 v4, v3
	scratch_store_b64 off, v[3:4], off offset:320
	s_waitcnt vmcnt(0)
	ds_store_b64 v5, v[1:2]
.LBB51_241:
	s_or_b32 exec_lo, exec_lo, s0
	s_waitcnt lgkmcnt(0)
	s_waitcnt_vscnt null, 0x0
	s_barrier
	buffer_gl0_inv
	s_clause 0x4
	scratch_load_b128 v[110:113], off, off offset:320
	scratch_load_b128 v[114:117], off, off offset:336
	;; [unrolled: 1-line block ×5, first 2 shown]
	v_mov_b32_e32 v1, 0
	ds_load_2addr_b64 v[130:133], v1 offset0:93 offset1:94
	ds_load_2addr_b64 v[134:137], v1 offset0:95 offset1:96
	scratch_load_b128 v[138:141], off, off offset:400
	s_mov_b32 s0, exec_lo
	s_waitcnt vmcnt(5) lgkmcnt(1)
	v_fma_f64 v[2:3], v[112:113], v[130:131], 0
	s_waitcnt vmcnt(4)
	s_delay_alu instid0(VALU_DEP_1) | instskip(SKIP_1) | instid1(VALU_DEP_1)
	v_fma_f64 v[2:3], v[114:115], v[132:133], v[2:3]
	s_waitcnt lgkmcnt(0)
	v_fma_f64 v[2:3], v[116:117], v[134:135], v[2:3]
	s_waitcnt vmcnt(3)
	s_delay_alu instid0(VALU_DEP_1)
	v_fma_f64 v[2:3], v[118:119], v[136:137], v[2:3]
	ds_load_2addr_b64 v[112:115], v1 offset0:97 offset1:98
	ds_load_2addr_b64 v[116:119], v1 offset0:99 offset1:100
	s_waitcnt lgkmcnt(1)
	v_fma_f64 v[2:3], v[120:121], v[112:113], v[2:3]
	s_waitcnt vmcnt(2)
	s_delay_alu instid0(VALU_DEP_1) | instskip(SKIP_1) | instid1(VALU_DEP_1)
	v_fma_f64 v[2:3], v[122:123], v[114:115], v[2:3]
	s_waitcnt lgkmcnt(0)
	v_fma_f64 v[2:3], v[124:125], v[116:117], v[2:3]
	ds_load_2addr_b64 v[112:115], v1 offset0:101 offset1:102
	ds_load_b64 v[116:117], v1 offset:824
	s_waitcnt vmcnt(1)
	v_fma_f64 v[2:3], v[126:127], v[118:119], v[2:3]
	s_waitcnt lgkmcnt(1)
	s_delay_alu instid0(VALU_DEP_1) | instskip(SKIP_1) | instid1(VALU_DEP_1)
	v_fma_f64 v[2:3], v[128:129], v[112:113], v[2:3]
	s_waitcnt vmcnt(0)
	v_fma_f64 v[2:3], v[138:139], v[114:115], v[2:3]
	s_waitcnt lgkmcnt(0)
	s_delay_alu instid0(VALU_DEP_1) | instskip(NEXT) | instid1(VALU_DEP_1)
	v_fma_f64 v[2:3], v[140:141], v[116:117], v[2:3]
	v_add_f64 v[2:3], v[110:111], -v[2:3]
	scratch_store_b64 off, v[2:3], off offset:320
	v_cmpx_lt_u32_e32 39, v0
	s_cbranch_execz .LBB51_243
; %bb.242:
	scratch_load_b64 v[3:4], off, off offset:312
	v_mov_b32_e32 v2, v1
	scratch_store_b64 off, v[1:2], off offset:312
	s_waitcnt vmcnt(0)
	ds_store_b64 v5, v[3:4]
.LBB51_243:
	s_or_b32 exec_lo, exec_lo, s0
	s_waitcnt lgkmcnt(0)
	s_waitcnt_vscnt null, 0x0
	s_barrier
	buffer_gl0_inv
	s_clause 0x4
	scratch_load_b128 v[110:113], off, off offset:312
	scratch_load_b128 v[114:117], off, off offset:328
	;; [unrolled: 1-line block ×5, first 2 shown]
	ds_load_b128 v[130:133], v1 offset:736
	ds_load_b128 v[134:137], v1 offset:752
	scratch_load_b128 v[138:141], off, off offset:392
	s_mov_b32 s0, exec_lo
	s_waitcnt vmcnt(5) lgkmcnt(1)
	v_fma_f64 v[2:3], v[112:113], v[130:131], 0
	scratch_load_b64 v[130:131], off, off offset:408
	s_waitcnt vmcnt(5)
	v_fma_f64 v[2:3], v[114:115], v[132:133], v[2:3]
	s_waitcnt lgkmcnt(0)
	s_delay_alu instid0(VALU_DEP_1) | instskip(SKIP_1) | instid1(VALU_DEP_1)
	v_fma_f64 v[2:3], v[116:117], v[134:135], v[2:3]
	s_waitcnt vmcnt(4)
	v_fma_f64 v[2:3], v[118:119], v[136:137], v[2:3]
	ds_load_b128 v[112:115], v1 offset:768
	ds_load_b128 v[116:119], v1 offset:784
	s_waitcnt lgkmcnt(1)
	v_fma_f64 v[2:3], v[120:121], v[112:113], v[2:3]
	s_waitcnt vmcnt(3)
	s_delay_alu instid0(VALU_DEP_1) | instskip(SKIP_1) | instid1(VALU_DEP_1)
	v_fma_f64 v[2:3], v[122:123], v[114:115], v[2:3]
	s_waitcnt lgkmcnt(0)
	v_fma_f64 v[2:3], v[124:125], v[116:117], v[2:3]
	s_waitcnt vmcnt(2)
	s_delay_alu instid0(VALU_DEP_1)
	v_fma_f64 v[116:117], v[126:127], v[118:119], v[2:3]
	ds_load_b128 v[112:115], v1 offset:800
	ds_load_b128 v[1:4], v1 offset:816
	s_waitcnt lgkmcnt(1)
	v_fma_f64 v[112:113], v[128:129], v[112:113], v[116:117]
	s_waitcnt vmcnt(1)
	s_delay_alu instid0(VALU_DEP_1) | instskip(SKIP_1) | instid1(VALU_DEP_1)
	v_fma_f64 v[112:113], v[138:139], v[114:115], v[112:113]
	s_waitcnt lgkmcnt(0)
	v_fma_f64 v[1:2], v[140:141], v[1:2], v[112:113]
	s_waitcnt vmcnt(0)
	s_delay_alu instid0(VALU_DEP_1) | instskip(NEXT) | instid1(VALU_DEP_1)
	v_fma_f64 v[1:2], v[130:131], v[3:4], v[1:2]
	v_add_f64 v[1:2], v[110:111], -v[1:2]
	scratch_store_b64 off, v[1:2], off offset:312
	v_cmpx_lt_u32_e32 38, v0
	s_cbranch_execz .LBB51_245
; %bb.244:
	scratch_load_b64 v[1:2], off, off offset:304
	v_mov_b32_e32 v3, 0
	s_delay_alu instid0(VALU_DEP_1)
	v_mov_b32_e32 v4, v3
	scratch_store_b64 off, v[3:4], off offset:304
	s_waitcnt vmcnt(0)
	ds_store_b64 v5, v[1:2]
.LBB51_245:
	s_or_b32 exec_lo, exec_lo, s0
	s_waitcnt lgkmcnt(0)
	s_waitcnt_vscnt null, 0x0
	s_barrier
	buffer_gl0_inv
	s_clause 0x4
	scratch_load_b128 v[110:113], off, off offset:304
	scratch_load_b128 v[114:117], off, off offset:320
	;; [unrolled: 1-line block ×5, first 2 shown]
	v_mov_b32_e32 v1, 0
	ds_load_2addr_b64 v[130:133], v1 offset0:91 offset1:92
	ds_load_2addr_b64 v[134:137], v1 offset0:93 offset1:94
	scratch_load_b128 v[138:141], off, off offset:384
	s_mov_b32 s0, exec_lo
	s_waitcnt vmcnt(5) lgkmcnt(1)
	v_fma_f64 v[2:3], v[112:113], v[130:131], 0
	s_waitcnt vmcnt(4)
	s_delay_alu instid0(VALU_DEP_1) | instskip(SKIP_4) | instid1(VALU_DEP_1)
	v_fma_f64 v[2:3], v[114:115], v[132:133], v[2:3]
	scratch_load_b128 v[112:115], off, off offset:400
	s_waitcnt lgkmcnt(0)
	v_fma_f64 v[2:3], v[116:117], v[134:135], v[2:3]
	s_waitcnt vmcnt(4)
	v_fma_f64 v[2:3], v[118:119], v[136:137], v[2:3]
	ds_load_2addr_b64 v[116:119], v1 offset0:95 offset1:96
	ds_load_2addr_b64 v[130:133], v1 offset0:97 offset1:98
	s_waitcnt lgkmcnt(1)
	v_fma_f64 v[2:3], v[120:121], v[116:117], v[2:3]
	s_waitcnt vmcnt(3)
	s_delay_alu instid0(VALU_DEP_1)
	v_fma_f64 v[2:3], v[122:123], v[118:119], v[2:3]
	ds_load_2addr_b64 v[116:119], v1 offset0:99 offset1:100
	ds_load_2addr_b64 v[120:123], v1 offset0:101 offset1:102
	s_waitcnt lgkmcnt(2)
	v_fma_f64 v[2:3], v[124:125], v[130:131], v[2:3]
	s_waitcnt vmcnt(2)
	s_delay_alu instid0(VALU_DEP_1) | instskip(SKIP_1) | instid1(VALU_DEP_1)
	v_fma_f64 v[2:3], v[126:127], v[132:133], v[2:3]
	s_waitcnt lgkmcnt(1)
	v_fma_f64 v[2:3], v[128:129], v[116:117], v[2:3]
	s_waitcnt vmcnt(1)
	s_delay_alu instid0(VALU_DEP_1) | instskip(SKIP_1) | instid1(VALU_DEP_1)
	v_fma_f64 v[2:3], v[138:139], v[118:119], v[2:3]
	s_waitcnt lgkmcnt(0)
	v_fma_f64 v[2:3], v[140:141], v[120:121], v[2:3]
	s_waitcnt vmcnt(0)
	s_delay_alu instid0(VALU_DEP_1) | instskip(SKIP_3) | instid1(VALU_DEP_1)
	v_fma_f64 v[2:3], v[112:113], v[122:123], v[2:3]
	ds_load_b64 v[112:113], v1 offset:824
	s_waitcnt lgkmcnt(0)
	v_fma_f64 v[2:3], v[114:115], v[112:113], v[2:3]
	v_add_f64 v[2:3], v[110:111], -v[2:3]
	scratch_store_b64 off, v[2:3], off offset:304
	v_cmpx_lt_u32_e32 37, v0
	s_cbranch_execz .LBB51_247
; %bb.246:
	scratch_load_b64 v[3:4], off, off offset:296
	v_mov_b32_e32 v2, v1
	scratch_store_b64 off, v[1:2], off offset:296
	s_waitcnt vmcnt(0)
	ds_store_b64 v5, v[3:4]
.LBB51_247:
	s_or_b32 exec_lo, exec_lo, s0
	s_waitcnt lgkmcnt(0)
	s_waitcnt_vscnt null, 0x0
	s_barrier
	buffer_gl0_inv
	s_clause 0x4
	scratch_load_b128 v[110:113], off, off offset:296
	scratch_load_b128 v[114:117], off, off offset:312
	;; [unrolled: 1-line block ×5, first 2 shown]
	ds_load_b128 v[130:133], v1 offset:720
	ds_load_b128 v[134:137], v1 offset:736
	scratch_load_b128 v[138:141], off, off offset:376
	s_mov_b32 s0, exec_lo
	s_waitcnt vmcnt(5) lgkmcnt(1)
	v_fma_f64 v[2:3], v[112:113], v[130:131], 0
	s_waitcnt vmcnt(4)
	s_delay_alu instid0(VALU_DEP_1) | instskip(SKIP_4) | instid1(VALU_DEP_1)
	v_fma_f64 v[2:3], v[114:115], v[132:133], v[2:3]
	scratch_load_b128 v[112:115], off, off offset:392
	s_waitcnt lgkmcnt(0)
	v_fma_f64 v[2:3], v[116:117], v[134:135], v[2:3]
	s_waitcnt vmcnt(4)
	v_fma_f64 v[2:3], v[118:119], v[136:137], v[2:3]
	ds_load_b128 v[116:119], v1 offset:752
	ds_load_b128 v[130:133], v1 offset:768
	scratch_load_b64 v[134:135], off, off offset:408
	s_waitcnt lgkmcnt(1)
	v_fma_f64 v[2:3], v[120:121], v[116:117], v[2:3]
	s_waitcnt vmcnt(4)
	s_delay_alu instid0(VALU_DEP_1)
	v_fma_f64 v[2:3], v[122:123], v[118:119], v[2:3]
	ds_load_b128 v[116:119], v1 offset:784
	ds_load_b128 v[120:123], v1 offset:800
	s_waitcnt lgkmcnt(2)
	v_fma_f64 v[2:3], v[124:125], v[130:131], v[2:3]
	s_waitcnt vmcnt(3)
	s_delay_alu instid0(VALU_DEP_1) | instskip(SKIP_1) | instid1(VALU_DEP_1)
	v_fma_f64 v[2:3], v[126:127], v[132:133], v[2:3]
	s_waitcnt lgkmcnt(1)
	v_fma_f64 v[2:3], v[128:129], v[116:117], v[2:3]
	s_waitcnt vmcnt(2)
	s_delay_alu instid0(VALU_DEP_1) | instskip(SKIP_1) | instid1(VALU_DEP_1)
	v_fma_f64 v[2:3], v[138:139], v[118:119], v[2:3]
	s_waitcnt lgkmcnt(0)
	v_fma_f64 v[2:3], v[140:141], v[120:121], v[2:3]
	s_waitcnt vmcnt(1)
	s_delay_alu instid0(VALU_DEP_1) | instskip(SKIP_4) | instid1(VALU_DEP_1)
	v_fma_f64 v[112:113], v[112:113], v[122:123], v[2:3]
	ds_load_b128 v[1:4], v1 offset:816
	s_waitcnt lgkmcnt(0)
	v_fma_f64 v[1:2], v[114:115], v[1:2], v[112:113]
	s_waitcnt vmcnt(0)
	v_fma_f64 v[1:2], v[134:135], v[3:4], v[1:2]
	s_delay_alu instid0(VALU_DEP_1)
	v_add_f64 v[1:2], v[110:111], -v[1:2]
	scratch_store_b64 off, v[1:2], off offset:296
	v_cmpx_lt_u32_e32 36, v0
	s_cbranch_execz .LBB51_249
; %bb.248:
	scratch_load_b64 v[1:2], off, off offset:288
	v_mov_b32_e32 v3, 0
	s_delay_alu instid0(VALU_DEP_1)
	v_mov_b32_e32 v4, v3
	scratch_store_b64 off, v[3:4], off offset:288
	s_waitcnt vmcnt(0)
	ds_store_b64 v5, v[1:2]
.LBB51_249:
	s_or_b32 exec_lo, exec_lo, s0
	s_waitcnt lgkmcnt(0)
	s_waitcnt_vscnt null, 0x0
	s_barrier
	buffer_gl0_inv
	s_clause 0x4
	scratch_load_b128 v[110:113], off, off offset:288
	scratch_load_b128 v[114:117], off, off offset:304
	;; [unrolled: 1-line block ×5, first 2 shown]
	v_mov_b32_e32 v1, 0
	ds_load_2addr_b64 v[130:133], v1 offset0:89 offset1:90
	ds_load_2addr_b64 v[134:137], v1 offset0:91 offset1:92
	scratch_load_b128 v[138:141], off, off offset:368
	s_mov_b32 s0, exec_lo
	s_waitcnt vmcnt(5) lgkmcnt(1)
	v_fma_f64 v[2:3], v[112:113], v[130:131], 0
	s_waitcnt vmcnt(4)
	s_delay_alu instid0(VALU_DEP_1) | instskip(SKIP_4) | instid1(VALU_DEP_1)
	v_fma_f64 v[2:3], v[114:115], v[132:133], v[2:3]
	scratch_load_b128 v[112:115], off, off offset:384
	s_waitcnt lgkmcnt(0)
	v_fma_f64 v[2:3], v[116:117], v[134:135], v[2:3]
	s_waitcnt vmcnt(4)
	v_fma_f64 v[2:3], v[118:119], v[136:137], v[2:3]
	ds_load_2addr_b64 v[116:119], v1 offset0:93 offset1:94
	ds_load_2addr_b64 v[130:133], v1 offset0:95 offset1:96
	scratch_load_b128 v[134:137], off, off offset:400
	s_waitcnt lgkmcnt(1)
	v_fma_f64 v[2:3], v[120:121], v[116:117], v[2:3]
	s_waitcnt vmcnt(4)
	s_delay_alu instid0(VALU_DEP_1)
	v_fma_f64 v[2:3], v[122:123], v[118:119], v[2:3]
	ds_load_2addr_b64 v[116:119], v1 offset0:97 offset1:98
	ds_load_2addr_b64 v[120:123], v1 offset0:99 offset1:100
	s_waitcnt lgkmcnt(2)
	v_fma_f64 v[2:3], v[124:125], v[130:131], v[2:3]
	s_waitcnt vmcnt(3)
	s_delay_alu instid0(VALU_DEP_1) | instskip(SKIP_1) | instid1(VALU_DEP_1)
	v_fma_f64 v[2:3], v[126:127], v[132:133], v[2:3]
	s_waitcnt lgkmcnt(1)
	v_fma_f64 v[2:3], v[128:129], v[116:117], v[2:3]
	s_waitcnt vmcnt(2)
	s_delay_alu instid0(VALU_DEP_1) | instskip(SKIP_1) | instid1(VALU_DEP_1)
	v_fma_f64 v[2:3], v[138:139], v[118:119], v[2:3]
	s_waitcnt lgkmcnt(0)
	v_fma_f64 v[2:3], v[140:141], v[120:121], v[2:3]
	s_waitcnt vmcnt(1)
	s_delay_alu instid0(VALU_DEP_1)
	v_fma_f64 v[2:3], v[112:113], v[122:123], v[2:3]
	ds_load_2addr_b64 v[116:119], v1 offset0:101 offset1:102
	ds_load_b64 v[112:113], v1 offset:824
	s_waitcnt lgkmcnt(1)
	v_fma_f64 v[2:3], v[114:115], v[116:117], v[2:3]
	s_waitcnt vmcnt(0)
	s_delay_alu instid0(VALU_DEP_1) | instskip(SKIP_1) | instid1(VALU_DEP_1)
	v_fma_f64 v[2:3], v[134:135], v[118:119], v[2:3]
	s_waitcnt lgkmcnt(0)
	v_fma_f64 v[2:3], v[136:137], v[112:113], v[2:3]
	s_delay_alu instid0(VALU_DEP_1)
	v_add_f64 v[2:3], v[110:111], -v[2:3]
	scratch_store_b64 off, v[2:3], off offset:288
	v_cmpx_lt_u32_e32 35, v0
	s_cbranch_execz .LBB51_251
; %bb.250:
	scratch_load_b64 v[3:4], off, off offset:280
	v_mov_b32_e32 v2, v1
	scratch_store_b64 off, v[1:2], off offset:280
	s_waitcnt vmcnt(0)
	ds_store_b64 v5, v[3:4]
.LBB51_251:
	s_or_b32 exec_lo, exec_lo, s0
	s_waitcnt lgkmcnt(0)
	s_waitcnt_vscnt null, 0x0
	s_barrier
	buffer_gl0_inv
	s_clause 0x4
	scratch_load_b128 v[110:113], off, off offset:280
	scratch_load_b128 v[114:117], off, off offset:296
	;; [unrolled: 1-line block ×5, first 2 shown]
	ds_load_b128 v[130:133], v1 offset:704
	ds_load_b128 v[134:137], v1 offset:720
	scratch_load_b128 v[138:141], off, off offset:360
	s_mov_b32 s0, exec_lo
	s_waitcnt vmcnt(5) lgkmcnt(1)
	v_fma_f64 v[2:3], v[112:113], v[130:131], 0
	s_waitcnt vmcnt(4)
	s_delay_alu instid0(VALU_DEP_1) | instskip(SKIP_4) | instid1(VALU_DEP_1)
	v_fma_f64 v[2:3], v[114:115], v[132:133], v[2:3]
	scratch_load_b128 v[112:115], off, off offset:376
	s_waitcnt lgkmcnt(0)
	v_fma_f64 v[2:3], v[116:117], v[134:135], v[2:3]
	s_waitcnt vmcnt(4)
	v_fma_f64 v[2:3], v[118:119], v[136:137], v[2:3]
	ds_load_b128 v[116:119], v1 offset:736
	ds_load_b128 v[130:133], v1 offset:752
	scratch_load_b128 v[134:137], off, off offset:392
	s_waitcnt lgkmcnt(1)
	v_fma_f64 v[2:3], v[120:121], v[116:117], v[2:3]
	s_waitcnt vmcnt(4)
	s_delay_alu instid0(VALU_DEP_1) | instskip(SKIP_1) | instid1(VALU_DEP_1)
	v_fma_f64 v[2:3], v[122:123], v[118:119], v[2:3]
	s_waitcnt lgkmcnt(0)
	v_fma_f64 v[2:3], v[124:125], v[130:131], v[2:3]
	scratch_load_b64 v[124:125], off, off offset:408
	ds_load_b128 v[116:119], v1 offset:768
	ds_load_b128 v[120:123], v1 offset:784
	s_waitcnt vmcnt(4)
	v_fma_f64 v[2:3], v[126:127], v[132:133], v[2:3]
	s_waitcnt lgkmcnt(1)
	s_delay_alu instid0(VALU_DEP_1) | instskip(SKIP_1) | instid1(VALU_DEP_1)
	v_fma_f64 v[2:3], v[128:129], v[116:117], v[2:3]
	s_waitcnt vmcnt(3)
	v_fma_f64 v[2:3], v[138:139], v[118:119], v[2:3]
	s_waitcnt lgkmcnt(0)
	s_delay_alu instid0(VALU_DEP_1) | instskip(SKIP_1) | instid1(VALU_DEP_1)
	v_fma_f64 v[2:3], v[140:141], v[120:121], v[2:3]
	s_waitcnt vmcnt(2)
	v_fma_f64 v[112:113], v[112:113], v[122:123], v[2:3]
	ds_load_b128 v[116:119], v1 offset:800
	ds_load_b128 v[1:4], v1 offset:816
	s_waitcnt lgkmcnt(1)
	v_fma_f64 v[112:113], v[114:115], v[116:117], v[112:113]
	s_waitcnt vmcnt(1)
	s_delay_alu instid0(VALU_DEP_1) | instskip(SKIP_1) | instid1(VALU_DEP_1)
	v_fma_f64 v[112:113], v[134:135], v[118:119], v[112:113]
	s_waitcnt lgkmcnt(0)
	v_fma_f64 v[1:2], v[136:137], v[1:2], v[112:113]
	s_waitcnt vmcnt(0)
	s_delay_alu instid0(VALU_DEP_1) | instskip(NEXT) | instid1(VALU_DEP_1)
	v_fma_f64 v[1:2], v[124:125], v[3:4], v[1:2]
	v_add_f64 v[1:2], v[110:111], -v[1:2]
	scratch_store_b64 off, v[1:2], off offset:280
	v_cmpx_lt_u32_e32 34, v0
	s_cbranch_execz .LBB51_253
; %bb.252:
	scratch_load_b64 v[1:2], off, off offset:272
	v_mov_b32_e32 v3, 0
	s_delay_alu instid0(VALU_DEP_1)
	v_mov_b32_e32 v4, v3
	scratch_store_b64 off, v[3:4], off offset:272
	s_waitcnt vmcnt(0)
	ds_store_b64 v5, v[1:2]
.LBB51_253:
	s_or_b32 exec_lo, exec_lo, s0
	s_waitcnt lgkmcnt(0)
	s_waitcnt_vscnt null, 0x0
	s_barrier
	buffer_gl0_inv
	s_clause 0x4
	scratch_load_b128 v[110:113], off, off offset:272
	scratch_load_b128 v[114:117], off, off offset:288
	;; [unrolled: 1-line block ×5, first 2 shown]
	v_mov_b32_e32 v1, 0
	ds_load_2addr_b64 v[130:133], v1 offset0:87 offset1:88
	ds_load_2addr_b64 v[134:137], v1 offset0:89 offset1:90
	scratch_load_b128 v[138:141], off, off offset:352
	s_mov_b32 s0, exec_lo
	s_waitcnt vmcnt(5) lgkmcnt(1)
	v_fma_f64 v[2:3], v[112:113], v[130:131], 0
	s_waitcnt vmcnt(4)
	s_delay_alu instid0(VALU_DEP_1) | instskip(SKIP_4) | instid1(VALU_DEP_1)
	v_fma_f64 v[2:3], v[114:115], v[132:133], v[2:3]
	scratch_load_b128 v[112:115], off, off offset:368
	s_waitcnt lgkmcnt(0)
	v_fma_f64 v[2:3], v[116:117], v[134:135], v[2:3]
	s_waitcnt vmcnt(4)
	v_fma_f64 v[2:3], v[118:119], v[136:137], v[2:3]
	ds_load_2addr_b64 v[116:119], v1 offset0:91 offset1:92
	ds_load_2addr_b64 v[130:133], v1 offset0:93 offset1:94
	scratch_load_b128 v[134:137], off, off offset:384
	s_waitcnt lgkmcnt(1)
	v_fma_f64 v[2:3], v[120:121], v[116:117], v[2:3]
	s_waitcnt vmcnt(4)
	s_delay_alu instid0(VALU_DEP_1) | instskip(SKIP_4) | instid1(VALU_DEP_1)
	v_fma_f64 v[2:3], v[122:123], v[118:119], v[2:3]
	scratch_load_b128 v[116:119], off, off offset:400
	s_waitcnt lgkmcnt(0)
	v_fma_f64 v[2:3], v[124:125], v[130:131], v[2:3]
	s_waitcnt vmcnt(4)
	v_fma_f64 v[2:3], v[126:127], v[132:133], v[2:3]
	ds_load_2addr_b64 v[120:123], v1 offset0:95 offset1:96
	ds_load_2addr_b64 v[124:127], v1 offset0:97 offset1:98
	s_waitcnt lgkmcnt(1)
	v_fma_f64 v[2:3], v[128:129], v[120:121], v[2:3]
	s_waitcnt vmcnt(3)
	s_delay_alu instid0(VALU_DEP_1) | instskip(SKIP_1) | instid1(VALU_DEP_1)
	v_fma_f64 v[2:3], v[138:139], v[122:123], v[2:3]
	s_waitcnt lgkmcnt(0)
	v_fma_f64 v[2:3], v[140:141], v[124:125], v[2:3]
	s_waitcnt vmcnt(2)
	s_delay_alu instid0(VALU_DEP_1)
	v_fma_f64 v[2:3], v[112:113], v[126:127], v[2:3]
	ds_load_2addr_b64 v[120:123], v1 offset0:99 offset1:100
	ds_load_2addr_b64 v[124:127], v1 offset0:101 offset1:102
	ds_load_b64 v[112:113], v1 offset:824
	s_waitcnt lgkmcnt(2)
	v_fma_f64 v[2:3], v[114:115], v[120:121], v[2:3]
	s_waitcnt vmcnt(1)
	s_delay_alu instid0(VALU_DEP_1) | instskip(SKIP_1) | instid1(VALU_DEP_1)
	v_fma_f64 v[2:3], v[134:135], v[122:123], v[2:3]
	s_waitcnt lgkmcnt(1)
	v_fma_f64 v[2:3], v[136:137], v[124:125], v[2:3]
	s_waitcnt vmcnt(0)
	s_delay_alu instid0(VALU_DEP_1) | instskip(SKIP_1) | instid1(VALU_DEP_1)
	v_fma_f64 v[2:3], v[116:117], v[126:127], v[2:3]
	s_waitcnt lgkmcnt(0)
	v_fma_f64 v[2:3], v[118:119], v[112:113], v[2:3]
	s_delay_alu instid0(VALU_DEP_1)
	v_add_f64 v[2:3], v[110:111], -v[2:3]
	scratch_store_b64 off, v[2:3], off offset:272
	v_cmpx_lt_u32_e32 33, v0
	s_cbranch_execz .LBB51_255
; %bb.254:
	scratch_load_b64 v[3:4], off, off offset:264
	v_mov_b32_e32 v2, v1
	scratch_store_b64 off, v[1:2], off offset:264
	s_waitcnt vmcnt(0)
	ds_store_b64 v5, v[3:4]
.LBB51_255:
	s_or_b32 exec_lo, exec_lo, s0
	s_waitcnt lgkmcnt(0)
	s_waitcnt_vscnt null, 0x0
	s_barrier
	buffer_gl0_inv
	s_clause 0x4
	scratch_load_b128 v[110:113], off, off offset:264
	scratch_load_b128 v[114:117], off, off offset:280
	scratch_load_b128 v[118:121], off, off offset:296
	scratch_load_b128 v[122:125], off, off offset:312
	scratch_load_b128 v[126:129], off, off offset:328
	ds_load_b128 v[130:133], v1 offset:688
	ds_load_b128 v[134:137], v1 offset:704
	scratch_load_b128 v[138:141], off, off offset:344
	s_mov_b32 s0, exec_lo
	s_waitcnt vmcnt(5) lgkmcnt(1)
	v_fma_f64 v[2:3], v[112:113], v[130:131], 0
	s_waitcnt vmcnt(4)
	s_delay_alu instid0(VALU_DEP_1) | instskip(SKIP_4) | instid1(VALU_DEP_1)
	v_fma_f64 v[2:3], v[114:115], v[132:133], v[2:3]
	scratch_load_b128 v[112:115], off, off offset:360
	s_waitcnt lgkmcnt(0)
	v_fma_f64 v[2:3], v[116:117], v[134:135], v[2:3]
	s_waitcnt vmcnt(4)
	v_fma_f64 v[2:3], v[118:119], v[136:137], v[2:3]
	ds_load_b128 v[116:119], v1 offset:720
	ds_load_b128 v[130:133], v1 offset:736
	scratch_load_b128 v[134:137], off, off offset:376
	s_waitcnt lgkmcnt(1)
	v_fma_f64 v[2:3], v[120:121], v[116:117], v[2:3]
	s_waitcnt vmcnt(4)
	s_delay_alu instid0(VALU_DEP_1) | instskip(SKIP_4) | instid1(VALU_DEP_1)
	v_fma_f64 v[2:3], v[122:123], v[118:119], v[2:3]
	scratch_load_b128 v[116:119], off, off offset:392
	s_waitcnt lgkmcnt(0)
	v_fma_f64 v[2:3], v[124:125], v[130:131], v[2:3]
	s_waitcnt vmcnt(4)
	v_fma_f64 v[2:3], v[126:127], v[132:133], v[2:3]
	ds_load_b128 v[120:123], v1 offset:752
	ds_load_b128 v[124:127], v1 offset:768
	s_waitcnt lgkmcnt(1)
	v_fma_f64 v[2:3], v[128:129], v[120:121], v[2:3]
	scratch_load_b64 v[128:129], off, off offset:408
	s_waitcnt vmcnt(4)
	v_fma_f64 v[2:3], v[138:139], v[122:123], v[2:3]
	s_waitcnt lgkmcnt(0)
	s_delay_alu instid0(VALU_DEP_1) | instskip(SKIP_1) | instid1(VALU_DEP_1)
	v_fma_f64 v[2:3], v[140:141], v[124:125], v[2:3]
	s_waitcnt vmcnt(3)
	v_fma_f64 v[2:3], v[112:113], v[126:127], v[2:3]
	ds_load_b128 v[120:123], v1 offset:784
	ds_load_b128 v[124:127], v1 offset:800
	s_waitcnt lgkmcnt(1)
	v_fma_f64 v[2:3], v[114:115], v[120:121], v[2:3]
	s_waitcnt vmcnt(2)
	s_delay_alu instid0(VALU_DEP_1) | instskip(SKIP_1) | instid1(VALU_DEP_1)
	v_fma_f64 v[2:3], v[134:135], v[122:123], v[2:3]
	s_waitcnt lgkmcnt(0)
	v_fma_f64 v[2:3], v[136:137], v[124:125], v[2:3]
	s_waitcnt vmcnt(1)
	s_delay_alu instid0(VALU_DEP_1) | instskip(SKIP_4) | instid1(VALU_DEP_1)
	v_fma_f64 v[112:113], v[116:117], v[126:127], v[2:3]
	ds_load_b128 v[1:4], v1 offset:816
	s_waitcnt lgkmcnt(0)
	v_fma_f64 v[1:2], v[118:119], v[1:2], v[112:113]
	s_waitcnt vmcnt(0)
	v_fma_f64 v[1:2], v[128:129], v[3:4], v[1:2]
	s_delay_alu instid0(VALU_DEP_1)
	v_add_f64 v[1:2], v[110:111], -v[1:2]
	scratch_store_b64 off, v[1:2], off offset:264
	v_cmpx_lt_u32_e32 32, v0
	s_cbranch_execz .LBB51_257
; %bb.256:
	scratch_load_b64 v[1:2], off, off offset:256
	v_mov_b32_e32 v3, 0
	s_delay_alu instid0(VALU_DEP_1)
	v_mov_b32_e32 v4, v3
	scratch_store_b64 off, v[3:4], off offset:256
	s_waitcnt vmcnt(0)
	ds_store_b64 v5, v[1:2]
.LBB51_257:
	s_or_b32 exec_lo, exec_lo, s0
	s_waitcnt lgkmcnt(0)
	s_waitcnt_vscnt null, 0x0
	s_barrier
	buffer_gl0_inv
	s_clause 0x4
	scratch_load_b128 v[110:113], off, off offset:256
	scratch_load_b128 v[114:117], off, off offset:272
	;; [unrolled: 1-line block ×5, first 2 shown]
	v_mov_b32_e32 v1, 0
	ds_load_2addr_b64 v[130:133], v1 offset0:85 offset1:86
	ds_load_2addr_b64 v[134:137], v1 offset0:87 offset1:88
	scratch_load_b128 v[138:141], off, off offset:336
	s_mov_b32 s0, exec_lo
	s_waitcnt vmcnt(5) lgkmcnt(1)
	v_fma_f64 v[2:3], v[112:113], v[130:131], 0
	s_waitcnt vmcnt(4)
	s_delay_alu instid0(VALU_DEP_1) | instskip(SKIP_4) | instid1(VALU_DEP_1)
	v_fma_f64 v[2:3], v[114:115], v[132:133], v[2:3]
	scratch_load_b128 v[112:115], off, off offset:352
	s_waitcnt lgkmcnt(0)
	v_fma_f64 v[2:3], v[116:117], v[134:135], v[2:3]
	s_waitcnt vmcnt(4)
	v_fma_f64 v[2:3], v[118:119], v[136:137], v[2:3]
	ds_load_2addr_b64 v[116:119], v1 offset0:89 offset1:90
	ds_load_2addr_b64 v[130:133], v1 offset0:91 offset1:92
	scratch_load_b128 v[134:137], off, off offset:368
	s_waitcnt lgkmcnt(1)
	v_fma_f64 v[2:3], v[120:121], v[116:117], v[2:3]
	s_waitcnt vmcnt(4)
	s_delay_alu instid0(VALU_DEP_1) | instskip(SKIP_4) | instid1(VALU_DEP_1)
	v_fma_f64 v[2:3], v[122:123], v[118:119], v[2:3]
	scratch_load_b128 v[116:119], off, off offset:384
	s_waitcnt lgkmcnt(0)
	v_fma_f64 v[2:3], v[124:125], v[130:131], v[2:3]
	s_waitcnt vmcnt(4)
	v_fma_f64 v[2:3], v[126:127], v[132:133], v[2:3]
	ds_load_2addr_b64 v[120:123], v1 offset0:93 offset1:94
	ds_load_2addr_b64 v[124:127], v1 offset0:95 offset1:96
	s_waitcnt lgkmcnt(1)
	v_fma_f64 v[2:3], v[128:129], v[120:121], v[2:3]
	scratch_load_b128 v[128:131], off, off offset:400
	s_waitcnt vmcnt(4)
	v_fma_f64 v[2:3], v[138:139], v[122:123], v[2:3]
	s_waitcnt lgkmcnt(0)
	s_delay_alu instid0(VALU_DEP_1) | instskip(SKIP_1) | instid1(VALU_DEP_1)
	v_fma_f64 v[2:3], v[140:141], v[124:125], v[2:3]
	s_waitcnt vmcnt(3)
	v_fma_f64 v[2:3], v[112:113], v[126:127], v[2:3]
	ds_load_2addr_b64 v[120:123], v1 offset0:97 offset1:98
	ds_load_2addr_b64 v[124:127], v1 offset0:99 offset1:100
	s_waitcnt lgkmcnt(1)
	v_fma_f64 v[2:3], v[114:115], v[120:121], v[2:3]
	s_waitcnt vmcnt(2)
	s_delay_alu instid0(VALU_DEP_1) | instskip(SKIP_1) | instid1(VALU_DEP_1)
	v_fma_f64 v[2:3], v[134:135], v[122:123], v[2:3]
	s_waitcnt lgkmcnt(0)
	v_fma_f64 v[2:3], v[136:137], v[124:125], v[2:3]
	s_waitcnt vmcnt(1)
	s_delay_alu instid0(VALU_DEP_1)
	v_fma_f64 v[2:3], v[116:117], v[126:127], v[2:3]
	ds_load_2addr_b64 v[112:115], v1 offset0:101 offset1:102
	ds_load_b64 v[116:117], v1 offset:824
	s_waitcnt lgkmcnt(1)
	v_fma_f64 v[2:3], v[118:119], v[112:113], v[2:3]
	s_waitcnt vmcnt(0)
	s_delay_alu instid0(VALU_DEP_1) | instskip(SKIP_1) | instid1(VALU_DEP_1)
	v_fma_f64 v[2:3], v[128:129], v[114:115], v[2:3]
	s_waitcnt lgkmcnt(0)
	v_fma_f64 v[2:3], v[130:131], v[116:117], v[2:3]
	s_delay_alu instid0(VALU_DEP_1)
	v_add_f64 v[2:3], v[110:111], -v[2:3]
	scratch_store_b64 off, v[2:3], off offset:256
	v_cmpx_lt_u32_e32 31, v0
	s_cbranch_execz .LBB51_259
; %bb.258:
	scratch_load_b64 v[3:4], off, off offset:248
	v_mov_b32_e32 v2, v1
	scratch_store_b64 off, v[1:2], off offset:248
	s_waitcnt vmcnt(0)
	ds_store_b64 v5, v[3:4]
.LBB51_259:
	s_or_b32 exec_lo, exec_lo, s0
	s_waitcnt lgkmcnt(0)
	s_waitcnt_vscnt null, 0x0
	s_barrier
	buffer_gl0_inv
	s_clause 0x4
	scratch_load_b128 v[110:113], off, off offset:248
	scratch_load_b128 v[114:117], off, off offset:264
	;; [unrolled: 1-line block ×5, first 2 shown]
	ds_load_b128 v[130:133], v1 offset:672
	ds_load_b128 v[134:137], v1 offset:688
	scratch_load_b128 v[138:141], off, off offset:328
	s_mov_b32 s0, exec_lo
	s_waitcnt vmcnt(5) lgkmcnt(1)
	v_fma_f64 v[2:3], v[112:113], v[130:131], 0
	s_waitcnt vmcnt(4)
	s_delay_alu instid0(VALU_DEP_1) | instskip(SKIP_4) | instid1(VALU_DEP_1)
	v_fma_f64 v[2:3], v[114:115], v[132:133], v[2:3]
	scratch_load_b128 v[112:115], off, off offset:344
	s_waitcnt lgkmcnt(0)
	v_fma_f64 v[2:3], v[116:117], v[134:135], v[2:3]
	s_waitcnt vmcnt(4)
	v_fma_f64 v[2:3], v[118:119], v[136:137], v[2:3]
	ds_load_b128 v[116:119], v1 offset:704
	ds_load_b128 v[130:133], v1 offset:720
	scratch_load_b128 v[134:137], off, off offset:360
	s_waitcnt lgkmcnt(1)
	v_fma_f64 v[2:3], v[120:121], v[116:117], v[2:3]
	s_waitcnt vmcnt(4)
	s_delay_alu instid0(VALU_DEP_1) | instskip(SKIP_4) | instid1(VALU_DEP_1)
	v_fma_f64 v[2:3], v[122:123], v[118:119], v[2:3]
	scratch_load_b128 v[116:119], off, off offset:376
	s_waitcnt lgkmcnt(0)
	v_fma_f64 v[2:3], v[124:125], v[130:131], v[2:3]
	s_waitcnt vmcnt(4)
	v_fma_f64 v[2:3], v[126:127], v[132:133], v[2:3]
	ds_load_b128 v[120:123], v1 offset:736
	ds_load_b128 v[124:127], v1 offset:752
	scratch_load_b64 v[132:133], off, off offset:408
	s_waitcnt lgkmcnt(1)
	v_fma_f64 v[2:3], v[128:129], v[120:121], v[2:3]
	scratch_load_b128 v[128:131], off, off offset:392
	s_waitcnt vmcnt(5)
	v_fma_f64 v[2:3], v[138:139], v[122:123], v[2:3]
	s_waitcnt lgkmcnt(0)
	s_delay_alu instid0(VALU_DEP_1) | instskip(SKIP_1) | instid1(VALU_DEP_1)
	v_fma_f64 v[2:3], v[140:141], v[124:125], v[2:3]
	s_waitcnt vmcnt(4)
	v_fma_f64 v[2:3], v[112:113], v[126:127], v[2:3]
	ds_load_b128 v[120:123], v1 offset:768
	ds_load_b128 v[124:127], v1 offset:784
	s_waitcnt lgkmcnt(1)
	v_fma_f64 v[2:3], v[114:115], v[120:121], v[2:3]
	s_waitcnt vmcnt(3)
	s_delay_alu instid0(VALU_DEP_1) | instskip(SKIP_1) | instid1(VALU_DEP_1)
	v_fma_f64 v[2:3], v[134:135], v[122:123], v[2:3]
	s_waitcnt lgkmcnt(0)
	v_fma_f64 v[2:3], v[136:137], v[124:125], v[2:3]
	s_waitcnt vmcnt(2)
	s_delay_alu instid0(VALU_DEP_1)
	v_fma_f64 v[116:117], v[116:117], v[126:127], v[2:3]
	ds_load_b128 v[112:115], v1 offset:800
	ds_load_b128 v[1:4], v1 offset:816
	s_waitcnt lgkmcnt(1)
	v_fma_f64 v[112:113], v[118:119], v[112:113], v[116:117]
	s_waitcnt vmcnt(0)
	s_delay_alu instid0(VALU_DEP_1) | instskip(SKIP_1) | instid1(VALU_DEP_1)
	v_fma_f64 v[112:113], v[128:129], v[114:115], v[112:113]
	s_waitcnt lgkmcnt(0)
	v_fma_f64 v[1:2], v[130:131], v[1:2], v[112:113]
	s_delay_alu instid0(VALU_DEP_1) | instskip(NEXT) | instid1(VALU_DEP_1)
	v_fma_f64 v[1:2], v[132:133], v[3:4], v[1:2]
	v_add_f64 v[1:2], v[110:111], -v[1:2]
	scratch_store_b64 off, v[1:2], off offset:248
	v_cmpx_lt_u32_e32 30, v0
	s_cbranch_execz .LBB51_261
; %bb.260:
	scratch_load_b64 v[1:2], off, off offset:240
	v_mov_b32_e32 v3, 0
	s_delay_alu instid0(VALU_DEP_1)
	v_mov_b32_e32 v4, v3
	scratch_store_b64 off, v[3:4], off offset:240
	s_waitcnt vmcnt(0)
	ds_store_b64 v5, v[1:2]
.LBB51_261:
	s_or_b32 exec_lo, exec_lo, s0
	s_waitcnt lgkmcnt(0)
	s_waitcnt_vscnt null, 0x0
	s_barrier
	buffer_gl0_inv
	s_clause 0x4
	scratch_load_b128 v[110:113], off, off offset:240
	scratch_load_b128 v[114:117], off, off offset:256
	;; [unrolled: 1-line block ×5, first 2 shown]
	v_mov_b32_e32 v1, 0
	ds_load_2addr_b64 v[130:133], v1 offset0:83 offset1:84
	ds_load_2addr_b64 v[134:137], v1 offset0:85 offset1:86
	scratch_load_b128 v[138:141], off, off offset:320
	s_mov_b32 s0, exec_lo
	s_waitcnt vmcnt(5) lgkmcnt(1)
	v_fma_f64 v[2:3], v[112:113], v[130:131], 0
	s_waitcnt vmcnt(4)
	s_delay_alu instid0(VALU_DEP_1) | instskip(SKIP_4) | instid1(VALU_DEP_1)
	v_fma_f64 v[2:3], v[114:115], v[132:133], v[2:3]
	scratch_load_b128 v[112:115], off, off offset:336
	s_waitcnt lgkmcnt(0)
	v_fma_f64 v[2:3], v[116:117], v[134:135], v[2:3]
	s_waitcnt vmcnt(4)
	v_fma_f64 v[2:3], v[118:119], v[136:137], v[2:3]
	ds_load_2addr_b64 v[116:119], v1 offset0:87 offset1:88
	ds_load_2addr_b64 v[130:133], v1 offset0:89 offset1:90
	scratch_load_b128 v[134:137], off, off offset:352
	s_waitcnt lgkmcnt(1)
	v_fma_f64 v[2:3], v[120:121], v[116:117], v[2:3]
	s_waitcnt vmcnt(4)
	s_delay_alu instid0(VALU_DEP_1) | instskip(SKIP_4) | instid1(VALU_DEP_1)
	v_fma_f64 v[2:3], v[122:123], v[118:119], v[2:3]
	scratch_load_b128 v[116:119], off, off offset:368
	s_waitcnt lgkmcnt(0)
	v_fma_f64 v[2:3], v[124:125], v[130:131], v[2:3]
	s_waitcnt vmcnt(4)
	v_fma_f64 v[2:3], v[126:127], v[132:133], v[2:3]
	ds_load_2addr_b64 v[120:123], v1 offset0:91 offset1:92
	ds_load_2addr_b64 v[124:127], v1 offset0:93 offset1:94
	s_waitcnt lgkmcnt(1)
	v_fma_f64 v[2:3], v[128:129], v[120:121], v[2:3]
	scratch_load_b128 v[128:131], off, off offset:384
	s_waitcnt vmcnt(4)
	v_fma_f64 v[2:3], v[138:139], v[122:123], v[2:3]
	scratch_load_b128 v[120:123], off, off offset:400
	s_waitcnt lgkmcnt(0)
	v_fma_f64 v[2:3], v[140:141], v[124:125], v[2:3]
	s_waitcnt vmcnt(4)
	s_delay_alu instid0(VALU_DEP_1)
	v_fma_f64 v[2:3], v[112:113], v[126:127], v[2:3]
	ds_load_2addr_b64 v[124:127], v1 offset0:95 offset1:96
	ds_load_2addr_b64 v[138:141], v1 offset0:97 offset1:98
	s_waitcnt lgkmcnt(1)
	v_fma_f64 v[2:3], v[114:115], v[124:125], v[2:3]
	s_waitcnt vmcnt(3)
	s_delay_alu instid0(VALU_DEP_1)
	v_fma_f64 v[2:3], v[134:135], v[126:127], v[2:3]
	ds_load_2addr_b64 v[112:115], v1 offset0:99 offset1:100
	ds_load_2addr_b64 v[124:127], v1 offset0:101 offset1:102
	s_waitcnt lgkmcnt(2)
	v_fma_f64 v[2:3], v[136:137], v[138:139], v[2:3]
	s_waitcnt vmcnt(2)
	s_delay_alu instid0(VALU_DEP_1) | instskip(SKIP_1) | instid1(VALU_DEP_1)
	v_fma_f64 v[2:3], v[116:117], v[140:141], v[2:3]
	s_waitcnt lgkmcnt(1)
	v_fma_f64 v[2:3], v[118:119], v[112:113], v[2:3]
	ds_load_b64 v[112:113], v1 offset:824
	s_waitcnt vmcnt(1)
	v_fma_f64 v[2:3], v[128:129], v[114:115], v[2:3]
	s_waitcnt lgkmcnt(1)
	s_delay_alu instid0(VALU_DEP_1) | instskip(SKIP_1) | instid1(VALU_DEP_1)
	v_fma_f64 v[2:3], v[130:131], v[124:125], v[2:3]
	s_waitcnt vmcnt(0)
	v_fma_f64 v[2:3], v[120:121], v[126:127], v[2:3]
	s_waitcnt lgkmcnt(0)
	s_delay_alu instid0(VALU_DEP_1) | instskip(NEXT) | instid1(VALU_DEP_1)
	v_fma_f64 v[2:3], v[122:123], v[112:113], v[2:3]
	v_add_f64 v[2:3], v[110:111], -v[2:3]
	scratch_store_b64 off, v[2:3], off offset:240
	v_cmpx_lt_u32_e32 29, v0
	s_cbranch_execz .LBB51_263
; %bb.262:
	scratch_load_b64 v[3:4], off, off offset:232
	v_mov_b32_e32 v2, v1
	scratch_store_b64 off, v[1:2], off offset:232
	s_waitcnt vmcnt(0)
	ds_store_b64 v5, v[3:4]
.LBB51_263:
	s_or_b32 exec_lo, exec_lo, s0
	s_waitcnt lgkmcnt(0)
	s_waitcnt_vscnt null, 0x0
	s_barrier
	buffer_gl0_inv
	s_clause 0x4
	scratch_load_b128 v[110:113], off, off offset:232
	scratch_load_b128 v[114:117], off, off offset:248
	;; [unrolled: 1-line block ×5, first 2 shown]
	ds_load_b128 v[130:133], v1 offset:656
	ds_load_b128 v[134:137], v1 offset:672
	scratch_load_b128 v[138:141], off, off offset:312
	s_mov_b32 s0, exec_lo
	s_waitcnt vmcnt(5) lgkmcnt(1)
	v_fma_f64 v[2:3], v[112:113], v[130:131], 0
	s_waitcnt vmcnt(4)
	s_delay_alu instid0(VALU_DEP_1) | instskip(SKIP_4) | instid1(VALU_DEP_1)
	v_fma_f64 v[2:3], v[114:115], v[132:133], v[2:3]
	scratch_load_b128 v[112:115], off, off offset:328
	s_waitcnt lgkmcnt(0)
	v_fma_f64 v[2:3], v[116:117], v[134:135], v[2:3]
	s_waitcnt vmcnt(4)
	v_fma_f64 v[2:3], v[118:119], v[136:137], v[2:3]
	ds_load_b128 v[116:119], v1 offset:688
	ds_load_b128 v[130:133], v1 offset:704
	scratch_load_b128 v[134:137], off, off offset:344
	s_waitcnt lgkmcnt(1)
	v_fma_f64 v[2:3], v[120:121], v[116:117], v[2:3]
	s_waitcnt vmcnt(4)
	s_delay_alu instid0(VALU_DEP_1) | instskip(SKIP_4) | instid1(VALU_DEP_1)
	v_fma_f64 v[2:3], v[122:123], v[118:119], v[2:3]
	scratch_load_b128 v[116:119], off, off offset:360
	s_waitcnt lgkmcnt(0)
	v_fma_f64 v[2:3], v[124:125], v[130:131], v[2:3]
	s_waitcnt vmcnt(4)
	v_fma_f64 v[2:3], v[126:127], v[132:133], v[2:3]
	ds_load_b128 v[120:123], v1 offset:720
	ds_load_b128 v[124:127], v1 offset:736
	s_waitcnt lgkmcnt(1)
	v_fma_f64 v[2:3], v[128:129], v[120:121], v[2:3]
	scratch_load_b128 v[128:131], off, off offset:376
	s_waitcnt vmcnt(4)
	v_fma_f64 v[2:3], v[138:139], v[122:123], v[2:3]
	scratch_load_b128 v[120:123], off, off offset:392
	s_waitcnt lgkmcnt(0)
	v_fma_f64 v[2:3], v[140:141], v[124:125], v[2:3]
	s_waitcnt vmcnt(4)
	s_delay_alu instid0(VALU_DEP_1)
	v_fma_f64 v[2:3], v[112:113], v[126:127], v[2:3]
	ds_load_b128 v[124:127], v1 offset:752
	ds_load_b128 v[138:141], v1 offset:768
	scratch_load_b64 v[132:133], off, off offset:408
	s_waitcnt lgkmcnt(1)
	v_fma_f64 v[2:3], v[114:115], v[124:125], v[2:3]
	s_waitcnt vmcnt(4)
	s_delay_alu instid0(VALU_DEP_1)
	v_fma_f64 v[2:3], v[134:135], v[126:127], v[2:3]
	ds_load_b128 v[112:115], v1 offset:784
	ds_load_b128 v[124:127], v1 offset:800
	s_waitcnt lgkmcnt(2)
	v_fma_f64 v[2:3], v[136:137], v[138:139], v[2:3]
	s_waitcnt vmcnt(3)
	s_delay_alu instid0(VALU_DEP_1) | instskip(SKIP_1) | instid1(VALU_DEP_1)
	v_fma_f64 v[2:3], v[116:117], v[140:141], v[2:3]
	s_waitcnt lgkmcnt(1)
	v_fma_f64 v[2:3], v[118:119], v[112:113], v[2:3]
	s_waitcnt vmcnt(2)
	s_delay_alu instid0(VALU_DEP_1) | instskip(SKIP_1) | instid1(VALU_DEP_1)
	v_fma_f64 v[2:3], v[128:129], v[114:115], v[2:3]
	s_waitcnt lgkmcnt(0)
	v_fma_f64 v[2:3], v[130:131], v[124:125], v[2:3]
	s_waitcnt vmcnt(1)
	s_delay_alu instid0(VALU_DEP_1) | instskip(SKIP_4) | instid1(VALU_DEP_1)
	v_fma_f64 v[112:113], v[120:121], v[126:127], v[2:3]
	ds_load_b128 v[1:4], v1 offset:816
	s_waitcnt lgkmcnt(0)
	v_fma_f64 v[1:2], v[122:123], v[1:2], v[112:113]
	s_waitcnt vmcnt(0)
	v_fma_f64 v[1:2], v[132:133], v[3:4], v[1:2]
	s_delay_alu instid0(VALU_DEP_1)
	v_add_f64 v[1:2], v[110:111], -v[1:2]
	scratch_store_b64 off, v[1:2], off offset:232
	v_cmpx_lt_u32_e32 28, v0
	s_cbranch_execz .LBB51_265
; %bb.264:
	scratch_load_b64 v[1:2], off, off offset:224
	v_mov_b32_e32 v3, 0
	s_delay_alu instid0(VALU_DEP_1)
	v_mov_b32_e32 v4, v3
	scratch_store_b64 off, v[3:4], off offset:224
	s_waitcnt vmcnt(0)
	ds_store_b64 v5, v[1:2]
.LBB51_265:
	s_or_b32 exec_lo, exec_lo, s0
	s_waitcnt lgkmcnt(0)
	s_waitcnt_vscnt null, 0x0
	s_barrier
	buffer_gl0_inv
	s_clause 0x4
	scratch_load_b128 v[110:113], off, off offset:224
	scratch_load_b128 v[114:117], off, off offset:240
	;; [unrolled: 1-line block ×5, first 2 shown]
	v_mov_b32_e32 v1, 0
	ds_load_2addr_b64 v[130:133], v1 offset0:81 offset1:82
	ds_load_2addr_b64 v[134:137], v1 offset0:83 offset1:84
	scratch_load_b128 v[138:141], off, off offset:304
	s_mov_b32 s0, exec_lo
	s_waitcnt vmcnt(5) lgkmcnt(1)
	v_fma_f64 v[2:3], v[112:113], v[130:131], 0
	s_waitcnt vmcnt(4)
	s_delay_alu instid0(VALU_DEP_1) | instskip(SKIP_4) | instid1(VALU_DEP_1)
	v_fma_f64 v[2:3], v[114:115], v[132:133], v[2:3]
	scratch_load_b128 v[112:115], off, off offset:320
	s_waitcnt lgkmcnt(0)
	v_fma_f64 v[2:3], v[116:117], v[134:135], v[2:3]
	s_waitcnt vmcnt(4)
	v_fma_f64 v[2:3], v[118:119], v[136:137], v[2:3]
	ds_load_2addr_b64 v[116:119], v1 offset0:85 offset1:86
	ds_load_2addr_b64 v[130:133], v1 offset0:87 offset1:88
	scratch_load_b128 v[134:137], off, off offset:336
	s_waitcnt lgkmcnt(1)
	v_fma_f64 v[2:3], v[120:121], v[116:117], v[2:3]
	s_waitcnt vmcnt(4)
	s_delay_alu instid0(VALU_DEP_1) | instskip(SKIP_4) | instid1(VALU_DEP_1)
	v_fma_f64 v[2:3], v[122:123], v[118:119], v[2:3]
	scratch_load_b128 v[116:119], off, off offset:352
	s_waitcnt lgkmcnt(0)
	v_fma_f64 v[2:3], v[124:125], v[130:131], v[2:3]
	s_waitcnt vmcnt(4)
	v_fma_f64 v[2:3], v[126:127], v[132:133], v[2:3]
	ds_load_2addr_b64 v[120:123], v1 offset0:89 offset1:90
	ds_load_2addr_b64 v[124:127], v1 offset0:91 offset1:92
	s_waitcnt lgkmcnt(1)
	v_fma_f64 v[2:3], v[128:129], v[120:121], v[2:3]
	scratch_load_b128 v[128:131], off, off offset:368
	s_waitcnt vmcnt(4)
	v_fma_f64 v[2:3], v[138:139], v[122:123], v[2:3]
	scratch_load_b128 v[120:123], off, off offset:384
	s_waitcnt lgkmcnt(0)
	v_fma_f64 v[2:3], v[140:141], v[124:125], v[2:3]
	s_waitcnt vmcnt(4)
	s_delay_alu instid0(VALU_DEP_1)
	v_fma_f64 v[2:3], v[112:113], v[126:127], v[2:3]
	ds_load_2addr_b64 v[124:127], v1 offset0:93 offset1:94
	ds_load_2addr_b64 v[138:141], v1 offset0:95 offset1:96
	s_waitcnt lgkmcnt(1)
	v_fma_f64 v[2:3], v[114:115], v[124:125], v[2:3]
	scratch_load_b128 v[112:115], off, off offset:400
	s_waitcnt vmcnt(4)
	v_fma_f64 v[2:3], v[134:135], v[126:127], v[2:3]
	ds_load_2addr_b64 v[124:127], v1 offset0:97 offset1:98
	ds_load_2addr_b64 v[132:135], v1 offset0:99 offset1:100
	s_waitcnt lgkmcnt(2)
	v_fma_f64 v[2:3], v[136:137], v[138:139], v[2:3]
	s_waitcnt vmcnt(3)
	s_delay_alu instid0(VALU_DEP_1) | instskip(SKIP_1) | instid1(VALU_DEP_1)
	v_fma_f64 v[2:3], v[116:117], v[140:141], v[2:3]
	s_waitcnt lgkmcnt(1)
	v_fma_f64 v[2:3], v[118:119], v[124:125], v[2:3]
	s_waitcnt vmcnt(2)
	s_delay_alu instid0(VALU_DEP_1) | instskip(SKIP_1) | instid1(VALU_DEP_1)
	v_fma_f64 v[2:3], v[128:129], v[126:127], v[2:3]
	s_waitcnt lgkmcnt(0)
	v_fma_f64 v[2:3], v[130:131], v[132:133], v[2:3]
	s_waitcnt vmcnt(1)
	s_delay_alu instid0(VALU_DEP_1)
	v_fma_f64 v[2:3], v[120:121], v[134:135], v[2:3]
	ds_load_2addr_b64 v[116:119], v1 offset0:101 offset1:102
	ds_load_b64 v[120:121], v1 offset:824
	s_waitcnt lgkmcnt(1)
	v_fma_f64 v[2:3], v[122:123], v[116:117], v[2:3]
	s_waitcnt vmcnt(0)
	s_delay_alu instid0(VALU_DEP_1) | instskip(SKIP_1) | instid1(VALU_DEP_1)
	v_fma_f64 v[2:3], v[112:113], v[118:119], v[2:3]
	s_waitcnt lgkmcnt(0)
	v_fma_f64 v[2:3], v[114:115], v[120:121], v[2:3]
	s_delay_alu instid0(VALU_DEP_1)
	v_add_f64 v[2:3], v[110:111], -v[2:3]
	scratch_store_b64 off, v[2:3], off offset:224
	v_cmpx_lt_u32_e32 27, v0
	s_cbranch_execz .LBB51_267
; %bb.266:
	scratch_load_b64 v[3:4], off, off offset:216
	v_mov_b32_e32 v2, v1
	scratch_store_b64 off, v[1:2], off offset:216
	s_waitcnt vmcnt(0)
	ds_store_b64 v5, v[3:4]
.LBB51_267:
	s_or_b32 exec_lo, exec_lo, s0
	s_waitcnt lgkmcnt(0)
	s_waitcnt_vscnt null, 0x0
	s_barrier
	buffer_gl0_inv
	s_clause 0x4
	scratch_load_b128 v[110:113], off, off offset:216
	scratch_load_b128 v[114:117], off, off offset:232
	scratch_load_b128 v[118:121], off, off offset:248
	scratch_load_b128 v[122:125], off, off offset:264
	scratch_load_b128 v[126:129], off, off offset:280
	ds_load_b128 v[130:133], v1 offset:640
	ds_load_b128 v[134:137], v1 offset:656
	scratch_load_b128 v[138:141], off, off offset:296
	s_mov_b32 s0, exec_lo
	s_waitcnt vmcnt(5) lgkmcnt(1)
	v_fma_f64 v[2:3], v[112:113], v[130:131], 0
	s_waitcnt vmcnt(4)
	s_delay_alu instid0(VALU_DEP_1) | instskip(SKIP_4) | instid1(VALU_DEP_1)
	v_fma_f64 v[2:3], v[114:115], v[132:133], v[2:3]
	scratch_load_b128 v[112:115], off, off offset:312
	s_waitcnt lgkmcnt(0)
	v_fma_f64 v[2:3], v[116:117], v[134:135], v[2:3]
	s_waitcnt vmcnt(4)
	v_fma_f64 v[2:3], v[118:119], v[136:137], v[2:3]
	ds_load_b128 v[116:119], v1 offset:672
	ds_load_b128 v[130:133], v1 offset:688
	scratch_load_b128 v[134:137], off, off offset:328
	s_waitcnt lgkmcnt(1)
	v_fma_f64 v[2:3], v[120:121], v[116:117], v[2:3]
	s_waitcnt vmcnt(4)
	s_delay_alu instid0(VALU_DEP_1) | instskip(SKIP_4) | instid1(VALU_DEP_1)
	v_fma_f64 v[2:3], v[122:123], v[118:119], v[2:3]
	scratch_load_b128 v[116:119], off, off offset:344
	s_waitcnt lgkmcnt(0)
	v_fma_f64 v[2:3], v[124:125], v[130:131], v[2:3]
	s_waitcnt vmcnt(4)
	v_fma_f64 v[2:3], v[126:127], v[132:133], v[2:3]
	ds_load_b128 v[120:123], v1 offset:704
	ds_load_b128 v[124:127], v1 offset:720
	s_waitcnt lgkmcnt(1)
	v_fma_f64 v[2:3], v[128:129], v[120:121], v[2:3]
	scratch_load_b128 v[128:131], off, off offset:360
	s_waitcnt vmcnt(4)
	v_fma_f64 v[2:3], v[138:139], v[122:123], v[2:3]
	scratch_load_b128 v[120:123], off, off offset:376
	s_waitcnt lgkmcnt(0)
	v_fma_f64 v[2:3], v[140:141], v[124:125], v[2:3]
	s_waitcnt vmcnt(4)
	s_delay_alu instid0(VALU_DEP_1)
	v_fma_f64 v[2:3], v[112:113], v[126:127], v[2:3]
	ds_load_b128 v[124:127], v1 offset:736
	ds_load_b128 v[138:141], v1 offset:752
	s_waitcnt lgkmcnt(1)
	v_fma_f64 v[2:3], v[114:115], v[124:125], v[2:3]
	scratch_load_b128 v[112:115], off, off offset:392
	s_waitcnt vmcnt(4)
	v_fma_f64 v[2:3], v[134:135], v[126:127], v[2:3]
	s_waitcnt lgkmcnt(0)
	s_delay_alu instid0(VALU_DEP_1)
	v_fma_f64 v[2:3], v[136:137], v[138:139], v[2:3]
	scratch_load_b64 v[136:137], off, off offset:408
	ds_load_b128 v[124:127], v1 offset:768
	ds_load_b128 v[132:135], v1 offset:784
	s_waitcnt vmcnt(4)
	v_fma_f64 v[2:3], v[116:117], v[140:141], v[2:3]
	s_waitcnt lgkmcnt(1)
	s_delay_alu instid0(VALU_DEP_1) | instskip(SKIP_1) | instid1(VALU_DEP_1)
	v_fma_f64 v[2:3], v[118:119], v[124:125], v[2:3]
	s_waitcnt vmcnt(3)
	v_fma_f64 v[2:3], v[128:129], v[126:127], v[2:3]
	s_waitcnt lgkmcnt(0)
	s_delay_alu instid0(VALU_DEP_1) | instskip(SKIP_1) | instid1(VALU_DEP_1)
	v_fma_f64 v[2:3], v[130:131], v[132:133], v[2:3]
	s_waitcnt vmcnt(2)
	v_fma_f64 v[120:121], v[120:121], v[134:135], v[2:3]
	ds_load_b128 v[116:119], v1 offset:800
	ds_load_b128 v[1:4], v1 offset:816
	s_waitcnt lgkmcnt(1)
	v_fma_f64 v[116:117], v[122:123], v[116:117], v[120:121]
	s_waitcnt vmcnt(1)
	s_delay_alu instid0(VALU_DEP_1) | instskip(SKIP_1) | instid1(VALU_DEP_1)
	v_fma_f64 v[112:113], v[112:113], v[118:119], v[116:117]
	s_waitcnt lgkmcnt(0)
	v_fma_f64 v[1:2], v[114:115], v[1:2], v[112:113]
	s_waitcnt vmcnt(0)
	s_delay_alu instid0(VALU_DEP_1) | instskip(NEXT) | instid1(VALU_DEP_1)
	v_fma_f64 v[1:2], v[136:137], v[3:4], v[1:2]
	v_add_f64 v[1:2], v[110:111], -v[1:2]
	scratch_store_b64 off, v[1:2], off offset:216
	v_cmpx_lt_u32_e32 26, v0
	s_cbranch_execz .LBB51_269
; %bb.268:
	scratch_load_b64 v[1:2], off, off offset:208
	v_mov_b32_e32 v3, 0
	s_delay_alu instid0(VALU_DEP_1)
	v_mov_b32_e32 v4, v3
	scratch_store_b64 off, v[3:4], off offset:208
	s_waitcnt vmcnt(0)
	ds_store_b64 v5, v[1:2]
.LBB51_269:
	s_or_b32 exec_lo, exec_lo, s0
	s_waitcnt lgkmcnt(0)
	s_waitcnt_vscnt null, 0x0
	s_barrier
	buffer_gl0_inv
	s_clause 0x4
	scratch_load_b128 v[110:113], off, off offset:208
	scratch_load_b128 v[114:117], off, off offset:224
	;; [unrolled: 1-line block ×5, first 2 shown]
	v_mov_b32_e32 v1, 0
	ds_load_2addr_b64 v[130:133], v1 offset0:79 offset1:80
	ds_load_2addr_b64 v[134:137], v1 offset0:81 offset1:82
	scratch_load_b128 v[138:141], off, off offset:288
	s_mov_b32 s0, exec_lo
	s_waitcnt vmcnt(5) lgkmcnt(1)
	v_fma_f64 v[2:3], v[112:113], v[130:131], 0
	s_waitcnt vmcnt(4)
	s_delay_alu instid0(VALU_DEP_1) | instskip(SKIP_4) | instid1(VALU_DEP_1)
	v_fma_f64 v[2:3], v[114:115], v[132:133], v[2:3]
	scratch_load_b128 v[112:115], off, off offset:304
	s_waitcnt lgkmcnt(0)
	v_fma_f64 v[2:3], v[116:117], v[134:135], v[2:3]
	s_waitcnt vmcnt(4)
	v_fma_f64 v[2:3], v[118:119], v[136:137], v[2:3]
	ds_load_2addr_b64 v[116:119], v1 offset0:83 offset1:84
	ds_load_2addr_b64 v[130:133], v1 offset0:85 offset1:86
	scratch_load_b128 v[134:137], off, off offset:320
	s_waitcnt lgkmcnt(1)
	v_fma_f64 v[2:3], v[120:121], v[116:117], v[2:3]
	s_waitcnt vmcnt(4)
	s_delay_alu instid0(VALU_DEP_1) | instskip(SKIP_4) | instid1(VALU_DEP_1)
	v_fma_f64 v[2:3], v[122:123], v[118:119], v[2:3]
	scratch_load_b128 v[116:119], off, off offset:336
	s_waitcnt lgkmcnt(0)
	v_fma_f64 v[2:3], v[124:125], v[130:131], v[2:3]
	s_waitcnt vmcnt(4)
	v_fma_f64 v[2:3], v[126:127], v[132:133], v[2:3]
	ds_load_2addr_b64 v[120:123], v1 offset0:87 offset1:88
	ds_load_2addr_b64 v[124:127], v1 offset0:89 offset1:90
	s_waitcnt lgkmcnt(1)
	v_fma_f64 v[2:3], v[128:129], v[120:121], v[2:3]
	scratch_load_b128 v[128:131], off, off offset:352
	s_waitcnt vmcnt(4)
	v_fma_f64 v[2:3], v[138:139], v[122:123], v[2:3]
	scratch_load_b128 v[120:123], off, off offset:368
	s_waitcnt lgkmcnt(0)
	v_fma_f64 v[2:3], v[140:141], v[124:125], v[2:3]
	s_waitcnt vmcnt(4)
	s_delay_alu instid0(VALU_DEP_1)
	v_fma_f64 v[2:3], v[112:113], v[126:127], v[2:3]
	ds_load_2addr_b64 v[124:127], v1 offset0:91 offset1:92
	ds_load_2addr_b64 v[138:141], v1 offset0:93 offset1:94
	s_waitcnt lgkmcnt(1)
	v_fma_f64 v[2:3], v[114:115], v[124:125], v[2:3]
	scratch_load_b128 v[112:115], off, off offset:384
	s_waitcnt vmcnt(4)
	v_fma_f64 v[2:3], v[134:135], v[126:127], v[2:3]
	scratch_load_b128 v[124:127], off, off offset:400
	s_waitcnt lgkmcnt(0)
	v_fma_f64 v[2:3], v[136:137], v[138:139], v[2:3]
	ds_load_2addr_b64 v[132:135], v1 offset0:95 offset1:96
	ds_load_2addr_b64 v[136:139], v1 offset0:97 offset1:98
	s_waitcnt vmcnt(4)
	v_fma_f64 v[2:3], v[116:117], v[140:141], v[2:3]
	s_waitcnt lgkmcnt(1)
	s_delay_alu instid0(VALU_DEP_1) | instskip(SKIP_1) | instid1(VALU_DEP_1)
	v_fma_f64 v[2:3], v[118:119], v[132:133], v[2:3]
	s_waitcnt vmcnt(3)
	v_fma_f64 v[2:3], v[128:129], v[134:135], v[2:3]
	s_waitcnt lgkmcnt(0)
	s_delay_alu instid0(VALU_DEP_1)
	v_fma_f64 v[2:3], v[130:131], v[136:137], v[2:3]
	ds_load_2addr_b64 v[116:119], v1 offset0:99 offset1:100
	ds_load_2addr_b64 v[128:131], v1 offset0:101 offset1:102
	s_waitcnt vmcnt(2)
	v_fma_f64 v[2:3], v[120:121], v[138:139], v[2:3]
	s_waitcnt lgkmcnt(1)
	s_delay_alu instid0(VALU_DEP_1) | instskip(SKIP_1) | instid1(VALU_DEP_1)
	v_fma_f64 v[2:3], v[122:123], v[116:117], v[2:3]
	s_waitcnt vmcnt(1)
	v_fma_f64 v[2:3], v[112:113], v[118:119], v[2:3]
	ds_load_b64 v[112:113], v1 offset:824
	s_waitcnt lgkmcnt(1)
	v_fma_f64 v[2:3], v[114:115], v[128:129], v[2:3]
	s_waitcnt vmcnt(0)
	s_delay_alu instid0(VALU_DEP_1) | instskip(SKIP_1) | instid1(VALU_DEP_1)
	v_fma_f64 v[2:3], v[124:125], v[130:131], v[2:3]
	s_waitcnt lgkmcnt(0)
	v_fma_f64 v[2:3], v[126:127], v[112:113], v[2:3]
	s_delay_alu instid0(VALU_DEP_1)
	v_add_f64 v[2:3], v[110:111], -v[2:3]
	scratch_store_b64 off, v[2:3], off offset:208
	v_cmpx_lt_u32_e32 25, v0
	s_cbranch_execz .LBB51_271
; %bb.270:
	scratch_load_b64 v[3:4], off, off offset:200
	v_mov_b32_e32 v2, v1
	scratch_store_b64 off, v[1:2], off offset:200
	s_waitcnt vmcnt(0)
	ds_store_b64 v5, v[3:4]
.LBB51_271:
	s_or_b32 exec_lo, exec_lo, s0
	s_waitcnt lgkmcnt(0)
	s_waitcnt_vscnt null, 0x0
	s_barrier
	buffer_gl0_inv
	s_clause 0x4
	scratch_load_b128 v[110:113], off, off offset:200
	scratch_load_b128 v[114:117], off, off offset:216
	;; [unrolled: 1-line block ×5, first 2 shown]
	ds_load_b128 v[130:133], v1 offset:624
	ds_load_b128 v[134:137], v1 offset:640
	scratch_load_b128 v[138:141], off, off offset:280
	s_mov_b32 s0, exec_lo
	s_waitcnt vmcnt(5) lgkmcnt(1)
	v_fma_f64 v[2:3], v[112:113], v[130:131], 0
	s_waitcnt vmcnt(4)
	s_delay_alu instid0(VALU_DEP_1) | instskip(SKIP_4) | instid1(VALU_DEP_1)
	v_fma_f64 v[2:3], v[114:115], v[132:133], v[2:3]
	scratch_load_b128 v[112:115], off, off offset:296
	s_waitcnt lgkmcnt(0)
	v_fma_f64 v[2:3], v[116:117], v[134:135], v[2:3]
	s_waitcnt vmcnt(4)
	v_fma_f64 v[2:3], v[118:119], v[136:137], v[2:3]
	ds_load_b128 v[116:119], v1 offset:656
	ds_load_b128 v[130:133], v1 offset:672
	scratch_load_b128 v[134:137], off, off offset:312
	s_waitcnt lgkmcnt(1)
	v_fma_f64 v[2:3], v[120:121], v[116:117], v[2:3]
	s_waitcnt vmcnt(4)
	s_delay_alu instid0(VALU_DEP_1) | instskip(SKIP_4) | instid1(VALU_DEP_1)
	v_fma_f64 v[2:3], v[122:123], v[118:119], v[2:3]
	scratch_load_b128 v[116:119], off, off offset:328
	s_waitcnt lgkmcnt(0)
	v_fma_f64 v[2:3], v[124:125], v[130:131], v[2:3]
	s_waitcnt vmcnt(4)
	v_fma_f64 v[2:3], v[126:127], v[132:133], v[2:3]
	ds_load_b128 v[120:123], v1 offset:688
	ds_load_b128 v[124:127], v1 offset:704
	s_waitcnt lgkmcnt(1)
	v_fma_f64 v[2:3], v[128:129], v[120:121], v[2:3]
	scratch_load_b128 v[128:131], off, off offset:344
	s_waitcnt vmcnt(4)
	v_fma_f64 v[2:3], v[138:139], v[122:123], v[2:3]
	scratch_load_b128 v[120:123], off, off offset:360
	s_waitcnt lgkmcnt(0)
	v_fma_f64 v[2:3], v[140:141], v[124:125], v[2:3]
	s_waitcnt vmcnt(4)
	s_delay_alu instid0(VALU_DEP_1)
	v_fma_f64 v[2:3], v[112:113], v[126:127], v[2:3]
	ds_load_b128 v[124:127], v1 offset:720
	ds_load_b128 v[138:141], v1 offset:736
	s_waitcnt lgkmcnt(1)
	v_fma_f64 v[2:3], v[114:115], v[124:125], v[2:3]
	scratch_load_b128 v[112:115], off, off offset:376
	s_waitcnt vmcnt(4)
	v_fma_f64 v[2:3], v[134:135], v[126:127], v[2:3]
	scratch_load_b128 v[124:127], off, off offset:392
	s_waitcnt lgkmcnt(0)
	v_fma_f64 v[2:3], v[136:137], v[138:139], v[2:3]
	ds_load_b128 v[132:135], v1 offset:752
	ds_load_b128 v[136:139], v1 offset:768
	s_waitcnt vmcnt(4)
	v_fma_f64 v[2:3], v[116:117], v[140:141], v[2:3]
	s_waitcnt lgkmcnt(1)
	s_delay_alu instid0(VALU_DEP_1) | instskip(SKIP_4) | instid1(VALU_DEP_1)
	v_fma_f64 v[2:3], v[118:119], v[132:133], v[2:3]
	scratch_load_b64 v[132:133], off, off offset:408
	s_waitcnt vmcnt(4)
	v_fma_f64 v[2:3], v[128:129], v[134:135], v[2:3]
	s_waitcnt lgkmcnt(0)
	v_fma_f64 v[2:3], v[130:131], v[136:137], v[2:3]
	ds_load_b128 v[116:119], v1 offset:784
	ds_load_b128 v[128:131], v1 offset:800
	s_waitcnt vmcnt(3)
	v_fma_f64 v[2:3], v[120:121], v[138:139], v[2:3]
	s_waitcnt lgkmcnt(1)
	s_delay_alu instid0(VALU_DEP_1) | instskip(SKIP_1) | instid1(VALU_DEP_1)
	v_fma_f64 v[2:3], v[122:123], v[116:117], v[2:3]
	s_waitcnt vmcnt(2)
	v_fma_f64 v[2:3], v[112:113], v[118:119], v[2:3]
	s_waitcnt lgkmcnt(0)
	s_delay_alu instid0(VALU_DEP_1) | instskip(SKIP_1) | instid1(VALU_DEP_1)
	v_fma_f64 v[2:3], v[114:115], v[128:129], v[2:3]
	s_waitcnt vmcnt(1)
	v_fma_f64 v[112:113], v[124:125], v[130:131], v[2:3]
	ds_load_b128 v[1:4], v1 offset:816
	s_waitcnt lgkmcnt(0)
	v_fma_f64 v[1:2], v[126:127], v[1:2], v[112:113]
	s_waitcnt vmcnt(0)
	s_delay_alu instid0(VALU_DEP_1) | instskip(NEXT) | instid1(VALU_DEP_1)
	v_fma_f64 v[1:2], v[132:133], v[3:4], v[1:2]
	v_add_f64 v[1:2], v[110:111], -v[1:2]
	scratch_store_b64 off, v[1:2], off offset:200
	v_cmpx_lt_u32_e32 24, v0
	s_cbranch_execz .LBB51_273
; %bb.272:
	scratch_load_b64 v[1:2], off, off offset:192
	v_mov_b32_e32 v3, 0
	s_delay_alu instid0(VALU_DEP_1)
	v_mov_b32_e32 v4, v3
	scratch_store_b64 off, v[3:4], off offset:192
	s_waitcnt vmcnt(0)
	ds_store_b64 v5, v[1:2]
.LBB51_273:
	s_or_b32 exec_lo, exec_lo, s0
	s_waitcnt lgkmcnt(0)
	s_waitcnt_vscnt null, 0x0
	s_barrier
	buffer_gl0_inv
	s_clause 0x4
	scratch_load_b128 v[110:113], off, off offset:192
	scratch_load_b128 v[114:117], off, off offset:208
	;; [unrolled: 1-line block ×5, first 2 shown]
	v_mov_b32_e32 v1, 0
	ds_load_2addr_b64 v[130:133], v1 offset0:77 offset1:78
	ds_load_2addr_b64 v[134:137], v1 offset0:79 offset1:80
	scratch_load_b128 v[138:141], off, off offset:272
	s_mov_b32 s0, exec_lo
	s_waitcnt vmcnt(5) lgkmcnt(1)
	v_fma_f64 v[2:3], v[112:113], v[130:131], 0
	s_waitcnt vmcnt(4)
	s_delay_alu instid0(VALU_DEP_1) | instskip(SKIP_4) | instid1(VALU_DEP_1)
	v_fma_f64 v[2:3], v[114:115], v[132:133], v[2:3]
	scratch_load_b128 v[112:115], off, off offset:288
	s_waitcnt lgkmcnt(0)
	v_fma_f64 v[2:3], v[116:117], v[134:135], v[2:3]
	s_waitcnt vmcnt(4)
	v_fma_f64 v[2:3], v[118:119], v[136:137], v[2:3]
	ds_load_2addr_b64 v[116:119], v1 offset0:81 offset1:82
	ds_load_2addr_b64 v[130:133], v1 offset0:83 offset1:84
	scratch_load_b128 v[134:137], off, off offset:304
	s_waitcnt lgkmcnt(1)
	v_fma_f64 v[2:3], v[120:121], v[116:117], v[2:3]
	s_waitcnt vmcnt(4)
	s_delay_alu instid0(VALU_DEP_1) | instskip(SKIP_4) | instid1(VALU_DEP_1)
	v_fma_f64 v[2:3], v[122:123], v[118:119], v[2:3]
	scratch_load_b128 v[116:119], off, off offset:320
	s_waitcnt lgkmcnt(0)
	v_fma_f64 v[2:3], v[124:125], v[130:131], v[2:3]
	s_waitcnt vmcnt(4)
	v_fma_f64 v[2:3], v[126:127], v[132:133], v[2:3]
	ds_load_2addr_b64 v[120:123], v1 offset0:85 offset1:86
	ds_load_2addr_b64 v[124:127], v1 offset0:87 offset1:88
	s_waitcnt lgkmcnt(1)
	v_fma_f64 v[2:3], v[128:129], v[120:121], v[2:3]
	scratch_load_b128 v[128:131], off, off offset:336
	s_waitcnt vmcnt(4)
	v_fma_f64 v[2:3], v[138:139], v[122:123], v[2:3]
	scratch_load_b128 v[120:123], off, off offset:352
	s_waitcnt lgkmcnt(0)
	v_fma_f64 v[2:3], v[140:141], v[124:125], v[2:3]
	s_waitcnt vmcnt(4)
	s_delay_alu instid0(VALU_DEP_1)
	v_fma_f64 v[2:3], v[112:113], v[126:127], v[2:3]
	ds_load_2addr_b64 v[124:127], v1 offset0:89 offset1:90
	ds_load_2addr_b64 v[138:141], v1 offset0:91 offset1:92
	s_waitcnt lgkmcnt(1)
	v_fma_f64 v[2:3], v[114:115], v[124:125], v[2:3]
	scratch_load_b128 v[112:115], off, off offset:368
	s_waitcnt vmcnt(4)
	v_fma_f64 v[2:3], v[134:135], v[126:127], v[2:3]
	scratch_load_b128 v[124:127], off, off offset:384
	s_waitcnt lgkmcnt(0)
	v_fma_f64 v[2:3], v[136:137], v[138:139], v[2:3]
	ds_load_2addr_b64 v[132:135], v1 offset0:93 offset1:94
	ds_load_2addr_b64 v[136:139], v1 offset0:95 offset1:96
	s_waitcnt vmcnt(4)
	v_fma_f64 v[2:3], v[116:117], v[140:141], v[2:3]
	s_waitcnt lgkmcnt(1)
	s_delay_alu instid0(VALU_DEP_1) | instskip(SKIP_4) | instid1(VALU_DEP_1)
	v_fma_f64 v[2:3], v[118:119], v[132:133], v[2:3]
	scratch_load_b128 v[116:119], off, off offset:400
	s_waitcnt vmcnt(4)
	v_fma_f64 v[2:3], v[128:129], v[134:135], v[2:3]
	s_waitcnt lgkmcnt(0)
	v_fma_f64 v[2:3], v[130:131], v[136:137], v[2:3]
	ds_load_2addr_b64 v[128:131], v1 offset0:97 offset1:98
	ds_load_2addr_b64 v[132:135], v1 offset0:99 offset1:100
	s_waitcnt vmcnt(3)
	v_fma_f64 v[2:3], v[120:121], v[138:139], v[2:3]
	s_waitcnt lgkmcnt(1)
	s_delay_alu instid0(VALU_DEP_1) | instskip(SKIP_1) | instid1(VALU_DEP_1)
	v_fma_f64 v[2:3], v[122:123], v[128:129], v[2:3]
	s_waitcnt vmcnt(2)
	v_fma_f64 v[2:3], v[112:113], v[130:131], v[2:3]
	s_waitcnt lgkmcnt(0)
	s_delay_alu instid0(VALU_DEP_1)
	v_fma_f64 v[2:3], v[114:115], v[132:133], v[2:3]
	ds_load_2addr_b64 v[112:115], v1 offset0:101 offset1:102
	ds_load_b64 v[120:121], v1 offset:824
	s_waitcnt vmcnt(1)
	v_fma_f64 v[2:3], v[124:125], v[134:135], v[2:3]
	s_waitcnt lgkmcnt(1)
	s_delay_alu instid0(VALU_DEP_1) | instskip(SKIP_1) | instid1(VALU_DEP_1)
	v_fma_f64 v[2:3], v[126:127], v[112:113], v[2:3]
	s_waitcnt vmcnt(0)
	v_fma_f64 v[2:3], v[116:117], v[114:115], v[2:3]
	s_waitcnt lgkmcnt(0)
	s_delay_alu instid0(VALU_DEP_1) | instskip(NEXT) | instid1(VALU_DEP_1)
	v_fma_f64 v[2:3], v[118:119], v[120:121], v[2:3]
	v_add_f64 v[2:3], v[110:111], -v[2:3]
	scratch_store_b64 off, v[2:3], off offset:192
	v_cmpx_lt_u32_e32 23, v0
	s_cbranch_execz .LBB51_275
; %bb.274:
	scratch_load_b64 v[3:4], off, off offset:184
	v_mov_b32_e32 v2, v1
	scratch_store_b64 off, v[1:2], off offset:184
	s_waitcnt vmcnt(0)
	ds_store_b64 v5, v[3:4]
.LBB51_275:
	s_or_b32 exec_lo, exec_lo, s0
	s_waitcnt lgkmcnt(0)
	s_waitcnt_vscnt null, 0x0
	s_barrier
	buffer_gl0_inv
	s_clause 0x4
	scratch_load_b128 v[110:113], off, off offset:184
	scratch_load_b128 v[114:117], off, off offset:200
	;; [unrolled: 1-line block ×5, first 2 shown]
	ds_load_b128 v[130:133], v1 offset:608
	ds_load_b128 v[134:137], v1 offset:624
	scratch_load_b128 v[138:141], off, off offset:264
	s_mov_b32 s0, exec_lo
	s_waitcnt vmcnt(5) lgkmcnt(1)
	v_fma_f64 v[2:3], v[112:113], v[130:131], 0
	s_waitcnt vmcnt(4)
	s_delay_alu instid0(VALU_DEP_1) | instskip(SKIP_4) | instid1(VALU_DEP_1)
	v_fma_f64 v[2:3], v[114:115], v[132:133], v[2:3]
	scratch_load_b128 v[112:115], off, off offset:280
	s_waitcnt lgkmcnt(0)
	v_fma_f64 v[2:3], v[116:117], v[134:135], v[2:3]
	s_waitcnt vmcnt(4)
	v_fma_f64 v[2:3], v[118:119], v[136:137], v[2:3]
	ds_load_b128 v[116:119], v1 offset:640
	ds_load_b128 v[130:133], v1 offset:656
	scratch_load_b128 v[134:137], off, off offset:296
	s_waitcnt lgkmcnt(1)
	v_fma_f64 v[2:3], v[120:121], v[116:117], v[2:3]
	s_waitcnt vmcnt(4)
	s_delay_alu instid0(VALU_DEP_1) | instskip(SKIP_4) | instid1(VALU_DEP_1)
	v_fma_f64 v[2:3], v[122:123], v[118:119], v[2:3]
	scratch_load_b128 v[116:119], off, off offset:312
	s_waitcnt lgkmcnt(0)
	v_fma_f64 v[2:3], v[124:125], v[130:131], v[2:3]
	s_waitcnt vmcnt(4)
	v_fma_f64 v[2:3], v[126:127], v[132:133], v[2:3]
	ds_load_b128 v[120:123], v1 offset:672
	ds_load_b128 v[124:127], v1 offset:688
	s_waitcnt lgkmcnt(1)
	v_fma_f64 v[2:3], v[128:129], v[120:121], v[2:3]
	scratch_load_b128 v[128:131], off, off offset:328
	s_waitcnt vmcnt(4)
	v_fma_f64 v[2:3], v[138:139], v[122:123], v[2:3]
	scratch_load_b128 v[120:123], off, off offset:344
	s_waitcnt lgkmcnt(0)
	v_fma_f64 v[2:3], v[140:141], v[124:125], v[2:3]
	s_waitcnt vmcnt(4)
	s_delay_alu instid0(VALU_DEP_1)
	v_fma_f64 v[2:3], v[112:113], v[126:127], v[2:3]
	ds_load_b128 v[124:127], v1 offset:704
	ds_load_b128 v[138:141], v1 offset:720
	s_waitcnt lgkmcnt(1)
	v_fma_f64 v[2:3], v[114:115], v[124:125], v[2:3]
	scratch_load_b128 v[112:115], off, off offset:360
	s_waitcnt vmcnt(4)
	v_fma_f64 v[2:3], v[134:135], v[126:127], v[2:3]
	scratch_load_b128 v[124:127], off, off offset:376
	s_waitcnt lgkmcnt(0)
	v_fma_f64 v[2:3], v[136:137], v[138:139], v[2:3]
	ds_load_b128 v[132:135], v1 offset:736
	ds_load_b128 v[136:139], v1 offset:752
	s_waitcnt vmcnt(4)
	v_fma_f64 v[2:3], v[116:117], v[140:141], v[2:3]
	s_waitcnt lgkmcnt(1)
	s_delay_alu instid0(VALU_DEP_1) | instskip(SKIP_4) | instid1(VALU_DEP_1)
	v_fma_f64 v[2:3], v[118:119], v[132:133], v[2:3]
	scratch_load_b128 v[116:119], off, off offset:392
	s_waitcnt vmcnt(4)
	v_fma_f64 v[2:3], v[128:129], v[134:135], v[2:3]
	s_waitcnt lgkmcnt(0)
	v_fma_f64 v[2:3], v[130:131], v[136:137], v[2:3]
	scratch_load_b64 v[136:137], off, off offset:408
	ds_load_b128 v[128:131], v1 offset:768
	ds_load_b128 v[132:135], v1 offset:784
	s_waitcnt vmcnt(4)
	v_fma_f64 v[2:3], v[120:121], v[138:139], v[2:3]
	s_waitcnt lgkmcnt(1)
	s_delay_alu instid0(VALU_DEP_1) | instskip(SKIP_1) | instid1(VALU_DEP_1)
	v_fma_f64 v[2:3], v[122:123], v[128:129], v[2:3]
	s_waitcnt vmcnt(3)
	v_fma_f64 v[2:3], v[112:113], v[130:131], v[2:3]
	s_waitcnt lgkmcnt(0)
	s_delay_alu instid0(VALU_DEP_1) | instskip(SKIP_1) | instid1(VALU_DEP_1)
	v_fma_f64 v[2:3], v[114:115], v[132:133], v[2:3]
	s_waitcnt vmcnt(2)
	v_fma_f64 v[120:121], v[124:125], v[134:135], v[2:3]
	ds_load_b128 v[112:115], v1 offset:800
	ds_load_b128 v[1:4], v1 offset:816
	s_waitcnt lgkmcnt(1)
	v_fma_f64 v[112:113], v[126:127], v[112:113], v[120:121]
	s_waitcnt vmcnt(1)
	s_delay_alu instid0(VALU_DEP_1) | instskip(SKIP_1) | instid1(VALU_DEP_1)
	v_fma_f64 v[112:113], v[116:117], v[114:115], v[112:113]
	s_waitcnt lgkmcnt(0)
	v_fma_f64 v[1:2], v[118:119], v[1:2], v[112:113]
	s_waitcnt vmcnt(0)
	s_delay_alu instid0(VALU_DEP_1) | instskip(NEXT) | instid1(VALU_DEP_1)
	v_fma_f64 v[1:2], v[136:137], v[3:4], v[1:2]
	v_add_f64 v[1:2], v[110:111], -v[1:2]
	scratch_store_b64 off, v[1:2], off offset:184
	v_cmpx_lt_u32_e32 22, v0
	s_cbranch_execz .LBB51_277
; %bb.276:
	scratch_load_b64 v[1:2], off, off offset:176
	v_mov_b32_e32 v3, 0
	s_delay_alu instid0(VALU_DEP_1)
	v_mov_b32_e32 v4, v3
	scratch_store_b64 off, v[3:4], off offset:176
	s_waitcnt vmcnt(0)
	ds_store_b64 v5, v[1:2]
.LBB51_277:
	s_or_b32 exec_lo, exec_lo, s0
	s_waitcnt lgkmcnt(0)
	s_waitcnt_vscnt null, 0x0
	s_barrier
	buffer_gl0_inv
	s_clause 0x4
	scratch_load_b128 v[110:113], off, off offset:176
	scratch_load_b128 v[114:117], off, off offset:192
	;; [unrolled: 1-line block ×5, first 2 shown]
	v_mov_b32_e32 v1, 0
	ds_load_2addr_b64 v[130:133], v1 offset0:75 offset1:76
	ds_load_2addr_b64 v[134:137], v1 offset0:77 offset1:78
	scratch_load_b128 v[138:141], off, off offset:256
	s_mov_b32 s0, exec_lo
	s_waitcnt vmcnt(5) lgkmcnt(1)
	v_fma_f64 v[2:3], v[112:113], v[130:131], 0
	s_waitcnt vmcnt(4)
	s_delay_alu instid0(VALU_DEP_1) | instskip(SKIP_4) | instid1(VALU_DEP_1)
	v_fma_f64 v[2:3], v[114:115], v[132:133], v[2:3]
	scratch_load_b128 v[112:115], off, off offset:272
	s_waitcnt lgkmcnt(0)
	v_fma_f64 v[2:3], v[116:117], v[134:135], v[2:3]
	s_waitcnt vmcnt(4)
	v_fma_f64 v[2:3], v[118:119], v[136:137], v[2:3]
	ds_load_2addr_b64 v[116:119], v1 offset0:79 offset1:80
	ds_load_2addr_b64 v[130:133], v1 offset0:81 offset1:82
	scratch_load_b128 v[134:137], off, off offset:288
	s_waitcnt lgkmcnt(1)
	v_fma_f64 v[2:3], v[120:121], v[116:117], v[2:3]
	s_waitcnt vmcnt(4)
	s_delay_alu instid0(VALU_DEP_1) | instskip(SKIP_4) | instid1(VALU_DEP_1)
	v_fma_f64 v[2:3], v[122:123], v[118:119], v[2:3]
	scratch_load_b128 v[116:119], off, off offset:304
	s_waitcnt lgkmcnt(0)
	v_fma_f64 v[2:3], v[124:125], v[130:131], v[2:3]
	s_waitcnt vmcnt(4)
	v_fma_f64 v[2:3], v[126:127], v[132:133], v[2:3]
	ds_load_2addr_b64 v[120:123], v1 offset0:83 offset1:84
	ds_load_2addr_b64 v[124:127], v1 offset0:85 offset1:86
	s_waitcnt lgkmcnt(1)
	v_fma_f64 v[2:3], v[128:129], v[120:121], v[2:3]
	scratch_load_b128 v[128:131], off, off offset:320
	s_waitcnt vmcnt(4)
	v_fma_f64 v[2:3], v[138:139], v[122:123], v[2:3]
	scratch_load_b128 v[120:123], off, off offset:336
	s_waitcnt lgkmcnt(0)
	v_fma_f64 v[2:3], v[140:141], v[124:125], v[2:3]
	s_waitcnt vmcnt(4)
	s_delay_alu instid0(VALU_DEP_1)
	v_fma_f64 v[2:3], v[112:113], v[126:127], v[2:3]
	ds_load_2addr_b64 v[124:127], v1 offset0:87 offset1:88
	ds_load_2addr_b64 v[138:141], v1 offset0:89 offset1:90
	s_waitcnt lgkmcnt(1)
	v_fma_f64 v[2:3], v[114:115], v[124:125], v[2:3]
	scratch_load_b128 v[112:115], off, off offset:352
	s_waitcnt vmcnt(4)
	v_fma_f64 v[2:3], v[134:135], v[126:127], v[2:3]
	scratch_load_b128 v[124:127], off, off offset:368
	s_waitcnt lgkmcnt(0)
	v_fma_f64 v[2:3], v[136:137], v[138:139], v[2:3]
	ds_load_2addr_b64 v[132:135], v1 offset0:91 offset1:92
	ds_load_2addr_b64 v[136:139], v1 offset0:93 offset1:94
	s_waitcnt vmcnt(4)
	v_fma_f64 v[2:3], v[116:117], v[140:141], v[2:3]
	s_waitcnt lgkmcnt(1)
	s_delay_alu instid0(VALU_DEP_1) | instskip(SKIP_4) | instid1(VALU_DEP_1)
	v_fma_f64 v[2:3], v[118:119], v[132:133], v[2:3]
	scratch_load_b128 v[116:119], off, off offset:384
	s_waitcnt vmcnt(4)
	v_fma_f64 v[2:3], v[128:129], v[134:135], v[2:3]
	s_waitcnt lgkmcnt(0)
	v_fma_f64 v[2:3], v[130:131], v[136:137], v[2:3]
	scratch_load_b128 v[128:131], off, off offset:400
	s_waitcnt vmcnt(4)
	v_fma_f64 v[2:3], v[120:121], v[138:139], v[2:3]
	ds_load_2addr_b64 v[132:135], v1 offset0:95 offset1:96
	ds_load_2addr_b64 v[136:139], v1 offset0:97 offset1:98
	s_waitcnt lgkmcnt(1)
	v_fma_f64 v[2:3], v[122:123], v[132:133], v[2:3]
	s_waitcnt vmcnt(3)
	s_delay_alu instid0(VALU_DEP_1) | instskip(SKIP_1) | instid1(VALU_DEP_1)
	v_fma_f64 v[2:3], v[112:113], v[134:135], v[2:3]
	s_waitcnt lgkmcnt(0)
	v_fma_f64 v[2:3], v[114:115], v[136:137], v[2:3]
	ds_load_2addr_b64 v[112:115], v1 offset0:99 offset1:100
	ds_load_2addr_b64 v[120:123], v1 offset0:101 offset1:102
	s_waitcnt vmcnt(2)
	v_fma_f64 v[2:3], v[124:125], v[138:139], v[2:3]
	s_waitcnt lgkmcnt(1)
	s_delay_alu instid0(VALU_DEP_1) | instskip(SKIP_4) | instid1(VALU_DEP_1)
	v_fma_f64 v[2:3], v[126:127], v[112:113], v[2:3]
	ds_load_b64 v[112:113], v1 offset:824
	s_waitcnt vmcnt(1)
	v_fma_f64 v[2:3], v[116:117], v[114:115], v[2:3]
	s_waitcnt lgkmcnt(1)
	v_fma_f64 v[2:3], v[118:119], v[120:121], v[2:3]
	s_waitcnt vmcnt(0)
	s_delay_alu instid0(VALU_DEP_1) | instskip(SKIP_1) | instid1(VALU_DEP_1)
	v_fma_f64 v[2:3], v[128:129], v[122:123], v[2:3]
	s_waitcnt lgkmcnt(0)
	v_fma_f64 v[2:3], v[130:131], v[112:113], v[2:3]
	s_delay_alu instid0(VALU_DEP_1)
	v_add_f64 v[2:3], v[110:111], -v[2:3]
	scratch_store_b64 off, v[2:3], off offset:176
	v_cmpx_lt_u32_e32 21, v0
	s_cbranch_execz .LBB51_279
; %bb.278:
	scratch_load_b64 v[3:4], off, off offset:168
	v_mov_b32_e32 v2, v1
	scratch_store_b64 off, v[1:2], off offset:168
	s_waitcnt vmcnt(0)
	ds_store_b64 v5, v[3:4]
.LBB51_279:
	s_or_b32 exec_lo, exec_lo, s0
	s_waitcnt lgkmcnt(0)
	s_waitcnt_vscnt null, 0x0
	s_barrier
	buffer_gl0_inv
	s_clause 0x4
	scratch_load_b128 v[110:113], off, off offset:168
	scratch_load_b128 v[114:117], off, off offset:184
	;; [unrolled: 1-line block ×5, first 2 shown]
	ds_load_b128 v[130:133], v1 offset:592
	ds_load_b128 v[134:137], v1 offset:608
	scratch_load_b128 v[138:141], off, off offset:248
	s_mov_b32 s0, exec_lo
	s_waitcnt vmcnt(5) lgkmcnt(1)
	v_fma_f64 v[2:3], v[112:113], v[130:131], 0
	s_waitcnt vmcnt(4)
	s_delay_alu instid0(VALU_DEP_1) | instskip(SKIP_4) | instid1(VALU_DEP_1)
	v_fma_f64 v[2:3], v[114:115], v[132:133], v[2:3]
	scratch_load_b128 v[112:115], off, off offset:264
	s_waitcnt lgkmcnt(0)
	v_fma_f64 v[2:3], v[116:117], v[134:135], v[2:3]
	s_waitcnt vmcnt(4)
	v_fma_f64 v[2:3], v[118:119], v[136:137], v[2:3]
	ds_load_b128 v[116:119], v1 offset:624
	ds_load_b128 v[130:133], v1 offset:640
	scratch_load_b128 v[134:137], off, off offset:280
	s_waitcnt lgkmcnt(1)
	v_fma_f64 v[2:3], v[120:121], v[116:117], v[2:3]
	s_waitcnt vmcnt(4)
	s_delay_alu instid0(VALU_DEP_1) | instskip(SKIP_4) | instid1(VALU_DEP_1)
	v_fma_f64 v[2:3], v[122:123], v[118:119], v[2:3]
	scratch_load_b128 v[116:119], off, off offset:296
	s_waitcnt lgkmcnt(0)
	v_fma_f64 v[2:3], v[124:125], v[130:131], v[2:3]
	s_waitcnt vmcnt(4)
	v_fma_f64 v[2:3], v[126:127], v[132:133], v[2:3]
	ds_load_b128 v[120:123], v1 offset:656
	ds_load_b128 v[124:127], v1 offset:672
	s_waitcnt lgkmcnt(1)
	v_fma_f64 v[2:3], v[128:129], v[120:121], v[2:3]
	scratch_load_b128 v[128:131], off, off offset:312
	s_waitcnt vmcnt(4)
	v_fma_f64 v[2:3], v[138:139], v[122:123], v[2:3]
	scratch_load_b128 v[120:123], off, off offset:328
	s_waitcnt lgkmcnt(0)
	v_fma_f64 v[2:3], v[140:141], v[124:125], v[2:3]
	s_waitcnt vmcnt(4)
	s_delay_alu instid0(VALU_DEP_1)
	v_fma_f64 v[2:3], v[112:113], v[126:127], v[2:3]
	ds_load_b128 v[124:127], v1 offset:688
	ds_load_b128 v[138:141], v1 offset:704
	s_waitcnt lgkmcnt(1)
	v_fma_f64 v[2:3], v[114:115], v[124:125], v[2:3]
	scratch_load_b128 v[112:115], off, off offset:344
	s_waitcnt vmcnt(4)
	v_fma_f64 v[2:3], v[134:135], v[126:127], v[2:3]
	scratch_load_b128 v[124:127], off, off offset:360
	s_waitcnt lgkmcnt(0)
	v_fma_f64 v[2:3], v[136:137], v[138:139], v[2:3]
	ds_load_b128 v[132:135], v1 offset:720
	ds_load_b128 v[136:139], v1 offset:736
	s_waitcnt vmcnt(4)
	v_fma_f64 v[2:3], v[116:117], v[140:141], v[2:3]
	s_waitcnt lgkmcnt(1)
	s_delay_alu instid0(VALU_DEP_1) | instskip(SKIP_4) | instid1(VALU_DEP_1)
	v_fma_f64 v[2:3], v[118:119], v[132:133], v[2:3]
	scratch_load_b128 v[116:119], off, off offset:376
	s_waitcnt vmcnt(4)
	v_fma_f64 v[2:3], v[128:129], v[134:135], v[2:3]
	s_waitcnt lgkmcnt(0)
	v_fma_f64 v[2:3], v[130:131], v[136:137], v[2:3]
	scratch_load_b128 v[128:131], off, off offset:392
	s_waitcnt vmcnt(4)
	v_fma_f64 v[2:3], v[120:121], v[138:139], v[2:3]
	ds_load_b128 v[132:135], v1 offset:752
	ds_load_b128 v[136:139], v1 offset:768
	s_waitcnt lgkmcnt(1)
	v_fma_f64 v[2:3], v[122:123], v[132:133], v[2:3]
	scratch_load_b64 v[132:133], off, off offset:408
	s_waitcnt vmcnt(4)
	v_fma_f64 v[2:3], v[112:113], v[134:135], v[2:3]
	s_waitcnt lgkmcnt(0)
	s_delay_alu instid0(VALU_DEP_1)
	v_fma_f64 v[2:3], v[114:115], v[136:137], v[2:3]
	ds_load_b128 v[112:115], v1 offset:784
	ds_load_b128 v[120:123], v1 offset:800
	s_waitcnt vmcnt(3)
	v_fma_f64 v[2:3], v[124:125], v[138:139], v[2:3]
	s_waitcnt lgkmcnt(1)
	s_delay_alu instid0(VALU_DEP_1) | instskip(SKIP_1) | instid1(VALU_DEP_1)
	v_fma_f64 v[2:3], v[126:127], v[112:113], v[2:3]
	s_waitcnt vmcnt(2)
	v_fma_f64 v[2:3], v[116:117], v[114:115], v[2:3]
	s_waitcnt lgkmcnt(0)
	s_delay_alu instid0(VALU_DEP_1) | instskip(SKIP_1) | instid1(VALU_DEP_1)
	v_fma_f64 v[2:3], v[118:119], v[120:121], v[2:3]
	s_waitcnt vmcnt(1)
	v_fma_f64 v[112:113], v[128:129], v[122:123], v[2:3]
	ds_load_b128 v[1:4], v1 offset:816
	s_waitcnt lgkmcnt(0)
	v_fma_f64 v[1:2], v[130:131], v[1:2], v[112:113]
	s_waitcnt vmcnt(0)
	s_delay_alu instid0(VALU_DEP_1) | instskip(NEXT) | instid1(VALU_DEP_1)
	v_fma_f64 v[1:2], v[132:133], v[3:4], v[1:2]
	v_add_f64 v[1:2], v[110:111], -v[1:2]
	scratch_store_b64 off, v[1:2], off offset:168
	v_cmpx_lt_u32_e32 20, v0
	s_cbranch_execz .LBB51_281
; %bb.280:
	scratch_load_b64 v[1:2], off, off offset:160
	v_mov_b32_e32 v3, 0
	s_delay_alu instid0(VALU_DEP_1)
	v_mov_b32_e32 v4, v3
	scratch_store_b64 off, v[3:4], off offset:160
	s_waitcnt vmcnt(0)
	ds_store_b64 v5, v[1:2]
.LBB51_281:
	s_or_b32 exec_lo, exec_lo, s0
	s_waitcnt lgkmcnt(0)
	s_waitcnt_vscnt null, 0x0
	s_barrier
	buffer_gl0_inv
	s_clause 0x4
	scratch_load_b128 v[110:113], off, off offset:160
	scratch_load_b128 v[114:117], off, off offset:176
	;; [unrolled: 1-line block ×5, first 2 shown]
	v_mov_b32_e32 v1, 0
	ds_load_2addr_b64 v[130:133], v1 offset0:73 offset1:74
	ds_load_2addr_b64 v[134:137], v1 offset0:75 offset1:76
	scratch_load_b128 v[138:141], off, off offset:240
	s_mov_b32 s0, exec_lo
	s_waitcnt vmcnt(5) lgkmcnt(1)
	v_fma_f64 v[2:3], v[112:113], v[130:131], 0
	s_waitcnt vmcnt(4)
	s_delay_alu instid0(VALU_DEP_1) | instskip(SKIP_4) | instid1(VALU_DEP_1)
	v_fma_f64 v[2:3], v[114:115], v[132:133], v[2:3]
	scratch_load_b128 v[112:115], off, off offset:256
	s_waitcnt lgkmcnt(0)
	v_fma_f64 v[2:3], v[116:117], v[134:135], v[2:3]
	s_waitcnt vmcnt(4)
	v_fma_f64 v[2:3], v[118:119], v[136:137], v[2:3]
	ds_load_2addr_b64 v[116:119], v1 offset0:77 offset1:78
	ds_load_2addr_b64 v[130:133], v1 offset0:79 offset1:80
	scratch_load_b128 v[134:137], off, off offset:272
	s_waitcnt lgkmcnt(1)
	v_fma_f64 v[2:3], v[120:121], v[116:117], v[2:3]
	s_waitcnt vmcnt(4)
	s_delay_alu instid0(VALU_DEP_1) | instskip(SKIP_4) | instid1(VALU_DEP_1)
	v_fma_f64 v[2:3], v[122:123], v[118:119], v[2:3]
	scratch_load_b128 v[116:119], off, off offset:288
	s_waitcnt lgkmcnt(0)
	v_fma_f64 v[2:3], v[124:125], v[130:131], v[2:3]
	s_waitcnt vmcnt(4)
	v_fma_f64 v[2:3], v[126:127], v[132:133], v[2:3]
	ds_load_2addr_b64 v[120:123], v1 offset0:81 offset1:82
	ds_load_2addr_b64 v[124:127], v1 offset0:83 offset1:84
	s_waitcnt lgkmcnt(1)
	v_fma_f64 v[2:3], v[128:129], v[120:121], v[2:3]
	scratch_load_b128 v[128:131], off, off offset:304
	s_waitcnt vmcnt(4)
	v_fma_f64 v[2:3], v[138:139], v[122:123], v[2:3]
	scratch_load_b128 v[120:123], off, off offset:320
	s_waitcnt lgkmcnt(0)
	v_fma_f64 v[2:3], v[140:141], v[124:125], v[2:3]
	s_waitcnt vmcnt(4)
	s_delay_alu instid0(VALU_DEP_1)
	v_fma_f64 v[2:3], v[112:113], v[126:127], v[2:3]
	ds_load_2addr_b64 v[124:127], v1 offset0:85 offset1:86
	ds_load_2addr_b64 v[138:141], v1 offset0:87 offset1:88
	s_waitcnt lgkmcnt(1)
	v_fma_f64 v[2:3], v[114:115], v[124:125], v[2:3]
	scratch_load_b128 v[112:115], off, off offset:336
	s_waitcnt vmcnt(4)
	v_fma_f64 v[2:3], v[134:135], v[126:127], v[2:3]
	scratch_load_b128 v[124:127], off, off offset:352
	s_waitcnt lgkmcnt(0)
	v_fma_f64 v[2:3], v[136:137], v[138:139], v[2:3]
	ds_load_2addr_b64 v[132:135], v1 offset0:89 offset1:90
	ds_load_2addr_b64 v[136:139], v1 offset0:91 offset1:92
	s_waitcnt vmcnt(4)
	v_fma_f64 v[2:3], v[116:117], v[140:141], v[2:3]
	s_waitcnt lgkmcnt(1)
	s_delay_alu instid0(VALU_DEP_1) | instskip(SKIP_4) | instid1(VALU_DEP_1)
	v_fma_f64 v[2:3], v[118:119], v[132:133], v[2:3]
	scratch_load_b128 v[116:119], off, off offset:368
	s_waitcnt vmcnt(4)
	v_fma_f64 v[2:3], v[128:129], v[134:135], v[2:3]
	s_waitcnt lgkmcnt(0)
	v_fma_f64 v[2:3], v[130:131], v[136:137], v[2:3]
	scratch_load_b128 v[128:131], off, off offset:384
	s_waitcnt vmcnt(4)
	v_fma_f64 v[2:3], v[120:121], v[138:139], v[2:3]
	ds_load_2addr_b64 v[132:135], v1 offset0:93 offset1:94
	ds_load_2addr_b64 v[136:139], v1 offset0:95 offset1:96
	s_waitcnt lgkmcnt(1)
	v_fma_f64 v[2:3], v[122:123], v[132:133], v[2:3]
	scratch_load_b128 v[120:123], off, off offset:400
	s_waitcnt vmcnt(4)
	v_fma_f64 v[2:3], v[112:113], v[134:135], v[2:3]
	s_waitcnt lgkmcnt(0)
	s_delay_alu instid0(VALU_DEP_1)
	v_fma_f64 v[2:3], v[114:115], v[136:137], v[2:3]
	ds_load_2addr_b64 v[112:115], v1 offset0:97 offset1:98
	ds_load_2addr_b64 v[132:135], v1 offset0:99 offset1:100
	s_waitcnt vmcnt(3)
	v_fma_f64 v[2:3], v[124:125], v[138:139], v[2:3]
	s_waitcnt lgkmcnt(1)
	s_delay_alu instid0(VALU_DEP_1) | instskip(SKIP_1) | instid1(VALU_DEP_1)
	v_fma_f64 v[2:3], v[126:127], v[112:113], v[2:3]
	s_waitcnt vmcnt(2)
	v_fma_f64 v[2:3], v[116:117], v[114:115], v[2:3]
	ds_load_2addr_b64 v[112:115], v1 offset0:101 offset1:102
	ds_load_b64 v[116:117], v1 offset:824
	s_waitcnt lgkmcnt(2)
	v_fma_f64 v[2:3], v[118:119], v[132:133], v[2:3]
	s_waitcnt vmcnt(1)
	s_delay_alu instid0(VALU_DEP_1) | instskip(SKIP_1) | instid1(VALU_DEP_1)
	v_fma_f64 v[2:3], v[128:129], v[134:135], v[2:3]
	s_waitcnt lgkmcnt(1)
	v_fma_f64 v[2:3], v[130:131], v[112:113], v[2:3]
	s_waitcnt vmcnt(0)
	s_delay_alu instid0(VALU_DEP_1) | instskip(SKIP_1) | instid1(VALU_DEP_1)
	v_fma_f64 v[2:3], v[120:121], v[114:115], v[2:3]
	s_waitcnt lgkmcnt(0)
	v_fma_f64 v[2:3], v[122:123], v[116:117], v[2:3]
	s_delay_alu instid0(VALU_DEP_1)
	v_add_f64 v[2:3], v[110:111], -v[2:3]
	scratch_store_b64 off, v[2:3], off offset:160
	v_cmpx_lt_u32_e32 19, v0
	s_cbranch_execz .LBB51_283
; %bb.282:
	scratch_load_b64 v[3:4], off, off offset:152
	v_mov_b32_e32 v2, v1
	scratch_store_b64 off, v[1:2], off offset:152
	s_waitcnt vmcnt(0)
	ds_store_b64 v5, v[3:4]
.LBB51_283:
	s_or_b32 exec_lo, exec_lo, s0
	s_waitcnt lgkmcnt(0)
	s_waitcnt_vscnt null, 0x0
	s_barrier
	buffer_gl0_inv
	s_clause 0x4
	scratch_load_b128 v[110:113], off, off offset:152
	scratch_load_b128 v[114:117], off, off offset:168
	;; [unrolled: 1-line block ×5, first 2 shown]
	ds_load_b128 v[130:133], v1 offset:576
	ds_load_b128 v[134:137], v1 offset:592
	scratch_load_b128 v[138:141], off, off offset:232
	s_mov_b32 s0, exec_lo
	s_waitcnt vmcnt(5) lgkmcnt(1)
	v_fma_f64 v[2:3], v[112:113], v[130:131], 0
	s_waitcnt vmcnt(4)
	s_delay_alu instid0(VALU_DEP_1) | instskip(SKIP_4) | instid1(VALU_DEP_1)
	v_fma_f64 v[2:3], v[114:115], v[132:133], v[2:3]
	scratch_load_b128 v[112:115], off, off offset:248
	s_waitcnt lgkmcnt(0)
	v_fma_f64 v[2:3], v[116:117], v[134:135], v[2:3]
	s_waitcnt vmcnt(4)
	v_fma_f64 v[2:3], v[118:119], v[136:137], v[2:3]
	ds_load_b128 v[116:119], v1 offset:608
	ds_load_b128 v[130:133], v1 offset:624
	scratch_load_b128 v[134:137], off, off offset:264
	s_waitcnt lgkmcnt(1)
	v_fma_f64 v[2:3], v[120:121], v[116:117], v[2:3]
	s_waitcnt vmcnt(4)
	s_delay_alu instid0(VALU_DEP_1) | instskip(SKIP_4) | instid1(VALU_DEP_1)
	v_fma_f64 v[2:3], v[122:123], v[118:119], v[2:3]
	scratch_load_b128 v[116:119], off, off offset:280
	s_waitcnt lgkmcnt(0)
	v_fma_f64 v[2:3], v[124:125], v[130:131], v[2:3]
	s_waitcnt vmcnt(4)
	v_fma_f64 v[2:3], v[126:127], v[132:133], v[2:3]
	ds_load_b128 v[120:123], v1 offset:640
	ds_load_b128 v[124:127], v1 offset:656
	s_waitcnt lgkmcnt(1)
	v_fma_f64 v[2:3], v[128:129], v[120:121], v[2:3]
	scratch_load_b128 v[128:131], off, off offset:296
	s_waitcnt vmcnt(4)
	v_fma_f64 v[2:3], v[138:139], v[122:123], v[2:3]
	scratch_load_b128 v[120:123], off, off offset:312
	s_waitcnt lgkmcnt(0)
	v_fma_f64 v[2:3], v[140:141], v[124:125], v[2:3]
	s_waitcnt vmcnt(4)
	s_delay_alu instid0(VALU_DEP_1)
	v_fma_f64 v[2:3], v[112:113], v[126:127], v[2:3]
	ds_load_b128 v[124:127], v1 offset:672
	ds_load_b128 v[138:141], v1 offset:688
	s_waitcnt lgkmcnt(1)
	v_fma_f64 v[2:3], v[114:115], v[124:125], v[2:3]
	scratch_load_b128 v[112:115], off, off offset:328
	s_waitcnt vmcnt(4)
	v_fma_f64 v[2:3], v[134:135], v[126:127], v[2:3]
	scratch_load_b128 v[124:127], off, off offset:344
	s_waitcnt lgkmcnt(0)
	v_fma_f64 v[2:3], v[136:137], v[138:139], v[2:3]
	ds_load_b128 v[132:135], v1 offset:704
	ds_load_b128 v[136:139], v1 offset:720
	s_waitcnt vmcnt(4)
	v_fma_f64 v[2:3], v[116:117], v[140:141], v[2:3]
	s_waitcnt lgkmcnt(1)
	s_delay_alu instid0(VALU_DEP_1) | instskip(SKIP_4) | instid1(VALU_DEP_1)
	v_fma_f64 v[2:3], v[118:119], v[132:133], v[2:3]
	scratch_load_b128 v[116:119], off, off offset:360
	s_waitcnt vmcnt(4)
	v_fma_f64 v[2:3], v[128:129], v[134:135], v[2:3]
	s_waitcnt lgkmcnt(0)
	v_fma_f64 v[2:3], v[130:131], v[136:137], v[2:3]
	scratch_load_b128 v[128:131], off, off offset:376
	s_waitcnt vmcnt(4)
	v_fma_f64 v[2:3], v[120:121], v[138:139], v[2:3]
	ds_load_b128 v[132:135], v1 offset:736
	ds_load_b128 v[136:139], v1 offset:752
	s_waitcnt lgkmcnt(1)
	v_fma_f64 v[2:3], v[122:123], v[132:133], v[2:3]
	scratch_load_b128 v[120:123], off, off offset:392
	s_waitcnt vmcnt(4)
	v_fma_f64 v[2:3], v[112:113], v[134:135], v[2:3]
	s_waitcnt lgkmcnt(0)
	s_delay_alu instid0(VALU_DEP_1)
	v_fma_f64 v[2:3], v[114:115], v[136:137], v[2:3]
	scratch_load_b64 v[136:137], off, off offset:408
	ds_load_b128 v[112:115], v1 offset:768
	ds_load_b128 v[132:135], v1 offset:784
	s_waitcnt vmcnt(4)
	v_fma_f64 v[2:3], v[124:125], v[138:139], v[2:3]
	s_waitcnt lgkmcnt(1)
	s_delay_alu instid0(VALU_DEP_1) | instskip(SKIP_1) | instid1(VALU_DEP_1)
	v_fma_f64 v[2:3], v[126:127], v[112:113], v[2:3]
	s_waitcnt vmcnt(3)
	v_fma_f64 v[2:3], v[116:117], v[114:115], v[2:3]
	s_waitcnt lgkmcnt(0)
	s_delay_alu instid0(VALU_DEP_1) | instskip(SKIP_1) | instid1(VALU_DEP_1)
	v_fma_f64 v[2:3], v[118:119], v[132:133], v[2:3]
	s_waitcnt vmcnt(2)
	v_fma_f64 v[116:117], v[128:129], v[134:135], v[2:3]
	ds_load_b128 v[112:115], v1 offset:800
	ds_load_b128 v[1:4], v1 offset:816
	s_waitcnt lgkmcnt(1)
	v_fma_f64 v[112:113], v[130:131], v[112:113], v[116:117]
	s_waitcnt vmcnt(1)
	s_delay_alu instid0(VALU_DEP_1) | instskip(SKIP_1) | instid1(VALU_DEP_1)
	v_fma_f64 v[112:113], v[120:121], v[114:115], v[112:113]
	s_waitcnt lgkmcnt(0)
	v_fma_f64 v[1:2], v[122:123], v[1:2], v[112:113]
	s_waitcnt vmcnt(0)
	s_delay_alu instid0(VALU_DEP_1) | instskip(NEXT) | instid1(VALU_DEP_1)
	v_fma_f64 v[1:2], v[136:137], v[3:4], v[1:2]
	v_add_f64 v[1:2], v[110:111], -v[1:2]
	scratch_store_b64 off, v[1:2], off offset:152
	v_cmpx_lt_u32_e32 18, v0
	s_cbranch_execz .LBB51_285
; %bb.284:
	scratch_load_b64 v[1:2], off, off offset:144
	v_mov_b32_e32 v3, 0
	s_delay_alu instid0(VALU_DEP_1)
	v_mov_b32_e32 v4, v3
	scratch_store_b64 off, v[3:4], off offset:144
	s_waitcnt vmcnt(0)
	ds_store_b64 v5, v[1:2]
.LBB51_285:
	s_or_b32 exec_lo, exec_lo, s0
	s_waitcnt lgkmcnt(0)
	s_waitcnt_vscnt null, 0x0
	s_barrier
	buffer_gl0_inv
	s_clause 0x4
	scratch_load_b128 v[110:113], off, off offset:144
	scratch_load_b128 v[114:117], off, off offset:160
	;; [unrolled: 1-line block ×5, first 2 shown]
	v_mov_b32_e32 v1, 0
	ds_load_2addr_b64 v[130:133], v1 offset0:71 offset1:72
	ds_load_2addr_b64 v[134:137], v1 offset0:73 offset1:74
	scratch_load_b128 v[138:141], off, off offset:224
	s_mov_b32 s0, exec_lo
	s_waitcnt vmcnt(5) lgkmcnt(1)
	v_fma_f64 v[2:3], v[112:113], v[130:131], 0
	s_waitcnt vmcnt(4)
	s_delay_alu instid0(VALU_DEP_1) | instskip(SKIP_4) | instid1(VALU_DEP_1)
	v_fma_f64 v[2:3], v[114:115], v[132:133], v[2:3]
	scratch_load_b128 v[112:115], off, off offset:240
	s_waitcnt lgkmcnt(0)
	v_fma_f64 v[2:3], v[116:117], v[134:135], v[2:3]
	s_waitcnt vmcnt(4)
	v_fma_f64 v[2:3], v[118:119], v[136:137], v[2:3]
	ds_load_2addr_b64 v[116:119], v1 offset0:75 offset1:76
	ds_load_2addr_b64 v[130:133], v1 offset0:77 offset1:78
	scratch_load_b128 v[134:137], off, off offset:256
	s_waitcnt lgkmcnt(1)
	v_fma_f64 v[2:3], v[120:121], v[116:117], v[2:3]
	s_waitcnt vmcnt(4)
	s_delay_alu instid0(VALU_DEP_1) | instskip(SKIP_4) | instid1(VALU_DEP_1)
	v_fma_f64 v[2:3], v[122:123], v[118:119], v[2:3]
	scratch_load_b128 v[116:119], off, off offset:272
	s_waitcnt lgkmcnt(0)
	v_fma_f64 v[2:3], v[124:125], v[130:131], v[2:3]
	s_waitcnt vmcnt(4)
	v_fma_f64 v[2:3], v[126:127], v[132:133], v[2:3]
	ds_load_2addr_b64 v[120:123], v1 offset0:79 offset1:80
	ds_load_2addr_b64 v[124:127], v1 offset0:81 offset1:82
	s_waitcnt lgkmcnt(1)
	v_fma_f64 v[2:3], v[128:129], v[120:121], v[2:3]
	scratch_load_b128 v[128:131], off, off offset:288
	s_waitcnt vmcnt(4)
	v_fma_f64 v[2:3], v[138:139], v[122:123], v[2:3]
	scratch_load_b128 v[120:123], off, off offset:304
	s_waitcnt lgkmcnt(0)
	v_fma_f64 v[2:3], v[140:141], v[124:125], v[2:3]
	s_waitcnt vmcnt(4)
	s_delay_alu instid0(VALU_DEP_1)
	v_fma_f64 v[2:3], v[112:113], v[126:127], v[2:3]
	ds_load_2addr_b64 v[124:127], v1 offset0:83 offset1:84
	ds_load_2addr_b64 v[138:141], v1 offset0:85 offset1:86
	s_waitcnt lgkmcnt(1)
	v_fma_f64 v[2:3], v[114:115], v[124:125], v[2:3]
	scratch_load_b128 v[112:115], off, off offset:320
	s_waitcnt vmcnt(4)
	v_fma_f64 v[2:3], v[134:135], v[126:127], v[2:3]
	scratch_load_b128 v[124:127], off, off offset:336
	s_waitcnt lgkmcnt(0)
	v_fma_f64 v[2:3], v[136:137], v[138:139], v[2:3]
	ds_load_2addr_b64 v[132:135], v1 offset0:87 offset1:88
	ds_load_2addr_b64 v[136:139], v1 offset0:89 offset1:90
	s_waitcnt vmcnt(4)
	v_fma_f64 v[2:3], v[116:117], v[140:141], v[2:3]
	s_waitcnt lgkmcnt(1)
	s_delay_alu instid0(VALU_DEP_1) | instskip(SKIP_4) | instid1(VALU_DEP_1)
	v_fma_f64 v[2:3], v[118:119], v[132:133], v[2:3]
	scratch_load_b128 v[116:119], off, off offset:352
	s_waitcnt vmcnt(4)
	v_fma_f64 v[2:3], v[128:129], v[134:135], v[2:3]
	s_waitcnt lgkmcnt(0)
	v_fma_f64 v[2:3], v[130:131], v[136:137], v[2:3]
	scratch_load_b128 v[128:131], off, off offset:368
	s_waitcnt vmcnt(4)
	v_fma_f64 v[2:3], v[120:121], v[138:139], v[2:3]
	ds_load_2addr_b64 v[132:135], v1 offset0:91 offset1:92
	ds_load_2addr_b64 v[136:139], v1 offset0:93 offset1:94
	s_waitcnt lgkmcnt(1)
	v_fma_f64 v[2:3], v[122:123], v[132:133], v[2:3]
	scratch_load_b128 v[120:123], off, off offset:384
	s_waitcnt vmcnt(4)
	v_fma_f64 v[2:3], v[112:113], v[134:135], v[2:3]
	s_waitcnt lgkmcnt(0)
	s_delay_alu instid0(VALU_DEP_1)
	v_fma_f64 v[2:3], v[114:115], v[136:137], v[2:3]
	scratch_load_b128 v[112:115], off, off offset:400
	s_waitcnt vmcnt(4)
	v_fma_f64 v[2:3], v[124:125], v[138:139], v[2:3]
	ds_load_2addr_b64 v[132:135], v1 offset0:95 offset1:96
	ds_load_2addr_b64 v[136:139], v1 offset0:97 offset1:98
	s_waitcnt lgkmcnt(1)
	v_fma_f64 v[2:3], v[126:127], v[132:133], v[2:3]
	s_waitcnt vmcnt(3)
	s_delay_alu instid0(VALU_DEP_1) | instskip(SKIP_1) | instid1(VALU_DEP_1)
	v_fma_f64 v[2:3], v[116:117], v[134:135], v[2:3]
	s_waitcnt lgkmcnt(0)
	v_fma_f64 v[2:3], v[118:119], v[136:137], v[2:3]
	ds_load_2addr_b64 v[116:119], v1 offset0:99 offset1:100
	ds_load_2addr_b64 v[124:127], v1 offset0:101 offset1:102
	s_waitcnt vmcnt(2)
	v_fma_f64 v[2:3], v[128:129], v[138:139], v[2:3]
	s_waitcnt lgkmcnt(1)
	s_delay_alu instid0(VALU_DEP_1) | instskip(SKIP_1) | instid1(VALU_DEP_1)
	v_fma_f64 v[2:3], v[130:131], v[116:117], v[2:3]
	s_waitcnt vmcnt(1)
	v_fma_f64 v[2:3], v[120:121], v[118:119], v[2:3]
	s_waitcnt lgkmcnt(0)
	s_delay_alu instid0(VALU_DEP_1) | instskip(SKIP_1) | instid1(VALU_DEP_1)
	v_fma_f64 v[2:3], v[122:123], v[124:125], v[2:3]
	s_waitcnt vmcnt(0)
	v_fma_f64 v[2:3], v[112:113], v[126:127], v[2:3]
	ds_load_b64 v[112:113], v1 offset:824
	s_waitcnt lgkmcnt(0)
	v_fma_f64 v[2:3], v[114:115], v[112:113], v[2:3]
	s_delay_alu instid0(VALU_DEP_1)
	v_add_f64 v[2:3], v[110:111], -v[2:3]
	scratch_store_b64 off, v[2:3], off offset:144
	v_cmpx_lt_u32_e32 17, v0
	s_cbranch_execz .LBB51_287
; %bb.286:
	scratch_load_b64 v[3:4], off, off offset:136
	v_mov_b32_e32 v2, v1
	scratch_store_b64 off, v[1:2], off offset:136
	s_waitcnt vmcnt(0)
	ds_store_b64 v5, v[3:4]
.LBB51_287:
	s_or_b32 exec_lo, exec_lo, s0
	s_waitcnt lgkmcnt(0)
	s_waitcnt_vscnt null, 0x0
	s_barrier
	buffer_gl0_inv
	s_clause 0x4
	scratch_load_b128 v[110:113], off, off offset:136
	scratch_load_b128 v[114:117], off, off offset:152
	;; [unrolled: 1-line block ×5, first 2 shown]
	ds_load_b128 v[130:133], v1 offset:560
	ds_load_b128 v[134:137], v1 offset:576
	scratch_load_b128 v[138:141], off, off offset:216
	s_mov_b32 s0, exec_lo
	s_waitcnt vmcnt(5) lgkmcnt(1)
	v_fma_f64 v[2:3], v[112:113], v[130:131], 0
	s_waitcnt vmcnt(4)
	s_delay_alu instid0(VALU_DEP_1) | instskip(SKIP_4) | instid1(VALU_DEP_1)
	v_fma_f64 v[2:3], v[114:115], v[132:133], v[2:3]
	scratch_load_b128 v[112:115], off, off offset:232
	s_waitcnt lgkmcnt(0)
	v_fma_f64 v[2:3], v[116:117], v[134:135], v[2:3]
	s_waitcnt vmcnt(4)
	v_fma_f64 v[2:3], v[118:119], v[136:137], v[2:3]
	ds_load_b128 v[116:119], v1 offset:592
	ds_load_b128 v[130:133], v1 offset:608
	scratch_load_b128 v[134:137], off, off offset:248
	s_waitcnt lgkmcnt(1)
	v_fma_f64 v[2:3], v[120:121], v[116:117], v[2:3]
	s_waitcnt vmcnt(4)
	s_delay_alu instid0(VALU_DEP_1) | instskip(SKIP_4) | instid1(VALU_DEP_1)
	v_fma_f64 v[2:3], v[122:123], v[118:119], v[2:3]
	scratch_load_b128 v[116:119], off, off offset:264
	s_waitcnt lgkmcnt(0)
	v_fma_f64 v[2:3], v[124:125], v[130:131], v[2:3]
	s_waitcnt vmcnt(4)
	v_fma_f64 v[2:3], v[126:127], v[132:133], v[2:3]
	ds_load_b128 v[120:123], v1 offset:624
	ds_load_b128 v[124:127], v1 offset:640
	s_waitcnt lgkmcnt(1)
	v_fma_f64 v[2:3], v[128:129], v[120:121], v[2:3]
	scratch_load_b128 v[128:131], off, off offset:280
	s_waitcnt vmcnt(4)
	v_fma_f64 v[2:3], v[138:139], v[122:123], v[2:3]
	scratch_load_b128 v[120:123], off, off offset:296
	s_waitcnt lgkmcnt(0)
	v_fma_f64 v[2:3], v[140:141], v[124:125], v[2:3]
	s_waitcnt vmcnt(4)
	s_delay_alu instid0(VALU_DEP_1)
	v_fma_f64 v[2:3], v[112:113], v[126:127], v[2:3]
	ds_load_b128 v[124:127], v1 offset:656
	ds_load_b128 v[138:141], v1 offset:672
	s_waitcnt lgkmcnt(1)
	v_fma_f64 v[2:3], v[114:115], v[124:125], v[2:3]
	scratch_load_b128 v[112:115], off, off offset:312
	s_waitcnt vmcnt(4)
	v_fma_f64 v[2:3], v[134:135], v[126:127], v[2:3]
	scratch_load_b128 v[124:127], off, off offset:328
	s_waitcnt lgkmcnt(0)
	v_fma_f64 v[2:3], v[136:137], v[138:139], v[2:3]
	ds_load_b128 v[132:135], v1 offset:688
	ds_load_b128 v[136:139], v1 offset:704
	s_waitcnt vmcnt(4)
	v_fma_f64 v[2:3], v[116:117], v[140:141], v[2:3]
	s_waitcnt lgkmcnt(1)
	s_delay_alu instid0(VALU_DEP_1) | instskip(SKIP_4) | instid1(VALU_DEP_1)
	v_fma_f64 v[2:3], v[118:119], v[132:133], v[2:3]
	scratch_load_b128 v[116:119], off, off offset:344
	s_waitcnt vmcnt(4)
	v_fma_f64 v[2:3], v[128:129], v[134:135], v[2:3]
	s_waitcnt lgkmcnt(0)
	v_fma_f64 v[2:3], v[130:131], v[136:137], v[2:3]
	scratch_load_b128 v[128:131], off, off offset:360
	s_waitcnt vmcnt(4)
	v_fma_f64 v[2:3], v[120:121], v[138:139], v[2:3]
	ds_load_b128 v[132:135], v1 offset:720
	ds_load_b128 v[136:139], v1 offset:736
	s_waitcnt lgkmcnt(1)
	v_fma_f64 v[2:3], v[122:123], v[132:133], v[2:3]
	scratch_load_b128 v[120:123], off, off offset:376
	s_waitcnt vmcnt(4)
	v_fma_f64 v[2:3], v[112:113], v[134:135], v[2:3]
	s_waitcnt lgkmcnt(0)
	s_delay_alu instid0(VALU_DEP_1)
	v_fma_f64 v[2:3], v[114:115], v[136:137], v[2:3]
	scratch_load_b128 v[112:115], off, off offset:392
	s_waitcnt vmcnt(4)
	v_fma_f64 v[2:3], v[124:125], v[138:139], v[2:3]
	ds_load_b128 v[132:135], v1 offset:752
	ds_load_b128 v[136:139], v1 offset:768
	s_waitcnt lgkmcnt(1)
	v_fma_f64 v[2:3], v[126:127], v[132:133], v[2:3]
	scratch_load_b64 v[132:133], off, off offset:408
	s_waitcnt vmcnt(4)
	v_fma_f64 v[2:3], v[116:117], v[134:135], v[2:3]
	s_waitcnt lgkmcnt(0)
	s_delay_alu instid0(VALU_DEP_1)
	v_fma_f64 v[2:3], v[118:119], v[136:137], v[2:3]
	ds_load_b128 v[116:119], v1 offset:784
	ds_load_b128 v[124:127], v1 offset:800
	s_waitcnt vmcnt(3)
	v_fma_f64 v[2:3], v[128:129], v[138:139], v[2:3]
	s_waitcnt lgkmcnt(1)
	s_delay_alu instid0(VALU_DEP_1) | instskip(SKIP_1) | instid1(VALU_DEP_1)
	v_fma_f64 v[2:3], v[130:131], v[116:117], v[2:3]
	s_waitcnt vmcnt(2)
	v_fma_f64 v[2:3], v[120:121], v[118:119], v[2:3]
	s_waitcnt lgkmcnt(0)
	s_delay_alu instid0(VALU_DEP_1) | instskip(SKIP_1) | instid1(VALU_DEP_1)
	v_fma_f64 v[2:3], v[122:123], v[124:125], v[2:3]
	s_waitcnt vmcnt(1)
	v_fma_f64 v[112:113], v[112:113], v[126:127], v[2:3]
	ds_load_b128 v[1:4], v1 offset:816
	s_waitcnt lgkmcnt(0)
	v_fma_f64 v[1:2], v[114:115], v[1:2], v[112:113]
	s_waitcnt vmcnt(0)
	s_delay_alu instid0(VALU_DEP_1) | instskip(NEXT) | instid1(VALU_DEP_1)
	v_fma_f64 v[1:2], v[132:133], v[3:4], v[1:2]
	v_add_f64 v[1:2], v[110:111], -v[1:2]
	scratch_store_b64 off, v[1:2], off offset:136
	v_cmpx_lt_u32_e32 16, v0
	s_cbranch_execz .LBB51_289
; %bb.288:
	scratch_load_b64 v[1:2], off, off offset:128
	v_mov_b32_e32 v3, 0
	s_delay_alu instid0(VALU_DEP_1)
	v_mov_b32_e32 v4, v3
	scratch_store_b64 off, v[3:4], off offset:128
	s_waitcnt vmcnt(0)
	ds_store_b64 v5, v[1:2]
.LBB51_289:
	s_or_b32 exec_lo, exec_lo, s0
	s_waitcnt lgkmcnt(0)
	s_waitcnt_vscnt null, 0x0
	s_barrier
	buffer_gl0_inv
	s_clause 0x4
	scratch_load_b128 v[110:113], off, off offset:128
	scratch_load_b128 v[114:117], off, off offset:144
	;; [unrolled: 1-line block ×5, first 2 shown]
	v_mov_b32_e32 v1, 0
	ds_load_2addr_b64 v[130:133], v1 offset0:69 offset1:70
	ds_load_2addr_b64 v[134:137], v1 offset0:71 offset1:72
	scratch_load_b128 v[138:141], off, off offset:208
	s_mov_b32 s0, exec_lo
	s_waitcnt vmcnt(5) lgkmcnt(1)
	v_fma_f64 v[2:3], v[112:113], v[130:131], 0
	s_waitcnt vmcnt(4)
	s_delay_alu instid0(VALU_DEP_1) | instskip(SKIP_4) | instid1(VALU_DEP_1)
	v_fma_f64 v[2:3], v[114:115], v[132:133], v[2:3]
	scratch_load_b128 v[112:115], off, off offset:224
	s_waitcnt lgkmcnt(0)
	v_fma_f64 v[2:3], v[116:117], v[134:135], v[2:3]
	s_waitcnt vmcnt(4)
	v_fma_f64 v[2:3], v[118:119], v[136:137], v[2:3]
	ds_load_2addr_b64 v[116:119], v1 offset0:73 offset1:74
	ds_load_2addr_b64 v[130:133], v1 offset0:75 offset1:76
	scratch_load_b128 v[134:137], off, off offset:240
	s_waitcnt lgkmcnt(1)
	v_fma_f64 v[2:3], v[120:121], v[116:117], v[2:3]
	s_waitcnt vmcnt(4)
	s_delay_alu instid0(VALU_DEP_1) | instskip(SKIP_4) | instid1(VALU_DEP_1)
	v_fma_f64 v[2:3], v[122:123], v[118:119], v[2:3]
	scratch_load_b128 v[116:119], off, off offset:256
	s_waitcnt lgkmcnt(0)
	v_fma_f64 v[2:3], v[124:125], v[130:131], v[2:3]
	s_waitcnt vmcnt(4)
	v_fma_f64 v[2:3], v[126:127], v[132:133], v[2:3]
	ds_load_2addr_b64 v[120:123], v1 offset0:77 offset1:78
	ds_load_2addr_b64 v[124:127], v1 offset0:79 offset1:80
	s_waitcnt lgkmcnt(1)
	v_fma_f64 v[2:3], v[128:129], v[120:121], v[2:3]
	scratch_load_b128 v[128:131], off, off offset:272
	s_waitcnt vmcnt(4)
	v_fma_f64 v[2:3], v[138:139], v[122:123], v[2:3]
	scratch_load_b128 v[120:123], off, off offset:288
	s_waitcnt lgkmcnt(0)
	v_fma_f64 v[2:3], v[140:141], v[124:125], v[2:3]
	s_waitcnt vmcnt(4)
	s_delay_alu instid0(VALU_DEP_1)
	v_fma_f64 v[2:3], v[112:113], v[126:127], v[2:3]
	ds_load_2addr_b64 v[124:127], v1 offset0:81 offset1:82
	ds_load_2addr_b64 v[138:141], v1 offset0:83 offset1:84
	s_waitcnt lgkmcnt(1)
	v_fma_f64 v[2:3], v[114:115], v[124:125], v[2:3]
	scratch_load_b128 v[112:115], off, off offset:304
	s_waitcnt vmcnt(4)
	v_fma_f64 v[2:3], v[134:135], v[126:127], v[2:3]
	scratch_load_b128 v[124:127], off, off offset:320
	s_waitcnt lgkmcnt(0)
	v_fma_f64 v[2:3], v[136:137], v[138:139], v[2:3]
	ds_load_2addr_b64 v[132:135], v1 offset0:85 offset1:86
	ds_load_2addr_b64 v[136:139], v1 offset0:87 offset1:88
	s_waitcnt vmcnt(4)
	v_fma_f64 v[2:3], v[116:117], v[140:141], v[2:3]
	s_waitcnt lgkmcnt(1)
	s_delay_alu instid0(VALU_DEP_1) | instskip(SKIP_4) | instid1(VALU_DEP_1)
	v_fma_f64 v[2:3], v[118:119], v[132:133], v[2:3]
	scratch_load_b128 v[116:119], off, off offset:336
	s_waitcnt vmcnt(4)
	v_fma_f64 v[2:3], v[128:129], v[134:135], v[2:3]
	s_waitcnt lgkmcnt(0)
	v_fma_f64 v[2:3], v[130:131], v[136:137], v[2:3]
	scratch_load_b128 v[128:131], off, off offset:352
	s_waitcnt vmcnt(4)
	v_fma_f64 v[2:3], v[120:121], v[138:139], v[2:3]
	ds_load_2addr_b64 v[132:135], v1 offset0:89 offset1:90
	ds_load_2addr_b64 v[136:139], v1 offset0:91 offset1:92
	s_waitcnt lgkmcnt(1)
	v_fma_f64 v[2:3], v[122:123], v[132:133], v[2:3]
	scratch_load_b128 v[120:123], off, off offset:368
	s_waitcnt vmcnt(4)
	v_fma_f64 v[2:3], v[112:113], v[134:135], v[2:3]
	s_waitcnt lgkmcnt(0)
	s_delay_alu instid0(VALU_DEP_1)
	v_fma_f64 v[2:3], v[114:115], v[136:137], v[2:3]
	scratch_load_b128 v[112:115], off, off offset:384
	s_waitcnt vmcnt(4)
	v_fma_f64 v[2:3], v[124:125], v[138:139], v[2:3]
	ds_load_2addr_b64 v[132:135], v1 offset0:93 offset1:94
	ds_load_2addr_b64 v[136:139], v1 offset0:95 offset1:96
	s_waitcnt lgkmcnt(1)
	v_fma_f64 v[2:3], v[126:127], v[132:133], v[2:3]
	scratch_load_b128 v[124:127], off, off offset:400
	s_waitcnt vmcnt(4)
	v_fma_f64 v[2:3], v[116:117], v[134:135], v[2:3]
	s_waitcnt lgkmcnt(0)
	s_delay_alu instid0(VALU_DEP_1)
	v_fma_f64 v[2:3], v[118:119], v[136:137], v[2:3]
	ds_load_2addr_b64 v[116:119], v1 offset0:97 offset1:98
	ds_load_2addr_b64 v[132:135], v1 offset0:99 offset1:100
	s_waitcnt vmcnt(3)
	v_fma_f64 v[2:3], v[128:129], v[138:139], v[2:3]
	s_waitcnt lgkmcnt(1)
	s_delay_alu instid0(VALU_DEP_1) | instskip(SKIP_1) | instid1(VALU_DEP_1)
	v_fma_f64 v[2:3], v[130:131], v[116:117], v[2:3]
	s_waitcnt vmcnt(2)
	v_fma_f64 v[2:3], v[120:121], v[118:119], v[2:3]
	s_waitcnt lgkmcnt(0)
	s_delay_alu instid0(VALU_DEP_1) | instskip(SKIP_1) | instid1(VALU_DEP_1)
	v_fma_f64 v[2:3], v[122:123], v[132:133], v[2:3]
	s_waitcnt vmcnt(1)
	v_fma_f64 v[2:3], v[112:113], v[134:135], v[2:3]
	ds_load_2addr_b64 v[116:119], v1 offset0:101 offset1:102
	ds_load_b64 v[112:113], v1 offset:824
	s_waitcnt lgkmcnt(1)
	v_fma_f64 v[2:3], v[114:115], v[116:117], v[2:3]
	s_waitcnt vmcnt(0)
	s_delay_alu instid0(VALU_DEP_1) | instskip(SKIP_1) | instid1(VALU_DEP_1)
	v_fma_f64 v[2:3], v[124:125], v[118:119], v[2:3]
	s_waitcnt lgkmcnt(0)
	v_fma_f64 v[2:3], v[126:127], v[112:113], v[2:3]
	s_delay_alu instid0(VALU_DEP_1)
	v_add_f64 v[2:3], v[110:111], -v[2:3]
	scratch_store_b64 off, v[2:3], off offset:128
	v_cmpx_lt_u32_e32 15, v0
	s_cbranch_execz .LBB51_291
; %bb.290:
	scratch_load_b64 v[3:4], off, off offset:120
	v_mov_b32_e32 v2, v1
	scratch_store_b64 off, v[1:2], off offset:120
	s_waitcnt vmcnt(0)
	ds_store_b64 v5, v[3:4]
.LBB51_291:
	s_or_b32 exec_lo, exec_lo, s0
	s_waitcnt lgkmcnt(0)
	s_waitcnt_vscnt null, 0x0
	s_barrier
	buffer_gl0_inv
	s_clause 0x4
	scratch_load_b128 v[110:113], off, off offset:120
	scratch_load_b128 v[114:117], off, off offset:136
	;; [unrolled: 1-line block ×5, first 2 shown]
	ds_load_b128 v[130:133], v1 offset:544
	ds_load_b128 v[134:137], v1 offset:560
	scratch_load_b128 v[138:141], off, off offset:200
	s_mov_b32 s0, exec_lo
	s_waitcnt vmcnt(5) lgkmcnt(1)
	v_fma_f64 v[2:3], v[112:113], v[130:131], 0
	s_waitcnt vmcnt(4)
	s_delay_alu instid0(VALU_DEP_1) | instskip(SKIP_4) | instid1(VALU_DEP_1)
	v_fma_f64 v[2:3], v[114:115], v[132:133], v[2:3]
	scratch_load_b128 v[112:115], off, off offset:216
	s_waitcnt lgkmcnt(0)
	v_fma_f64 v[2:3], v[116:117], v[134:135], v[2:3]
	s_waitcnt vmcnt(4)
	v_fma_f64 v[2:3], v[118:119], v[136:137], v[2:3]
	ds_load_b128 v[116:119], v1 offset:576
	ds_load_b128 v[130:133], v1 offset:592
	scratch_load_b128 v[134:137], off, off offset:232
	s_waitcnt lgkmcnt(1)
	v_fma_f64 v[2:3], v[120:121], v[116:117], v[2:3]
	s_waitcnt vmcnt(4)
	s_delay_alu instid0(VALU_DEP_1) | instskip(SKIP_4) | instid1(VALU_DEP_1)
	v_fma_f64 v[2:3], v[122:123], v[118:119], v[2:3]
	scratch_load_b128 v[116:119], off, off offset:248
	s_waitcnt lgkmcnt(0)
	v_fma_f64 v[2:3], v[124:125], v[130:131], v[2:3]
	s_waitcnt vmcnt(4)
	v_fma_f64 v[2:3], v[126:127], v[132:133], v[2:3]
	ds_load_b128 v[120:123], v1 offset:608
	ds_load_b128 v[124:127], v1 offset:624
	s_waitcnt lgkmcnt(1)
	v_fma_f64 v[2:3], v[128:129], v[120:121], v[2:3]
	scratch_load_b128 v[128:131], off, off offset:264
	s_waitcnt vmcnt(4)
	v_fma_f64 v[2:3], v[138:139], v[122:123], v[2:3]
	scratch_load_b128 v[120:123], off, off offset:280
	s_waitcnt lgkmcnt(0)
	v_fma_f64 v[2:3], v[140:141], v[124:125], v[2:3]
	s_waitcnt vmcnt(4)
	s_delay_alu instid0(VALU_DEP_1)
	v_fma_f64 v[2:3], v[112:113], v[126:127], v[2:3]
	ds_load_b128 v[124:127], v1 offset:640
	ds_load_b128 v[138:141], v1 offset:656
	s_waitcnt lgkmcnt(1)
	v_fma_f64 v[2:3], v[114:115], v[124:125], v[2:3]
	scratch_load_b128 v[112:115], off, off offset:296
	s_waitcnt vmcnt(4)
	v_fma_f64 v[2:3], v[134:135], v[126:127], v[2:3]
	scratch_load_b128 v[124:127], off, off offset:312
	s_waitcnt lgkmcnt(0)
	v_fma_f64 v[2:3], v[136:137], v[138:139], v[2:3]
	ds_load_b128 v[132:135], v1 offset:672
	ds_load_b128 v[136:139], v1 offset:688
	s_waitcnt vmcnt(4)
	v_fma_f64 v[2:3], v[116:117], v[140:141], v[2:3]
	s_waitcnt lgkmcnt(1)
	s_delay_alu instid0(VALU_DEP_1) | instskip(SKIP_4) | instid1(VALU_DEP_1)
	v_fma_f64 v[2:3], v[118:119], v[132:133], v[2:3]
	scratch_load_b128 v[116:119], off, off offset:328
	s_waitcnt vmcnt(4)
	v_fma_f64 v[2:3], v[128:129], v[134:135], v[2:3]
	s_waitcnt lgkmcnt(0)
	v_fma_f64 v[2:3], v[130:131], v[136:137], v[2:3]
	scratch_load_b128 v[128:131], off, off offset:344
	s_waitcnt vmcnt(4)
	v_fma_f64 v[2:3], v[120:121], v[138:139], v[2:3]
	ds_load_b128 v[132:135], v1 offset:704
	ds_load_b128 v[136:139], v1 offset:720
	s_waitcnt lgkmcnt(1)
	v_fma_f64 v[2:3], v[122:123], v[132:133], v[2:3]
	scratch_load_b128 v[120:123], off, off offset:360
	s_waitcnt vmcnt(4)
	v_fma_f64 v[2:3], v[112:113], v[134:135], v[2:3]
	s_waitcnt lgkmcnt(0)
	s_delay_alu instid0(VALU_DEP_1)
	v_fma_f64 v[2:3], v[114:115], v[136:137], v[2:3]
	scratch_load_b128 v[112:115], off, off offset:376
	s_waitcnt vmcnt(4)
	v_fma_f64 v[2:3], v[124:125], v[138:139], v[2:3]
	ds_load_b128 v[132:135], v1 offset:736
	ds_load_b128 v[136:139], v1 offset:752
	s_waitcnt lgkmcnt(1)
	v_fma_f64 v[2:3], v[126:127], v[132:133], v[2:3]
	scratch_load_b128 v[124:127], off, off offset:392
	s_waitcnt vmcnt(4)
	v_fma_f64 v[2:3], v[116:117], v[134:135], v[2:3]
	s_waitcnt lgkmcnt(0)
	s_delay_alu instid0(VALU_DEP_1)
	v_fma_f64 v[2:3], v[118:119], v[136:137], v[2:3]
	scratch_load_b64 v[136:137], off, off offset:408
	ds_load_b128 v[116:119], v1 offset:768
	ds_load_b128 v[132:135], v1 offset:784
	s_waitcnt vmcnt(4)
	v_fma_f64 v[2:3], v[128:129], v[138:139], v[2:3]
	s_waitcnt lgkmcnt(1)
	s_delay_alu instid0(VALU_DEP_1) | instskip(SKIP_1) | instid1(VALU_DEP_1)
	v_fma_f64 v[2:3], v[130:131], v[116:117], v[2:3]
	s_waitcnt vmcnt(3)
	v_fma_f64 v[2:3], v[120:121], v[118:119], v[2:3]
	s_waitcnt lgkmcnt(0)
	s_delay_alu instid0(VALU_DEP_1) | instskip(SKIP_1) | instid1(VALU_DEP_1)
	v_fma_f64 v[2:3], v[122:123], v[132:133], v[2:3]
	s_waitcnt vmcnt(2)
	v_fma_f64 v[112:113], v[112:113], v[134:135], v[2:3]
	ds_load_b128 v[116:119], v1 offset:800
	ds_load_b128 v[1:4], v1 offset:816
	s_waitcnt lgkmcnt(1)
	v_fma_f64 v[112:113], v[114:115], v[116:117], v[112:113]
	s_waitcnt vmcnt(1)
	s_delay_alu instid0(VALU_DEP_1) | instskip(SKIP_1) | instid1(VALU_DEP_1)
	v_fma_f64 v[112:113], v[124:125], v[118:119], v[112:113]
	s_waitcnt lgkmcnt(0)
	v_fma_f64 v[1:2], v[126:127], v[1:2], v[112:113]
	s_waitcnt vmcnt(0)
	s_delay_alu instid0(VALU_DEP_1) | instskip(NEXT) | instid1(VALU_DEP_1)
	v_fma_f64 v[1:2], v[136:137], v[3:4], v[1:2]
	v_add_f64 v[1:2], v[110:111], -v[1:2]
	scratch_store_b64 off, v[1:2], off offset:120
	v_cmpx_lt_u32_e32 14, v0
	s_cbranch_execz .LBB51_293
; %bb.292:
	scratch_load_b64 v[1:2], off, off offset:112
	v_mov_b32_e32 v3, 0
	s_delay_alu instid0(VALU_DEP_1)
	v_mov_b32_e32 v4, v3
	scratch_store_b64 off, v[3:4], off offset:112
	s_waitcnt vmcnt(0)
	ds_store_b64 v5, v[1:2]
.LBB51_293:
	s_or_b32 exec_lo, exec_lo, s0
	s_waitcnt lgkmcnt(0)
	s_waitcnt_vscnt null, 0x0
	s_barrier
	buffer_gl0_inv
	s_clause 0x4
	scratch_load_b128 v[110:113], off, off offset:112
	scratch_load_b128 v[114:117], off, off offset:128
	;; [unrolled: 1-line block ×5, first 2 shown]
	v_mov_b32_e32 v1, 0
	ds_load_2addr_b64 v[130:133], v1 offset0:67 offset1:68
	ds_load_2addr_b64 v[134:137], v1 offset0:69 offset1:70
	scratch_load_b128 v[138:141], off, off offset:192
	s_mov_b32 s0, exec_lo
	s_waitcnt vmcnt(5) lgkmcnt(1)
	v_fma_f64 v[2:3], v[112:113], v[130:131], 0
	s_waitcnt vmcnt(4)
	s_delay_alu instid0(VALU_DEP_1) | instskip(SKIP_4) | instid1(VALU_DEP_1)
	v_fma_f64 v[2:3], v[114:115], v[132:133], v[2:3]
	scratch_load_b128 v[112:115], off, off offset:208
	s_waitcnt lgkmcnt(0)
	v_fma_f64 v[2:3], v[116:117], v[134:135], v[2:3]
	s_waitcnt vmcnt(4)
	v_fma_f64 v[2:3], v[118:119], v[136:137], v[2:3]
	ds_load_2addr_b64 v[116:119], v1 offset0:71 offset1:72
	ds_load_2addr_b64 v[130:133], v1 offset0:73 offset1:74
	scratch_load_b128 v[134:137], off, off offset:224
	s_waitcnt lgkmcnt(1)
	v_fma_f64 v[2:3], v[120:121], v[116:117], v[2:3]
	s_waitcnt vmcnt(4)
	s_delay_alu instid0(VALU_DEP_1) | instskip(SKIP_4) | instid1(VALU_DEP_1)
	v_fma_f64 v[2:3], v[122:123], v[118:119], v[2:3]
	scratch_load_b128 v[116:119], off, off offset:240
	s_waitcnt lgkmcnt(0)
	v_fma_f64 v[2:3], v[124:125], v[130:131], v[2:3]
	s_waitcnt vmcnt(4)
	v_fma_f64 v[2:3], v[126:127], v[132:133], v[2:3]
	ds_load_2addr_b64 v[120:123], v1 offset0:75 offset1:76
	ds_load_2addr_b64 v[124:127], v1 offset0:77 offset1:78
	s_waitcnt lgkmcnt(1)
	v_fma_f64 v[2:3], v[128:129], v[120:121], v[2:3]
	scratch_load_b128 v[128:131], off, off offset:256
	s_waitcnt vmcnt(4)
	v_fma_f64 v[2:3], v[138:139], v[122:123], v[2:3]
	scratch_load_b128 v[120:123], off, off offset:272
	s_waitcnt lgkmcnt(0)
	v_fma_f64 v[2:3], v[140:141], v[124:125], v[2:3]
	s_waitcnt vmcnt(4)
	s_delay_alu instid0(VALU_DEP_1)
	v_fma_f64 v[2:3], v[112:113], v[126:127], v[2:3]
	ds_load_2addr_b64 v[124:127], v1 offset0:79 offset1:80
	ds_load_2addr_b64 v[138:141], v1 offset0:81 offset1:82
	s_waitcnt lgkmcnt(1)
	v_fma_f64 v[2:3], v[114:115], v[124:125], v[2:3]
	scratch_load_b128 v[112:115], off, off offset:288
	s_waitcnt vmcnt(4)
	v_fma_f64 v[2:3], v[134:135], v[126:127], v[2:3]
	scratch_load_b128 v[124:127], off, off offset:304
	s_waitcnt lgkmcnt(0)
	v_fma_f64 v[2:3], v[136:137], v[138:139], v[2:3]
	ds_load_2addr_b64 v[132:135], v1 offset0:83 offset1:84
	ds_load_2addr_b64 v[136:139], v1 offset0:85 offset1:86
	s_waitcnt vmcnt(4)
	v_fma_f64 v[2:3], v[116:117], v[140:141], v[2:3]
	s_waitcnt lgkmcnt(1)
	s_delay_alu instid0(VALU_DEP_1) | instskip(SKIP_4) | instid1(VALU_DEP_1)
	v_fma_f64 v[2:3], v[118:119], v[132:133], v[2:3]
	scratch_load_b128 v[116:119], off, off offset:320
	s_waitcnt vmcnt(4)
	v_fma_f64 v[2:3], v[128:129], v[134:135], v[2:3]
	s_waitcnt lgkmcnt(0)
	v_fma_f64 v[2:3], v[130:131], v[136:137], v[2:3]
	scratch_load_b128 v[128:131], off, off offset:336
	s_waitcnt vmcnt(4)
	v_fma_f64 v[2:3], v[120:121], v[138:139], v[2:3]
	ds_load_2addr_b64 v[132:135], v1 offset0:87 offset1:88
	ds_load_2addr_b64 v[136:139], v1 offset0:89 offset1:90
	s_waitcnt lgkmcnt(1)
	v_fma_f64 v[2:3], v[122:123], v[132:133], v[2:3]
	scratch_load_b128 v[120:123], off, off offset:352
	s_waitcnt vmcnt(4)
	v_fma_f64 v[2:3], v[112:113], v[134:135], v[2:3]
	s_waitcnt lgkmcnt(0)
	s_delay_alu instid0(VALU_DEP_1)
	v_fma_f64 v[2:3], v[114:115], v[136:137], v[2:3]
	scratch_load_b128 v[112:115], off, off offset:368
	s_waitcnt vmcnt(4)
	v_fma_f64 v[2:3], v[124:125], v[138:139], v[2:3]
	ds_load_2addr_b64 v[132:135], v1 offset0:91 offset1:92
	ds_load_2addr_b64 v[136:139], v1 offset0:93 offset1:94
	s_waitcnt lgkmcnt(1)
	v_fma_f64 v[2:3], v[126:127], v[132:133], v[2:3]
	scratch_load_b128 v[124:127], off, off offset:384
	s_waitcnt vmcnt(4)
	v_fma_f64 v[2:3], v[116:117], v[134:135], v[2:3]
	s_waitcnt lgkmcnt(0)
	s_delay_alu instid0(VALU_DEP_1)
	v_fma_f64 v[2:3], v[118:119], v[136:137], v[2:3]
	scratch_load_b128 v[116:119], off, off offset:400
	s_waitcnt vmcnt(4)
	v_fma_f64 v[2:3], v[128:129], v[138:139], v[2:3]
	ds_load_2addr_b64 v[132:135], v1 offset0:95 offset1:96
	ds_load_2addr_b64 v[136:139], v1 offset0:97 offset1:98
	s_waitcnt lgkmcnt(1)
	v_fma_f64 v[2:3], v[130:131], v[132:133], v[2:3]
	s_waitcnt vmcnt(3)
	s_delay_alu instid0(VALU_DEP_1) | instskip(SKIP_1) | instid1(VALU_DEP_1)
	v_fma_f64 v[2:3], v[120:121], v[134:135], v[2:3]
	s_waitcnt lgkmcnt(0)
	v_fma_f64 v[2:3], v[122:123], v[136:137], v[2:3]
	ds_load_2addr_b64 v[120:123], v1 offset0:99 offset1:100
	ds_load_2addr_b64 v[128:131], v1 offset0:101 offset1:102
	s_waitcnt vmcnt(2)
	v_fma_f64 v[2:3], v[112:113], v[138:139], v[2:3]
	ds_load_b64 v[112:113], v1 offset:824
	s_waitcnt lgkmcnt(2)
	v_fma_f64 v[2:3], v[114:115], v[120:121], v[2:3]
	s_waitcnt vmcnt(1)
	s_delay_alu instid0(VALU_DEP_1) | instskip(SKIP_1) | instid1(VALU_DEP_1)
	v_fma_f64 v[2:3], v[124:125], v[122:123], v[2:3]
	s_waitcnt lgkmcnt(1)
	v_fma_f64 v[2:3], v[126:127], v[128:129], v[2:3]
	s_waitcnt vmcnt(0)
	s_delay_alu instid0(VALU_DEP_1) | instskip(SKIP_1) | instid1(VALU_DEP_1)
	v_fma_f64 v[2:3], v[116:117], v[130:131], v[2:3]
	s_waitcnt lgkmcnt(0)
	v_fma_f64 v[2:3], v[118:119], v[112:113], v[2:3]
	s_delay_alu instid0(VALU_DEP_1)
	v_add_f64 v[2:3], v[110:111], -v[2:3]
	scratch_store_b64 off, v[2:3], off offset:112
	v_cmpx_lt_u32_e32 13, v0
	s_cbranch_execz .LBB51_295
; %bb.294:
	scratch_load_b64 v[3:4], off, off offset:104
	v_mov_b32_e32 v2, v1
	scratch_store_b64 off, v[1:2], off offset:104
	s_waitcnt vmcnt(0)
	ds_store_b64 v5, v[3:4]
.LBB51_295:
	s_or_b32 exec_lo, exec_lo, s0
	s_waitcnt lgkmcnt(0)
	s_waitcnt_vscnt null, 0x0
	s_barrier
	buffer_gl0_inv
	s_clause 0x4
	scratch_load_b128 v[110:113], off, off offset:104
	scratch_load_b128 v[114:117], off, off offset:120
	;; [unrolled: 1-line block ×5, first 2 shown]
	ds_load_b128 v[130:133], v1 offset:528
	ds_load_b128 v[134:137], v1 offset:544
	scratch_load_b128 v[138:141], off, off offset:184
	s_mov_b32 s0, exec_lo
	s_waitcnt vmcnt(5) lgkmcnt(1)
	v_fma_f64 v[2:3], v[112:113], v[130:131], 0
	s_waitcnt vmcnt(4)
	s_delay_alu instid0(VALU_DEP_1) | instskip(SKIP_4) | instid1(VALU_DEP_1)
	v_fma_f64 v[2:3], v[114:115], v[132:133], v[2:3]
	scratch_load_b128 v[112:115], off, off offset:200
	s_waitcnt lgkmcnt(0)
	v_fma_f64 v[2:3], v[116:117], v[134:135], v[2:3]
	s_waitcnt vmcnt(4)
	v_fma_f64 v[2:3], v[118:119], v[136:137], v[2:3]
	ds_load_b128 v[116:119], v1 offset:560
	ds_load_b128 v[130:133], v1 offset:576
	scratch_load_b128 v[134:137], off, off offset:216
	s_waitcnt lgkmcnt(1)
	v_fma_f64 v[2:3], v[120:121], v[116:117], v[2:3]
	s_waitcnt vmcnt(4)
	s_delay_alu instid0(VALU_DEP_1) | instskip(SKIP_4) | instid1(VALU_DEP_1)
	v_fma_f64 v[2:3], v[122:123], v[118:119], v[2:3]
	scratch_load_b128 v[116:119], off, off offset:232
	s_waitcnt lgkmcnt(0)
	v_fma_f64 v[2:3], v[124:125], v[130:131], v[2:3]
	s_waitcnt vmcnt(4)
	v_fma_f64 v[2:3], v[126:127], v[132:133], v[2:3]
	ds_load_b128 v[120:123], v1 offset:592
	ds_load_b128 v[124:127], v1 offset:608
	s_waitcnt lgkmcnt(1)
	v_fma_f64 v[2:3], v[128:129], v[120:121], v[2:3]
	scratch_load_b128 v[128:131], off, off offset:248
	s_waitcnt vmcnt(4)
	v_fma_f64 v[2:3], v[138:139], v[122:123], v[2:3]
	scratch_load_b128 v[120:123], off, off offset:264
	s_waitcnt lgkmcnt(0)
	v_fma_f64 v[2:3], v[140:141], v[124:125], v[2:3]
	s_waitcnt vmcnt(4)
	s_delay_alu instid0(VALU_DEP_1)
	v_fma_f64 v[2:3], v[112:113], v[126:127], v[2:3]
	ds_load_b128 v[124:127], v1 offset:624
	ds_load_b128 v[138:141], v1 offset:640
	s_waitcnt lgkmcnt(1)
	v_fma_f64 v[2:3], v[114:115], v[124:125], v[2:3]
	scratch_load_b128 v[112:115], off, off offset:280
	s_waitcnt vmcnt(4)
	v_fma_f64 v[2:3], v[134:135], v[126:127], v[2:3]
	scratch_load_b128 v[124:127], off, off offset:296
	s_waitcnt lgkmcnt(0)
	v_fma_f64 v[2:3], v[136:137], v[138:139], v[2:3]
	ds_load_b128 v[132:135], v1 offset:656
	ds_load_b128 v[136:139], v1 offset:672
	s_waitcnt vmcnt(4)
	v_fma_f64 v[2:3], v[116:117], v[140:141], v[2:3]
	s_waitcnt lgkmcnt(1)
	s_delay_alu instid0(VALU_DEP_1) | instskip(SKIP_4) | instid1(VALU_DEP_1)
	v_fma_f64 v[2:3], v[118:119], v[132:133], v[2:3]
	scratch_load_b128 v[116:119], off, off offset:312
	s_waitcnt vmcnt(4)
	v_fma_f64 v[2:3], v[128:129], v[134:135], v[2:3]
	s_waitcnt lgkmcnt(0)
	v_fma_f64 v[2:3], v[130:131], v[136:137], v[2:3]
	scratch_load_b128 v[128:131], off, off offset:328
	s_waitcnt vmcnt(4)
	v_fma_f64 v[2:3], v[120:121], v[138:139], v[2:3]
	ds_load_b128 v[132:135], v1 offset:688
	ds_load_b128 v[136:139], v1 offset:704
	s_waitcnt lgkmcnt(1)
	v_fma_f64 v[2:3], v[122:123], v[132:133], v[2:3]
	scratch_load_b128 v[120:123], off, off offset:344
	s_waitcnt vmcnt(4)
	v_fma_f64 v[2:3], v[112:113], v[134:135], v[2:3]
	s_waitcnt lgkmcnt(0)
	s_delay_alu instid0(VALU_DEP_1)
	v_fma_f64 v[2:3], v[114:115], v[136:137], v[2:3]
	scratch_load_b128 v[112:115], off, off offset:360
	s_waitcnt vmcnt(4)
	v_fma_f64 v[2:3], v[124:125], v[138:139], v[2:3]
	ds_load_b128 v[132:135], v1 offset:720
	ds_load_b128 v[136:139], v1 offset:736
	s_waitcnt lgkmcnt(1)
	v_fma_f64 v[2:3], v[126:127], v[132:133], v[2:3]
	scratch_load_b128 v[124:127], off, off offset:376
	s_waitcnt vmcnt(4)
	v_fma_f64 v[2:3], v[116:117], v[134:135], v[2:3]
	s_waitcnt lgkmcnt(0)
	s_delay_alu instid0(VALU_DEP_1)
	v_fma_f64 v[2:3], v[118:119], v[136:137], v[2:3]
	scratch_load_b128 v[116:119], off, off offset:392
	s_waitcnt vmcnt(4)
	v_fma_f64 v[2:3], v[128:129], v[138:139], v[2:3]
	ds_load_b128 v[132:135], v1 offset:752
	ds_load_b128 v[136:139], v1 offset:768
	s_waitcnt lgkmcnt(1)
	v_fma_f64 v[2:3], v[130:131], v[132:133], v[2:3]
	scratch_load_b64 v[132:133], off, off offset:408
	s_waitcnt vmcnt(4)
	v_fma_f64 v[2:3], v[120:121], v[134:135], v[2:3]
	s_waitcnt lgkmcnt(0)
	s_delay_alu instid0(VALU_DEP_1)
	v_fma_f64 v[2:3], v[122:123], v[136:137], v[2:3]
	ds_load_b128 v[120:123], v1 offset:784
	ds_load_b128 v[128:131], v1 offset:800
	s_waitcnt vmcnt(3)
	v_fma_f64 v[2:3], v[112:113], v[138:139], v[2:3]
	s_waitcnt lgkmcnt(1)
	s_delay_alu instid0(VALU_DEP_1) | instskip(SKIP_1) | instid1(VALU_DEP_1)
	v_fma_f64 v[2:3], v[114:115], v[120:121], v[2:3]
	s_waitcnt vmcnt(2)
	v_fma_f64 v[2:3], v[124:125], v[122:123], v[2:3]
	s_waitcnt lgkmcnt(0)
	s_delay_alu instid0(VALU_DEP_1) | instskip(SKIP_1) | instid1(VALU_DEP_1)
	v_fma_f64 v[2:3], v[126:127], v[128:129], v[2:3]
	s_waitcnt vmcnt(1)
	v_fma_f64 v[112:113], v[116:117], v[130:131], v[2:3]
	ds_load_b128 v[1:4], v1 offset:816
	s_waitcnt lgkmcnt(0)
	v_fma_f64 v[1:2], v[118:119], v[1:2], v[112:113]
	s_waitcnt vmcnt(0)
	s_delay_alu instid0(VALU_DEP_1) | instskip(NEXT) | instid1(VALU_DEP_1)
	v_fma_f64 v[1:2], v[132:133], v[3:4], v[1:2]
	v_add_f64 v[1:2], v[110:111], -v[1:2]
	scratch_store_b64 off, v[1:2], off offset:104
	v_cmpx_lt_u32_e32 12, v0
	s_cbranch_execz .LBB51_297
; %bb.296:
	scratch_load_b64 v[1:2], off, off offset:96
	v_mov_b32_e32 v3, 0
	s_delay_alu instid0(VALU_DEP_1)
	v_mov_b32_e32 v4, v3
	scratch_store_b64 off, v[3:4], off offset:96
	s_waitcnt vmcnt(0)
	ds_store_b64 v5, v[1:2]
.LBB51_297:
	s_or_b32 exec_lo, exec_lo, s0
	s_waitcnt lgkmcnt(0)
	s_waitcnt_vscnt null, 0x0
	s_barrier
	buffer_gl0_inv
	s_clause 0x4
	scratch_load_b128 v[110:113], off, off offset:96
	scratch_load_b128 v[114:117], off, off offset:112
	;; [unrolled: 1-line block ×5, first 2 shown]
	v_mov_b32_e32 v1, 0
	ds_load_2addr_b64 v[130:133], v1 offset0:65 offset1:66
	ds_load_2addr_b64 v[134:137], v1 offset0:67 offset1:68
	scratch_load_b128 v[138:141], off, off offset:176
	s_mov_b32 s0, exec_lo
	s_waitcnt vmcnt(5) lgkmcnt(1)
	v_fma_f64 v[2:3], v[112:113], v[130:131], 0
	s_waitcnt vmcnt(4)
	s_delay_alu instid0(VALU_DEP_1) | instskip(SKIP_4) | instid1(VALU_DEP_1)
	v_fma_f64 v[2:3], v[114:115], v[132:133], v[2:3]
	scratch_load_b128 v[112:115], off, off offset:192
	s_waitcnt lgkmcnt(0)
	v_fma_f64 v[2:3], v[116:117], v[134:135], v[2:3]
	s_waitcnt vmcnt(4)
	v_fma_f64 v[2:3], v[118:119], v[136:137], v[2:3]
	ds_load_2addr_b64 v[116:119], v1 offset0:69 offset1:70
	ds_load_2addr_b64 v[130:133], v1 offset0:71 offset1:72
	scratch_load_b128 v[134:137], off, off offset:208
	s_waitcnt lgkmcnt(1)
	v_fma_f64 v[2:3], v[120:121], v[116:117], v[2:3]
	s_waitcnt vmcnt(4)
	s_delay_alu instid0(VALU_DEP_1) | instskip(SKIP_4) | instid1(VALU_DEP_1)
	v_fma_f64 v[2:3], v[122:123], v[118:119], v[2:3]
	scratch_load_b128 v[116:119], off, off offset:224
	s_waitcnt lgkmcnt(0)
	v_fma_f64 v[2:3], v[124:125], v[130:131], v[2:3]
	s_waitcnt vmcnt(4)
	v_fma_f64 v[2:3], v[126:127], v[132:133], v[2:3]
	ds_load_2addr_b64 v[120:123], v1 offset0:73 offset1:74
	ds_load_2addr_b64 v[124:127], v1 offset0:75 offset1:76
	s_waitcnt lgkmcnt(1)
	v_fma_f64 v[2:3], v[128:129], v[120:121], v[2:3]
	scratch_load_b128 v[128:131], off, off offset:240
	s_waitcnt vmcnt(4)
	v_fma_f64 v[2:3], v[138:139], v[122:123], v[2:3]
	scratch_load_b128 v[120:123], off, off offset:256
	s_waitcnt lgkmcnt(0)
	v_fma_f64 v[2:3], v[140:141], v[124:125], v[2:3]
	s_waitcnt vmcnt(4)
	s_delay_alu instid0(VALU_DEP_1)
	v_fma_f64 v[2:3], v[112:113], v[126:127], v[2:3]
	ds_load_2addr_b64 v[124:127], v1 offset0:77 offset1:78
	ds_load_2addr_b64 v[138:141], v1 offset0:79 offset1:80
	s_waitcnt lgkmcnt(1)
	v_fma_f64 v[2:3], v[114:115], v[124:125], v[2:3]
	scratch_load_b128 v[112:115], off, off offset:272
	s_waitcnt vmcnt(4)
	v_fma_f64 v[2:3], v[134:135], v[126:127], v[2:3]
	scratch_load_b128 v[124:127], off, off offset:288
	s_waitcnt lgkmcnt(0)
	v_fma_f64 v[2:3], v[136:137], v[138:139], v[2:3]
	ds_load_2addr_b64 v[132:135], v1 offset0:81 offset1:82
	ds_load_2addr_b64 v[136:139], v1 offset0:83 offset1:84
	s_waitcnt vmcnt(4)
	v_fma_f64 v[2:3], v[116:117], v[140:141], v[2:3]
	s_waitcnt lgkmcnt(1)
	s_delay_alu instid0(VALU_DEP_1) | instskip(SKIP_4) | instid1(VALU_DEP_1)
	v_fma_f64 v[2:3], v[118:119], v[132:133], v[2:3]
	scratch_load_b128 v[116:119], off, off offset:304
	s_waitcnt vmcnt(4)
	v_fma_f64 v[2:3], v[128:129], v[134:135], v[2:3]
	s_waitcnt lgkmcnt(0)
	v_fma_f64 v[2:3], v[130:131], v[136:137], v[2:3]
	scratch_load_b128 v[128:131], off, off offset:320
	s_waitcnt vmcnt(4)
	v_fma_f64 v[2:3], v[120:121], v[138:139], v[2:3]
	ds_load_2addr_b64 v[132:135], v1 offset0:85 offset1:86
	ds_load_2addr_b64 v[136:139], v1 offset0:87 offset1:88
	s_waitcnt lgkmcnt(1)
	v_fma_f64 v[2:3], v[122:123], v[132:133], v[2:3]
	scratch_load_b128 v[120:123], off, off offset:336
	s_waitcnt vmcnt(4)
	v_fma_f64 v[2:3], v[112:113], v[134:135], v[2:3]
	s_waitcnt lgkmcnt(0)
	s_delay_alu instid0(VALU_DEP_1)
	v_fma_f64 v[2:3], v[114:115], v[136:137], v[2:3]
	scratch_load_b128 v[112:115], off, off offset:352
	s_waitcnt vmcnt(4)
	v_fma_f64 v[2:3], v[124:125], v[138:139], v[2:3]
	ds_load_2addr_b64 v[132:135], v1 offset0:89 offset1:90
	ds_load_2addr_b64 v[136:139], v1 offset0:91 offset1:92
	s_waitcnt lgkmcnt(1)
	v_fma_f64 v[2:3], v[126:127], v[132:133], v[2:3]
	scratch_load_b128 v[124:127], off, off offset:368
	s_waitcnt vmcnt(4)
	v_fma_f64 v[2:3], v[116:117], v[134:135], v[2:3]
	s_waitcnt lgkmcnt(0)
	s_delay_alu instid0(VALU_DEP_1)
	;; [unrolled: 13-line block ×3, first 2 shown]
	v_fma_f64 v[2:3], v[122:123], v[136:137], v[2:3]
	ds_load_2addr_b64 v[120:123], v1 offset0:97 offset1:98
	ds_load_2addr_b64 v[132:135], v1 offset0:99 offset1:100
	s_waitcnt vmcnt(3)
	v_fma_f64 v[2:3], v[112:113], v[138:139], v[2:3]
	s_waitcnt lgkmcnt(1)
	s_delay_alu instid0(VALU_DEP_1) | instskip(SKIP_1) | instid1(VALU_DEP_1)
	v_fma_f64 v[2:3], v[114:115], v[120:121], v[2:3]
	s_waitcnt vmcnt(2)
	v_fma_f64 v[2:3], v[124:125], v[122:123], v[2:3]
	s_waitcnt lgkmcnt(0)
	s_delay_alu instid0(VALU_DEP_1) | instskip(SKIP_1) | instid1(VALU_DEP_1)
	v_fma_f64 v[2:3], v[126:127], v[132:133], v[2:3]
	s_waitcnt vmcnt(1)
	v_fma_f64 v[2:3], v[116:117], v[134:135], v[2:3]
	ds_load_2addr_b64 v[112:115], v1 offset0:101 offset1:102
	ds_load_b64 v[116:117], v1 offset:824
	s_waitcnt lgkmcnt(1)
	v_fma_f64 v[2:3], v[118:119], v[112:113], v[2:3]
	s_waitcnt vmcnt(0)
	s_delay_alu instid0(VALU_DEP_1) | instskip(SKIP_1) | instid1(VALU_DEP_1)
	v_fma_f64 v[2:3], v[128:129], v[114:115], v[2:3]
	s_waitcnt lgkmcnt(0)
	v_fma_f64 v[2:3], v[130:131], v[116:117], v[2:3]
	s_delay_alu instid0(VALU_DEP_1)
	v_add_f64 v[2:3], v[110:111], -v[2:3]
	scratch_store_b64 off, v[2:3], off offset:96
	v_cmpx_lt_u32_e32 11, v0
	s_cbranch_execz .LBB51_299
; %bb.298:
	scratch_load_b64 v[3:4], off, off offset:88
	v_mov_b32_e32 v2, v1
	scratch_store_b64 off, v[1:2], off offset:88
	s_waitcnt vmcnt(0)
	ds_store_b64 v5, v[3:4]
.LBB51_299:
	s_or_b32 exec_lo, exec_lo, s0
	s_waitcnt lgkmcnt(0)
	s_waitcnt_vscnt null, 0x0
	s_barrier
	buffer_gl0_inv
	s_clause 0x4
	scratch_load_b128 v[110:113], off, off offset:88
	scratch_load_b128 v[114:117], off, off offset:104
	;; [unrolled: 1-line block ×5, first 2 shown]
	ds_load_b128 v[130:133], v1 offset:512
	ds_load_b128 v[134:137], v1 offset:528
	scratch_load_b128 v[138:141], off, off offset:168
	s_mov_b32 s0, exec_lo
	s_waitcnt vmcnt(5) lgkmcnt(1)
	v_fma_f64 v[2:3], v[112:113], v[130:131], 0
	s_waitcnt vmcnt(4)
	s_delay_alu instid0(VALU_DEP_1) | instskip(SKIP_4) | instid1(VALU_DEP_1)
	v_fma_f64 v[2:3], v[114:115], v[132:133], v[2:3]
	scratch_load_b128 v[112:115], off, off offset:184
	s_waitcnt lgkmcnt(0)
	v_fma_f64 v[2:3], v[116:117], v[134:135], v[2:3]
	s_waitcnt vmcnt(4)
	v_fma_f64 v[2:3], v[118:119], v[136:137], v[2:3]
	ds_load_b128 v[116:119], v1 offset:544
	ds_load_b128 v[130:133], v1 offset:560
	scratch_load_b128 v[134:137], off, off offset:200
	s_waitcnt lgkmcnt(1)
	v_fma_f64 v[2:3], v[120:121], v[116:117], v[2:3]
	s_waitcnt vmcnt(4)
	s_delay_alu instid0(VALU_DEP_1) | instskip(SKIP_4) | instid1(VALU_DEP_1)
	v_fma_f64 v[2:3], v[122:123], v[118:119], v[2:3]
	scratch_load_b128 v[116:119], off, off offset:216
	s_waitcnt lgkmcnt(0)
	v_fma_f64 v[2:3], v[124:125], v[130:131], v[2:3]
	s_waitcnt vmcnt(4)
	v_fma_f64 v[2:3], v[126:127], v[132:133], v[2:3]
	ds_load_b128 v[120:123], v1 offset:576
	ds_load_b128 v[124:127], v1 offset:592
	s_waitcnt lgkmcnt(1)
	v_fma_f64 v[2:3], v[128:129], v[120:121], v[2:3]
	scratch_load_b128 v[128:131], off, off offset:232
	s_waitcnt vmcnt(4)
	v_fma_f64 v[2:3], v[138:139], v[122:123], v[2:3]
	scratch_load_b128 v[120:123], off, off offset:248
	s_waitcnt lgkmcnt(0)
	v_fma_f64 v[2:3], v[140:141], v[124:125], v[2:3]
	s_waitcnt vmcnt(4)
	s_delay_alu instid0(VALU_DEP_1)
	v_fma_f64 v[2:3], v[112:113], v[126:127], v[2:3]
	ds_load_b128 v[124:127], v1 offset:608
	ds_load_b128 v[138:141], v1 offset:624
	s_waitcnt lgkmcnt(1)
	v_fma_f64 v[2:3], v[114:115], v[124:125], v[2:3]
	scratch_load_b128 v[112:115], off, off offset:264
	s_waitcnt vmcnt(4)
	v_fma_f64 v[2:3], v[134:135], v[126:127], v[2:3]
	scratch_load_b128 v[124:127], off, off offset:280
	s_waitcnt lgkmcnt(0)
	v_fma_f64 v[2:3], v[136:137], v[138:139], v[2:3]
	ds_load_b128 v[132:135], v1 offset:640
	ds_load_b128 v[136:139], v1 offset:656
	s_waitcnt vmcnt(4)
	v_fma_f64 v[2:3], v[116:117], v[140:141], v[2:3]
	s_waitcnt lgkmcnt(1)
	s_delay_alu instid0(VALU_DEP_1) | instskip(SKIP_4) | instid1(VALU_DEP_1)
	v_fma_f64 v[2:3], v[118:119], v[132:133], v[2:3]
	scratch_load_b128 v[116:119], off, off offset:296
	s_waitcnt vmcnt(4)
	v_fma_f64 v[2:3], v[128:129], v[134:135], v[2:3]
	s_waitcnt lgkmcnt(0)
	v_fma_f64 v[2:3], v[130:131], v[136:137], v[2:3]
	scratch_load_b128 v[128:131], off, off offset:312
	s_waitcnt vmcnt(4)
	v_fma_f64 v[2:3], v[120:121], v[138:139], v[2:3]
	ds_load_b128 v[132:135], v1 offset:672
	ds_load_b128 v[136:139], v1 offset:688
	s_waitcnt lgkmcnt(1)
	v_fma_f64 v[2:3], v[122:123], v[132:133], v[2:3]
	scratch_load_b128 v[120:123], off, off offset:328
	s_waitcnt vmcnt(4)
	v_fma_f64 v[2:3], v[112:113], v[134:135], v[2:3]
	s_waitcnt lgkmcnt(0)
	s_delay_alu instid0(VALU_DEP_1)
	v_fma_f64 v[2:3], v[114:115], v[136:137], v[2:3]
	scratch_load_b128 v[112:115], off, off offset:344
	s_waitcnt vmcnt(4)
	v_fma_f64 v[2:3], v[124:125], v[138:139], v[2:3]
	ds_load_b128 v[132:135], v1 offset:704
	ds_load_b128 v[136:139], v1 offset:720
	s_waitcnt lgkmcnt(1)
	v_fma_f64 v[2:3], v[126:127], v[132:133], v[2:3]
	scratch_load_b128 v[124:127], off, off offset:360
	s_waitcnt vmcnt(4)
	v_fma_f64 v[2:3], v[116:117], v[134:135], v[2:3]
	s_waitcnt lgkmcnt(0)
	s_delay_alu instid0(VALU_DEP_1)
	;; [unrolled: 13-line block ×3, first 2 shown]
	v_fma_f64 v[2:3], v[122:123], v[136:137], v[2:3]
	scratch_load_b64 v[136:137], off, off offset:408
	ds_load_b128 v[120:123], v1 offset:768
	ds_load_b128 v[132:135], v1 offset:784
	s_waitcnt vmcnt(4)
	v_fma_f64 v[2:3], v[112:113], v[138:139], v[2:3]
	s_waitcnt lgkmcnt(1)
	s_delay_alu instid0(VALU_DEP_1) | instskip(SKIP_1) | instid1(VALU_DEP_1)
	v_fma_f64 v[2:3], v[114:115], v[120:121], v[2:3]
	s_waitcnt vmcnt(3)
	v_fma_f64 v[2:3], v[124:125], v[122:123], v[2:3]
	s_waitcnt lgkmcnt(0)
	s_delay_alu instid0(VALU_DEP_1) | instskip(SKIP_1) | instid1(VALU_DEP_1)
	v_fma_f64 v[2:3], v[126:127], v[132:133], v[2:3]
	s_waitcnt vmcnt(2)
	v_fma_f64 v[116:117], v[116:117], v[134:135], v[2:3]
	ds_load_b128 v[112:115], v1 offset:800
	ds_load_b128 v[1:4], v1 offset:816
	s_waitcnt lgkmcnt(1)
	v_fma_f64 v[112:113], v[118:119], v[112:113], v[116:117]
	s_waitcnt vmcnt(1)
	s_delay_alu instid0(VALU_DEP_1) | instskip(SKIP_1) | instid1(VALU_DEP_1)
	v_fma_f64 v[112:113], v[128:129], v[114:115], v[112:113]
	s_waitcnt lgkmcnt(0)
	v_fma_f64 v[1:2], v[130:131], v[1:2], v[112:113]
	s_waitcnt vmcnt(0)
	s_delay_alu instid0(VALU_DEP_1) | instskip(NEXT) | instid1(VALU_DEP_1)
	v_fma_f64 v[1:2], v[136:137], v[3:4], v[1:2]
	v_add_f64 v[1:2], v[110:111], -v[1:2]
	scratch_store_b64 off, v[1:2], off offset:88
	v_cmpx_lt_u32_e32 10, v0
	s_cbranch_execz .LBB51_301
; %bb.300:
	scratch_load_b64 v[1:2], off, off offset:80
	v_mov_b32_e32 v3, 0
	s_delay_alu instid0(VALU_DEP_1)
	v_mov_b32_e32 v4, v3
	scratch_store_b64 off, v[3:4], off offset:80
	s_waitcnt vmcnt(0)
	ds_store_b64 v5, v[1:2]
.LBB51_301:
	s_or_b32 exec_lo, exec_lo, s0
	s_waitcnt lgkmcnt(0)
	s_waitcnt_vscnt null, 0x0
	s_barrier
	buffer_gl0_inv
	s_clause 0x4
	scratch_load_b128 v[110:113], off, off offset:80
	scratch_load_b128 v[114:117], off, off offset:96
	;; [unrolled: 1-line block ×5, first 2 shown]
	v_mov_b32_e32 v1, 0
	ds_load_2addr_b64 v[130:133], v1 offset0:63 offset1:64
	ds_load_2addr_b64 v[134:137], v1 offset0:65 offset1:66
	scratch_load_b128 v[138:141], off, off offset:160
	s_mov_b32 s0, exec_lo
	s_waitcnt vmcnt(5) lgkmcnt(1)
	v_fma_f64 v[2:3], v[112:113], v[130:131], 0
	s_waitcnt vmcnt(4)
	s_delay_alu instid0(VALU_DEP_1) | instskip(SKIP_4) | instid1(VALU_DEP_1)
	v_fma_f64 v[2:3], v[114:115], v[132:133], v[2:3]
	scratch_load_b128 v[112:115], off, off offset:176
	s_waitcnt lgkmcnt(0)
	v_fma_f64 v[2:3], v[116:117], v[134:135], v[2:3]
	s_waitcnt vmcnt(4)
	v_fma_f64 v[2:3], v[118:119], v[136:137], v[2:3]
	ds_load_2addr_b64 v[116:119], v1 offset0:67 offset1:68
	ds_load_2addr_b64 v[130:133], v1 offset0:69 offset1:70
	scratch_load_b128 v[134:137], off, off offset:192
	s_waitcnt lgkmcnt(1)
	v_fma_f64 v[2:3], v[120:121], v[116:117], v[2:3]
	s_waitcnt vmcnt(4)
	s_delay_alu instid0(VALU_DEP_1) | instskip(SKIP_4) | instid1(VALU_DEP_1)
	v_fma_f64 v[2:3], v[122:123], v[118:119], v[2:3]
	scratch_load_b128 v[116:119], off, off offset:208
	s_waitcnt lgkmcnt(0)
	v_fma_f64 v[2:3], v[124:125], v[130:131], v[2:3]
	s_waitcnt vmcnt(4)
	v_fma_f64 v[2:3], v[126:127], v[132:133], v[2:3]
	ds_load_2addr_b64 v[120:123], v1 offset0:71 offset1:72
	ds_load_2addr_b64 v[124:127], v1 offset0:73 offset1:74
	s_waitcnt lgkmcnt(1)
	v_fma_f64 v[2:3], v[128:129], v[120:121], v[2:3]
	scratch_load_b128 v[128:131], off, off offset:224
	s_waitcnt vmcnt(4)
	v_fma_f64 v[2:3], v[138:139], v[122:123], v[2:3]
	scratch_load_b128 v[120:123], off, off offset:240
	s_waitcnt lgkmcnt(0)
	v_fma_f64 v[2:3], v[140:141], v[124:125], v[2:3]
	s_waitcnt vmcnt(4)
	s_delay_alu instid0(VALU_DEP_1)
	v_fma_f64 v[2:3], v[112:113], v[126:127], v[2:3]
	ds_load_2addr_b64 v[124:127], v1 offset0:75 offset1:76
	ds_load_2addr_b64 v[138:141], v1 offset0:77 offset1:78
	s_waitcnt lgkmcnt(1)
	v_fma_f64 v[2:3], v[114:115], v[124:125], v[2:3]
	scratch_load_b128 v[112:115], off, off offset:256
	s_waitcnt vmcnt(4)
	v_fma_f64 v[2:3], v[134:135], v[126:127], v[2:3]
	scratch_load_b128 v[124:127], off, off offset:272
	s_waitcnt lgkmcnt(0)
	v_fma_f64 v[2:3], v[136:137], v[138:139], v[2:3]
	ds_load_2addr_b64 v[132:135], v1 offset0:79 offset1:80
	ds_load_2addr_b64 v[136:139], v1 offset0:81 offset1:82
	s_waitcnt vmcnt(4)
	v_fma_f64 v[2:3], v[116:117], v[140:141], v[2:3]
	s_waitcnt lgkmcnt(1)
	s_delay_alu instid0(VALU_DEP_1) | instskip(SKIP_4) | instid1(VALU_DEP_1)
	v_fma_f64 v[2:3], v[118:119], v[132:133], v[2:3]
	scratch_load_b128 v[116:119], off, off offset:288
	s_waitcnt vmcnt(4)
	v_fma_f64 v[2:3], v[128:129], v[134:135], v[2:3]
	s_waitcnt lgkmcnt(0)
	v_fma_f64 v[2:3], v[130:131], v[136:137], v[2:3]
	scratch_load_b128 v[128:131], off, off offset:304
	s_waitcnt vmcnt(4)
	v_fma_f64 v[2:3], v[120:121], v[138:139], v[2:3]
	ds_load_2addr_b64 v[132:135], v1 offset0:83 offset1:84
	ds_load_2addr_b64 v[136:139], v1 offset0:85 offset1:86
	s_waitcnt lgkmcnt(1)
	v_fma_f64 v[2:3], v[122:123], v[132:133], v[2:3]
	scratch_load_b128 v[120:123], off, off offset:320
	s_waitcnt vmcnt(4)
	v_fma_f64 v[2:3], v[112:113], v[134:135], v[2:3]
	s_waitcnt lgkmcnt(0)
	s_delay_alu instid0(VALU_DEP_1)
	v_fma_f64 v[2:3], v[114:115], v[136:137], v[2:3]
	scratch_load_b128 v[112:115], off, off offset:336
	s_waitcnt vmcnt(4)
	v_fma_f64 v[2:3], v[124:125], v[138:139], v[2:3]
	ds_load_2addr_b64 v[132:135], v1 offset0:87 offset1:88
	ds_load_2addr_b64 v[136:139], v1 offset0:89 offset1:90
	s_waitcnt lgkmcnt(1)
	v_fma_f64 v[2:3], v[126:127], v[132:133], v[2:3]
	scratch_load_b128 v[124:127], off, off offset:352
	s_waitcnt vmcnt(4)
	v_fma_f64 v[2:3], v[116:117], v[134:135], v[2:3]
	s_waitcnt lgkmcnt(0)
	s_delay_alu instid0(VALU_DEP_1)
	;; [unrolled: 13-line block ×3, first 2 shown]
	v_fma_f64 v[2:3], v[122:123], v[136:137], v[2:3]
	scratch_load_b128 v[120:123], off, off offset:400
	s_waitcnt vmcnt(4)
	v_fma_f64 v[2:3], v[112:113], v[138:139], v[2:3]
	ds_load_2addr_b64 v[132:135], v1 offset0:95 offset1:96
	ds_load_2addr_b64 v[136:139], v1 offset0:97 offset1:98
	s_waitcnt lgkmcnt(1)
	v_fma_f64 v[2:3], v[114:115], v[132:133], v[2:3]
	s_waitcnt vmcnt(3)
	s_delay_alu instid0(VALU_DEP_1) | instskip(SKIP_1) | instid1(VALU_DEP_1)
	v_fma_f64 v[2:3], v[124:125], v[134:135], v[2:3]
	s_waitcnt lgkmcnt(0)
	v_fma_f64 v[2:3], v[126:127], v[136:137], v[2:3]
	ds_load_2addr_b64 v[112:115], v1 offset0:99 offset1:100
	ds_load_2addr_b64 v[124:127], v1 offset0:101 offset1:102
	s_waitcnt vmcnt(2)
	v_fma_f64 v[2:3], v[116:117], v[138:139], v[2:3]
	s_waitcnt lgkmcnt(1)
	s_delay_alu instid0(VALU_DEP_1) | instskip(SKIP_4) | instid1(VALU_DEP_1)
	v_fma_f64 v[2:3], v[118:119], v[112:113], v[2:3]
	ds_load_b64 v[112:113], v1 offset:824
	s_waitcnt vmcnt(1)
	v_fma_f64 v[2:3], v[128:129], v[114:115], v[2:3]
	s_waitcnt lgkmcnt(1)
	v_fma_f64 v[2:3], v[130:131], v[124:125], v[2:3]
	s_waitcnt vmcnt(0)
	s_delay_alu instid0(VALU_DEP_1) | instskip(SKIP_1) | instid1(VALU_DEP_1)
	v_fma_f64 v[2:3], v[120:121], v[126:127], v[2:3]
	s_waitcnt lgkmcnt(0)
	v_fma_f64 v[2:3], v[122:123], v[112:113], v[2:3]
	s_delay_alu instid0(VALU_DEP_1)
	v_add_f64 v[2:3], v[110:111], -v[2:3]
	scratch_store_b64 off, v[2:3], off offset:80
	v_cmpx_lt_u32_e32 9, v0
	s_cbranch_execz .LBB51_303
; %bb.302:
	scratch_load_b64 v[3:4], off, off offset:72
	v_mov_b32_e32 v2, v1
	scratch_store_b64 off, v[1:2], off offset:72
	s_waitcnt vmcnt(0)
	ds_store_b64 v5, v[3:4]
.LBB51_303:
	s_or_b32 exec_lo, exec_lo, s0
	s_waitcnt lgkmcnt(0)
	s_waitcnt_vscnt null, 0x0
	s_barrier
	buffer_gl0_inv
	s_clause 0x4
	scratch_load_b128 v[110:113], off, off offset:72
	scratch_load_b128 v[114:117], off, off offset:88
	;; [unrolled: 1-line block ×5, first 2 shown]
	ds_load_b128 v[130:133], v1 offset:496
	ds_load_b128 v[134:137], v1 offset:512
	scratch_load_b128 v[138:141], off, off offset:152
	s_mov_b32 s0, exec_lo
	s_waitcnt vmcnt(5) lgkmcnt(1)
	v_fma_f64 v[2:3], v[112:113], v[130:131], 0
	s_waitcnt vmcnt(4)
	s_delay_alu instid0(VALU_DEP_1) | instskip(SKIP_4) | instid1(VALU_DEP_1)
	v_fma_f64 v[2:3], v[114:115], v[132:133], v[2:3]
	scratch_load_b128 v[112:115], off, off offset:168
	s_waitcnt lgkmcnt(0)
	v_fma_f64 v[2:3], v[116:117], v[134:135], v[2:3]
	s_waitcnt vmcnt(4)
	v_fma_f64 v[2:3], v[118:119], v[136:137], v[2:3]
	ds_load_b128 v[116:119], v1 offset:528
	ds_load_b128 v[130:133], v1 offset:544
	scratch_load_b128 v[134:137], off, off offset:184
	s_waitcnt lgkmcnt(1)
	v_fma_f64 v[2:3], v[120:121], v[116:117], v[2:3]
	s_waitcnt vmcnt(4)
	s_delay_alu instid0(VALU_DEP_1) | instskip(SKIP_4) | instid1(VALU_DEP_1)
	v_fma_f64 v[2:3], v[122:123], v[118:119], v[2:3]
	scratch_load_b128 v[116:119], off, off offset:200
	s_waitcnt lgkmcnt(0)
	v_fma_f64 v[2:3], v[124:125], v[130:131], v[2:3]
	s_waitcnt vmcnt(4)
	v_fma_f64 v[2:3], v[126:127], v[132:133], v[2:3]
	ds_load_b128 v[120:123], v1 offset:560
	ds_load_b128 v[124:127], v1 offset:576
	s_waitcnt lgkmcnt(1)
	v_fma_f64 v[2:3], v[128:129], v[120:121], v[2:3]
	scratch_load_b128 v[128:131], off, off offset:216
	s_waitcnt vmcnt(4)
	v_fma_f64 v[2:3], v[138:139], v[122:123], v[2:3]
	scratch_load_b128 v[120:123], off, off offset:232
	s_waitcnt lgkmcnt(0)
	v_fma_f64 v[2:3], v[140:141], v[124:125], v[2:3]
	s_waitcnt vmcnt(4)
	s_delay_alu instid0(VALU_DEP_1)
	v_fma_f64 v[2:3], v[112:113], v[126:127], v[2:3]
	ds_load_b128 v[124:127], v1 offset:592
	ds_load_b128 v[138:141], v1 offset:608
	s_waitcnt lgkmcnt(1)
	v_fma_f64 v[2:3], v[114:115], v[124:125], v[2:3]
	scratch_load_b128 v[112:115], off, off offset:248
	s_waitcnt vmcnt(4)
	v_fma_f64 v[2:3], v[134:135], v[126:127], v[2:3]
	scratch_load_b128 v[124:127], off, off offset:264
	s_waitcnt lgkmcnt(0)
	v_fma_f64 v[2:3], v[136:137], v[138:139], v[2:3]
	ds_load_b128 v[132:135], v1 offset:624
	ds_load_b128 v[136:139], v1 offset:640
	s_waitcnt vmcnt(4)
	v_fma_f64 v[2:3], v[116:117], v[140:141], v[2:3]
	s_waitcnt lgkmcnt(1)
	s_delay_alu instid0(VALU_DEP_1) | instskip(SKIP_4) | instid1(VALU_DEP_1)
	v_fma_f64 v[2:3], v[118:119], v[132:133], v[2:3]
	scratch_load_b128 v[116:119], off, off offset:280
	s_waitcnt vmcnt(4)
	v_fma_f64 v[2:3], v[128:129], v[134:135], v[2:3]
	s_waitcnt lgkmcnt(0)
	v_fma_f64 v[2:3], v[130:131], v[136:137], v[2:3]
	scratch_load_b128 v[128:131], off, off offset:296
	s_waitcnt vmcnt(4)
	v_fma_f64 v[2:3], v[120:121], v[138:139], v[2:3]
	ds_load_b128 v[132:135], v1 offset:656
	ds_load_b128 v[136:139], v1 offset:672
	s_waitcnt lgkmcnt(1)
	v_fma_f64 v[2:3], v[122:123], v[132:133], v[2:3]
	scratch_load_b128 v[120:123], off, off offset:312
	s_waitcnt vmcnt(4)
	v_fma_f64 v[2:3], v[112:113], v[134:135], v[2:3]
	s_waitcnt lgkmcnt(0)
	s_delay_alu instid0(VALU_DEP_1)
	v_fma_f64 v[2:3], v[114:115], v[136:137], v[2:3]
	scratch_load_b128 v[112:115], off, off offset:328
	s_waitcnt vmcnt(4)
	v_fma_f64 v[2:3], v[124:125], v[138:139], v[2:3]
	ds_load_b128 v[132:135], v1 offset:688
	ds_load_b128 v[136:139], v1 offset:704
	s_waitcnt lgkmcnt(1)
	v_fma_f64 v[2:3], v[126:127], v[132:133], v[2:3]
	scratch_load_b128 v[124:127], off, off offset:344
	s_waitcnt vmcnt(4)
	v_fma_f64 v[2:3], v[116:117], v[134:135], v[2:3]
	s_waitcnt lgkmcnt(0)
	s_delay_alu instid0(VALU_DEP_1)
	;; [unrolled: 13-line block ×3, first 2 shown]
	v_fma_f64 v[2:3], v[122:123], v[136:137], v[2:3]
	scratch_load_b128 v[120:123], off, off offset:392
	s_waitcnt vmcnt(4)
	v_fma_f64 v[2:3], v[112:113], v[138:139], v[2:3]
	ds_load_b128 v[132:135], v1 offset:752
	ds_load_b128 v[136:139], v1 offset:768
	s_waitcnt lgkmcnt(1)
	v_fma_f64 v[2:3], v[114:115], v[132:133], v[2:3]
	scratch_load_b64 v[132:133], off, off offset:408
	s_waitcnt vmcnt(4)
	v_fma_f64 v[2:3], v[124:125], v[134:135], v[2:3]
	s_waitcnt lgkmcnt(0)
	s_delay_alu instid0(VALU_DEP_1)
	v_fma_f64 v[2:3], v[126:127], v[136:137], v[2:3]
	ds_load_b128 v[112:115], v1 offset:784
	ds_load_b128 v[124:127], v1 offset:800
	s_waitcnt vmcnt(3)
	v_fma_f64 v[2:3], v[116:117], v[138:139], v[2:3]
	s_waitcnt lgkmcnt(1)
	s_delay_alu instid0(VALU_DEP_1) | instskip(SKIP_1) | instid1(VALU_DEP_1)
	v_fma_f64 v[2:3], v[118:119], v[112:113], v[2:3]
	s_waitcnt vmcnt(2)
	v_fma_f64 v[2:3], v[128:129], v[114:115], v[2:3]
	s_waitcnt lgkmcnt(0)
	s_delay_alu instid0(VALU_DEP_1) | instskip(SKIP_1) | instid1(VALU_DEP_1)
	v_fma_f64 v[2:3], v[130:131], v[124:125], v[2:3]
	s_waitcnt vmcnt(1)
	v_fma_f64 v[112:113], v[120:121], v[126:127], v[2:3]
	ds_load_b128 v[1:4], v1 offset:816
	s_waitcnt lgkmcnt(0)
	v_fma_f64 v[1:2], v[122:123], v[1:2], v[112:113]
	s_waitcnt vmcnt(0)
	s_delay_alu instid0(VALU_DEP_1) | instskip(NEXT) | instid1(VALU_DEP_1)
	v_fma_f64 v[1:2], v[132:133], v[3:4], v[1:2]
	v_add_f64 v[1:2], v[110:111], -v[1:2]
	scratch_store_b64 off, v[1:2], off offset:72
	v_cmpx_lt_u32_e32 8, v0
	s_cbranch_execz .LBB51_305
; %bb.304:
	scratch_load_b64 v[1:2], off, off offset:64
	v_mov_b32_e32 v3, 0
	s_delay_alu instid0(VALU_DEP_1)
	v_mov_b32_e32 v4, v3
	scratch_store_b64 off, v[3:4], off offset:64
	s_waitcnt vmcnt(0)
	ds_store_b64 v5, v[1:2]
.LBB51_305:
	s_or_b32 exec_lo, exec_lo, s0
	s_waitcnt lgkmcnt(0)
	s_waitcnt_vscnt null, 0x0
	s_barrier
	buffer_gl0_inv
	s_clause 0x4
	scratch_load_b128 v[110:113], off, off offset:64
	scratch_load_b128 v[114:117], off, off offset:80
	;; [unrolled: 1-line block ×5, first 2 shown]
	v_mov_b32_e32 v1, 0
	ds_load_2addr_b64 v[130:133], v1 offset0:61 offset1:62
	ds_load_2addr_b64 v[134:137], v1 offset0:63 offset1:64
	scratch_load_b128 v[138:141], off, off offset:144
	s_mov_b32 s0, exec_lo
	s_waitcnt vmcnt(5) lgkmcnt(1)
	v_fma_f64 v[2:3], v[112:113], v[130:131], 0
	s_waitcnt vmcnt(4)
	s_delay_alu instid0(VALU_DEP_1) | instskip(SKIP_4) | instid1(VALU_DEP_1)
	v_fma_f64 v[2:3], v[114:115], v[132:133], v[2:3]
	scratch_load_b128 v[112:115], off, off offset:160
	s_waitcnt lgkmcnt(0)
	v_fma_f64 v[2:3], v[116:117], v[134:135], v[2:3]
	s_waitcnt vmcnt(4)
	v_fma_f64 v[2:3], v[118:119], v[136:137], v[2:3]
	ds_load_2addr_b64 v[116:119], v1 offset0:65 offset1:66
	ds_load_2addr_b64 v[130:133], v1 offset0:67 offset1:68
	scratch_load_b128 v[134:137], off, off offset:176
	s_waitcnt lgkmcnt(1)
	v_fma_f64 v[2:3], v[120:121], v[116:117], v[2:3]
	s_waitcnt vmcnt(4)
	s_delay_alu instid0(VALU_DEP_1) | instskip(SKIP_4) | instid1(VALU_DEP_1)
	v_fma_f64 v[2:3], v[122:123], v[118:119], v[2:3]
	scratch_load_b128 v[116:119], off, off offset:192
	s_waitcnt lgkmcnt(0)
	v_fma_f64 v[2:3], v[124:125], v[130:131], v[2:3]
	s_waitcnt vmcnt(4)
	v_fma_f64 v[2:3], v[126:127], v[132:133], v[2:3]
	ds_load_2addr_b64 v[120:123], v1 offset0:69 offset1:70
	ds_load_2addr_b64 v[124:127], v1 offset0:71 offset1:72
	s_waitcnt lgkmcnt(1)
	v_fma_f64 v[2:3], v[128:129], v[120:121], v[2:3]
	scratch_load_b128 v[128:131], off, off offset:208
	s_waitcnt vmcnt(4)
	v_fma_f64 v[2:3], v[138:139], v[122:123], v[2:3]
	scratch_load_b128 v[120:123], off, off offset:224
	s_waitcnt lgkmcnt(0)
	v_fma_f64 v[2:3], v[140:141], v[124:125], v[2:3]
	s_waitcnt vmcnt(4)
	s_delay_alu instid0(VALU_DEP_1)
	v_fma_f64 v[2:3], v[112:113], v[126:127], v[2:3]
	ds_load_2addr_b64 v[124:127], v1 offset0:73 offset1:74
	ds_load_2addr_b64 v[138:141], v1 offset0:75 offset1:76
	s_waitcnt lgkmcnt(1)
	v_fma_f64 v[2:3], v[114:115], v[124:125], v[2:3]
	scratch_load_b128 v[112:115], off, off offset:240
	s_waitcnt vmcnt(4)
	v_fma_f64 v[2:3], v[134:135], v[126:127], v[2:3]
	scratch_load_b128 v[124:127], off, off offset:256
	s_waitcnt lgkmcnt(0)
	v_fma_f64 v[2:3], v[136:137], v[138:139], v[2:3]
	ds_load_2addr_b64 v[132:135], v1 offset0:77 offset1:78
	ds_load_2addr_b64 v[136:139], v1 offset0:79 offset1:80
	s_waitcnt vmcnt(4)
	v_fma_f64 v[2:3], v[116:117], v[140:141], v[2:3]
	s_waitcnt lgkmcnt(1)
	s_delay_alu instid0(VALU_DEP_1) | instskip(SKIP_4) | instid1(VALU_DEP_1)
	v_fma_f64 v[2:3], v[118:119], v[132:133], v[2:3]
	scratch_load_b128 v[116:119], off, off offset:272
	s_waitcnt vmcnt(4)
	v_fma_f64 v[2:3], v[128:129], v[134:135], v[2:3]
	s_waitcnt lgkmcnt(0)
	v_fma_f64 v[2:3], v[130:131], v[136:137], v[2:3]
	scratch_load_b128 v[128:131], off, off offset:288
	s_waitcnt vmcnt(4)
	v_fma_f64 v[2:3], v[120:121], v[138:139], v[2:3]
	ds_load_2addr_b64 v[132:135], v1 offset0:81 offset1:82
	ds_load_2addr_b64 v[136:139], v1 offset0:83 offset1:84
	s_waitcnt lgkmcnt(1)
	v_fma_f64 v[2:3], v[122:123], v[132:133], v[2:3]
	scratch_load_b128 v[120:123], off, off offset:304
	s_waitcnt vmcnt(4)
	v_fma_f64 v[2:3], v[112:113], v[134:135], v[2:3]
	s_waitcnt lgkmcnt(0)
	s_delay_alu instid0(VALU_DEP_1)
	v_fma_f64 v[2:3], v[114:115], v[136:137], v[2:3]
	scratch_load_b128 v[112:115], off, off offset:320
	s_waitcnt vmcnt(4)
	v_fma_f64 v[2:3], v[124:125], v[138:139], v[2:3]
	ds_load_2addr_b64 v[132:135], v1 offset0:85 offset1:86
	ds_load_2addr_b64 v[136:139], v1 offset0:87 offset1:88
	s_waitcnt lgkmcnt(1)
	v_fma_f64 v[2:3], v[126:127], v[132:133], v[2:3]
	scratch_load_b128 v[124:127], off, off offset:336
	s_waitcnt vmcnt(4)
	v_fma_f64 v[2:3], v[116:117], v[134:135], v[2:3]
	s_waitcnt lgkmcnt(0)
	s_delay_alu instid0(VALU_DEP_1)
	v_fma_f64 v[2:3], v[118:119], v[136:137], v[2:3]
	scratch_load_b128 v[116:119], off, off offset:352
	s_waitcnt vmcnt(4)
	v_fma_f64 v[2:3], v[128:129], v[138:139], v[2:3]
	ds_load_2addr_b64 v[132:135], v1 offset0:89 offset1:90
	ds_load_2addr_b64 v[136:139], v1 offset0:91 offset1:92
	s_waitcnt lgkmcnt(1)
	v_fma_f64 v[2:3], v[130:131], v[132:133], v[2:3]
	scratch_load_b128 v[128:131], off, off offset:368
	s_waitcnt vmcnt(4)
	v_fma_f64 v[2:3], v[120:121], v[134:135], v[2:3]
	s_waitcnt lgkmcnt(0)
	s_delay_alu instid0(VALU_DEP_1)
	v_fma_f64 v[2:3], v[122:123], v[136:137], v[2:3]
	scratch_load_b128 v[120:123], off, off offset:384
	s_waitcnt vmcnt(4)
	v_fma_f64 v[2:3], v[112:113], v[138:139], v[2:3]
	ds_load_2addr_b64 v[132:135], v1 offset0:93 offset1:94
	ds_load_2addr_b64 v[136:139], v1 offset0:95 offset1:96
	s_waitcnt lgkmcnt(1)
	v_fma_f64 v[2:3], v[114:115], v[132:133], v[2:3]
	scratch_load_b128 v[112:115], off, off offset:400
	s_waitcnt vmcnt(4)
	v_fma_f64 v[2:3], v[124:125], v[134:135], v[2:3]
	s_waitcnt lgkmcnt(0)
	s_delay_alu instid0(VALU_DEP_1)
	v_fma_f64 v[2:3], v[126:127], v[136:137], v[2:3]
	ds_load_2addr_b64 v[124:127], v1 offset0:97 offset1:98
	ds_load_2addr_b64 v[132:135], v1 offset0:99 offset1:100
	s_waitcnt vmcnt(3)
	v_fma_f64 v[2:3], v[116:117], v[138:139], v[2:3]
	s_waitcnt lgkmcnt(1)
	s_delay_alu instid0(VALU_DEP_1) | instskip(SKIP_1) | instid1(VALU_DEP_1)
	v_fma_f64 v[2:3], v[118:119], v[124:125], v[2:3]
	s_waitcnt vmcnt(2)
	v_fma_f64 v[2:3], v[128:129], v[126:127], v[2:3]
	s_waitcnt lgkmcnt(0)
	s_delay_alu instid0(VALU_DEP_1) | instskip(SKIP_1) | instid1(VALU_DEP_1)
	v_fma_f64 v[2:3], v[130:131], v[132:133], v[2:3]
	s_waitcnt vmcnt(1)
	v_fma_f64 v[2:3], v[120:121], v[134:135], v[2:3]
	ds_load_2addr_b64 v[116:119], v1 offset0:101 offset1:102
	ds_load_b64 v[120:121], v1 offset:824
	s_waitcnt lgkmcnt(1)
	v_fma_f64 v[2:3], v[122:123], v[116:117], v[2:3]
	s_waitcnt vmcnt(0)
	s_delay_alu instid0(VALU_DEP_1) | instskip(SKIP_1) | instid1(VALU_DEP_1)
	v_fma_f64 v[2:3], v[112:113], v[118:119], v[2:3]
	s_waitcnt lgkmcnt(0)
	v_fma_f64 v[2:3], v[114:115], v[120:121], v[2:3]
	s_delay_alu instid0(VALU_DEP_1)
	v_add_f64 v[2:3], v[110:111], -v[2:3]
	scratch_store_b64 off, v[2:3], off offset:64
	v_cmpx_lt_u32_e32 7, v0
	s_cbranch_execz .LBB51_307
; %bb.306:
	scratch_load_b64 v[3:4], off, off offset:56
	v_mov_b32_e32 v2, v1
	scratch_store_b64 off, v[1:2], off offset:56
	s_waitcnt vmcnt(0)
	ds_store_b64 v5, v[3:4]
.LBB51_307:
	s_or_b32 exec_lo, exec_lo, s0
	s_waitcnt lgkmcnt(0)
	s_waitcnt_vscnt null, 0x0
	s_barrier
	buffer_gl0_inv
	s_clause 0x4
	scratch_load_b128 v[110:113], off, off offset:56
	scratch_load_b128 v[114:117], off, off offset:72
	;; [unrolled: 1-line block ×5, first 2 shown]
	ds_load_b128 v[130:133], v1 offset:480
	ds_load_b128 v[134:137], v1 offset:496
	scratch_load_b128 v[138:141], off, off offset:136
	s_mov_b32 s0, exec_lo
	s_waitcnt vmcnt(5) lgkmcnt(1)
	v_fma_f64 v[2:3], v[112:113], v[130:131], 0
	s_waitcnt vmcnt(4)
	s_delay_alu instid0(VALU_DEP_1) | instskip(SKIP_4) | instid1(VALU_DEP_1)
	v_fma_f64 v[2:3], v[114:115], v[132:133], v[2:3]
	scratch_load_b128 v[112:115], off, off offset:152
	s_waitcnt lgkmcnt(0)
	v_fma_f64 v[2:3], v[116:117], v[134:135], v[2:3]
	s_waitcnt vmcnt(4)
	v_fma_f64 v[2:3], v[118:119], v[136:137], v[2:3]
	ds_load_b128 v[116:119], v1 offset:512
	ds_load_b128 v[130:133], v1 offset:528
	scratch_load_b128 v[134:137], off, off offset:168
	s_waitcnt lgkmcnt(1)
	v_fma_f64 v[2:3], v[120:121], v[116:117], v[2:3]
	s_waitcnt vmcnt(4)
	s_delay_alu instid0(VALU_DEP_1) | instskip(SKIP_4) | instid1(VALU_DEP_1)
	v_fma_f64 v[2:3], v[122:123], v[118:119], v[2:3]
	scratch_load_b128 v[116:119], off, off offset:184
	s_waitcnt lgkmcnt(0)
	v_fma_f64 v[2:3], v[124:125], v[130:131], v[2:3]
	s_waitcnt vmcnt(4)
	v_fma_f64 v[2:3], v[126:127], v[132:133], v[2:3]
	ds_load_b128 v[120:123], v1 offset:544
	ds_load_b128 v[124:127], v1 offset:560
	s_waitcnt lgkmcnt(1)
	v_fma_f64 v[2:3], v[128:129], v[120:121], v[2:3]
	scratch_load_b128 v[128:131], off, off offset:200
	s_waitcnt vmcnt(4)
	v_fma_f64 v[2:3], v[138:139], v[122:123], v[2:3]
	scratch_load_b128 v[120:123], off, off offset:216
	s_waitcnt lgkmcnt(0)
	v_fma_f64 v[2:3], v[140:141], v[124:125], v[2:3]
	s_waitcnt vmcnt(4)
	s_delay_alu instid0(VALU_DEP_1)
	v_fma_f64 v[2:3], v[112:113], v[126:127], v[2:3]
	ds_load_b128 v[124:127], v1 offset:576
	ds_load_b128 v[138:141], v1 offset:592
	s_waitcnt lgkmcnt(1)
	v_fma_f64 v[2:3], v[114:115], v[124:125], v[2:3]
	scratch_load_b128 v[112:115], off, off offset:232
	s_waitcnt vmcnt(4)
	v_fma_f64 v[2:3], v[134:135], v[126:127], v[2:3]
	scratch_load_b128 v[124:127], off, off offset:248
	s_waitcnt lgkmcnt(0)
	v_fma_f64 v[2:3], v[136:137], v[138:139], v[2:3]
	ds_load_b128 v[132:135], v1 offset:608
	ds_load_b128 v[136:139], v1 offset:624
	s_waitcnt vmcnt(4)
	v_fma_f64 v[2:3], v[116:117], v[140:141], v[2:3]
	s_waitcnt lgkmcnt(1)
	s_delay_alu instid0(VALU_DEP_1) | instskip(SKIP_4) | instid1(VALU_DEP_1)
	v_fma_f64 v[2:3], v[118:119], v[132:133], v[2:3]
	scratch_load_b128 v[116:119], off, off offset:264
	s_waitcnt vmcnt(4)
	v_fma_f64 v[2:3], v[128:129], v[134:135], v[2:3]
	s_waitcnt lgkmcnt(0)
	v_fma_f64 v[2:3], v[130:131], v[136:137], v[2:3]
	scratch_load_b128 v[128:131], off, off offset:280
	s_waitcnt vmcnt(4)
	v_fma_f64 v[2:3], v[120:121], v[138:139], v[2:3]
	ds_load_b128 v[132:135], v1 offset:640
	ds_load_b128 v[136:139], v1 offset:656
	s_waitcnt lgkmcnt(1)
	v_fma_f64 v[2:3], v[122:123], v[132:133], v[2:3]
	scratch_load_b128 v[120:123], off, off offset:296
	s_waitcnt vmcnt(4)
	v_fma_f64 v[2:3], v[112:113], v[134:135], v[2:3]
	s_waitcnt lgkmcnt(0)
	s_delay_alu instid0(VALU_DEP_1)
	v_fma_f64 v[2:3], v[114:115], v[136:137], v[2:3]
	scratch_load_b128 v[112:115], off, off offset:312
	s_waitcnt vmcnt(4)
	v_fma_f64 v[2:3], v[124:125], v[138:139], v[2:3]
	ds_load_b128 v[132:135], v1 offset:672
	ds_load_b128 v[136:139], v1 offset:688
	s_waitcnt lgkmcnt(1)
	v_fma_f64 v[2:3], v[126:127], v[132:133], v[2:3]
	scratch_load_b128 v[124:127], off, off offset:328
	s_waitcnt vmcnt(4)
	v_fma_f64 v[2:3], v[116:117], v[134:135], v[2:3]
	s_waitcnt lgkmcnt(0)
	s_delay_alu instid0(VALU_DEP_1)
	;; [unrolled: 13-line block ×4, first 2 shown]
	v_fma_f64 v[2:3], v[126:127], v[136:137], v[2:3]
	scratch_load_b64 v[136:137], off, off offset:408
	ds_load_b128 v[124:127], v1 offset:768
	ds_load_b128 v[132:135], v1 offset:784
	s_waitcnt vmcnt(4)
	v_fma_f64 v[2:3], v[116:117], v[138:139], v[2:3]
	s_waitcnt lgkmcnt(1)
	s_delay_alu instid0(VALU_DEP_1) | instskip(SKIP_1) | instid1(VALU_DEP_1)
	v_fma_f64 v[2:3], v[118:119], v[124:125], v[2:3]
	s_waitcnt vmcnt(3)
	v_fma_f64 v[2:3], v[128:129], v[126:127], v[2:3]
	s_waitcnt lgkmcnt(0)
	s_delay_alu instid0(VALU_DEP_1) | instskip(SKIP_1) | instid1(VALU_DEP_1)
	v_fma_f64 v[2:3], v[130:131], v[132:133], v[2:3]
	s_waitcnt vmcnt(2)
	v_fma_f64 v[120:121], v[120:121], v[134:135], v[2:3]
	ds_load_b128 v[116:119], v1 offset:800
	ds_load_b128 v[1:4], v1 offset:816
	s_waitcnt lgkmcnt(1)
	v_fma_f64 v[116:117], v[122:123], v[116:117], v[120:121]
	s_waitcnt vmcnt(1)
	s_delay_alu instid0(VALU_DEP_1) | instskip(SKIP_1) | instid1(VALU_DEP_1)
	v_fma_f64 v[112:113], v[112:113], v[118:119], v[116:117]
	s_waitcnt lgkmcnt(0)
	v_fma_f64 v[1:2], v[114:115], v[1:2], v[112:113]
	s_waitcnt vmcnt(0)
	s_delay_alu instid0(VALU_DEP_1) | instskip(NEXT) | instid1(VALU_DEP_1)
	v_fma_f64 v[1:2], v[136:137], v[3:4], v[1:2]
	v_add_f64 v[1:2], v[110:111], -v[1:2]
	scratch_store_b64 off, v[1:2], off offset:56
	v_cmpx_lt_u32_e32 6, v0
	s_cbranch_execz .LBB51_309
; %bb.308:
	scratch_load_b64 v[1:2], off, off offset:48
	v_mov_b32_e32 v3, 0
	s_delay_alu instid0(VALU_DEP_1)
	v_mov_b32_e32 v4, v3
	scratch_store_b64 off, v[3:4], off offset:48
	s_waitcnt vmcnt(0)
	ds_store_b64 v5, v[1:2]
.LBB51_309:
	s_or_b32 exec_lo, exec_lo, s0
	s_waitcnt lgkmcnt(0)
	s_waitcnt_vscnt null, 0x0
	s_barrier
	buffer_gl0_inv
	s_clause 0x4
	scratch_load_b128 v[1:4], off, off offset:48
	scratch_load_b128 v[111:114], off, off offset:64
	;; [unrolled: 1-line block ×5, first 2 shown]
	v_mov_b32_e32 v110, 0
	ds_load_2addr_b64 v[127:130], v110 offset0:59 offset1:60
	ds_load_2addr_b64 v[131:134], v110 offset0:61 offset1:62
	scratch_load_b128 v[135:138], off, off offset:128
	s_mov_b32 s0, exec_lo
	s_waitcnt vmcnt(5) lgkmcnt(1)
	v_fma_f64 v[3:4], v[3:4], v[127:128], 0
	s_waitcnt vmcnt(4)
	s_delay_alu instid0(VALU_DEP_1) | instskip(SKIP_1) | instid1(VALU_DEP_1)
	v_fma_f64 v[3:4], v[111:112], v[129:130], v[3:4]
	s_waitcnt lgkmcnt(0)
	v_fma_f64 v[3:4], v[113:114], v[131:132], v[3:4]
	scratch_load_b128 v[111:114], off, off offset:144
	s_waitcnt vmcnt(4)
	v_fma_f64 v[3:4], v[115:116], v[133:134], v[3:4]
	ds_load_2addr_b64 v[127:130], v110 offset0:63 offset1:64
	ds_load_2addr_b64 v[131:134], v110 offset0:65 offset1:66
	s_waitcnt lgkmcnt(1)
	v_fma_f64 v[3:4], v[117:118], v[127:128], v[3:4]
	scratch_load_b128 v[115:118], off, off offset:160
	s_waitcnt vmcnt(4)
	v_fma_f64 v[3:4], v[119:120], v[129:130], v[3:4]
	s_waitcnt lgkmcnt(0)
	s_delay_alu instid0(VALU_DEP_1)
	v_fma_f64 v[3:4], v[121:122], v[131:132], v[3:4]
	scratch_load_b128 v[119:122], off, off offset:176
	s_waitcnt vmcnt(4)
	v_fma_f64 v[3:4], v[123:124], v[133:134], v[3:4]
	ds_load_2addr_b64 v[127:130], v110 offset0:67 offset1:68
	ds_load_2addr_b64 v[131:134], v110 offset0:69 offset1:70
	s_waitcnt lgkmcnt(1)
	v_fma_f64 v[3:4], v[125:126], v[127:128], v[3:4]
	scratch_load_b128 v[123:126], off, off offset:192
	s_waitcnt vmcnt(4)
	v_fma_f64 v[3:4], v[135:136], v[129:130], v[3:4]
	scratch_load_b128 v[127:130], off, off offset:208
	s_waitcnt lgkmcnt(0)
	v_fma_f64 v[3:4], v[137:138], v[131:132], v[3:4]
	s_waitcnt vmcnt(4)
	s_delay_alu instid0(VALU_DEP_1)
	v_fma_f64 v[3:4], v[111:112], v[133:134], v[3:4]
	ds_load_2addr_b64 v[131:134], v110 offset0:71 offset1:72
	ds_load_2addr_b64 v[135:138], v110 offset0:73 offset1:74
	s_waitcnt lgkmcnt(1)
	v_fma_f64 v[3:4], v[113:114], v[131:132], v[3:4]
	scratch_load_b128 v[111:114], off, off offset:224
	s_waitcnt vmcnt(4)
	v_fma_f64 v[3:4], v[115:116], v[133:134], v[3:4]
	s_waitcnt lgkmcnt(0)
	s_delay_alu instid0(VALU_DEP_1)
	v_fma_f64 v[3:4], v[117:118], v[135:136], v[3:4]
	scratch_load_b128 v[115:118], off, off offset:240
	s_waitcnt vmcnt(4)
	v_fma_f64 v[3:4], v[119:120], v[137:138], v[3:4]
	ds_load_2addr_b64 v[131:134], v110 offset0:75 offset1:76
	ds_load_2addr_b64 v[135:138], v110 offset0:77 offset1:78
	s_waitcnt lgkmcnt(1)
	v_fma_f64 v[3:4], v[121:122], v[131:132], v[3:4]
	scratch_load_b128 v[119:122], off, off offset:256
	s_waitcnt vmcnt(4)
	v_fma_f64 v[3:4], v[123:124], v[133:134], v[3:4]
	s_waitcnt lgkmcnt(0)
	s_delay_alu instid0(VALU_DEP_1)
	v_fma_f64 v[3:4], v[125:126], v[135:136], v[3:4]
	scratch_load_b128 v[123:126], off, off offset:272
	s_waitcnt vmcnt(4)
	v_fma_f64 v[3:4], v[127:128], v[137:138], v[3:4]
	ds_load_2addr_b64 v[131:134], v110 offset0:79 offset1:80
	ds_load_2addr_b64 v[135:138], v110 offset0:81 offset1:82
	s_waitcnt lgkmcnt(1)
	v_fma_f64 v[3:4], v[129:130], v[131:132], v[3:4]
	scratch_load_b128 v[127:130], off, off offset:288
	s_waitcnt vmcnt(4)
	v_fma_f64 v[3:4], v[111:112], v[133:134], v[3:4]
	s_waitcnt lgkmcnt(0)
	s_delay_alu instid0(VALU_DEP_1)
	v_fma_f64 v[3:4], v[113:114], v[135:136], v[3:4]
	scratch_load_b128 v[111:114], off, off offset:304
	s_waitcnt vmcnt(4)
	v_fma_f64 v[3:4], v[115:116], v[137:138], v[3:4]
	ds_load_2addr_b64 v[131:134], v110 offset0:83 offset1:84
	ds_load_2addr_b64 v[135:138], v110 offset0:85 offset1:86
	s_waitcnt lgkmcnt(1)
	v_fma_f64 v[3:4], v[117:118], v[131:132], v[3:4]
	scratch_load_b128 v[115:118], off, off offset:320
	s_waitcnt vmcnt(4)
	v_fma_f64 v[3:4], v[119:120], v[133:134], v[3:4]
	s_waitcnt lgkmcnt(0)
	s_delay_alu instid0(VALU_DEP_1)
	v_fma_f64 v[3:4], v[121:122], v[135:136], v[3:4]
	scratch_load_b128 v[119:122], off, off offset:336
	s_waitcnt vmcnt(4)
	v_fma_f64 v[3:4], v[123:124], v[137:138], v[3:4]
	ds_load_2addr_b64 v[131:134], v110 offset0:87 offset1:88
	ds_load_2addr_b64 v[135:138], v110 offset0:89 offset1:90
	s_waitcnt lgkmcnt(1)
	v_fma_f64 v[3:4], v[125:126], v[131:132], v[3:4]
	scratch_load_b128 v[123:126], off, off offset:352
	s_waitcnt vmcnt(4)
	v_fma_f64 v[3:4], v[127:128], v[133:134], v[3:4]
	s_waitcnt lgkmcnt(0)
	s_delay_alu instid0(VALU_DEP_1)
	v_fma_f64 v[3:4], v[129:130], v[135:136], v[3:4]
	scratch_load_b128 v[127:130], off, off offset:368
	s_waitcnt vmcnt(4)
	v_fma_f64 v[3:4], v[111:112], v[137:138], v[3:4]
	ds_load_2addr_b64 v[131:134], v110 offset0:91 offset1:92
	ds_load_2addr_b64 v[135:138], v110 offset0:93 offset1:94
	s_waitcnt lgkmcnt(1)
	v_fma_f64 v[3:4], v[113:114], v[131:132], v[3:4]
	scratch_load_b128 v[111:114], off, off offset:384
	s_waitcnt vmcnt(4)
	v_fma_f64 v[3:4], v[115:116], v[133:134], v[3:4]
	s_waitcnt lgkmcnt(0)
	s_delay_alu instid0(VALU_DEP_1)
	v_fma_f64 v[3:4], v[117:118], v[135:136], v[3:4]
	scratch_load_b128 v[115:118], off, off offset:400
	s_waitcnt vmcnt(4)
	v_fma_f64 v[3:4], v[119:120], v[137:138], v[3:4]
	ds_load_2addr_b64 v[131:134], v110 offset0:95 offset1:96
	ds_load_2addr_b64 v[135:138], v110 offset0:97 offset1:98
	s_waitcnt lgkmcnt(1)
	v_fma_f64 v[3:4], v[121:122], v[131:132], v[3:4]
	s_waitcnt vmcnt(3)
	s_delay_alu instid0(VALU_DEP_1) | instskip(SKIP_1) | instid1(VALU_DEP_1)
	v_fma_f64 v[3:4], v[123:124], v[133:134], v[3:4]
	s_waitcnt lgkmcnt(0)
	v_fma_f64 v[3:4], v[125:126], v[135:136], v[3:4]
	ds_load_2addr_b64 v[119:122], v110 offset0:99 offset1:100
	ds_load_2addr_b64 v[123:126], v110 offset0:101 offset1:102
	s_waitcnt vmcnt(2)
	v_fma_f64 v[3:4], v[127:128], v[137:138], v[3:4]
	s_waitcnt lgkmcnt(1)
	s_delay_alu instid0(VALU_DEP_1) | instskip(SKIP_1) | instid1(VALU_DEP_1)
	v_fma_f64 v[3:4], v[129:130], v[119:120], v[3:4]
	s_waitcnt vmcnt(1)
	v_fma_f64 v[3:4], v[111:112], v[121:122], v[3:4]
	ds_load_b64 v[111:112], v110 offset:824
	s_waitcnt lgkmcnt(1)
	v_fma_f64 v[3:4], v[113:114], v[123:124], v[3:4]
	s_waitcnt vmcnt(0)
	s_delay_alu instid0(VALU_DEP_1) | instskip(SKIP_1) | instid1(VALU_DEP_1)
	v_fma_f64 v[3:4], v[115:116], v[125:126], v[3:4]
	s_waitcnt lgkmcnt(0)
	v_fma_f64 v[3:4], v[117:118], v[111:112], v[3:4]
	s_delay_alu instid0(VALU_DEP_1)
	v_add_f64 v[1:2], v[1:2], -v[3:4]
	scratch_store_b64 off, v[1:2], off offset:48
	v_cmpx_lt_u32_e32 5, v0
	s_cbranch_execz .LBB51_311
; %bb.310:
	scratch_load_b64 v[1:2], off, off offset:40
	v_mov_b32_e32 v111, v110
	scratch_store_b64 off, v[110:111], off offset:40
	s_waitcnt vmcnt(0)
	ds_store_b64 v5, v[1:2]
.LBB51_311:
	s_or_b32 exec_lo, exec_lo, s0
	s_waitcnt lgkmcnt(0)
	s_waitcnt_vscnt null, 0x0
	s_barrier
	buffer_gl0_inv
	s_clause 0x4
	scratch_load_b128 v[1:4], off, off offset:40
	scratch_load_b128 v[111:114], off, off offset:56
	;; [unrolled: 1-line block ×5, first 2 shown]
	ds_load_b128 v[127:130], v110 offset:464
	ds_load_b128 v[131:134], v110 offset:480
	scratch_load_b128 v[135:138], off, off offset:120
	s_mov_b32 s0, exec_lo
	s_waitcnt vmcnt(5) lgkmcnt(1)
	v_fma_f64 v[3:4], v[3:4], v[127:128], 0
	s_waitcnt vmcnt(4)
	s_delay_alu instid0(VALU_DEP_1) | instskip(SKIP_1) | instid1(VALU_DEP_1)
	v_fma_f64 v[3:4], v[111:112], v[129:130], v[3:4]
	s_waitcnt lgkmcnt(0)
	v_fma_f64 v[3:4], v[113:114], v[131:132], v[3:4]
	scratch_load_b128 v[111:114], off, off offset:136
	s_waitcnt vmcnt(4)
	v_fma_f64 v[3:4], v[115:116], v[133:134], v[3:4]
	ds_load_b128 v[127:130], v110 offset:496
	ds_load_b128 v[131:134], v110 offset:512
	s_waitcnt lgkmcnt(1)
	v_fma_f64 v[3:4], v[117:118], v[127:128], v[3:4]
	scratch_load_b128 v[115:118], off, off offset:152
	s_waitcnt vmcnt(4)
	v_fma_f64 v[3:4], v[119:120], v[129:130], v[3:4]
	s_waitcnt lgkmcnt(0)
	s_delay_alu instid0(VALU_DEP_1)
	v_fma_f64 v[3:4], v[121:122], v[131:132], v[3:4]
	scratch_load_b128 v[119:122], off, off offset:168
	s_waitcnt vmcnt(4)
	v_fma_f64 v[3:4], v[123:124], v[133:134], v[3:4]
	ds_load_b128 v[127:130], v110 offset:528
	ds_load_b128 v[131:134], v110 offset:544
	s_waitcnt lgkmcnt(1)
	v_fma_f64 v[3:4], v[125:126], v[127:128], v[3:4]
	scratch_load_b128 v[123:126], off, off offset:184
	s_waitcnt vmcnt(4)
	v_fma_f64 v[3:4], v[135:136], v[129:130], v[3:4]
	scratch_load_b128 v[127:130], off, off offset:200
	s_waitcnt lgkmcnt(0)
	v_fma_f64 v[3:4], v[137:138], v[131:132], v[3:4]
	s_waitcnt vmcnt(4)
	s_delay_alu instid0(VALU_DEP_1)
	v_fma_f64 v[3:4], v[111:112], v[133:134], v[3:4]
	ds_load_b128 v[131:134], v110 offset:560
	ds_load_b128 v[135:138], v110 offset:576
	s_waitcnt lgkmcnt(1)
	v_fma_f64 v[3:4], v[113:114], v[131:132], v[3:4]
	scratch_load_b128 v[111:114], off, off offset:216
	s_waitcnt vmcnt(4)
	v_fma_f64 v[3:4], v[115:116], v[133:134], v[3:4]
	s_waitcnt lgkmcnt(0)
	s_delay_alu instid0(VALU_DEP_1)
	v_fma_f64 v[3:4], v[117:118], v[135:136], v[3:4]
	scratch_load_b128 v[115:118], off, off offset:232
	s_waitcnt vmcnt(4)
	v_fma_f64 v[3:4], v[119:120], v[137:138], v[3:4]
	ds_load_b128 v[131:134], v110 offset:592
	ds_load_b128 v[135:138], v110 offset:608
	s_waitcnt lgkmcnt(1)
	v_fma_f64 v[3:4], v[121:122], v[131:132], v[3:4]
	scratch_load_b128 v[119:122], off, off offset:248
	s_waitcnt vmcnt(4)
	v_fma_f64 v[3:4], v[123:124], v[133:134], v[3:4]
	s_waitcnt lgkmcnt(0)
	s_delay_alu instid0(VALU_DEP_1)
	v_fma_f64 v[3:4], v[125:126], v[135:136], v[3:4]
	scratch_load_b128 v[123:126], off, off offset:264
	s_waitcnt vmcnt(4)
	;; [unrolled: 13-line block ×6, first 2 shown]
	v_fma_f64 v[3:4], v[119:120], v[137:138], v[3:4]
	ds_load_b128 v[131:134], v110 offset:752
	ds_load_b128 v[135:138], v110 offset:768
	s_waitcnt lgkmcnt(1)
	v_fma_f64 v[3:4], v[121:122], v[131:132], v[3:4]
	scratch_load_b64 v[131:132], off, off offset:408
	s_waitcnt vmcnt(4)
	v_fma_f64 v[3:4], v[123:124], v[133:134], v[3:4]
	s_waitcnt lgkmcnt(0)
	s_delay_alu instid0(VALU_DEP_1)
	v_fma_f64 v[3:4], v[125:126], v[135:136], v[3:4]
	ds_load_b128 v[119:122], v110 offset:784
	ds_load_b128 v[123:126], v110 offset:800
	s_waitcnt vmcnt(3)
	v_fma_f64 v[3:4], v[127:128], v[137:138], v[3:4]
	s_waitcnt lgkmcnt(1)
	s_delay_alu instid0(VALU_DEP_1) | instskip(SKIP_1) | instid1(VALU_DEP_1)
	v_fma_f64 v[3:4], v[129:130], v[119:120], v[3:4]
	s_waitcnt vmcnt(2)
	v_fma_f64 v[3:4], v[111:112], v[121:122], v[3:4]
	s_waitcnt lgkmcnt(0)
	s_delay_alu instid0(VALU_DEP_1) | instskip(SKIP_4) | instid1(VALU_DEP_1)
	v_fma_f64 v[3:4], v[113:114], v[123:124], v[3:4]
	ds_load_b128 v[110:113], v110 offset:816
	s_waitcnt vmcnt(1)
	v_fma_f64 v[3:4], v[115:116], v[125:126], v[3:4]
	s_waitcnt lgkmcnt(0)
	v_fma_f64 v[3:4], v[117:118], v[110:111], v[3:4]
	s_waitcnt vmcnt(0)
	s_delay_alu instid0(VALU_DEP_1) | instskip(NEXT) | instid1(VALU_DEP_1)
	v_fma_f64 v[3:4], v[131:132], v[112:113], v[3:4]
	v_add_f64 v[1:2], v[1:2], -v[3:4]
	scratch_store_b64 off, v[1:2], off offset:40
	v_cmpx_lt_u32_e32 4, v0
	s_cbranch_execz .LBB51_313
; %bb.312:
	scratch_load_b64 v[1:2], off, off offset:32
	v_mov_b32_e32 v3, 0
	s_delay_alu instid0(VALU_DEP_1)
	v_mov_b32_e32 v4, v3
	scratch_store_b64 off, v[3:4], off offset:32
	s_waitcnt vmcnt(0)
	ds_store_b64 v5, v[1:2]
.LBB51_313:
	s_or_b32 exec_lo, exec_lo, s0
	s_waitcnt lgkmcnt(0)
	s_waitcnt_vscnt null, 0x0
	s_barrier
	buffer_gl0_inv
	s_clause 0x4
	scratch_load_b128 v[1:4], off, off offset:32
	scratch_load_b128 v[111:114], off, off offset:48
	;; [unrolled: 1-line block ×5, first 2 shown]
	v_mov_b32_e32 v110, 0
	ds_load_2addr_b64 v[127:130], v110 offset0:57 offset1:58
	ds_load_2addr_b64 v[131:134], v110 offset0:59 offset1:60
	scratch_load_b128 v[135:138], off, off offset:112
	s_mov_b32 s0, exec_lo
	s_waitcnt vmcnt(5) lgkmcnt(1)
	v_fma_f64 v[3:4], v[3:4], v[127:128], 0
	s_waitcnt vmcnt(4)
	s_delay_alu instid0(VALU_DEP_1) | instskip(SKIP_1) | instid1(VALU_DEP_1)
	v_fma_f64 v[3:4], v[111:112], v[129:130], v[3:4]
	s_waitcnt lgkmcnt(0)
	v_fma_f64 v[3:4], v[113:114], v[131:132], v[3:4]
	scratch_load_b128 v[111:114], off, off offset:128
	s_waitcnt vmcnt(4)
	v_fma_f64 v[3:4], v[115:116], v[133:134], v[3:4]
	ds_load_2addr_b64 v[127:130], v110 offset0:61 offset1:62
	ds_load_2addr_b64 v[131:134], v110 offset0:63 offset1:64
	s_waitcnt lgkmcnt(1)
	v_fma_f64 v[3:4], v[117:118], v[127:128], v[3:4]
	scratch_load_b128 v[115:118], off, off offset:144
	s_waitcnt vmcnt(4)
	v_fma_f64 v[3:4], v[119:120], v[129:130], v[3:4]
	s_waitcnt lgkmcnt(0)
	s_delay_alu instid0(VALU_DEP_1)
	v_fma_f64 v[3:4], v[121:122], v[131:132], v[3:4]
	scratch_load_b128 v[119:122], off, off offset:160
	s_waitcnt vmcnt(4)
	v_fma_f64 v[3:4], v[123:124], v[133:134], v[3:4]
	ds_load_2addr_b64 v[127:130], v110 offset0:65 offset1:66
	ds_load_2addr_b64 v[131:134], v110 offset0:67 offset1:68
	s_waitcnt lgkmcnt(1)
	v_fma_f64 v[3:4], v[125:126], v[127:128], v[3:4]
	scratch_load_b128 v[123:126], off, off offset:176
	s_waitcnt vmcnt(4)
	v_fma_f64 v[3:4], v[135:136], v[129:130], v[3:4]
	scratch_load_b128 v[127:130], off, off offset:192
	s_waitcnt lgkmcnt(0)
	v_fma_f64 v[3:4], v[137:138], v[131:132], v[3:4]
	s_waitcnt vmcnt(4)
	s_delay_alu instid0(VALU_DEP_1)
	v_fma_f64 v[3:4], v[111:112], v[133:134], v[3:4]
	ds_load_2addr_b64 v[131:134], v110 offset0:69 offset1:70
	ds_load_2addr_b64 v[135:138], v110 offset0:71 offset1:72
	s_waitcnt lgkmcnt(1)
	v_fma_f64 v[3:4], v[113:114], v[131:132], v[3:4]
	scratch_load_b128 v[111:114], off, off offset:208
	s_waitcnt vmcnt(4)
	v_fma_f64 v[3:4], v[115:116], v[133:134], v[3:4]
	s_waitcnt lgkmcnt(0)
	s_delay_alu instid0(VALU_DEP_1)
	v_fma_f64 v[3:4], v[117:118], v[135:136], v[3:4]
	scratch_load_b128 v[115:118], off, off offset:224
	s_waitcnt vmcnt(4)
	v_fma_f64 v[3:4], v[119:120], v[137:138], v[3:4]
	ds_load_2addr_b64 v[131:134], v110 offset0:73 offset1:74
	ds_load_2addr_b64 v[135:138], v110 offset0:75 offset1:76
	s_waitcnt lgkmcnt(1)
	v_fma_f64 v[3:4], v[121:122], v[131:132], v[3:4]
	scratch_load_b128 v[119:122], off, off offset:240
	s_waitcnt vmcnt(4)
	v_fma_f64 v[3:4], v[123:124], v[133:134], v[3:4]
	s_waitcnt lgkmcnt(0)
	s_delay_alu instid0(VALU_DEP_1)
	v_fma_f64 v[3:4], v[125:126], v[135:136], v[3:4]
	scratch_load_b128 v[123:126], off, off offset:256
	s_waitcnt vmcnt(4)
	;; [unrolled: 13-line block ×6, first 2 shown]
	v_fma_f64 v[3:4], v[119:120], v[137:138], v[3:4]
	ds_load_2addr_b64 v[131:134], v110 offset0:93 offset1:94
	ds_load_2addr_b64 v[135:138], v110 offset0:95 offset1:96
	s_waitcnt lgkmcnt(1)
	v_fma_f64 v[3:4], v[121:122], v[131:132], v[3:4]
	scratch_load_b128 v[119:122], off, off offset:400
	s_waitcnt vmcnt(4)
	v_fma_f64 v[3:4], v[123:124], v[133:134], v[3:4]
	s_waitcnt lgkmcnt(0)
	s_delay_alu instid0(VALU_DEP_1)
	v_fma_f64 v[3:4], v[125:126], v[135:136], v[3:4]
	ds_load_2addr_b64 v[123:126], v110 offset0:97 offset1:98
	ds_load_2addr_b64 v[131:134], v110 offset0:99 offset1:100
	s_waitcnt vmcnt(3)
	v_fma_f64 v[3:4], v[127:128], v[137:138], v[3:4]
	s_waitcnt lgkmcnt(1)
	s_delay_alu instid0(VALU_DEP_1) | instskip(SKIP_1) | instid1(VALU_DEP_1)
	v_fma_f64 v[3:4], v[129:130], v[123:124], v[3:4]
	s_waitcnt vmcnt(2)
	v_fma_f64 v[3:4], v[111:112], v[125:126], v[3:4]
	s_waitcnt lgkmcnt(0)
	s_delay_alu instid0(VALU_DEP_1) | instskip(SKIP_1) | instid1(VALU_DEP_1)
	v_fma_f64 v[3:4], v[113:114], v[131:132], v[3:4]
	s_waitcnt vmcnt(1)
	v_fma_f64 v[3:4], v[115:116], v[133:134], v[3:4]
	ds_load_2addr_b64 v[111:114], v110 offset0:101 offset1:102
	ds_load_b64 v[115:116], v110 offset:824
	s_waitcnt lgkmcnt(1)
	v_fma_f64 v[3:4], v[117:118], v[111:112], v[3:4]
	s_waitcnt vmcnt(0)
	s_delay_alu instid0(VALU_DEP_1) | instskip(SKIP_1) | instid1(VALU_DEP_1)
	v_fma_f64 v[3:4], v[119:120], v[113:114], v[3:4]
	s_waitcnt lgkmcnt(0)
	v_fma_f64 v[3:4], v[121:122], v[115:116], v[3:4]
	s_delay_alu instid0(VALU_DEP_1)
	v_add_f64 v[1:2], v[1:2], -v[3:4]
	scratch_store_b64 off, v[1:2], off offset:32
	v_cmpx_lt_u32_e32 3, v0
	s_cbranch_execz .LBB51_315
; %bb.314:
	scratch_load_b64 v[1:2], off, off offset:24
	v_mov_b32_e32 v111, v110
	scratch_store_b64 off, v[110:111], off offset:24
	s_waitcnt vmcnt(0)
	ds_store_b64 v5, v[1:2]
.LBB51_315:
	s_or_b32 exec_lo, exec_lo, s0
	s_waitcnt lgkmcnt(0)
	s_waitcnt_vscnt null, 0x0
	s_barrier
	buffer_gl0_inv
	s_clause 0x4
	scratch_load_b128 v[1:4], off, off offset:24
	scratch_load_b128 v[111:114], off, off offset:40
	;; [unrolled: 1-line block ×5, first 2 shown]
	ds_load_b128 v[127:130], v110 offset:448
	ds_load_b128 v[131:134], v110 offset:464
	scratch_load_b128 v[135:138], off, off offset:104
	s_mov_b32 s0, exec_lo
	s_waitcnt vmcnt(5) lgkmcnt(1)
	v_fma_f64 v[3:4], v[3:4], v[127:128], 0
	s_waitcnt vmcnt(4)
	s_delay_alu instid0(VALU_DEP_1) | instskip(SKIP_1) | instid1(VALU_DEP_1)
	v_fma_f64 v[3:4], v[111:112], v[129:130], v[3:4]
	s_waitcnt lgkmcnt(0)
	v_fma_f64 v[3:4], v[113:114], v[131:132], v[3:4]
	scratch_load_b128 v[111:114], off, off offset:120
	s_waitcnt vmcnt(4)
	v_fma_f64 v[3:4], v[115:116], v[133:134], v[3:4]
	ds_load_b128 v[127:130], v110 offset:480
	ds_load_b128 v[131:134], v110 offset:496
	s_waitcnt lgkmcnt(1)
	v_fma_f64 v[3:4], v[117:118], v[127:128], v[3:4]
	scratch_load_b128 v[115:118], off, off offset:136
	s_waitcnt vmcnt(4)
	v_fma_f64 v[3:4], v[119:120], v[129:130], v[3:4]
	s_waitcnt lgkmcnt(0)
	s_delay_alu instid0(VALU_DEP_1)
	v_fma_f64 v[3:4], v[121:122], v[131:132], v[3:4]
	scratch_load_b128 v[119:122], off, off offset:152
	s_waitcnt vmcnt(4)
	v_fma_f64 v[3:4], v[123:124], v[133:134], v[3:4]
	ds_load_b128 v[127:130], v110 offset:512
	ds_load_b128 v[131:134], v110 offset:528
	s_waitcnt lgkmcnt(1)
	v_fma_f64 v[3:4], v[125:126], v[127:128], v[3:4]
	scratch_load_b128 v[123:126], off, off offset:168
	s_waitcnt vmcnt(4)
	v_fma_f64 v[3:4], v[135:136], v[129:130], v[3:4]
	scratch_load_b128 v[127:130], off, off offset:184
	s_waitcnt lgkmcnt(0)
	v_fma_f64 v[3:4], v[137:138], v[131:132], v[3:4]
	s_waitcnt vmcnt(4)
	s_delay_alu instid0(VALU_DEP_1)
	v_fma_f64 v[3:4], v[111:112], v[133:134], v[3:4]
	ds_load_b128 v[131:134], v110 offset:544
	ds_load_b128 v[135:138], v110 offset:560
	s_waitcnt lgkmcnt(1)
	v_fma_f64 v[3:4], v[113:114], v[131:132], v[3:4]
	scratch_load_b128 v[111:114], off, off offset:200
	s_waitcnt vmcnt(4)
	v_fma_f64 v[3:4], v[115:116], v[133:134], v[3:4]
	s_waitcnt lgkmcnt(0)
	s_delay_alu instid0(VALU_DEP_1)
	v_fma_f64 v[3:4], v[117:118], v[135:136], v[3:4]
	scratch_load_b128 v[115:118], off, off offset:216
	s_waitcnt vmcnt(4)
	v_fma_f64 v[3:4], v[119:120], v[137:138], v[3:4]
	ds_load_b128 v[131:134], v110 offset:576
	ds_load_b128 v[135:138], v110 offset:592
	s_waitcnt lgkmcnt(1)
	v_fma_f64 v[3:4], v[121:122], v[131:132], v[3:4]
	scratch_load_b128 v[119:122], off, off offset:232
	s_waitcnt vmcnt(4)
	v_fma_f64 v[3:4], v[123:124], v[133:134], v[3:4]
	s_waitcnt lgkmcnt(0)
	s_delay_alu instid0(VALU_DEP_1)
	v_fma_f64 v[3:4], v[125:126], v[135:136], v[3:4]
	scratch_load_b128 v[123:126], off, off offset:248
	s_waitcnt vmcnt(4)
	;; [unrolled: 13-line block ×6, first 2 shown]
	v_fma_f64 v[3:4], v[119:120], v[137:138], v[3:4]
	ds_load_b128 v[131:134], v110 offset:736
	ds_load_b128 v[135:138], v110 offset:752
	s_waitcnt lgkmcnt(1)
	v_fma_f64 v[3:4], v[121:122], v[131:132], v[3:4]
	scratch_load_b128 v[119:122], off, off offset:392
	s_waitcnt vmcnt(4)
	v_fma_f64 v[3:4], v[123:124], v[133:134], v[3:4]
	s_waitcnt lgkmcnt(0)
	s_delay_alu instid0(VALU_DEP_1)
	v_fma_f64 v[3:4], v[125:126], v[135:136], v[3:4]
	scratch_load_b64 v[135:136], off, off offset:408
	ds_load_b128 v[123:126], v110 offset:768
	ds_load_b128 v[131:134], v110 offset:784
	s_waitcnt vmcnt(4)
	v_fma_f64 v[3:4], v[127:128], v[137:138], v[3:4]
	s_waitcnt lgkmcnt(1)
	s_delay_alu instid0(VALU_DEP_1) | instskip(SKIP_1) | instid1(VALU_DEP_1)
	v_fma_f64 v[3:4], v[129:130], v[123:124], v[3:4]
	s_waitcnt vmcnt(3)
	v_fma_f64 v[3:4], v[111:112], v[125:126], v[3:4]
	s_waitcnt lgkmcnt(0)
	s_delay_alu instid0(VALU_DEP_1)
	v_fma_f64 v[3:4], v[113:114], v[131:132], v[3:4]
	ds_load_b128 v[111:114], v110 offset:800
	ds_load_b128 v[123:126], v110 offset:816
	s_waitcnt vmcnt(2)
	v_fma_f64 v[3:4], v[115:116], v[133:134], v[3:4]
	s_waitcnt lgkmcnt(1)
	s_delay_alu instid0(VALU_DEP_1) | instskip(SKIP_1) | instid1(VALU_DEP_1)
	v_fma_f64 v[3:4], v[117:118], v[111:112], v[3:4]
	s_waitcnt vmcnt(1)
	v_fma_f64 v[3:4], v[119:120], v[113:114], v[3:4]
	s_waitcnt lgkmcnt(0)
	s_delay_alu instid0(VALU_DEP_1) | instskip(SKIP_1) | instid1(VALU_DEP_1)
	v_fma_f64 v[3:4], v[121:122], v[123:124], v[3:4]
	s_waitcnt vmcnt(0)
	v_fma_f64 v[3:4], v[135:136], v[125:126], v[3:4]
	s_delay_alu instid0(VALU_DEP_1)
	v_add_f64 v[1:2], v[1:2], -v[3:4]
	scratch_store_b64 off, v[1:2], off offset:24
	v_cmpx_lt_u32_e32 2, v0
	s_cbranch_execz .LBB51_317
; %bb.316:
	scratch_load_b64 v[1:2], off, off offset:16
	v_mov_b32_e32 v3, 0
	s_delay_alu instid0(VALU_DEP_1)
	v_mov_b32_e32 v4, v3
	scratch_store_b64 off, v[3:4], off offset:16
	s_waitcnt vmcnt(0)
	ds_store_b64 v5, v[1:2]
.LBB51_317:
	s_or_b32 exec_lo, exec_lo, s0
	s_waitcnt lgkmcnt(0)
	s_waitcnt_vscnt null, 0x0
	s_barrier
	buffer_gl0_inv
	s_clause 0x4
	scratch_load_b128 v[1:4], off, off offset:16
	scratch_load_b128 v[111:114], off, off offset:32
	;; [unrolled: 1-line block ×5, first 2 shown]
	v_mov_b32_e32 v110, 0
	ds_load_2addr_b64 v[127:130], v110 offset0:55 offset1:56
	ds_load_2addr_b64 v[131:134], v110 offset0:57 offset1:58
	scratch_load_b128 v[135:138], off, off offset:96
	s_mov_b32 s0, exec_lo
	s_waitcnt vmcnt(5) lgkmcnt(1)
	v_fma_f64 v[3:4], v[3:4], v[127:128], 0
	s_waitcnt vmcnt(4)
	s_delay_alu instid0(VALU_DEP_1) | instskip(SKIP_1) | instid1(VALU_DEP_1)
	v_fma_f64 v[3:4], v[111:112], v[129:130], v[3:4]
	s_waitcnt lgkmcnt(0)
	v_fma_f64 v[3:4], v[113:114], v[131:132], v[3:4]
	scratch_load_b128 v[111:114], off, off offset:112
	s_waitcnt vmcnt(4)
	v_fma_f64 v[3:4], v[115:116], v[133:134], v[3:4]
	ds_load_2addr_b64 v[127:130], v110 offset0:59 offset1:60
	ds_load_2addr_b64 v[131:134], v110 offset0:61 offset1:62
	s_waitcnt lgkmcnt(1)
	v_fma_f64 v[3:4], v[117:118], v[127:128], v[3:4]
	scratch_load_b128 v[115:118], off, off offset:128
	s_waitcnt vmcnt(4)
	v_fma_f64 v[3:4], v[119:120], v[129:130], v[3:4]
	s_waitcnt lgkmcnt(0)
	s_delay_alu instid0(VALU_DEP_1)
	v_fma_f64 v[3:4], v[121:122], v[131:132], v[3:4]
	scratch_load_b128 v[119:122], off, off offset:144
	s_waitcnt vmcnt(4)
	v_fma_f64 v[3:4], v[123:124], v[133:134], v[3:4]
	ds_load_2addr_b64 v[127:130], v110 offset0:63 offset1:64
	ds_load_2addr_b64 v[131:134], v110 offset0:65 offset1:66
	s_waitcnt lgkmcnt(1)
	v_fma_f64 v[3:4], v[125:126], v[127:128], v[3:4]
	scratch_load_b128 v[123:126], off, off offset:160
	s_waitcnt vmcnt(4)
	v_fma_f64 v[3:4], v[135:136], v[129:130], v[3:4]
	scratch_load_b128 v[127:130], off, off offset:176
	s_waitcnt lgkmcnt(0)
	v_fma_f64 v[3:4], v[137:138], v[131:132], v[3:4]
	s_waitcnt vmcnt(4)
	s_delay_alu instid0(VALU_DEP_1)
	v_fma_f64 v[3:4], v[111:112], v[133:134], v[3:4]
	ds_load_2addr_b64 v[131:134], v110 offset0:67 offset1:68
	ds_load_2addr_b64 v[135:138], v110 offset0:69 offset1:70
	s_waitcnt lgkmcnt(1)
	v_fma_f64 v[3:4], v[113:114], v[131:132], v[3:4]
	scratch_load_b128 v[111:114], off, off offset:192
	s_waitcnt vmcnt(4)
	v_fma_f64 v[3:4], v[115:116], v[133:134], v[3:4]
	s_waitcnt lgkmcnt(0)
	s_delay_alu instid0(VALU_DEP_1)
	v_fma_f64 v[3:4], v[117:118], v[135:136], v[3:4]
	scratch_load_b128 v[115:118], off, off offset:208
	s_waitcnt vmcnt(4)
	v_fma_f64 v[3:4], v[119:120], v[137:138], v[3:4]
	ds_load_2addr_b64 v[131:134], v110 offset0:71 offset1:72
	ds_load_2addr_b64 v[135:138], v110 offset0:73 offset1:74
	s_waitcnt lgkmcnt(1)
	v_fma_f64 v[3:4], v[121:122], v[131:132], v[3:4]
	scratch_load_b128 v[119:122], off, off offset:224
	s_waitcnt vmcnt(4)
	v_fma_f64 v[3:4], v[123:124], v[133:134], v[3:4]
	s_waitcnt lgkmcnt(0)
	s_delay_alu instid0(VALU_DEP_1)
	v_fma_f64 v[3:4], v[125:126], v[135:136], v[3:4]
	scratch_load_b128 v[123:126], off, off offset:240
	s_waitcnt vmcnt(4)
	;; [unrolled: 13-line block ×7, first 2 shown]
	v_fma_f64 v[3:4], v[127:128], v[137:138], v[3:4]
	ds_load_2addr_b64 v[131:134], v110 offset0:95 offset1:96
	ds_load_2addr_b64 v[135:138], v110 offset0:97 offset1:98
	s_waitcnt lgkmcnt(1)
	v_fma_f64 v[3:4], v[129:130], v[131:132], v[3:4]
	s_waitcnt vmcnt(3)
	s_delay_alu instid0(VALU_DEP_1) | instskip(SKIP_1) | instid1(VALU_DEP_1)
	v_fma_f64 v[3:4], v[111:112], v[133:134], v[3:4]
	s_waitcnt lgkmcnt(0)
	v_fma_f64 v[3:4], v[113:114], v[135:136], v[3:4]
	ds_load_2addr_b64 v[111:114], v110 offset0:99 offset1:100
	ds_load_2addr_b64 v[127:130], v110 offset0:101 offset1:102
	s_waitcnt vmcnt(2)
	v_fma_f64 v[3:4], v[115:116], v[137:138], v[3:4]
	s_waitcnt lgkmcnt(1)
	s_delay_alu instid0(VALU_DEP_1) | instskip(SKIP_4) | instid1(VALU_DEP_1)
	v_fma_f64 v[3:4], v[117:118], v[111:112], v[3:4]
	ds_load_b64 v[111:112], v110 offset:824
	s_waitcnt vmcnt(1)
	v_fma_f64 v[3:4], v[119:120], v[113:114], v[3:4]
	s_waitcnt lgkmcnt(1)
	v_fma_f64 v[3:4], v[121:122], v[127:128], v[3:4]
	s_waitcnt vmcnt(0)
	s_delay_alu instid0(VALU_DEP_1) | instskip(SKIP_1) | instid1(VALU_DEP_1)
	v_fma_f64 v[3:4], v[123:124], v[129:130], v[3:4]
	s_waitcnt lgkmcnt(0)
	v_fma_f64 v[3:4], v[125:126], v[111:112], v[3:4]
	s_delay_alu instid0(VALU_DEP_1)
	v_add_f64 v[1:2], v[1:2], -v[3:4]
	scratch_store_b64 off, v[1:2], off offset:16
	v_cmpx_lt_u32_e32 1, v0
	s_cbranch_execz .LBB51_319
; %bb.318:
	scratch_load_b64 v[1:2], off, off offset:8
	v_mov_b32_e32 v111, v110
	scratch_store_b64 off, v[110:111], off offset:8
	s_waitcnt vmcnt(0)
	ds_store_b64 v5, v[1:2]
.LBB51_319:
	s_or_b32 exec_lo, exec_lo, s0
	s_waitcnt lgkmcnt(0)
	s_waitcnt_vscnt null, 0x0
	s_barrier
	buffer_gl0_inv
	s_clause 0x4
	scratch_load_b128 v[1:4], off, off offset:8
	scratch_load_b128 v[111:114], off, off offset:24
	scratch_load_b128 v[115:118], off, off offset:40
	scratch_load_b128 v[119:122], off, off offset:56
	scratch_load_b128 v[123:126], off, off offset:72
	ds_load_b128 v[127:130], v110 offset:432
	ds_load_b128 v[131:134], v110 offset:448
	scratch_load_b128 v[135:138], off, off offset:88
	s_mov_b32 s0, exec_lo
	s_waitcnt vmcnt(5) lgkmcnt(1)
	v_fma_f64 v[3:4], v[3:4], v[127:128], 0
	s_waitcnt vmcnt(4)
	s_delay_alu instid0(VALU_DEP_1) | instskip(SKIP_1) | instid1(VALU_DEP_1)
	v_fma_f64 v[3:4], v[111:112], v[129:130], v[3:4]
	s_waitcnt lgkmcnt(0)
	v_fma_f64 v[3:4], v[113:114], v[131:132], v[3:4]
	scratch_load_b128 v[111:114], off, off offset:104
	s_waitcnt vmcnt(4)
	v_fma_f64 v[3:4], v[115:116], v[133:134], v[3:4]
	ds_load_b128 v[127:130], v110 offset:464
	ds_load_b128 v[131:134], v110 offset:480
	s_waitcnt lgkmcnt(1)
	v_fma_f64 v[3:4], v[117:118], v[127:128], v[3:4]
	scratch_load_b128 v[115:118], off, off offset:120
	s_waitcnt vmcnt(4)
	v_fma_f64 v[3:4], v[119:120], v[129:130], v[3:4]
	s_waitcnt lgkmcnt(0)
	s_delay_alu instid0(VALU_DEP_1)
	v_fma_f64 v[3:4], v[121:122], v[131:132], v[3:4]
	scratch_load_b128 v[119:122], off, off offset:136
	s_waitcnt vmcnt(4)
	v_fma_f64 v[3:4], v[123:124], v[133:134], v[3:4]
	ds_load_b128 v[127:130], v110 offset:496
	ds_load_b128 v[131:134], v110 offset:512
	s_waitcnt lgkmcnt(1)
	v_fma_f64 v[3:4], v[125:126], v[127:128], v[3:4]
	scratch_load_b128 v[123:126], off, off offset:152
	s_waitcnt vmcnt(4)
	v_fma_f64 v[3:4], v[135:136], v[129:130], v[3:4]
	scratch_load_b128 v[127:130], off, off offset:168
	s_waitcnt lgkmcnt(0)
	v_fma_f64 v[3:4], v[137:138], v[131:132], v[3:4]
	s_waitcnt vmcnt(4)
	s_delay_alu instid0(VALU_DEP_1)
	v_fma_f64 v[3:4], v[111:112], v[133:134], v[3:4]
	ds_load_b128 v[131:134], v110 offset:528
	ds_load_b128 v[135:138], v110 offset:544
	s_waitcnt lgkmcnt(1)
	v_fma_f64 v[3:4], v[113:114], v[131:132], v[3:4]
	scratch_load_b128 v[111:114], off, off offset:184
	s_waitcnt vmcnt(4)
	v_fma_f64 v[3:4], v[115:116], v[133:134], v[3:4]
	s_waitcnt lgkmcnt(0)
	s_delay_alu instid0(VALU_DEP_1)
	v_fma_f64 v[3:4], v[117:118], v[135:136], v[3:4]
	scratch_load_b128 v[115:118], off, off offset:200
	s_waitcnt vmcnt(4)
	v_fma_f64 v[3:4], v[119:120], v[137:138], v[3:4]
	ds_load_b128 v[131:134], v110 offset:560
	ds_load_b128 v[135:138], v110 offset:576
	s_waitcnt lgkmcnt(1)
	v_fma_f64 v[3:4], v[121:122], v[131:132], v[3:4]
	scratch_load_b128 v[119:122], off, off offset:216
	s_waitcnt vmcnt(4)
	v_fma_f64 v[3:4], v[123:124], v[133:134], v[3:4]
	s_waitcnt lgkmcnt(0)
	s_delay_alu instid0(VALU_DEP_1)
	v_fma_f64 v[3:4], v[125:126], v[135:136], v[3:4]
	scratch_load_b128 v[123:126], off, off offset:232
	s_waitcnt vmcnt(4)
	;; [unrolled: 13-line block ×7, first 2 shown]
	v_fma_f64 v[3:4], v[127:128], v[137:138], v[3:4]
	ds_load_b128 v[131:134], v110 offset:752
	ds_load_b128 v[135:138], v110 offset:768
	s_waitcnt lgkmcnt(1)
	v_fma_f64 v[3:4], v[129:130], v[131:132], v[3:4]
	scratch_load_b64 v[131:132], off, off offset:408
	s_waitcnt vmcnt(4)
	v_fma_f64 v[3:4], v[111:112], v[133:134], v[3:4]
	s_waitcnt lgkmcnt(0)
	s_delay_alu instid0(VALU_DEP_1)
	v_fma_f64 v[3:4], v[113:114], v[135:136], v[3:4]
	ds_load_b128 v[111:114], v110 offset:784
	ds_load_b128 v[127:130], v110 offset:800
	s_waitcnt vmcnt(3)
	v_fma_f64 v[3:4], v[115:116], v[137:138], v[3:4]
	s_waitcnt lgkmcnt(1)
	s_delay_alu instid0(VALU_DEP_1) | instskip(SKIP_1) | instid1(VALU_DEP_1)
	v_fma_f64 v[3:4], v[117:118], v[111:112], v[3:4]
	s_waitcnt vmcnt(2)
	v_fma_f64 v[3:4], v[119:120], v[113:114], v[3:4]
	ds_load_b128 v[110:113], v110 offset:816
	s_waitcnt lgkmcnt(1)
	v_fma_f64 v[3:4], v[121:122], v[127:128], v[3:4]
	s_waitcnt vmcnt(1)
	s_delay_alu instid0(VALU_DEP_1) | instskip(SKIP_1) | instid1(VALU_DEP_1)
	v_fma_f64 v[3:4], v[123:124], v[129:130], v[3:4]
	s_waitcnt lgkmcnt(0)
	v_fma_f64 v[3:4], v[125:126], v[110:111], v[3:4]
	s_waitcnt vmcnt(0)
	s_delay_alu instid0(VALU_DEP_1) | instskip(NEXT) | instid1(VALU_DEP_1)
	v_fma_f64 v[3:4], v[131:132], v[112:113], v[3:4]
	v_add_f64 v[1:2], v[1:2], -v[3:4]
	scratch_store_b64 off, v[1:2], off offset:8
	v_cmpx_ne_u32_e32 0, v0
	s_cbranch_execz .LBB51_321
; %bb.320:
	scratch_load_b64 v[0:1], off, off
	v_mov_b32_e32 v2, 0
	s_delay_alu instid0(VALU_DEP_1)
	v_mov_b32_e32 v3, v2
	scratch_store_b64 off, v[2:3], off
	s_waitcnt vmcnt(0)
	ds_store_b64 v5, v[0:1]
.LBB51_321:
	s_or_b32 exec_lo, exec_lo, s0
	s_waitcnt lgkmcnt(0)
	s_waitcnt_vscnt null, 0x0
	s_barrier
	buffer_gl0_inv
	s_clause 0x4
	scratch_load_b128 v[0:3], off, off
	scratch_load_b128 v[110:113], off, off offset:16
	scratch_load_b128 v[114:117], off, off offset:32
	;; [unrolled: 1-line block ×4, first 2 shown]
	v_mov_b32_e32 v134, 0
	ds_load_2addr_b64 v[126:129], v134 offset0:53 offset1:54
	ds_load_2addr_b64 v[130:133], v134 offset0:55 offset1:56
	s_and_b32 vcc_lo, exec_lo, s16
	s_waitcnt vmcnt(4) lgkmcnt(1)
	v_fma_f64 v[126:127], v[2:3], v[126:127], 0
	scratch_load_b128 v[2:5], off, off offset:80
	s_waitcnt vmcnt(4)
	v_fma_f64 v[110:111], v[110:111], v[128:129], v[126:127]
	s_waitcnt lgkmcnt(0)
	s_delay_alu instid0(VALU_DEP_1)
	v_fma_f64 v[126:127], v[112:113], v[130:131], v[110:111]
	scratch_load_b128 v[110:113], off, off offset:96
	s_waitcnt vmcnt(4)
	v_fma_f64 v[114:115], v[114:115], v[132:133], v[126:127]
	ds_load_2addr_b64 v[126:129], v134 offset0:57 offset1:58
	ds_load_2addr_b64 v[130:133], v134 offset0:59 offset1:60
	s_waitcnt lgkmcnt(1)
	v_fma_f64 v[126:127], v[116:117], v[126:127], v[114:115]
	scratch_load_b128 v[114:117], off, off offset:112
	s_waitcnt vmcnt(4)
	v_fma_f64 v[118:119], v[118:119], v[128:129], v[126:127]
	s_waitcnt lgkmcnt(0)
	s_delay_alu instid0(VALU_DEP_1)
	v_fma_f64 v[126:127], v[120:121], v[130:131], v[118:119]
	scratch_load_b128 v[118:121], off, off offset:128
	s_waitcnt vmcnt(4)
	v_fma_f64 v[122:123], v[122:123], v[132:133], v[126:127]
	ds_load_2addr_b64 v[126:129], v134 offset0:61 offset1:62
	ds_load_2addr_b64 v[130:133], v134 offset0:63 offset1:64
	s_waitcnt lgkmcnt(1)
	;; [unrolled: 13-line block ×10, first 2 shown]
	v_fma_f64 v[126:127], v[4:5], v[126:127], v[2:3]
	scratch_load_b128 v[2:5], off, off offset:400
	s_waitcnt vmcnt(4)
	v_fma_f64 v[110:111], v[110:111], v[128:129], v[126:127]
	s_waitcnt lgkmcnt(0)
	s_delay_alu instid0(VALU_DEP_1) | instskip(SKIP_1) | instid1(VALU_DEP_1)
	v_fma_f64 v[110:111], v[112:113], v[130:131], v[110:111]
	s_waitcnt vmcnt(3)
	v_fma_f64 v[114:115], v[114:115], v[132:133], v[110:111]
	ds_load_2addr_b64 v[110:113], v134 offset0:97 offset1:98
	ds_load_2addr_b64 v[126:129], v134 offset0:99 offset1:100
	s_waitcnt lgkmcnt(1)
	v_fma_f64 v[110:111], v[116:117], v[110:111], v[114:115]
	s_waitcnt vmcnt(2)
	s_delay_alu instid0(VALU_DEP_1) | instskip(SKIP_1) | instid1(VALU_DEP_1)
	v_fma_f64 v[110:111], v[118:119], v[112:113], v[110:111]
	s_waitcnt lgkmcnt(0)
	v_fma_f64 v[110:111], v[120:121], v[126:127], v[110:111]
	s_waitcnt vmcnt(1)
	s_delay_alu instid0(VALU_DEP_1)
	v_fma_f64 v[114:115], v[122:123], v[128:129], v[110:111]
	ds_load_2addr_b64 v[110:113], v134 offset0:101 offset1:102
	ds_load_b64 v[116:117], v134 offset:824
	s_waitcnt lgkmcnt(1)
	v_fma_f64 v[110:111], v[124:125], v[110:111], v[114:115]
	s_waitcnt vmcnt(0)
	s_delay_alu instid0(VALU_DEP_1) | instskip(SKIP_1) | instid1(VALU_DEP_1)
	v_fma_f64 v[110:111], v[2:3], v[112:113], v[110:111]
	s_waitcnt lgkmcnt(0)
	v_fma_f64 v[4:5], v[4:5], v[116:117], v[110:111]
	s_delay_alu instid0(VALU_DEP_1)
	v_add_f64 v[0:1], v[0:1], -v[4:5]
	scratch_store_b64 off, v[0:1], off
	s_cbranch_vccz .LBB51_425
; %bb.322:
	v_dual_mov_b32 v0, s12 :: v_dual_mov_b32 v1, s13
	s_mov_b32 s0, exec_lo
	flat_load_b32 v0, v[0:1] offset:200
	s_waitcnt vmcnt(0) lgkmcnt(0)
	v_cmpx_ne_u32_e32 51, v0
	s_cbranch_execz .LBB51_324
; %bb.323:
	v_lshl_add_u32 v4, v0, 3, 0
	scratch_load_b64 v[0:1], v4, off offset:-8
	s_waitcnt vmcnt(0)
	scratch_store_b64 off, v[0:1], off offset:400
	scratch_store_b64 v4, v[2:3], off offset:-8
.LBB51_324:
	s_or_b32 exec_lo, exec_lo, s0
	v_dual_mov_b32 v0, s12 :: v_dual_mov_b32 v1, s13
	s_mov_b32 s0, exec_lo
	flat_load_b32 v0, v[0:1] offset:196
	s_waitcnt vmcnt(0) lgkmcnt(0)
	v_cmpx_ne_u32_e32 50, v0
	s_cbranch_execz .LBB51_326
; %bb.325:
	v_lshl_add_u32 v4, v0, 3, 0
	scratch_load_b64 v[0:1], v4, off offset:-8
	scratch_load_b64 v[2:3], off, off offset:392
	s_waitcnt vmcnt(1)
	scratch_store_b64 off, v[0:1], off offset:392
	s_waitcnt vmcnt(0)
	scratch_store_b64 v4, v[2:3], off offset:-8
.LBB51_326:
	s_or_b32 exec_lo, exec_lo, s0
	v_dual_mov_b32 v0, s12 :: v_dual_mov_b32 v1, s13
	s_mov_b32 s0, exec_lo
	flat_load_b32 v0, v[0:1] offset:192
	s_waitcnt vmcnt(0) lgkmcnt(0)
	v_cmpx_ne_u32_e32 49, v0
	s_cbranch_execz .LBB51_328
; %bb.327:
	v_lshl_add_u32 v4, v0, 3, 0
	scratch_load_b64 v[0:1], v4, off offset:-8
	scratch_load_b64 v[2:3], off, off offset:384
	s_waitcnt vmcnt(1)
	scratch_store_b64 off, v[0:1], off offset:384
	s_waitcnt vmcnt(0)
	scratch_store_b64 v4, v[2:3], off offset:-8
.LBB51_328:
	;; [unrolled: 16-line block ×49, first 2 shown]
	s_or_b32 exec_lo, exec_lo, s0
	v_dual_mov_b32 v0, s12 :: v_dual_mov_b32 v1, s13
	s_mov_b32 s0, exec_lo
	flat_load_b32 v2, v[0:1]
	scratch_load_b64 v[0:1], off, off
	s_waitcnt vmcnt(1) lgkmcnt(0)
	v_cmpx_ne_u32_e32 1, v2
	s_cbranch_execz .LBB51_424
; %bb.423:
	v_lshl_add_u32 v4, v2, 3, 0
	scratch_load_b64 v[2:3], v4, off offset:-8
	s_waitcnt vmcnt(0)
	scratch_store_b64 off, v[2:3], off
	scratch_store_b64 v4, v[0:1], off offset:-8
	scratch_load_b64 v[0:1], off, off
.LBB51_424:
	s_or_b32 exec_lo, exec_lo, s0
.LBB51_425:
	s_clause 0x7
	scratch_load_b128 v[2:5], off, off offset:8
	scratch_load_b128 v[110:113], off, off offset:24
	;; [unrolled: 1-line block ×8, first 2 shown]
	s_waitcnt vmcnt(8)
	global_store_b64 v[40:41], v[0:1], off
	s_clause 0x3
	scratch_load_b128 v[138:141], off, off offset:136
	scratch_load_b128 v[142:145], off, off offset:168
	;; [unrolled: 1-line block ×4, first 2 shown]
	s_waitcnt vmcnt(11)
	s_clause 0x1
	global_store_b64 v[28:29], v[2:3], off
	global_store_b64 v[18:19], v[4:5], off
	s_waitcnt vmcnt(10)
	s_clause 0x1
	global_store_b64 v[12:13], v[110:111], off
	global_store_b64 v[20:21], v[112:113], off
	;; [unrolled: 4-line block ×8, first 2 shown]
	s_clause 0xd
	scratch_load_b128 v[0:3], off, off offset:152
	scratch_load_b128 v[18:21], off, off offset:200
	;; [unrolled: 1-line block ×13, first 2 shown]
	scratch_load_b64 v[4:5], off, off offset:408
	s_waitcnt vmcnt(17)
	s_clause 0x1
	global_store_b64 v[8:9], v[138:139], off
	global_store_b64 v[24:25], v[140:141], off
	s_waitcnt vmcnt(13)
	s_clause 0x5
	global_store_b64 v[26:27], v[0:1], off
	global_store_b64 v[46:47], v[2:3], off
	;; [unrolled: 1-line block ×6, first 2 shown]
	s_waitcnt vmcnt(12)
	s_clause 0x1
	global_store_b64 v[58:59], v[18:19], off
	global_store_b64 v[60:61], v[20:21], off
	s_waitcnt vmcnt(11)
	s_clause 0x1
	global_store_b64 v[62:63], v[12:13], off
	global_store_b64 v[64:65], v[14:15], off
	s_waitcnt vmcnt(10)
	s_clause 0x1
	global_store_b64 v[66:67], v[110:111], off
	global_store_b64 v[68:69], v[112:113], off
	s_waitcnt vmcnt(9)
	s_clause 0x1
	global_store_b64 v[70:71], v[114:115], off
	global_store_b64 v[72:73], v[116:117], off
	s_waitcnt vmcnt(8)
	s_clause 0x3
	global_store_b64 v[74:75], v[118:119], off
	global_store_b64 v[76:77], v[120:121], off
	global_store_b64 v[78:79], v[150:151], off
	global_store_b64 v[80:81], v[152:153], off
	s_waitcnt vmcnt(7)
	s_clause 0x1
	global_store_b64 v[82:83], v[122:123], off
	global_store_b64 v[84:85], v[124:125], off
	s_waitcnt vmcnt(6)
	s_clause 0x1
	;; [unrolled: 4-line block ×7, first 2 shown]
	global_store_b64 v[106:107], v[130:131], off
	global_store_b64 v[108:109], v[132:133], off
	s_waitcnt vmcnt(0)
	global_store_b64 v[6:7], v[4:5], off
	s_endpgm
	.section	.rodata,"a",@progbits
	.p2align	6, 0x0
	.amdhsa_kernel _ZN9rocsolver6v33100L18getri_kernel_smallILi52EdPdEEvT1_iilPiilS4_bb
		.amdhsa_group_segment_fixed_size 840
		.amdhsa_private_segment_fixed_size 432
		.amdhsa_kernarg_size 60
		.amdhsa_user_sgpr_count 15
		.amdhsa_user_sgpr_dispatch_ptr 0
		.amdhsa_user_sgpr_queue_ptr 0
		.amdhsa_user_sgpr_kernarg_segment_ptr 1
		.amdhsa_user_sgpr_dispatch_id 0
		.amdhsa_user_sgpr_private_segment_size 0
		.amdhsa_wavefront_size32 1
		.amdhsa_uses_dynamic_stack 0
		.amdhsa_enable_private_segment 1
		.amdhsa_system_sgpr_workgroup_id_x 1
		.amdhsa_system_sgpr_workgroup_id_y 0
		.amdhsa_system_sgpr_workgroup_id_z 0
		.amdhsa_system_sgpr_workgroup_info 0
		.amdhsa_system_vgpr_workitem_id 0
		.amdhsa_next_free_vgpr 154
		.amdhsa_next_free_sgpr 18
		.amdhsa_reserve_vcc 1
		.amdhsa_float_round_mode_32 0
		.amdhsa_float_round_mode_16_64 0
		.amdhsa_float_denorm_mode_32 3
		.amdhsa_float_denorm_mode_16_64 3
		.amdhsa_dx10_clamp 1
		.amdhsa_ieee_mode 1
		.amdhsa_fp16_overflow 0
		.amdhsa_workgroup_processor_mode 1
		.amdhsa_memory_ordered 1
		.amdhsa_forward_progress 0
		.amdhsa_shared_vgpr_count 0
		.amdhsa_exception_fp_ieee_invalid_op 0
		.amdhsa_exception_fp_denorm_src 0
		.amdhsa_exception_fp_ieee_div_zero 0
		.amdhsa_exception_fp_ieee_overflow 0
		.amdhsa_exception_fp_ieee_underflow 0
		.amdhsa_exception_fp_ieee_inexact 0
		.amdhsa_exception_int_div_zero 0
	.end_amdhsa_kernel
	.section	.text._ZN9rocsolver6v33100L18getri_kernel_smallILi52EdPdEEvT1_iilPiilS4_bb,"axG",@progbits,_ZN9rocsolver6v33100L18getri_kernel_smallILi52EdPdEEvT1_iilPiilS4_bb,comdat
.Lfunc_end51:
	.size	_ZN9rocsolver6v33100L18getri_kernel_smallILi52EdPdEEvT1_iilPiilS4_bb, .Lfunc_end51-_ZN9rocsolver6v33100L18getri_kernel_smallILi52EdPdEEvT1_iilPiilS4_bb
                                        ; -- End function
	.section	.AMDGPU.csdata,"",@progbits
; Kernel info:
; codeLenInByte = 51240
; NumSgprs: 20
; NumVgprs: 154
; ScratchSize: 432
; MemoryBound: 0
; FloatMode: 240
; IeeeMode: 1
; LDSByteSize: 840 bytes/workgroup (compile time only)
; SGPRBlocks: 2
; VGPRBlocks: 19
; NumSGPRsForWavesPerEU: 20
; NumVGPRsForWavesPerEU: 154
; Occupancy: 9
; WaveLimiterHint : 1
; COMPUTE_PGM_RSRC2:SCRATCH_EN: 1
; COMPUTE_PGM_RSRC2:USER_SGPR: 15
; COMPUTE_PGM_RSRC2:TRAP_HANDLER: 0
; COMPUTE_PGM_RSRC2:TGID_X_EN: 1
; COMPUTE_PGM_RSRC2:TGID_Y_EN: 0
; COMPUTE_PGM_RSRC2:TGID_Z_EN: 0
; COMPUTE_PGM_RSRC2:TIDIG_COMP_CNT: 0
	.section	.text._ZN9rocsolver6v33100L18getri_kernel_smallILi53EdPdEEvT1_iilPiilS4_bb,"axG",@progbits,_ZN9rocsolver6v33100L18getri_kernel_smallILi53EdPdEEvT1_iilPiilS4_bb,comdat
	.globl	_ZN9rocsolver6v33100L18getri_kernel_smallILi53EdPdEEvT1_iilPiilS4_bb ; -- Begin function _ZN9rocsolver6v33100L18getri_kernel_smallILi53EdPdEEvT1_iilPiilS4_bb
	.p2align	8
	.type	_ZN9rocsolver6v33100L18getri_kernel_smallILi53EdPdEEvT1_iilPiilS4_bb,@function
_ZN9rocsolver6v33100L18getri_kernel_smallILi53EdPdEEvT1_iilPiilS4_bb: ; @_ZN9rocsolver6v33100L18getri_kernel_smallILi53EdPdEEvT1_iilPiilS4_bb
; %bb.0:
	s_mov_b32 s2, exec_lo
	v_cmpx_gt_u32_e32 53, v0
	s_cbranch_execz .LBB52_222
; %bb.1:
	s_clause 0x2
	s_load_b32 s17, s[0:1], 0x38
	s_load_b128 s[8:11], s[0:1], 0x10
	s_load_b128 s[4:7], s[0:1], 0x28
	s_mov_b32 s14, s15
                                        ; implicit-def: $sgpr12_sgpr13
	s_waitcnt lgkmcnt(0)
	s_bitcmp1_b32 s17, 8
	s_cselect_b32 s16, -1, 0
	s_bfe_u32 s2, s17, 0x10008
	s_ashr_i32 s15, s15, 31
	s_cmp_eq_u32 s2, 0
	s_cbranch_scc1 .LBB52_3
; %bb.2:
	s_load_b32 s2, s[0:1], 0x20
	s_mul_i32 s3, s14, s5
	s_mul_hi_u32 s5, s14, s4
	s_mul_i32 s12, s15, s4
	s_add_i32 s3, s5, s3
	s_mul_i32 s4, s14, s4
	s_add_i32 s5, s3, s12
	s_delay_alu instid0(SALU_CYCLE_1)
	s_lshl_b64 s[4:5], s[4:5], 2
	s_waitcnt lgkmcnt(0)
	s_ashr_i32 s3, s2, 31
	s_add_u32 s4, s10, s4
	s_addc_u32 s5, s11, s5
	s_lshl_b64 s[2:3], s[2:3], 2
	s_delay_alu instid0(SALU_CYCLE_1)
	s_add_u32 s12, s4, s2
	s_addc_u32 s13, s5, s3
.LBB52_3:
	s_load_b128 s[0:3], s[0:1], 0x0
	s_mul_i32 s4, s14, s9
	s_mul_hi_u32 s5, s14, s8
	s_mul_i32 s9, s15, s8
	s_add_i32 s5, s5, s4
	s_mul_i32 s4, s14, s8
	s_add_i32 s5, s5, s9
	v_lshlrev_b32_e32 v113, 3, v0
	s_lshl_b64 s[4:5], s[4:5], 3
	s_waitcnt lgkmcnt(0)
	v_add3_u32 v3, s3, s3, v0
	s_ashr_i32 s9, s2, 31
	s_mov_b32 s8, s2
	s_add_u32 s2, s0, s4
	s_addc_u32 s5, s1, s5
	v_add_nc_u32_e32 v5, s3, v3
	s_lshl_b64 s[0:1], s[8:9], 3
	v_ashrrev_i32_e32 v4, 31, v3
	s_add_u32 s0, s2, s0
	s_addc_u32 s1, s5, s1
	v_add_nc_u32_e32 v7, s3, v5
	v_add_co_u32 v13, s2, s0, v113
	v_ashrrev_i32_e32 v6, 31, v5
	s_mov_b32 s4, s3
	s_ashr_i32 s5, s3, 31
	v_add_co_ci_u32_e64 v14, null, s1, 0, s2
	v_lshlrev_b64 v[9:10], 3, v[3:4]
	s_lshl_b64 s[4:5], s[4:5], 3
	v_add_nc_u32_e32 v11, s3, v7
	v_add_co_u32 v15, vcc_lo, v13, s4
	v_lshlrev_b64 v[5:6], 3, v[5:6]
	v_ashrrev_i32_e32 v8, 31, v7
	v_add_co_ci_u32_e32 v16, vcc_lo, s5, v14, vcc_lo
	v_add_co_u32 v17, vcc_lo, s0, v9
	v_ashrrev_i32_e32 v12, 31, v11
	v_add_co_ci_u32_e32 v18, vcc_lo, s1, v10, vcc_lo
	v_lshlrev_b64 v[7:8], 3, v[7:8]
	v_add_co_u32 v19, vcc_lo, s0, v5
	s_clause 0x1
	global_load_b64 v[1:2], v113, s[0:1]
	global_load_b64 v[3:4], v[15:16], off
	v_add_co_ci_u32_e32 v20, vcc_lo, s1, v6, vcc_lo
	v_lshlrev_b64 v[5:6], 3, v[11:12]
	v_add_co_u32 v21, vcc_lo, s0, v7
	v_add_co_ci_u32_e32 v22, vcc_lo, s1, v8, vcc_lo
	v_add_nc_u32_e32 v25, s3, v11
	s_delay_alu instid0(VALU_DEP_4)
	v_add_co_u32 v23, vcc_lo, s0, v5
	v_add_co_ci_u32_e32 v24, vcc_lo, s1, v6, vcc_lo
	s_clause 0x3
	global_load_b64 v[5:6], v[17:18], off
	global_load_b64 v[7:8], v[19:20], off
	global_load_b64 v[9:10], v[21:22], off
	global_load_b64 v[11:12], v[23:24], off
	v_add_nc_u32_e32 v27, s3, v25
	v_ashrrev_i32_e32 v26, 31, v25
	s_bitcmp0_b32 s17, 0
	s_delay_alu instid0(VALU_DEP_2) | instskip(SKIP_1) | instid1(VALU_DEP_3)
	v_add_nc_u32_e32 v29, s3, v27
	v_ashrrev_i32_e32 v28, 31, v27
	v_lshlrev_b64 v[25:26], 3, v[25:26]
	s_delay_alu instid0(VALU_DEP_3) | instskip(SKIP_1) | instid1(VALU_DEP_4)
	v_add_nc_u32_e32 v31, s3, v29
	v_ashrrev_i32_e32 v30, 31, v29
	v_lshlrev_b64 v[27:28], 3, v[27:28]
	s_delay_alu instid0(VALU_DEP_4) | instskip(NEXT) | instid1(VALU_DEP_4)
	v_add_co_u32 v25, vcc_lo, s0, v25
	v_add_nc_u32_e32 v33, s3, v31
	v_ashrrev_i32_e32 v32, 31, v31
	v_lshlrev_b64 v[29:30], 3, v[29:30]
	v_add_co_ci_u32_e32 v26, vcc_lo, s1, v26, vcc_lo
	s_delay_alu instid0(VALU_DEP_4) | instskip(SKIP_3) | instid1(VALU_DEP_4)
	v_add_nc_u32_e32 v35, s3, v33
	v_ashrrev_i32_e32 v34, 31, v33
	v_add_co_u32 v27, vcc_lo, s0, v27
	v_lshlrev_b64 v[31:32], 3, v[31:32]
	v_add_nc_u32_e32 v37, s3, v35
	v_add_co_ci_u32_e32 v28, vcc_lo, s1, v28, vcc_lo
	v_add_co_u32 v29, vcc_lo, s0, v29
	v_lshlrev_b64 v[33:34], 3, v[33:34]
	v_ashrrev_i32_e32 v36, 31, v35
	v_add_co_ci_u32_e32 v30, vcc_lo, s1, v30, vcc_lo
	v_add_co_u32 v31, vcc_lo, s0, v31
	v_ashrrev_i32_e32 v38, 31, v37
	v_add_nc_u32_e32 v39, s3, v37
	v_add_co_ci_u32_e32 v32, vcc_lo, s1, v32, vcc_lo
	v_lshlrev_b64 v[35:36], 3, v[35:36]
	v_add_co_u32 v75, vcc_lo, s0, v33
	v_add_co_ci_u32_e32 v76, vcc_lo, s1, v34, vcc_lo
	v_lshlrev_b64 v[33:34], 3, v[37:38]
	v_ashrrev_i32_e32 v40, 31, v39
	v_add_nc_u32_e32 v37, s3, v39
	v_add_co_u32 v69, vcc_lo, s0, v35
	v_add_co_ci_u32_e32 v70, vcc_lo, s1, v36, vcc_lo
	s_delay_alu instid0(VALU_DEP_4) | instskip(NEXT) | instid1(VALU_DEP_4)
	v_lshlrev_b64 v[35:36], 3, v[39:40]
	v_ashrrev_i32_e32 v38, 31, v37
	v_add_nc_u32_e32 v39, s3, v37
	v_add_co_u32 v65, vcc_lo, s0, v33
	v_add_co_ci_u32_e32 v66, vcc_lo, s1, v34, vcc_lo
	s_delay_alu instid0(VALU_DEP_4) | instskip(NEXT) | instid1(VALU_DEP_4)
	;; [unrolled: 6-line block ×4, first 2 shown]
	v_lshlrev_b64 v[33:34], 3, v[37:38]
	v_add_nc_u32_e32 v37, s3, v39
	v_ashrrev_i32_e32 v40, 31, v39
	v_add_co_u32 v51, vcc_lo, s0, v35
	v_add_co_ci_u32_e32 v52, vcc_lo, s1, v36, vcc_lo
	s_delay_alu instid0(VALU_DEP_4) | instskip(NEXT) | instid1(VALU_DEP_4)
	v_add_nc_u32_e32 v41, s3, v37
	v_lshlrev_b64 v[35:36], 3, v[39:40]
	v_add_co_u32 v45, vcc_lo, s0, v33
	v_ashrrev_i32_e32 v38, 31, v37
	s_delay_alu instid0(VALU_DEP_4)
	v_ashrrev_i32_e32 v42, 31, v41
	v_add_nc_u32_e32 v43, s3, v41
	v_add_co_ci_u32_e32 v46, vcc_lo, s1, v34, vcc_lo
	v_add_co_u32 v39, vcc_lo, s0, v35
	v_add_co_ci_u32_e32 v40, vcc_lo, s1, v36, vcc_lo
	v_lshlrev_b64 v[35:36], 3, v[41:42]
	v_add_nc_u32_e32 v41, s3, v43
	v_lshlrev_b64 v[33:34], 3, v[37:38]
	v_ashrrev_i32_e32 v44, 31, v43
	s_clause 0x6
	global_load_b64 v[114:115], v[25:26], off
	global_load_b64 v[116:117], v[27:28], off
	;; [unrolled: 1-line block ×7, first 2 shown]
	v_add_nc_u32_e32 v47, s3, v41
	v_ashrrev_i32_e32 v42, 31, v41
	v_add_co_u32 v37, vcc_lo, s0, v33
	v_lshlrev_b64 v[43:44], 3, v[43:44]
	v_add_co_ci_u32_e32 v38, vcc_lo, s1, v34, vcc_lo
	v_add_co_u32 v33, vcc_lo, s0, v35
	v_ashrrev_i32_e32 v48, 31, v47
	v_add_nc_u32_e32 v49, s3, v47
	v_add_co_ci_u32_e32 v34, vcc_lo, s1, v36, vcc_lo
	v_add_co_u32 v35, vcc_lo, s0, v43
	v_add_co_ci_u32_e32 v36, vcc_lo, s1, v44, vcc_lo
	v_lshlrev_b64 v[43:44], 3, v[47:48]
	v_add_nc_u32_e32 v47, s3, v49
	v_lshlrev_b64 v[41:42], 3, v[41:42]
	v_ashrrev_i32_e32 v50, 31, v49
	s_clause 0x6
	global_load_b64 v[128:129], v[59:60], off
	global_load_b64 v[130:131], v[57:58], off
	;; [unrolled: 1-line block ×7, first 2 shown]
	v_add_nc_u32_e32 v53, s3, v47
	v_ashrrev_i32_e32 v48, 31, v47
	v_add_co_u32 v41, vcc_lo, s0, v41
	v_lshlrev_b64 v[49:50], 3, v[49:50]
	s_delay_alu instid0(VALU_DEP_4)
	v_add_nc_u32_e32 v61, s3, v53
	v_add_co_ci_u32_e32 v42, vcc_lo, s1, v42, vcc_lo
	v_add_co_u32 v43, vcc_lo, s0, v43
	v_lshlrev_b64 v[55:56], 3, v[47:48]
	v_add_co_ci_u32_e32 v44, vcc_lo, s1, v44, vcc_lo
	v_add_co_u32 v47, vcc_lo, s0, v49
	v_ashrrev_i32_e32 v62, 31, v61
	v_add_nc_u32_e32 v63, s3, v61
	v_add_co_ci_u32_e32 v48, vcc_lo, s1, v50, vcc_lo
	v_ashrrev_i32_e32 v54, 31, v53
	v_add_co_u32 v49, vcc_lo, s0, v55
	v_add_co_ci_u32_e32 v50, vcc_lo, s1, v56, vcc_lo
	v_lshlrev_b64 v[55:56], 3, v[61:62]
	v_add_nc_u32_e32 v61, s3, v63
	v_lshlrev_b64 v[53:54], 3, v[53:54]
	v_ashrrev_i32_e32 v64, 31, v63
	s_delay_alu instid0(VALU_DEP_3) | instskip(SKIP_1) | instid1(VALU_DEP_4)
	v_add_nc_u32_e32 v67, s3, v61
	v_ashrrev_i32_e32 v62, 31, v61
	v_add_co_u32 v53, vcc_lo, s0, v53
	s_delay_alu instid0(VALU_DEP_4) | instskip(NEXT) | instid1(VALU_DEP_4)
	v_lshlrev_b64 v[63:64], 3, v[63:64]
	v_add_nc_u32_e32 v73, s3, v67
	v_add_co_ci_u32_e32 v54, vcc_lo, s1, v54, vcc_lo
	v_add_co_u32 v55, vcc_lo, s0, v55
	v_lshlrev_b64 v[71:72], 3, v[61:62]
	v_add_co_ci_u32_e32 v56, vcc_lo, s1, v56, vcc_lo
	v_add_co_u32 v61, vcc_lo, s0, v63
	v_ashrrev_i32_e32 v74, 31, v73
	v_add_nc_u32_e32 v77, s3, v73
	v_add_co_ci_u32_e32 v62, vcc_lo, s1, v64, vcc_lo
	v_ashrrev_i32_e32 v68, 31, v67
	v_add_co_u32 v63, vcc_lo, s0, v71
	v_add_co_ci_u32_e32 v64, vcc_lo, s1, v72, vcc_lo
	v_lshlrev_b64 v[71:72], 3, v[73:74]
	v_add_nc_u32_e32 v73, s3, v77
	v_lshlrev_b64 v[67:68], 3, v[67:68]
	v_ashrrev_i32_e32 v78, 31, v77
	s_delay_alu instid0(VALU_DEP_3) | instskip(SKIP_1) | instid1(VALU_DEP_4)
	v_add_nc_u32_e32 v79, s3, v73
	v_ashrrev_i32_e32 v74, 31, v73
	v_add_co_u32 v67, vcc_lo, s0, v67
	s_delay_alu instid0(VALU_DEP_4) | instskip(NEXT) | instid1(VALU_DEP_4)
	v_lshlrev_b64 v[77:78], 3, v[77:78]
	;; [unrolled: 22-line block ×4, first 2 shown]
	v_add_nc_u32_e32 v99, s3, v95
	v_add_co_ci_u32_e32 v88, vcc_lo, s1, v88, vcc_lo
	v_add_co_u32 v89, vcc_lo, s0, v89
	v_lshlrev_b64 v[97:98], 3, v[91:92]
	v_add_co_ci_u32_e32 v90, vcc_lo, s1, v90, vcc_lo
	v_add_co_u32 v91, vcc_lo, s0, v93
	v_ashrrev_i32_e32 v100, 31, v99
	v_add_nc_u32_e32 v101, s3, v99
	v_add_co_ci_u32_e32 v92, vcc_lo, s1, v94, vcc_lo
	v_add_co_u32 v93, vcc_lo, s0, v97
	v_add_co_ci_u32_e32 v94, vcc_lo, s1, v98, vcc_lo
	v_lshlrev_b64 v[97:98], 3, v[99:100]
	v_add_nc_u32_e32 v99, s3, v101
	v_ashrrev_i32_e32 v96, 31, v95
	v_ashrrev_i32_e32 v102, 31, v101
	s_delay_alu instid0(VALU_DEP_3) | instskip(NEXT) | instid1(VALU_DEP_3)
	v_add_nc_u32_e32 v103, s3, v99
	v_lshlrev_b64 v[95:96], 3, v[95:96]
	v_ashrrev_i32_e32 v100, 31, v99
	s_delay_alu instid0(VALU_DEP_4) | instskip(NEXT) | instid1(VALU_DEP_4)
	v_lshlrev_b64 v[101:102], 3, v[101:102]
	v_add_nc_u32_e32 v107, s3, v103
	v_ashrrev_i32_e32 v104, 31, v103
	v_add_co_u32 v95, vcc_lo, s0, v95
	v_add_co_ci_u32_e32 v96, vcc_lo, s1, v96, vcc_lo
	s_delay_alu instid0(VALU_DEP_4) | instskip(SKIP_3) | instid1(VALU_DEP_4)
	v_add_nc_u32_e32 v109, s3, v107
	v_add_co_u32 v97, vcc_lo, s0, v97
	v_lshlrev_b64 v[105:106], 3, v[99:100]
	v_add_co_ci_u32_e32 v98, vcc_lo, s1, v98, vcc_lo
	v_add_nc_u32_e32 v111, s3, v109
	v_add_co_u32 v99, vcc_lo, s0, v101
	v_ashrrev_i32_e32 v108, 31, v107
	v_add_co_ci_u32_e32 v100, vcc_lo, s1, v102, vcc_lo
	v_lshlrev_b64 v[103:104], 3, v[103:104]
	v_add_co_u32 v101, vcc_lo, s0, v105
	v_ashrrev_i32_e32 v110, 31, v109
	v_add_co_ci_u32_e32 v102, vcc_lo, s1, v106, vcc_lo
	v_lshlrev_b64 v[105:106], 3, v[107:108]
	v_ashrrev_i32_e32 v112, 31, v111
	v_add_co_u32 v103, vcc_lo, s0, v103
	v_lshlrev_b64 v[107:108], 3, v[109:110]
	v_add_co_ci_u32_e32 v104, vcc_lo, s1, v104, vcc_lo
	s_waitcnt vmcnt(18)
	scratch_store_b128 off, v[1:4], off
	v_add_nc_u32_e32 v1, s3, v111
	v_add_co_u32 v105, vcc_lo, s0, v105
	v_lshlrev_b64 v[3:4], 3, v[111:112]
	v_add_co_ci_u32_e32 v106, vcc_lo, s1, v106, vcc_lo
	s_delay_alu instid0(VALU_DEP_4)
	v_add_nc_u32_e32 v109, s3, v1
	v_ashrrev_i32_e32 v2, 31, v1
	s_waitcnt vmcnt(16)
	scratch_store_b128 off, v[5:8], off offset:16
	s_waitcnt vmcnt(14)
	scratch_store_b128 off, v[9:12], off offset:32
	v_add_co_u32 v6, vcc_lo, s0, v107
	v_ashrrev_i32_e32 v110, 31, v109
	v_add_nc_u32_e32 v10, s3, v109
	v_add_co_ci_u32_e32 v7, vcc_lo, s1, v108, vcc_lo
	v_add_co_u32 v8, vcc_lo, s0, v3
	v_lshlrev_b64 v[1:2], 3, v[1:2]
	v_add_co_ci_u32_e32 v9, vcc_lo, s1, v4, vcc_lo
	v_lshlrev_b64 v[3:4], 3, v[109:110]
	v_add_nc_u32_e32 v109, s3, v10
	v_ashrrev_i32_e32 v11, 31, v10
	v_add_co_u32 v107, vcc_lo, s0, v1
	v_add_co_ci_u32_e32 v108, vcc_lo, s1, v2, vcc_lo
	s_delay_alu instid0(VALU_DEP_4) | instskip(NEXT) | instid1(VALU_DEP_4)
	v_ashrrev_i32_e32 v110, 31, v109
	v_lshlrev_b64 v[1:2], 3, v[10:11]
	v_add_co_u32 v111, vcc_lo, s0, v3
	v_add_co_ci_u32_e32 v112, vcc_lo, s1, v4, vcc_lo
	s_delay_alu instid0(VALU_DEP_4) | instskip(NEXT) | instid1(VALU_DEP_4)
	v_lshlrev_b64 v[3:4], 3, v[109:110]
	v_add_co_u32 v10, vcc_lo, s0, v1
	v_add_co_ci_u32_e32 v11, vcc_lo, s1, v2, vcc_lo
	s_delay_alu instid0(VALU_DEP_3) | instskip(NEXT) | instid1(VALU_DEP_4)
	v_add_co_u32 v109, vcc_lo, s0, v3
	v_add_co_ci_u32_e32 v110, vcc_lo, s1, v4, vcc_lo
	s_clause 0x1
	global_load_b64 v[1:2], v[35:36], off
	global_load_b64 v[3:4], v[41:42], off
	s_waitcnt vmcnt(14)
	scratch_store_b128 off, v[114:117], off offset:48
	s_waitcnt vmcnt(12)
	scratch_store_b128 off, v[118:121], off offset:64
	s_clause 0x2
	global_load_b64 v[114:115], v[43:44], off
	global_load_b64 v[116:117], v[47:48], off
	;; [unrolled: 1-line block ×3, first 2 shown]
	s_waitcnt vmcnt(13)
	scratch_store_b128 off, v[122:125], off offset:80
	global_load_b64 v[120:121], v[53:54], off
	s_mov_b32 s1, -1
	s_waitcnt vmcnt(12)
	scratch_store_b128 off, v[126:129], off offset:96
	s_clause 0x3
	global_load_b64 v[122:123], v[55:56], off
	global_load_b64 v[124:125], v[61:62], off
	;; [unrolled: 1-line block ×4, first 2 shown]
	s_waitcnt vmcnt(14)
	scratch_store_b128 off, v[130:133], off offset:112
	s_waitcnt vmcnt(12)
	scratch_store_b128 off, v[134:137], off offset:128
	s_clause 0x3
	global_load_b64 v[130:131], v[71:72], off
	global_load_b64 v[132:133], v[73:74], off
	;; [unrolled: 1-line block ×4, first 2 shown]
	s_waitcnt vmcnt(14)
	scratch_store_b128 off, v[138:141], off offset:144
	s_clause 0x1
	global_load_b64 v[138:139], v[81:82], off
	global_load_b64 v[140:141], v[83:84], off
	s_waitcnt vmcnt(14)
	scratch_store_b128 off, v[1:4], off offset:160
	s_clause 0x1
	global_load_b64 v[1:2], v[85:86], off
	global_load_b64 v[3:4], v[87:88], off
	s_waitcnt vmcnt(14)
	scratch_store_b128 off, v[114:117], off offset:176
	s_waitcnt vmcnt(12)
	scratch_store_b128 off, v[118:121], off offset:192
	s_clause 0x2
	global_load_b64 v[114:115], v[89:90], off
	global_load_b64 v[116:117], v[91:92], off
	global_load_b64 v[118:119], v[93:94], off
	s_waitcnt vmcnt(13)
	scratch_store_b128 off, v[122:125], off offset:208
	s_waitcnt vmcnt(11)
	scratch_store_b128 off, v[126:129], off offset:224
	s_clause 0x3
	global_load_b64 v[120:121], v[95:96], off
	global_load_b64 v[122:123], v[97:98], off
	;; [unrolled: 1-line block ×4, first 2 shown]
	s_waitcnt vmcnt(13)
	scratch_store_b128 off, v[130:133], off offset:240
	s_waitcnt vmcnt(11)
	scratch_store_b128 off, v[134:137], off offset:256
	s_clause 0x3
	global_load_b64 v[128:129], v[103:104], off
	global_load_b64 v[130:131], v[105:106], off
	global_load_b64 v[132:133], v[6:7], off
	global_load_b64 v[134:135], v[8:9], off
	s_waitcnt vmcnt(13)
	scratch_store_b128 off, v[138:141], off offset:272
	s_clause 0x2
	global_load_b64 v[136:137], v[107:108], off
	global_load_b64 v[138:139], v[111:112], off
	;; [unrolled: 1-line block ×3, first 2 shown]
	s_waitcnt vmcnt(14)
	scratch_store_b128 off, v[1:4], off offset:288
	global_load_b64 v[1:2], v[109:110], off
	s_waitcnt vmcnt(13)
	scratch_store_b128 off, v[114:117], off offset:304
	s_waitcnt vmcnt(11)
	scratch_store_b128 off, v[118:121], off offset:320
	;; [unrolled: 2-line block ×7, first 2 shown]
	s_waitcnt vmcnt(0)
	scratch_store_b64 off, v[1:2], off offset:416
	s_cbranch_scc1 .LBB52_220
; %bb.4:
	v_cmp_eq_u32_e64 s0, 0, v0
	s_delay_alu instid0(VALU_DEP_1)
	s_and_saveexec_b32 s1, s0
	s_cbranch_execz .LBB52_6
; %bb.5:
	v_mov_b32_e32 v1, 0
	ds_store_b32 v1, v1 offset:424
.LBB52_6:
	s_or_b32 exec_lo, exec_lo, s1
	s_waitcnt lgkmcnt(0)
	s_waitcnt_vscnt null, 0x0
	s_barrier
	buffer_gl0_inv
	scratch_load_b64 v[1:2], v113, off
	s_mov_b32 s2, exec_lo
	s_waitcnt vmcnt(0)
	v_cmpx_eq_f64_e32 0, v[1:2]
	s_cbranch_execz .LBB52_10
; %bb.7:
	v_mov_b32_e32 v1, 0
	s_mov_b32 s3, 0
	ds_load_b32 v2, v1 offset:424
	s_waitcnt lgkmcnt(0)
	v_readfirstlane_b32 s1, v2
	v_add_nc_u32_e32 v2, 1, v0
	s_delay_alu instid0(VALU_DEP_2) | instskip(NEXT) | instid1(VALU_DEP_1)
	s_cmp_eq_u32 s1, 0
	v_cmp_gt_i32_e32 vcc_lo, s1, v2
	s_cselect_b32 s4, -1, 0
	s_delay_alu instid0(SALU_CYCLE_1) | instskip(NEXT) | instid1(SALU_CYCLE_1)
	s_or_b32 s4, s4, vcc_lo
	s_and_b32 exec_lo, exec_lo, s4
	s_cbranch_execz .LBB52_10
; %bb.8:
	v_mov_b32_e32 v3, s1
.LBB52_9:                               ; =>This Inner Loop Header: Depth=1
	ds_cmpstore_rtn_b32 v3, v1, v2, v3 offset:424
	s_waitcnt lgkmcnt(0)
	v_cmp_ne_u32_e32 vcc_lo, 0, v3
	v_cmp_le_i32_e64 s1, v3, v2
	s_delay_alu instid0(VALU_DEP_1) | instskip(NEXT) | instid1(SALU_CYCLE_1)
	s_and_b32 s1, vcc_lo, s1
	s_and_b32 s1, exec_lo, s1
	s_delay_alu instid0(SALU_CYCLE_1) | instskip(NEXT) | instid1(SALU_CYCLE_1)
	s_or_b32 s3, s1, s3
	s_and_not1_b32 exec_lo, exec_lo, s3
	s_cbranch_execnz .LBB52_9
.LBB52_10:
	s_or_b32 exec_lo, exec_lo, s2
	v_mov_b32_e32 v1, 0
	s_barrier
	buffer_gl0_inv
	ds_load_b32 v2, v1 offset:424
	s_and_saveexec_b32 s1, s0
	s_cbranch_execz .LBB52_12
; %bb.11:
	s_lshl_b64 s[2:3], s[14:15], 2
	s_delay_alu instid0(SALU_CYCLE_1)
	s_add_u32 s2, s6, s2
	s_addc_u32 s3, s7, s3
	s_waitcnt lgkmcnt(0)
	global_store_b32 v1, v2, s[2:3]
.LBB52_12:
	s_or_b32 exec_lo, exec_lo, s1
	s_waitcnt lgkmcnt(0)
	v_cmp_ne_u32_e32 vcc_lo, 0, v2
	s_mov_b32 s1, 0
	s_cbranch_vccnz .LBB52_220
; %bb.13:
	v_add_nc_u32_e32 v3, 0, v113
	scratch_load_b64 v[1:2], v3, off
	s_waitcnt vmcnt(0)
	v_div_scale_f64 v[4:5], null, v[1:2], v[1:2], 1.0
	v_div_scale_f64 v[118:119], vcc_lo, 1.0, v[1:2], 1.0
	s_delay_alu instid0(VALU_DEP_2) | instskip(SKIP_2) | instid1(VALU_DEP_1)
	v_rcp_f64_e32 v[114:115], v[4:5]
	s_waitcnt_depctr 0xfff
	v_fma_f64 v[116:117], -v[4:5], v[114:115], 1.0
	v_fma_f64 v[114:115], v[114:115], v[116:117], v[114:115]
	s_delay_alu instid0(VALU_DEP_1) | instskip(NEXT) | instid1(VALU_DEP_1)
	v_fma_f64 v[116:117], -v[4:5], v[114:115], 1.0
	v_fma_f64 v[114:115], v[114:115], v[116:117], v[114:115]
	s_delay_alu instid0(VALU_DEP_1) | instskip(NEXT) | instid1(VALU_DEP_1)
	v_mul_f64 v[116:117], v[118:119], v[114:115]
	v_fma_f64 v[4:5], -v[4:5], v[116:117], v[118:119]
	s_delay_alu instid0(VALU_DEP_1) | instskip(NEXT) | instid1(VALU_DEP_1)
	v_div_fmas_f64 v[4:5], v[4:5], v[114:115], v[116:117]
	v_div_fixup_f64 v[1:2], v[4:5], v[1:2], 1.0
	v_add_nc_u32_e32 v4, 0x1b0, v113
	scratch_store_b64 v3, v[1:2], off
	scratch_load_b64 v[114:115], off, off offset:8
	v_xor_b32_e32 v2, 0x80000000, v2
	s_waitcnt vmcnt(0)
	ds_store_2addr_b64 v113, v[1:2], v[114:115] offset1:54
	s_waitcnt lgkmcnt(0)
	s_waitcnt_vscnt null, 0x0
	s_barrier
	buffer_gl0_inv
	s_and_saveexec_b32 s1, s0
	s_cbranch_execz .LBB52_15
; %bb.14:
	scratch_load_b64 v[1:2], v3, off
	ds_load_b64 v[114:115], v4
	v_mov_b32_e32 v5, 0
	s_waitcnt vmcnt(0) lgkmcnt(0)
	v_fma_f64 v[1:2], v[1:2], v[114:115], 0
	ds_load_b64 v[114:115], v5 offset:8
	s_waitcnt lgkmcnt(0)
	v_mul_f64 v[1:2], v[1:2], v[114:115]
	scratch_store_b64 off, v[1:2], off offset:8
.LBB52_15:
	s_or_b32 exec_lo, exec_lo, s1
	s_waitcnt_vscnt null, 0x0
	s_barrier
	buffer_gl0_inv
	scratch_load_b64 v[1:2], off, off offset:16
	s_mov_b32 s1, exec_lo
	s_waitcnt vmcnt(0)
	ds_store_b64 v4, v[1:2]
	s_waitcnt lgkmcnt(0)
	s_barrier
	buffer_gl0_inv
	v_cmpx_gt_u32_e32 2, v0
	s_cbranch_execz .LBB52_19
; %bb.16:
	scratch_load_b64 v[1:2], v3, off
	ds_load_b64 v[114:115], v4
	s_waitcnt vmcnt(0) lgkmcnt(0)
	v_fma_f64 v[1:2], v[1:2], v[114:115], 0
	s_and_saveexec_b32 s2, s0
	s_cbranch_execz .LBB52_18
; %bb.17:
	scratch_load_b64 v[114:115], off, off offset:8
	v_mov_b32_e32 v5, 0
	ds_load_b64 v[116:117], v5 offset:440
	s_waitcnt vmcnt(0) lgkmcnt(0)
	v_fma_f64 v[1:2], v[114:115], v[116:117], v[1:2]
.LBB52_18:
	s_or_b32 exec_lo, exec_lo, s2
	v_mov_b32_e32 v5, 0
	ds_load_b64 v[114:115], v5 offset:16
	s_waitcnt lgkmcnt(0)
	v_mul_f64 v[1:2], v[1:2], v[114:115]
	scratch_store_b64 off, v[1:2], off offset:16
.LBB52_19:
	s_or_b32 exec_lo, exec_lo, s1
	s_waitcnt_vscnt null, 0x0
	s_barrier
	buffer_gl0_inv
	scratch_load_b64 v[1:2], off, off offset:24
	v_add_nc_u32_e32 v5, -1, v0
	s_mov_b32 s0, exec_lo
	s_waitcnt vmcnt(0)
	ds_store_b64 v4, v[1:2]
	s_waitcnt lgkmcnt(0)
	s_barrier
	buffer_gl0_inv
	v_cmpx_gt_u32_e32 3, v0
	s_cbranch_execz .LBB52_23
; %bb.20:
	v_dual_mov_b32 v1, 0 :: v_dual_add_nc_u32 v12, -1, v0
	v_add_nc_u32_e32 v114, 0x1b0, v113
	v_dual_mov_b32 v2, 0 :: v_dual_add_nc_u32 v115, 0, v113
	s_mov_b32 s1, 0
.LBB52_21:                              ; =>This Inner Loop Header: Depth=1
	scratch_load_b64 v[116:117], v115, off
	ds_load_b64 v[118:119], v114
	v_add_nc_u32_e32 v12, 1, v12
	v_add_nc_u32_e32 v114, 8, v114
	v_add_nc_u32_e32 v115, 8, v115
	s_delay_alu instid0(VALU_DEP_3)
	v_cmp_lt_u32_e32 vcc_lo, 1, v12
	s_or_b32 s1, vcc_lo, s1
	s_waitcnt vmcnt(0) lgkmcnt(0)
	v_fma_f64 v[1:2], v[116:117], v[118:119], v[1:2]
	s_and_not1_b32 exec_lo, exec_lo, s1
	s_cbranch_execnz .LBB52_21
; %bb.22:
	s_or_b32 exec_lo, exec_lo, s1
	v_mov_b32_e32 v12, 0
	ds_load_b64 v[114:115], v12 offset:24
	s_waitcnt lgkmcnt(0)
	v_mul_f64 v[1:2], v[1:2], v[114:115]
	scratch_store_b64 off, v[1:2], off offset:24
.LBB52_23:
	s_or_b32 exec_lo, exec_lo, s0
	s_waitcnt_vscnt null, 0x0
	s_barrier
	buffer_gl0_inv
	scratch_load_b64 v[1:2], off, off offset:32
	s_mov_b32 s0, exec_lo
	s_waitcnt vmcnt(0)
	ds_store_b64 v4, v[1:2]
	s_waitcnt lgkmcnt(0)
	s_barrier
	buffer_gl0_inv
	v_cmpx_gt_u32_e32 4, v0
	s_cbranch_execz .LBB52_27
; %bb.24:
	v_dual_mov_b32 v1, 0 :: v_dual_add_nc_u32 v12, -1, v0
	v_add_nc_u32_e32 v114, 0x1b0, v113
	v_dual_mov_b32 v2, 0 :: v_dual_add_nc_u32 v115, 0, v113
	s_mov_b32 s1, 0
.LBB52_25:                              ; =>This Inner Loop Header: Depth=1
	scratch_load_b64 v[116:117], v115, off
	ds_load_b64 v[118:119], v114
	v_add_nc_u32_e32 v12, 1, v12
	v_add_nc_u32_e32 v114, 8, v114
	v_add_nc_u32_e32 v115, 8, v115
	s_delay_alu instid0(VALU_DEP_3)
	v_cmp_lt_u32_e32 vcc_lo, 2, v12
	s_or_b32 s1, vcc_lo, s1
	s_waitcnt vmcnt(0) lgkmcnt(0)
	v_fma_f64 v[1:2], v[116:117], v[118:119], v[1:2]
	s_and_not1_b32 exec_lo, exec_lo, s1
	s_cbranch_execnz .LBB52_25
; %bb.26:
	s_or_b32 exec_lo, exec_lo, s1
	v_mov_b32_e32 v12, 0
	ds_load_b64 v[114:115], v12 offset:32
	s_waitcnt lgkmcnt(0)
	v_mul_f64 v[1:2], v[1:2], v[114:115]
	scratch_store_b64 off, v[1:2], off offset:32
.LBB52_27:
	s_or_b32 exec_lo, exec_lo, s0
	s_waitcnt_vscnt null, 0x0
	s_barrier
	buffer_gl0_inv
	scratch_load_b64 v[1:2], off, off offset:40
	;; [unrolled: 39-line block ×20, first 2 shown]
	s_mov_b32 s0, exec_lo
	s_waitcnt vmcnt(0)
	ds_store_b64 v4, v[1:2]
	s_waitcnt lgkmcnt(0)
	s_barrier
	buffer_gl0_inv
	v_cmpx_gt_u32_e32 23, v0
	s_cbranch_execz .LBB52_103
; %bb.100:
	v_dual_mov_b32 v1, 0 :: v_dual_add_nc_u32 v12, -1, v0
	v_add_nc_u32_e32 v114, 0x1b0, v113
	v_dual_mov_b32 v2, 0 :: v_dual_add_nc_u32 v115, 0, v113
	s_mov_b32 s1, 0
.LBB52_101:                             ; =>This Inner Loop Header: Depth=1
	scratch_load_b64 v[116:117], v115, off
	ds_load_b64 v[118:119], v114
	v_add_nc_u32_e32 v12, 1, v12
	v_add_nc_u32_e32 v114, 8, v114
	v_add_nc_u32_e32 v115, 8, v115
	s_delay_alu instid0(VALU_DEP_3)
	v_cmp_lt_u32_e32 vcc_lo, 21, v12
	s_or_b32 s1, vcc_lo, s1
	s_waitcnt vmcnt(0) lgkmcnt(0)
	v_fma_f64 v[1:2], v[116:117], v[118:119], v[1:2]
	s_and_not1_b32 exec_lo, exec_lo, s1
	s_cbranch_execnz .LBB52_101
; %bb.102:
	s_or_b32 exec_lo, exec_lo, s1
	v_mov_b32_e32 v12, 0
	ds_load_b64 v[114:115], v12 offset:184
	s_waitcnt lgkmcnt(0)
	v_mul_f64 v[1:2], v[1:2], v[114:115]
	scratch_store_b64 off, v[1:2], off offset:184
.LBB52_103:
	s_or_b32 exec_lo, exec_lo, s0
	s_waitcnt_vscnt null, 0x0
	s_barrier
	buffer_gl0_inv
	scratch_load_b64 v[1:2], off, off offset:192
	s_mov_b32 s0, exec_lo
	s_waitcnt vmcnt(0)
	ds_store_b64 v4, v[1:2]
	s_waitcnt lgkmcnt(0)
	s_barrier
	buffer_gl0_inv
	v_cmpx_gt_u32_e32 24, v0
	s_cbranch_execz .LBB52_107
; %bb.104:
	v_dual_mov_b32 v1, 0 :: v_dual_add_nc_u32 v12, -1, v0
	v_add_nc_u32_e32 v114, 0x1b0, v113
	v_dual_mov_b32 v2, 0 :: v_dual_add_nc_u32 v115, 0, v113
	s_mov_b32 s1, 0
.LBB52_105:                             ; =>This Inner Loop Header: Depth=1
	scratch_load_b64 v[116:117], v115, off
	ds_load_b64 v[118:119], v114
	v_add_nc_u32_e32 v12, 1, v12
	v_add_nc_u32_e32 v114, 8, v114
	v_add_nc_u32_e32 v115, 8, v115
	s_delay_alu instid0(VALU_DEP_3)
	v_cmp_lt_u32_e32 vcc_lo, 22, v12
	s_or_b32 s1, vcc_lo, s1
	s_waitcnt vmcnt(0) lgkmcnt(0)
	v_fma_f64 v[1:2], v[116:117], v[118:119], v[1:2]
	s_and_not1_b32 exec_lo, exec_lo, s1
	s_cbranch_execnz .LBB52_105
; %bb.106:
	s_or_b32 exec_lo, exec_lo, s1
	v_mov_b32_e32 v12, 0
	ds_load_b64 v[114:115], v12 offset:192
	s_waitcnt lgkmcnt(0)
	v_mul_f64 v[1:2], v[1:2], v[114:115]
	scratch_store_b64 off, v[1:2], off offset:192
.LBB52_107:
	s_or_b32 exec_lo, exec_lo, s0
	s_waitcnt_vscnt null, 0x0
	s_barrier
	buffer_gl0_inv
	scratch_load_b64 v[1:2], off, off offset:200
	;; [unrolled: 39-line block ×29, first 2 shown]
	s_mov_b32 s0, exec_lo
	s_waitcnt vmcnt(0)
	ds_store_b64 v4, v[1:2]
	s_waitcnt lgkmcnt(0)
	s_barrier
	buffer_gl0_inv
	v_cmpx_ne_u32_e32 52, v0
	s_cbranch_execz .LBB52_219
; %bb.216:
	v_mov_b32_e32 v1, 0
	v_mov_b32_e32 v2, 0
	s_mov_b32 s1, 0
.LBB52_217:                             ; =>This Inner Loop Header: Depth=1
	scratch_load_b64 v[113:114], v3, off
	ds_load_b64 v[115:116], v4
	v_add_nc_u32_e32 v5, 1, v5
	v_add_nc_u32_e32 v4, 8, v4
	;; [unrolled: 1-line block ×3, first 2 shown]
	s_delay_alu instid0(VALU_DEP_3)
	v_cmp_lt_u32_e32 vcc_lo, 50, v5
	s_or_b32 s1, vcc_lo, s1
	s_waitcnt vmcnt(0) lgkmcnt(0)
	v_fma_f64 v[1:2], v[113:114], v[115:116], v[1:2]
	s_and_not1_b32 exec_lo, exec_lo, s1
	s_cbranch_execnz .LBB52_217
; %bb.218:
	s_or_b32 exec_lo, exec_lo, s1
	v_mov_b32_e32 v3, 0
	ds_load_b64 v[3:4], v3 offset:416
	s_waitcnt lgkmcnt(0)
	v_mul_f64 v[1:2], v[1:2], v[3:4]
	scratch_store_b64 off, v[1:2], off offset:416
.LBB52_219:
	s_or_b32 exec_lo, exec_lo, s0
	s_mov_b32 s1, -1
	s_waitcnt_vscnt null, 0x0
	s_barrier
	buffer_gl0_inv
.LBB52_220:
	s_and_b32 vcc_lo, exec_lo, s1
	s_cbranch_vccz .LBB52_222
; %bb.221:
	s_lshl_b64 s[0:1], s[14:15], 2
	v_mov_b32_e32 v1, 0
	s_add_u32 s0, s6, s0
	s_addc_u32 s1, s7, s1
	global_load_b32 v1, v1, s[0:1]
	s_waitcnt vmcnt(0)
	v_cmp_ne_u32_e32 vcc_lo, 0, v1
	s_cbranch_vccz .LBB52_223
.LBB52_222:
	s_endpgm
.LBB52_223:
	v_lshl_add_u32 v5, v0, 3, 0x1b0
	s_mov_b32 s0, exec_lo
	v_cmpx_eq_u32_e32 52, v0
	s_cbranch_execz .LBB52_225
; %bb.224:
	scratch_load_b64 v[1:2], off, off offset:408
	v_mov_b32_e32 v3, 0
	s_delay_alu instid0(VALU_DEP_1)
	v_mov_b32_e32 v4, v3
	scratch_store_b64 off, v[3:4], off offset:408
	s_waitcnt vmcnt(0)
	ds_store_b64 v5, v[1:2]
.LBB52_225:
	s_or_b32 exec_lo, exec_lo, s0
	s_waitcnt lgkmcnt(0)
	s_waitcnt_vscnt null, 0x0
	s_barrier
	buffer_gl0_inv
	scratch_load_b128 v[113:116], off, off offset:408
	v_mov_b32_e32 v1, 0
	s_mov_b32 s0, exec_lo
	ds_load_b64 v[2:3], v1 offset:848
	s_waitcnt vmcnt(0) lgkmcnt(0)
	v_fma_f64 v[2:3], v[115:116], v[2:3], 0
	s_delay_alu instid0(VALU_DEP_1)
	v_add_f64 v[2:3], v[113:114], -v[2:3]
	scratch_store_b64 off, v[2:3], off offset:408
	v_cmpx_lt_u32_e32 50, v0
	s_cbranch_execz .LBB52_227
; %bb.226:
	scratch_load_b64 v[3:4], off, off offset:400
	v_mov_b32_e32 v2, v1
	scratch_store_b64 off, v[1:2], off offset:400
	s_waitcnt vmcnt(0)
	ds_store_b64 v5, v[3:4]
.LBB52_227:
	s_or_b32 exec_lo, exec_lo, s0
	s_waitcnt lgkmcnt(0)
	s_waitcnt_vscnt null, 0x0
	s_barrier
	buffer_gl0_inv
	s_clause 0x1
	scratch_load_b128 v[113:116], off, off offset:400
	scratch_load_b64 v[117:118], off, off offset:416
	ds_load_2addr_b64 v[1:4], v1 offset0:105 offset1:106
	s_mov_b32 s0, exec_lo
	s_waitcnt vmcnt(1) lgkmcnt(0)
	v_fma_f64 v[1:2], v[115:116], v[1:2], 0
	s_waitcnt vmcnt(0)
	s_delay_alu instid0(VALU_DEP_1) | instskip(NEXT) | instid1(VALU_DEP_1)
	v_fma_f64 v[1:2], v[117:118], v[3:4], v[1:2]
	v_add_f64 v[1:2], v[113:114], -v[1:2]
	scratch_store_b64 off, v[1:2], off offset:400
	v_cmpx_lt_u32_e32 49, v0
	s_cbranch_execz .LBB52_229
; %bb.228:
	scratch_load_b64 v[1:2], off, off offset:392
	v_mov_b32_e32 v3, 0
	s_delay_alu instid0(VALU_DEP_1)
	v_mov_b32_e32 v4, v3
	scratch_store_b64 off, v[3:4], off offset:392
	s_waitcnt vmcnt(0)
	ds_store_b64 v5, v[1:2]
.LBB52_229:
	s_or_b32 exec_lo, exec_lo, s0
	s_waitcnt lgkmcnt(0)
	s_waitcnt_vscnt null, 0x0
	s_barrier
	buffer_gl0_inv
	s_clause 0x1
	scratch_load_b128 v[113:116], off, off offset:392
	scratch_load_b128 v[117:120], off, off offset:408
	v_mov_b32_e32 v1, 0
	ds_load_b128 v[121:124], v1 offset:832
	ds_load_b64 v[2:3], v1 offset:848
	s_mov_b32 s0, exec_lo
	s_waitcnt vmcnt(1) lgkmcnt(1)
	v_fma_f64 v[115:116], v[115:116], v[121:122], 0
	s_waitcnt vmcnt(0)
	s_delay_alu instid0(VALU_DEP_1) | instskip(SKIP_1) | instid1(VALU_DEP_1)
	v_fma_f64 v[115:116], v[117:118], v[123:124], v[115:116]
	s_waitcnt lgkmcnt(0)
	v_fma_f64 v[2:3], v[119:120], v[2:3], v[115:116]
	s_delay_alu instid0(VALU_DEP_1)
	v_add_f64 v[2:3], v[113:114], -v[2:3]
	scratch_store_b64 off, v[2:3], off offset:392
	v_cmpx_lt_u32_e32 48, v0
	s_cbranch_execz .LBB52_231
; %bb.230:
	scratch_load_b64 v[3:4], off, off offset:384
	v_mov_b32_e32 v2, v1
	scratch_store_b64 off, v[1:2], off offset:384
	s_waitcnt vmcnt(0)
	ds_store_b64 v5, v[3:4]
.LBB52_231:
	s_or_b32 exec_lo, exec_lo, s0
	s_waitcnt lgkmcnt(0)
	s_waitcnt_vscnt null, 0x0
	s_barrier
	buffer_gl0_inv
	s_clause 0x2
	scratch_load_b128 v[113:116], off, off offset:384
	scratch_load_b128 v[117:120], off, off offset:400
	scratch_load_b64 v[125:126], off, off offset:416
	ds_load_2addr_b64 v[121:124], v1 offset0:103 offset1:104
	ds_load_2addr_b64 v[1:4], v1 offset0:105 offset1:106
	s_mov_b32 s0, exec_lo
	s_waitcnt vmcnt(2) lgkmcnt(1)
	v_fma_f64 v[115:116], v[115:116], v[121:122], 0
	s_waitcnt vmcnt(1)
	s_delay_alu instid0(VALU_DEP_1) | instskip(SKIP_1) | instid1(VALU_DEP_1)
	v_fma_f64 v[115:116], v[117:118], v[123:124], v[115:116]
	s_waitcnt lgkmcnt(0)
	v_fma_f64 v[1:2], v[119:120], v[1:2], v[115:116]
	s_waitcnt vmcnt(0)
	s_delay_alu instid0(VALU_DEP_1) | instskip(NEXT) | instid1(VALU_DEP_1)
	v_fma_f64 v[1:2], v[125:126], v[3:4], v[1:2]
	v_add_f64 v[1:2], v[113:114], -v[1:2]
	scratch_store_b64 off, v[1:2], off offset:384
	v_cmpx_lt_u32_e32 47, v0
	s_cbranch_execz .LBB52_233
; %bb.232:
	scratch_load_b64 v[1:2], off, off offset:376
	v_mov_b32_e32 v3, 0
	s_delay_alu instid0(VALU_DEP_1)
	v_mov_b32_e32 v4, v3
	scratch_store_b64 off, v[3:4], off offset:376
	s_waitcnt vmcnt(0)
	ds_store_b64 v5, v[1:2]
.LBB52_233:
	s_or_b32 exec_lo, exec_lo, s0
	s_waitcnt lgkmcnt(0)
	s_waitcnt_vscnt null, 0x0
	s_barrier
	buffer_gl0_inv
	s_clause 0x2
	scratch_load_b128 v[113:116], off, off offset:376
	scratch_load_b128 v[117:120], off, off offset:392
	;; [unrolled: 1-line block ×3, first 2 shown]
	v_mov_b32_e32 v1, 0
	ds_load_b128 v[125:128], v1 offset:816
	ds_load_b128 v[129:132], v1 offset:832
	s_mov_b32 s0, exec_lo
	s_waitcnt vmcnt(2) lgkmcnt(1)
	v_fma_f64 v[2:3], v[115:116], v[125:126], 0
	ds_load_b64 v[115:116], v1 offset:848
	s_waitcnt vmcnt(1)
	v_fma_f64 v[2:3], v[117:118], v[127:128], v[2:3]
	s_waitcnt lgkmcnt(1)
	s_delay_alu instid0(VALU_DEP_1) | instskip(SKIP_1) | instid1(VALU_DEP_1)
	v_fma_f64 v[2:3], v[119:120], v[129:130], v[2:3]
	s_waitcnt vmcnt(0)
	v_fma_f64 v[2:3], v[121:122], v[131:132], v[2:3]
	s_waitcnt lgkmcnt(0)
	s_delay_alu instid0(VALU_DEP_1) | instskip(NEXT) | instid1(VALU_DEP_1)
	v_fma_f64 v[2:3], v[123:124], v[115:116], v[2:3]
	v_add_f64 v[2:3], v[113:114], -v[2:3]
	scratch_store_b64 off, v[2:3], off offset:376
	v_cmpx_lt_u32_e32 46, v0
	s_cbranch_execz .LBB52_235
; %bb.234:
	scratch_load_b64 v[3:4], off, off offset:368
	v_mov_b32_e32 v2, v1
	scratch_store_b64 off, v[1:2], off offset:368
	s_waitcnt vmcnt(0)
	ds_store_b64 v5, v[3:4]
.LBB52_235:
	s_or_b32 exec_lo, exec_lo, s0
	s_waitcnt lgkmcnt(0)
	s_waitcnt_vscnt null, 0x0
	s_barrier
	buffer_gl0_inv
	s_clause 0x3
	scratch_load_b128 v[113:116], off, off offset:368
	scratch_load_b128 v[117:120], off, off offset:384
	;; [unrolled: 1-line block ×3, first 2 shown]
	scratch_load_b64 v[133:134], off, off offset:416
	ds_load_2addr_b64 v[125:128], v1 offset0:101 offset1:102
	ds_load_2addr_b64 v[129:132], v1 offset0:103 offset1:104
	s_mov_b32 s0, exec_lo
	s_waitcnt vmcnt(3) lgkmcnt(1)
	v_fma_f64 v[2:3], v[115:116], v[125:126], 0
	s_waitcnt vmcnt(2)
	s_delay_alu instid0(VALU_DEP_1) | instskip(SKIP_1) | instid1(VALU_DEP_1)
	v_fma_f64 v[2:3], v[117:118], v[127:128], v[2:3]
	s_waitcnt lgkmcnt(0)
	v_fma_f64 v[2:3], v[119:120], v[129:130], v[2:3]
	s_waitcnt vmcnt(1)
	s_delay_alu instid0(VALU_DEP_1) | instskip(SKIP_4) | instid1(VALU_DEP_1)
	v_fma_f64 v[115:116], v[121:122], v[131:132], v[2:3]
	ds_load_2addr_b64 v[1:4], v1 offset0:105 offset1:106
	s_waitcnt lgkmcnt(0)
	v_fma_f64 v[1:2], v[123:124], v[1:2], v[115:116]
	s_waitcnt vmcnt(0)
	v_fma_f64 v[1:2], v[133:134], v[3:4], v[1:2]
	s_delay_alu instid0(VALU_DEP_1)
	v_add_f64 v[1:2], v[113:114], -v[1:2]
	scratch_store_b64 off, v[1:2], off offset:368
	v_cmpx_lt_u32_e32 45, v0
	s_cbranch_execz .LBB52_237
; %bb.236:
	scratch_load_b64 v[1:2], off, off offset:360
	v_mov_b32_e32 v3, 0
	s_delay_alu instid0(VALU_DEP_1)
	v_mov_b32_e32 v4, v3
	scratch_store_b64 off, v[3:4], off offset:360
	s_waitcnt vmcnt(0)
	ds_store_b64 v5, v[1:2]
.LBB52_237:
	s_or_b32 exec_lo, exec_lo, s0
	s_waitcnt lgkmcnt(0)
	s_waitcnt_vscnt null, 0x0
	s_barrier
	buffer_gl0_inv
	s_clause 0x3
	scratch_load_b128 v[113:116], off, off offset:360
	scratch_load_b128 v[117:120], off, off offset:376
	;; [unrolled: 1-line block ×4, first 2 shown]
	v_mov_b32_e32 v1, 0
	ds_load_b128 v[129:132], v1 offset:800
	ds_load_b128 v[133:136], v1 offset:816
	s_mov_b32 s0, exec_lo
	s_waitcnt vmcnt(3) lgkmcnt(1)
	v_fma_f64 v[2:3], v[115:116], v[129:130], 0
	s_waitcnt vmcnt(2)
	s_delay_alu instid0(VALU_DEP_1) | instskip(SKIP_1) | instid1(VALU_DEP_1)
	v_fma_f64 v[2:3], v[117:118], v[131:132], v[2:3]
	s_waitcnt lgkmcnt(0)
	v_fma_f64 v[2:3], v[119:120], v[133:134], v[2:3]
	ds_load_b128 v[115:118], v1 offset:832
	ds_load_b64 v[119:120], v1 offset:848
	s_waitcnt vmcnt(1)
	v_fma_f64 v[2:3], v[121:122], v[135:136], v[2:3]
	s_waitcnt lgkmcnt(1)
	s_delay_alu instid0(VALU_DEP_1) | instskip(SKIP_1) | instid1(VALU_DEP_1)
	v_fma_f64 v[2:3], v[123:124], v[115:116], v[2:3]
	s_waitcnt vmcnt(0)
	v_fma_f64 v[2:3], v[125:126], v[117:118], v[2:3]
	s_waitcnt lgkmcnt(0)
	s_delay_alu instid0(VALU_DEP_1) | instskip(NEXT) | instid1(VALU_DEP_1)
	v_fma_f64 v[2:3], v[127:128], v[119:120], v[2:3]
	v_add_f64 v[2:3], v[113:114], -v[2:3]
	scratch_store_b64 off, v[2:3], off offset:360
	v_cmpx_lt_u32_e32 44, v0
	s_cbranch_execz .LBB52_239
; %bb.238:
	scratch_load_b64 v[3:4], off, off offset:352
	v_mov_b32_e32 v2, v1
	scratch_store_b64 off, v[1:2], off offset:352
	s_waitcnt vmcnt(0)
	ds_store_b64 v5, v[3:4]
.LBB52_239:
	s_or_b32 exec_lo, exec_lo, s0
	s_waitcnt lgkmcnt(0)
	s_waitcnt_vscnt null, 0x0
	s_barrier
	buffer_gl0_inv
	s_clause 0x4
	scratch_load_b128 v[113:116], off, off offset:352
	scratch_load_b128 v[117:120], off, off offset:368
	;; [unrolled: 1-line block ×4, first 2 shown]
	scratch_load_b64 v[137:138], off, off offset:416
	ds_load_2addr_b64 v[129:132], v1 offset0:99 offset1:100
	ds_load_2addr_b64 v[133:136], v1 offset0:101 offset1:102
	s_mov_b32 s0, exec_lo
	s_waitcnt vmcnt(4) lgkmcnt(1)
	v_fma_f64 v[2:3], v[115:116], v[129:130], 0
	s_waitcnt vmcnt(3)
	s_delay_alu instid0(VALU_DEP_1) | instskip(SKIP_1) | instid1(VALU_DEP_1)
	v_fma_f64 v[2:3], v[117:118], v[131:132], v[2:3]
	s_waitcnt lgkmcnt(0)
	v_fma_f64 v[2:3], v[119:120], v[133:134], v[2:3]
	s_waitcnt vmcnt(2)
	s_delay_alu instid0(VALU_DEP_1)
	v_fma_f64 v[119:120], v[121:122], v[135:136], v[2:3]
	ds_load_2addr_b64 v[115:118], v1 offset0:103 offset1:104
	ds_load_2addr_b64 v[1:4], v1 offset0:105 offset1:106
	s_waitcnt lgkmcnt(1)
	v_fma_f64 v[115:116], v[123:124], v[115:116], v[119:120]
	s_waitcnt vmcnt(1)
	s_delay_alu instid0(VALU_DEP_1) | instskip(SKIP_1) | instid1(VALU_DEP_1)
	v_fma_f64 v[115:116], v[125:126], v[117:118], v[115:116]
	s_waitcnt lgkmcnt(0)
	v_fma_f64 v[1:2], v[127:128], v[1:2], v[115:116]
	s_waitcnt vmcnt(0)
	s_delay_alu instid0(VALU_DEP_1) | instskip(NEXT) | instid1(VALU_DEP_1)
	v_fma_f64 v[1:2], v[137:138], v[3:4], v[1:2]
	v_add_f64 v[1:2], v[113:114], -v[1:2]
	scratch_store_b64 off, v[1:2], off offset:352
	v_cmpx_lt_u32_e32 43, v0
	s_cbranch_execz .LBB52_241
; %bb.240:
	scratch_load_b64 v[1:2], off, off offset:344
	v_mov_b32_e32 v3, 0
	s_delay_alu instid0(VALU_DEP_1)
	v_mov_b32_e32 v4, v3
	scratch_store_b64 off, v[3:4], off offset:344
	s_waitcnt vmcnt(0)
	ds_store_b64 v5, v[1:2]
.LBB52_241:
	s_or_b32 exec_lo, exec_lo, s0
	s_waitcnt lgkmcnt(0)
	s_waitcnt_vscnt null, 0x0
	s_barrier
	buffer_gl0_inv
	s_clause 0x4
	scratch_load_b128 v[113:116], off, off offset:344
	scratch_load_b128 v[117:120], off, off offset:360
	;; [unrolled: 1-line block ×5, first 2 shown]
	v_mov_b32_e32 v1, 0
	ds_load_b128 v[133:136], v1 offset:784
	ds_load_b128 v[137:140], v1 offset:800
	s_mov_b32 s0, exec_lo
	s_waitcnt vmcnt(4) lgkmcnt(1)
	v_fma_f64 v[2:3], v[115:116], v[133:134], 0
	s_waitcnt vmcnt(3)
	s_delay_alu instid0(VALU_DEP_1) | instskip(SKIP_1) | instid1(VALU_DEP_1)
	v_fma_f64 v[2:3], v[117:118], v[135:136], v[2:3]
	s_waitcnt lgkmcnt(0)
	v_fma_f64 v[2:3], v[119:120], v[137:138], v[2:3]
	s_waitcnt vmcnt(2)
	s_delay_alu instid0(VALU_DEP_1)
	v_fma_f64 v[2:3], v[121:122], v[139:140], v[2:3]
	ds_load_b128 v[115:118], v1 offset:816
	ds_load_b128 v[119:122], v1 offset:832
	s_waitcnt lgkmcnt(1)
	v_fma_f64 v[2:3], v[123:124], v[115:116], v[2:3]
	ds_load_b64 v[115:116], v1 offset:848
	s_waitcnt vmcnt(1)
	v_fma_f64 v[2:3], v[125:126], v[117:118], v[2:3]
	s_waitcnt lgkmcnt(1)
	s_delay_alu instid0(VALU_DEP_1) | instskip(SKIP_1) | instid1(VALU_DEP_1)
	v_fma_f64 v[2:3], v[127:128], v[119:120], v[2:3]
	s_waitcnt vmcnt(0)
	v_fma_f64 v[2:3], v[129:130], v[121:122], v[2:3]
	s_waitcnt lgkmcnt(0)
	s_delay_alu instid0(VALU_DEP_1) | instskip(NEXT) | instid1(VALU_DEP_1)
	v_fma_f64 v[2:3], v[131:132], v[115:116], v[2:3]
	v_add_f64 v[2:3], v[113:114], -v[2:3]
	scratch_store_b64 off, v[2:3], off offset:344
	v_cmpx_lt_u32_e32 42, v0
	s_cbranch_execz .LBB52_243
; %bb.242:
	scratch_load_b64 v[3:4], off, off offset:336
	v_mov_b32_e32 v2, v1
	scratch_store_b64 off, v[1:2], off offset:336
	s_waitcnt vmcnt(0)
	ds_store_b64 v5, v[3:4]
.LBB52_243:
	s_or_b32 exec_lo, exec_lo, s0
	s_waitcnt lgkmcnt(0)
	s_waitcnt_vscnt null, 0x0
	s_barrier
	buffer_gl0_inv
	s_clause 0x4
	scratch_load_b128 v[113:116], off, off offset:336
	scratch_load_b128 v[117:120], off, off offset:352
	;; [unrolled: 1-line block ×5, first 2 shown]
	ds_load_2addr_b64 v[133:136], v1 offset0:97 offset1:98
	ds_load_2addr_b64 v[137:140], v1 offset0:99 offset1:100
	s_mov_b32 s0, exec_lo
	s_waitcnt vmcnt(4) lgkmcnt(1)
	v_fma_f64 v[2:3], v[115:116], v[133:134], 0
	scratch_load_b64 v[133:134], off, off offset:416
	s_waitcnt vmcnt(4)
	v_fma_f64 v[2:3], v[117:118], v[135:136], v[2:3]
	s_waitcnt lgkmcnt(0)
	s_delay_alu instid0(VALU_DEP_1) | instskip(SKIP_1) | instid1(VALU_DEP_1)
	v_fma_f64 v[2:3], v[119:120], v[137:138], v[2:3]
	s_waitcnt vmcnt(3)
	v_fma_f64 v[2:3], v[121:122], v[139:140], v[2:3]
	ds_load_2addr_b64 v[115:118], v1 offset0:101 offset1:102
	ds_load_2addr_b64 v[119:122], v1 offset0:103 offset1:104
	s_waitcnt lgkmcnt(1)
	v_fma_f64 v[2:3], v[123:124], v[115:116], v[2:3]
	s_waitcnt vmcnt(2)
	s_delay_alu instid0(VALU_DEP_1) | instskip(SKIP_1) | instid1(VALU_DEP_1)
	v_fma_f64 v[2:3], v[125:126], v[117:118], v[2:3]
	s_waitcnt lgkmcnt(0)
	v_fma_f64 v[2:3], v[127:128], v[119:120], v[2:3]
	s_waitcnt vmcnt(1)
	s_delay_alu instid0(VALU_DEP_1) | instskip(SKIP_4) | instid1(VALU_DEP_1)
	v_fma_f64 v[115:116], v[129:130], v[121:122], v[2:3]
	ds_load_2addr_b64 v[1:4], v1 offset0:105 offset1:106
	s_waitcnt lgkmcnt(0)
	v_fma_f64 v[1:2], v[131:132], v[1:2], v[115:116]
	s_waitcnt vmcnt(0)
	v_fma_f64 v[1:2], v[133:134], v[3:4], v[1:2]
	s_delay_alu instid0(VALU_DEP_1)
	v_add_f64 v[1:2], v[113:114], -v[1:2]
	scratch_store_b64 off, v[1:2], off offset:336
	v_cmpx_lt_u32_e32 41, v0
	s_cbranch_execz .LBB52_245
; %bb.244:
	scratch_load_b64 v[1:2], off, off offset:328
	v_mov_b32_e32 v3, 0
	s_delay_alu instid0(VALU_DEP_1)
	v_mov_b32_e32 v4, v3
	scratch_store_b64 off, v[3:4], off offset:328
	s_waitcnt vmcnt(0)
	ds_store_b64 v5, v[1:2]
.LBB52_245:
	s_or_b32 exec_lo, exec_lo, s0
	s_waitcnt lgkmcnt(0)
	s_waitcnt_vscnt null, 0x0
	s_barrier
	buffer_gl0_inv
	s_clause 0x4
	scratch_load_b128 v[113:116], off, off offset:328
	scratch_load_b128 v[117:120], off, off offset:344
	;; [unrolled: 1-line block ×5, first 2 shown]
	v_mov_b32_e32 v1, 0
	ds_load_b128 v[133:136], v1 offset:768
	ds_load_b128 v[137:140], v1 offset:784
	scratch_load_b128 v[141:144], off, off offset:408
	s_mov_b32 s0, exec_lo
	s_waitcnt vmcnt(5) lgkmcnt(1)
	v_fma_f64 v[2:3], v[115:116], v[133:134], 0
	s_waitcnt vmcnt(4)
	s_delay_alu instid0(VALU_DEP_1) | instskip(SKIP_1) | instid1(VALU_DEP_1)
	v_fma_f64 v[2:3], v[117:118], v[135:136], v[2:3]
	s_waitcnt lgkmcnt(0)
	v_fma_f64 v[2:3], v[119:120], v[137:138], v[2:3]
	s_waitcnt vmcnt(3)
	s_delay_alu instid0(VALU_DEP_1)
	v_fma_f64 v[2:3], v[121:122], v[139:140], v[2:3]
	ds_load_b128 v[115:118], v1 offset:800
	ds_load_b128 v[119:122], v1 offset:816
	s_waitcnt lgkmcnt(1)
	v_fma_f64 v[2:3], v[123:124], v[115:116], v[2:3]
	s_waitcnt vmcnt(2)
	s_delay_alu instid0(VALU_DEP_1) | instskip(SKIP_1) | instid1(VALU_DEP_1)
	v_fma_f64 v[2:3], v[125:126], v[117:118], v[2:3]
	s_waitcnt lgkmcnt(0)
	v_fma_f64 v[2:3], v[127:128], v[119:120], v[2:3]
	ds_load_b128 v[115:118], v1 offset:832
	ds_load_b64 v[119:120], v1 offset:848
	s_waitcnt vmcnt(1)
	v_fma_f64 v[2:3], v[129:130], v[121:122], v[2:3]
	s_waitcnt lgkmcnt(1)
	s_delay_alu instid0(VALU_DEP_1) | instskip(SKIP_1) | instid1(VALU_DEP_1)
	v_fma_f64 v[2:3], v[131:132], v[115:116], v[2:3]
	s_waitcnt vmcnt(0)
	v_fma_f64 v[2:3], v[141:142], v[117:118], v[2:3]
	s_waitcnt lgkmcnt(0)
	s_delay_alu instid0(VALU_DEP_1) | instskip(NEXT) | instid1(VALU_DEP_1)
	v_fma_f64 v[2:3], v[143:144], v[119:120], v[2:3]
	v_add_f64 v[2:3], v[113:114], -v[2:3]
	scratch_store_b64 off, v[2:3], off offset:328
	v_cmpx_lt_u32_e32 40, v0
	s_cbranch_execz .LBB52_247
; %bb.246:
	scratch_load_b64 v[3:4], off, off offset:320
	v_mov_b32_e32 v2, v1
	scratch_store_b64 off, v[1:2], off offset:320
	s_waitcnt vmcnt(0)
	ds_store_b64 v5, v[3:4]
.LBB52_247:
	s_or_b32 exec_lo, exec_lo, s0
	s_waitcnt lgkmcnt(0)
	s_waitcnt_vscnt null, 0x0
	s_barrier
	buffer_gl0_inv
	s_clause 0x4
	scratch_load_b128 v[113:116], off, off offset:320
	scratch_load_b128 v[117:120], off, off offset:336
	;; [unrolled: 1-line block ×5, first 2 shown]
	ds_load_2addr_b64 v[133:136], v1 offset0:95 offset1:96
	ds_load_2addr_b64 v[137:140], v1 offset0:97 offset1:98
	scratch_load_b128 v[141:144], off, off offset:400
	s_mov_b32 s0, exec_lo
	s_waitcnt vmcnt(5) lgkmcnt(1)
	v_fma_f64 v[2:3], v[115:116], v[133:134], 0
	scratch_load_b64 v[133:134], off, off offset:416
	s_waitcnt vmcnt(5)
	v_fma_f64 v[2:3], v[117:118], v[135:136], v[2:3]
	s_waitcnt lgkmcnt(0)
	s_delay_alu instid0(VALU_DEP_1) | instskip(SKIP_1) | instid1(VALU_DEP_1)
	v_fma_f64 v[2:3], v[119:120], v[137:138], v[2:3]
	s_waitcnt vmcnt(4)
	v_fma_f64 v[2:3], v[121:122], v[139:140], v[2:3]
	ds_load_2addr_b64 v[115:118], v1 offset0:99 offset1:100
	ds_load_2addr_b64 v[119:122], v1 offset0:101 offset1:102
	s_waitcnt lgkmcnt(1)
	v_fma_f64 v[2:3], v[123:124], v[115:116], v[2:3]
	s_waitcnt vmcnt(3)
	s_delay_alu instid0(VALU_DEP_1) | instskip(SKIP_1) | instid1(VALU_DEP_1)
	v_fma_f64 v[2:3], v[125:126], v[117:118], v[2:3]
	s_waitcnt lgkmcnt(0)
	v_fma_f64 v[2:3], v[127:128], v[119:120], v[2:3]
	s_waitcnt vmcnt(2)
	s_delay_alu instid0(VALU_DEP_1)
	v_fma_f64 v[119:120], v[129:130], v[121:122], v[2:3]
	ds_load_2addr_b64 v[115:118], v1 offset0:103 offset1:104
	ds_load_2addr_b64 v[1:4], v1 offset0:105 offset1:106
	s_waitcnt lgkmcnt(1)
	v_fma_f64 v[115:116], v[131:132], v[115:116], v[119:120]
	s_waitcnt vmcnt(1)
	s_delay_alu instid0(VALU_DEP_1) | instskip(SKIP_1) | instid1(VALU_DEP_1)
	v_fma_f64 v[115:116], v[141:142], v[117:118], v[115:116]
	s_waitcnt lgkmcnt(0)
	v_fma_f64 v[1:2], v[143:144], v[1:2], v[115:116]
	s_waitcnt vmcnt(0)
	s_delay_alu instid0(VALU_DEP_1) | instskip(NEXT) | instid1(VALU_DEP_1)
	v_fma_f64 v[1:2], v[133:134], v[3:4], v[1:2]
	v_add_f64 v[1:2], v[113:114], -v[1:2]
	scratch_store_b64 off, v[1:2], off offset:320
	v_cmpx_lt_u32_e32 39, v0
	s_cbranch_execz .LBB52_249
; %bb.248:
	scratch_load_b64 v[1:2], off, off offset:312
	v_mov_b32_e32 v3, 0
	s_delay_alu instid0(VALU_DEP_1)
	v_mov_b32_e32 v4, v3
	scratch_store_b64 off, v[3:4], off offset:312
	s_waitcnt vmcnt(0)
	ds_store_b64 v5, v[1:2]
.LBB52_249:
	s_or_b32 exec_lo, exec_lo, s0
	s_waitcnt lgkmcnt(0)
	s_waitcnt_vscnt null, 0x0
	s_barrier
	buffer_gl0_inv
	s_clause 0x4
	scratch_load_b128 v[113:116], off, off offset:312
	scratch_load_b128 v[117:120], off, off offset:328
	;; [unrolled: 1-line block ×5, first 2 shown]
	v_mov_b32_e32 v1, 0
	ds_load_b128 v[133:136], v1 offset:752
	ds_load_b128 v[137:140], v1 offset:768
	scratch_load_b128 v[141:144], off, off offset:392
	s_mov_b32 s0, exec_lo
	s_waitcnt vmcnt(5) lgkmcnt(1)
	v_fma_f64 v[2:3], v[115:116], v[133:134], 0
	s_waitcnt vmcnt(4)
	s_delay_alu instid0(VALU_DEP_1) | instskip(SKIP_4) | instid1(VALU_DEP_1)
	v_fma_f64 v[2:3], v[117:118], v[135:136], v[2:3]
	scratch_load_b128 v[115:118], off, off offset:408
	s_waitcnt lgkmcnt(0)
	v_fma_f64 v[2:3], v[119:120], v[137:138], v[2:3]
	s_waitcnt vmcnt(4)
	v_fma_f64 v[2:3], v[121:122], v[139:140], v[2:3]
	ds_load_b128 v[119:122], v1 offset:784
	ds_load_b128 v[133:136], v1 offset:800
	s_waitcnt lgkmcnt(1)
	v_fma_f64 v[2:3], v[123:124], v[119:120], v[2:3]
	s_waitcnt vmcnt(3)
	s_delay_alu instid0(VALU_DEP_1)
	v_fma_f64 v[2:3], v[125:126], v[121:122], v[2:3]
	ds_load_b128 v[119:122], v1 offset:816
	ds_load_b128 v[123:126], v1 offset:832
	s_waitcnt lgkmcnt(2)
	v_fma_f64 v[2:3], v[127:128], v[133:134], v[2:3]
	s_waitcnt vmcnt(2)
	s_delay_alu instid0(VALU_DEP_1) | instskip(SKIP_1) | instid1(VALU_DEP_1)
	v_fma_f64 v[2:3], v[129:130], v[135:136], v[2:3]
	s_waitcnt lgkmcnt(1)
	v_fma_f64 v[2:3], v[131:132], v[119:120], v[2:3]
	s_waitcnt vmcnt(1)
	s_delay_alu instid0(VALU_DEP_1) | instskip(SKIP_1) | instid1(VALU_DEP_1)
	v_fma_f64 v[2:3], v[141:142], v[121:122], v[2:3]
	s_waitcnt lgkmcnt(0)
	v_fma_f64 v[2:3], v[143:144], v[123:124], v[2:3]
	s_waitcnt vmcnt(0)
	s_delay_alu instid0(VALU_DEP_1) | instskip(SKIP_3) | instid1(VALU_DEP_1)
	v_fma_f64 v[2:3], v[115:116], v[125:126], v[2:3]
	ds_load_b64 v[115:116], v1 offset:848
	s_waitcnt lgkmcnt(0)
	v_fma_f64 v[2:3], v[117:118], v[115:116], v[2:3]
	v_add_f64 v[2:3], v[113:114], -v[2:3]
	scratch_store_b64 off, v[2:3], off offset:312
	v_cmpx_lt_u32_e32 38, v0
	s_cbranch_execz .LBB52_251
; %bb.250:
	scratch_load_b64 v[3:4], off, off offset:304
	v_mov_b32_e32 v2, v1
	scratch_store_b64 off, v[1:2], off offset:304
	s_waitcnt vmcnt(0)
	ds_store_b64 v5, v[3:4]
.LBB52_251:
	s_or_b32 exec_lo, exec_lo, s0
	s_waitcnt lgkmcnt(0)
	s_waitcnt_vscnt null, 0x0
	s_barrier
	buffer_gl0_inv
	s_clause 0x4
	scratch_load_b128 v[113:116], off, off offset:304
	scratch_load_b128 v[117:120], off, off offset:320
	;; [unrolled: 1-line block ×5, first 2 shown]
	ds_load_2addr_b64 v[133:136], v1 offset0:93 offset1:94
	ds_load_2addr_b64 v[137:140], v1 offset0:95 offset1:96
	scratch_load_b128 v[141:144], off, off offset:384
	s_mov_b32 s0, exec_lo
	s_waitcnt vmcnt(5) lgkmcnt(1)
	v_fma_f64 v[2:3], v[115:116], v[133:134], 0
	s_waitcnt vmcnt(4)
	s_delay_alu instid0(VALU_DEP_1) | instskip(SKIP_4) | instid1(VALU_DEP_1)
	v_fma_f64 v[2:3], v[117:118], v[135:136], v[2:3]
	scratch_load_b128 v[115:118], off, off offset:400
	s_waitcnt lgkmcnt(0)
	v_fma_f64 v[2:3], v[119:120], v[137:138], v[2:3]
	s_waitcnt vmcnt(4)
	v_fma_f64 v[2:3], v[121:122], v[139:140], v[2:3]
	ds_load_2addr_b64 v[119:122], v1 offset0:97 offset1:98
	ds_load_2addr_b64 v[133:136], v1 offset0:99 offset1:100
	scratch_load_b64 v[137:138], off, off offset:416
	s_waitcnt lgkmcnt(1)
	v_fma_f64 v[2:3], v[123:124], v[119:120], v[2:3]
	s_waitcnt vmcnt(4)
	s_delay_alu instid0(VALU_DEP_1)
	v_fma_f64 v[2:3], v[125:126], v[121:122], v[2:3]
	ds_load_2addr_b64 v[119:122], v1 offset0:101 offset1:102
	ds_load_2addr_b64 v[123:126], v1 offset0:103 offset1:104
	s_waitcnt lgkmcnt(2)
	v_fma_f64 v[2:3], v[127:128], v[133:134], v[2:3]
	s_waitcnt vmcnt(3)
	s_delay_alu instid0(VALU_DEP_1) | instskip(SKIP_1) | instid1(VALU_DEP_1)
	v_fma_f64 v[2:3], v[129:130], v[135:136], v[2:3]
	s_waitcnt lgkmcnt(1)
	v_fma_f64 v[2:3], v[131:132], v[119:120], v[2:3]
	s_waitcnt vmcnt(2)
	s_delay_alu instid0(VALU_DEP_1) | instskip(SKIP_1) | instid1(VALU_DEP_1)
	v_fma_f64 v[2:3], v[141:142], v[121:122], v[2:3]
	s_waitcnt lgkmcnt(0)
	v_fma_f64 v[2:3], v[143:144], v[123:124], v[2:3]
	s_waitcnt vmcnt(1)
	s_delay_alu instid0(VALU_DEP_1) | instskip(SKIP_4) | instid1(VALU_DEP_1)
	v_fma_f64 v[115:116], v[115:116], v[125:126], v[2:3]
	ds_load_2addr_b64 v[1:4], v1 offset0:105 offset1:106
	s_waitcnt lgkmcnt(0)
	v_fma_f64 v[1:2], v[117:118], v[1:2], v[115:116]
	s_waitcnt vmcnt(0)
	v_fma_f64 v[1:2], v[137:138], v[3:4], v[1:2]
	s_delay_alu instid0(VALU_DEP_1)
	v_add_f64 v[1:2], v[113:114], -v[1:2]
	scratch_store_b64 off, v[1:2], off offset:304
	v_cmpx_lt_u32_e32 37, v0
	s_cbranch_execz .LBB52_253
; %bb.252:
	scratch_load_b64 v[1:2], off, off offset:296
	v_mov_b32_e32 v3, 0
	s_delay_alu instid0(VALU_DEP_1)
	v_mov_b32_e32 v4, v3
	scratch_store_b64 off, v[3:4], off offset:296
	s_waitcnt vmcnt(0)
	ds_store_b64 v5, v[1:2]
.LBB52_253:
	s_or_b32 exec_lo, exec_lo, s0
	s_waitcnt lgkmcnt(0)
	s_waitcnt_vscnt null, 0x0
	s_barrier
	buffer_gl0_inv
	s_clause 0x4
	scratch_load_b128 v[113:116], off, off offset:296
	scratch_load_b128 v[117:120], off, off offset:312
	;; [unrolled: 1-line block ×5, first 2 shown]
	v_mov_b32_e32 v1, 0
	ds_load_b128 v[133:136], v1 offset:736
	ds_load_b128 v[137:140], v1 offset:752
	scratch_load_b128 v[141:144], off, off offset:376
	s_mov_b32 s0, exec_lo
	s_waitcnt vmcnt(5) lgkmcnt(1)
	v_fma_f64 v[2:3], v[115:116], v[133:134], 0
	s_waitcnt vmcnt(4)
	s_delay_alu instid0(VALU_DEP_1) | instskip(SKIP_4) | instid1(VALU_DEP_1)
	v_fma_f64 v[2:3], v[117:118], v[135:136], v[2:3]
	scratch_load_b128 v[115:118], off, off offset:392
	s_waitcnt lgkmcnt(0)
	v_fma_f64 v[2:3], v[119:120], v[137:138], v[2:3]
	s_waitcnt vmcnt(4)
	v_fma_f64 v[2:3], v[121:122], v[139:140], v[2:3]
	ds_load_b128 v[119:122], v1 offset:768
	ds_load_b128 v[133:136], v1 offset:784
	scratch_load_b128 v[137:140], off, off offset:408
	s_waitcnt lgkmcnt(1)
	v_fma_f64 v[2:3], v[123:124], v[119:120], v[2:3]
	s_waitcnt vmcnt(4)
	s_delay_alu instid0(VALU_DEP_1)
	v_fma_f64 v[2:3], v[125:126], v[121:122], v[2:3]
	ds_load_b128 v[119:122], v1 offset:800
	ds_load_b128 v[123:126], v1 offset:816
	s_waitcnt lgkmcnt(2)
	v_fma_f64 v[2:3], v[127:128], v[133:134], v[2:3]
	s_waitcnt vmcnt(3)
	s_delay_alu instid0(VALU_DEP_1) | instskip(SKIP_1) | instid1(VALU_DEP_1)
	v_fma_f64 v[2:3], v[129:130], v[135:136], v[2:3]
	s_waitcnt lgkmcnt(1)
	v_fma_f64 v[2:3], v[131:132], v[119:120], v[2:3]
	s_waitcnt vmcnt(2)
	s_delay_alu instid0(VALU_DEP_1) | instskip(SKIP_1) | instid1(VALU_DEP_1)
	v_fma_f64 v[2:3], v[141:142], v[121:122], v[2:3]
	s_waitcnt lgkmcnt(0)
	v_fma_f64 v[2:3], v[143:144], v[123:124], v[2:3]
	s_waitcnt vmcnt(1)
	s_delay_alu instid0(VALU_DEP_1)
	v_fma_f64 v[2:3], v[115:116], v[125:126], v[2:3]
	ds_load_b128 v[119:122], v1 offset:832
	ds_load_b64 v[115:116], v1 offset:848
	s_waitcnt lgkmcnt(1)
	v_fma_f64 v[2:3], v[117:118], v[119:120], v[2:3]
	s_waitcnt vmcnt(0)
	s_delay_alu instid0(VALU_DEP_1) | instskip(SKIP_1) | instid1(VALU_DEP_1)
	v_fma_f64 v[2:3], v[137:138], v[121:122], v[2:3]
	s_waitcnt lgkmcnt(0)
	v_fma_f64 v[2:3], v[139:140], v[115:116], v[2:3]
	s_delay_alu instid0(VALU_DEP_1)
	v_add_f64 v[2:3], v[113:114], -v[2:3]
	scratch_store_b64 off, v[2:3], off offset:296
	v_cmpx_lt_u32_e32 36, v0
	s_cbranch_execz .LBB52_255
; %bb.254:
	scratch_load_b64 v[3:4], off, off offset:288
	v_mov_b32_e32 v2, v1
	scratch_store_b64 off, v[1:2], off offset:288
	s_waitcnt vmcnt(0)
	ds_store_b64 v5, v[3:4]
.LBB52_255:
	s_or_b32 exec_lo, exec_lo, s0
	s_waitcnt lgkmcnt(0)
	s_waitcnt_vscnt null, 0x0
	s_barrier
	buffer_gl0_inv
	s_clause 0x4
	scratch_load_b128 v[113:116], off, off offset:288
	scratch_load_b128 v[117:120], off, off offset:304
	;; [unrolled: 1-line block ×5, first 2 shown]
	ds_load_2addr_b64 v[133:136], v1 offset0:91 offset1:92
	ds_load_2addr_b64 v[137:140], v1 offset0:93 offset1:94
	scratch_load_b128 v[141:144], off, off offset:368
	s_mov_b32 s0, exec_lo
	s_waitcnt vmcnt(5) lgkmcnt(1)
	v_fma_f64 v[2:3], v[115:116], v[133:134], 0
	s_waitcnt vmcnt(4)
	s_delay_alu instid0(VALU_DEP_1) | instskip(SKIP_4) | instid1(VALU_DEP_1)
	v_fma_f64 v[2:3], v[117:118], v[135:136], v[2:3]
	scratch_load_b128 v[115:118], off, off offset:384
	s_waitcnt lgkmcnt(0)
	v_fma_f64 v[2:3], v[119:120], v[137:138], v[2:3]
	s_waitcnt vmcnt(4)
	v_fma_f64 v[2:3], v[121:122], v[139:140], v[2:3]
	ds_load_2addr_b64 v[119:122], v1 offset0:95 offset1:96
	ds_load_2addr_b64 v[133:136], v1 offset0:97 offset1:98
	scratch_load_b128 v[137:140], off, off offset:400
	s_waitcnt lgkmcnt(1)
	v_fma_f64 v[2:3], v[123:124], v[119:120], v[2:3]
	s_waitcnt vmcnt(4)
	s_delay_alu instid0(VALU_DEP_1) | instskip(SKIP_1) | instid1(VALU_DEP_1)
	v_fma_f64 v[2:3], v[125:126], v[121:122], v[2:3]
	s_waitcnt lgkmcnt(0)
	v_fma_f64 v[2:3], v[127:128], v[133:134], v[2:3]
	scratch_load_b64 v[127:128], off, off offset:416
	ds_load_2addr_b64 v[119:122], v1 offset0:99 offset1:100
	ds_load_2addr_b64 v[123:126], v1 offset0:101 offset1:102
	s_waitcnt vmcnt(4)
	v_fma_f64 v[2:3], v[129:130], v[135:136], v[2:3]
	s_waitcnt lgkmcnt(1)
	s_delay_alu instid0(VALU_DEP_1) | instskip(SKIP_1) | instid1(VALU_DEP_1)
	v_fma_f64 v[2:3], v[131:132], v[119:120], v[2:3]
	s_waitcnt vmcnt(3)
	v_fma_f64 v[2:3], v[141:142], v[121:122], v[2:3]
	s_waitcnt lgkmcnt(0)
	s_delay_alu instid0(VALU_DEP_1) | instskip(SKIP_1) | instid1(VALU_DEP_1)
	v_fma_f64 v[2:3], v[143:144], v[123:124], v[2:3]
	s_waitcnt vmcnt(2)
	v_fma_f64 v[115:116], v[115:116], v[125:126], v[2:3]
	ds_load_2addr_b64 v[119:122], v1 offset0:103 offset1:104
	ds_load_2addr_b64 v[1:4], v1 offset0:105 offset1:106
	s_waitcnt lgkmcnt(1)
	v_fma_f64 v[115:116], v[117:118], v[119:120], v[115:116]
	s_waitcnt vmcnt(1)
	s_delay_alu instid0(VALU_DEP_1) | instskip(SKIP_1) | instid1(VALU_DEP_1)
	v_fma_f64 v[115:116], v[137:138], v[121:122], v[115:116]
	s_waitcnt lgkmcnt(0)
	v_fma_f64 v[1:2], v[139:140], v[1:2], v[115:116]
	s_waitcnt vmcnt(0)
	s_delay_alu instid0(VALU_DEP_1) | instskip(NEXT) | instid1(VALU_DEP_1)
	v_fma_f64 v[1:2], v[127:128], v[3:4], v[1:2]
	v_add_f64 v[1:2], v[113:114], -v[1:2]
	scratch_store_b64 off, v[1:2], off offset:288
	v_cmpx_lt_u32_e32 35, v0
	s_cbranch_execz .LBB52_257
; %bb.256:
	scratch_load_b64 v[1:2], off, off offset:280
	v_mov_b32_e32 v3, 0
	s_delay_alu instid0(VALU_DEP_1)
	v_mov_b32_e32 v4, v3
	scratch_store_b64 off, v[3:4], off offset:280
	s_waitcnt vmcnt(0)
	ds_store_b64 v5, v[1:2]
.LBB52_257:
	s_or_b32 exec_lo, exec_lo, s0
	s_waitcnt lgkmcnt(0)
	s_waitcnt_vscnt null, 0x0
	s_barrier
	buffer_gl0_inv
	s_clause 0x4
	scratch_load_b128 v[113:116], off, off offset:280
	scratch_load_b128 v[117:120], off, off offset:296
	;; [unrolled: 1-line block ×5, first 2 shown]
	v_mov_b32_e32 v1, 0
	ds_load_b128 v[133:136], v1 offset:720
	ds_load_b128 v[137:140], v1 offset:736
	scratch_load_b128 v[141:144], off, off offset:360
	s_mov_b32 s0, exec_lo
	s_waitcnt vmcnt(5) lgkmcnt(1)
	v_fma_f64 v[2:3], v[115:116], v[133:134], 0
	s_waitcnt vmcnt(4)
	s_delay_alu instid0(VALU_DEP_1) | instskip(SKIP_4) | instid1(VALU_DEP_1)
	v_fma_f64 v[2:3], v[117:118], v[135:136], v[2:3]
	scratch_load_b128 v[115:118], off, off offset:376
	s_waitcnt lgkmcnt(0)
	v_fma_f64 v[2:3], v[119:120], v[137:138], v[2:3]
	s_waitcnt vmcnt(4)
	v_fma_f64 v[2:3], v[121:122], v[139:140], v[2:3]
	ds_load_b128 v[119:122], v1 offset:752
	ds_load_b128 v[133:136], v1 offset:768
	scratch_load_b128 v[137:140], off, off offset:392
	s_waitcnt lgkmcnt(1)
	v_fma_f64 v[2:3], v[123:124], v[119:120], v[2:3]
	s_waitcnt vmcnt(4)
	s_delay_alu instid0(VALU_DEP_1) | instskip(SKIP_4) | instid1(VALU_DEP_1)
	v_fma_f64 v[2:3], v[125:126], v[121:122], v[2:3]
	scratch_load_b128 v[119:122], off, off offset:408
	s_waitcnt lgkmcnt(0)
	v_fma_f64 v[2:3], v[127:128], v[133:134], v[2:3]
	s_waitcnt vmcnt(4)
	v_fma_f64 v[2:3], v[129:130], v[135:136], v[2:3]
	ds_load_b128 v[123:126], v1 offset:784
	ds_load_b128 v[127:130], v1 offset:800
	s_waitcnt lgkmcnt(1)
	v_fma_f64 v[2:3], v[131:132], v[123:124], v[2:3]
	s_waitcnt vmcnt(3)
	s_delay_alu instid0(VALU_DEP_1) | instskip(SKIP_1) | instid1(VALU_DEP_1)
	v_fma_f64 v[2:3], v[141:142], v[125:126], v[2:3]
	s_waitcnt lgkmcnt(0)
	v_fma_f64 v[2:3], v[143:144], v[127:128], v[2:3]
	s_waitcnt vmcnt(2)
	s_delay_alu instid0(VALU_DEP_1)
	v_fma_f64 v[2:3], v[115:116], v[129:130], v[2:3]
	ds_load_b128 v[123:126], v1 offset:816
	ds_load_b128 v[127:130], v1 offset:832
	ds_load_b64 v[115:116], v1 offset:848
	s_waitcnt lgkmcnt(2)
	v_fma_f64 v[2:3], v[117:118], v[123:124], v[2:3]
	s_waitcnt vmcnt(1)
	s_delay_alu instid0(VALU_DEP_1) | instskip(SKIP_1) | instid1(VALU_DEP_1)
	v_fma_f64 v[2:3], v[137:138], v[125:126], v[2:3]
	s_waitcnt lgkmcnt(1)
	v_fma_f64 v[2:3], v[139:140], v[127:128], v[2:3]
	s_waitcnt vmcnt(0)
	s_delay_alu instid0(VALU_DEP_1) | instskip(SKIP_1) | instid1(VALU_DEP_1)
	v_fma_f64 v[2:3], v[119:120], v[129:130], v[2:3]
	s_waitcnt lgkmcnt(0)
	v_fma_f64 v[2:3], v[121:122], v[115:116], v[2:3]
	s_delay_alu instid0(VALU_DEP_1)
	v_add_f64 v[2:3], v[113:114], -v[2:3]
	scratch_store_b64 off, v[2:3], off offset:280
	v_cmpx_lt_u32_e32 34, v0
	s_cbranch_execz .LBB52_259
; %bb.258:
	scratch_load_b64 v[3:4], off, off offset:272
	v_mov_b32_e32 v2, v1
	scratch_store_b64 off, v[1:2], off offset:272
	s_waitcnt vmcnt(0)
	ds_store_b64 v5, v[3:4]
.LBB52_259:
	s_or_b32 exec_lo, exec_lo, s0
	s_waitcnt lgkmcnt(0)
	s_waitcnt_vscnt null, 0x0
	s_barrier
	buffer_gl0_inv
	s_clause 0x4
	scratch_load_b128 v[113:116], off, off offset:272
	scratch_load_b128 v[117:120], off, off offset:288
	;; [unrolled: 1-line block ×5, first 2 shown]
	ds_load_2addr_b64 v[133:136], v1 offset0:89 offset1:90
	ds_load_2addr_b64 v[137:140], v1 offset0:91 offset1:92
	scratch_load_b128 v[141:144], off, off offset:352
	s_mov_b32 s0, exec_lo
	s_waitcnt vmcnt(5) lgkmcnt(1)
	v_fma_f64 v[2:3], v[115:116], v[133:134], 0
	s_waitcnt vmcnt(4)
	s_delay_alu instid0(VALU_DEP_1) | instskip(SKIP_4) | instid1(VALU_DEP_1)
	v_fma_f64 v[2:3], v[117:118], v[135:136], v[2:3]
	scratch_load_b128 v[115:118], off, off offset:368
	s_waitcnt lgkmcnt(0)
	v_fma_f64 v[2:3], v[119:120], v[137:138], v[2:3]
	s_waitcnt vmcnt(4)
	v_fma_f64 v[2:3], v[121:122], v[139:140], v[2:3]
	ds_load_2addr_b64 v[119:122], v1 offset0:93 offset1:94
	ds_load_2addr_b64 v[133:136], v1 offset0:95 offset1:96
	scratch_load_b128 v[137:140], off, off offset:384
	s_waitcnt lgkmcnt(1)
	v_fma_f64 v[2:3], v[123:124], v[119:120], v[2:3]
	s_waitcnt vmcnt(4)
	s_delay_alu instid0(VALU_DEP_1) | instskip(SKIP_4) | instid1(VALU_DEP_1)
	v_fma_f64 v[2:3], v[125:126], v[121:122], v[2:3]
	scratch_load_b128 v[119:122], off, off offset:400
	s_waitcnt lgkmcnt(0)
	v_fma_f64 v[2:3], v[127:128], v[133:134], v[2:3]
	s_waitcnt vmcnt(4)
	v_fma_f64 v[2:3], v[129:130], v[135:136], v[2:3]
	ds_load_2addr_b64 v[123:126], v1 offset0:97 offset1:98
	ds_load_2addr_b64 v[127:130], v1 offset0:99 offset1:100
	s_waitcnt lgkmcnt(1)
	v_fma_f64 v[2:3], v[131:132], v[123:124], v[2:3]
	scratch_load_b64 v[131:132], off, off offset:416
	s_waitcnt vmcnt(4)
	v_fma_f64 v[2:3], v[141:142], v[125:126], v[2:3]
	s_waitcnt lgkmcnt(0)
	s_delay_alu instid0(VALU_DEP_1) | instskip(SKIP_1) | instid1(VALU_DEP_1)
	v_fma_f64 v[2:3], v[143:144], v[127:128], v[2:3]
	s_waitcnt vmcnt(3)
	v_fma_f64 v[2:3], v[115:116], v[129:130], v[2:3]
	ds_load_2addr_b64 v[123:126], v1 offset0:101 offset1:102
	ds_load_2addr_b64 v[127:130], v1 offset0:103 offset1:104
	s_waitcnt lgkmcnt(1)
	v_fma_f64 v[2:3], v[117:118], v[123:124], v[2:3]
	s_waitcnt vmcnt(2)
	s_delay_alu instid0(VALU_DEP_1) | instskip(SKIP_1) | instid1(VALU_DEP_1)
	v_fma_f64 v[2:3], v[137:138], v[125:126], v[2:3]
	s_waitcnt lgkmcnt(0)
	v_fma_f64 v[2:3], v[139:140], v[127:128], v[2:3]
	s_waitcnt vmcnt(1)
	s_delay_alu instid0(VALU_DEP_1) | instskip(SKIP_4) | instid1(VALU_DEP_1)
	v_fma_f64 v[115:116], v[119:120], v[129:130], v[2:3]
	ds_load_2addr_b64 v[1:4], v1 offset0:105 offset1:106
	s_waitcnt lgkmcnt(0)
	v_fma_f64 v[1:2], v[121:122], v[1:2], v[115:116]
	s_waitcnt vmcnt(0)
	v_fma_f64 v[1:2], v[131:132], v[3:4], v[1:2]
	s_delay_alu instid0(VALU_DEP_1)
	v_add_f64 v[1:2], v[113:114], -v[1:2]
	scratch_store_b64 off, v[1:2], off offset:272
	v_cmpx_lt_u32_e32 33, v0
	s_cbranch_execz .LBB52_261
; %bb.260:
	scratch_load_b64 v[1:2], off, off offset:264
	v_mov_b32_e32 v3, 0
	s_delay_alu instid0(VALU_DEP_1)
	v_mov_b32_e32 v4, v3
	scratch_store_b64 off, v[3:4], off offset:264
	s_waitcnt vmcnt(0)
	ds_store_b64 v5, v[1:2]
.LBB52_261:
	s_or_b32 exec_lo, exec_lo, s0
	s_waitcnt lgkmcnt(0)
	s_waitcnt_vscnt null, 0x0
	s_barrier
	buffer_gl0_inv
	s_clause 0x4
	scratch_load_b128 v[113:116], off, off offset:264
	scratch_load_b128 v[117:120], off, off offset:280
	;; [unrolled: 1-line block ×5, first 2 shown]
	v_mov_b32_e32 v1, 0
	ds_load_b128 v[133:136], v1 offset:704
	ds_load_b128 v[137:140], v1 offset:720
	scratch_load_b128 v[141:144], off, off offset:344
	s_mov_b32 s0, exec_lo
	s_waitcnt vmcnt(5) lgkmcnt(1)
	v_fma_f64 v[2:3], v[115:116], v[133:134], 0
	s_waitcnt vmcnt(4)
	s_delay_alu instid0(VALU_DEP_1) | instskip(SKIP_4) | instid1(VALU_DEP_1)
	v_fma_f64 v[2:3], v[117:118], v[135:136], v[2:3]
	scratch_load_b128 v[115:118], off, off offset:360
	s_waitcnt lgkmcnt(0)
	v_fma_f64 v[2:3], v[119:120], v[137:138], v[2:3]
	s_waitcnt vmcnt(4)
	v_fma_f64 v[2:3], v[121:122], v[139:140], v[2:3]
	ds_load_b128 v[119:122], v1 offset:736
	ds_load_b128 v[133:136], v1 offset:752
	scratch_load_b128 v[137:140], off, off offset:376
	s_waitcnt lgkmcnt(1)
	v_fma_f64 v[2:3], v[123:124], v[119:120], v[2:3]
	s_waitcnt vmcnt(4)
	s_delay_alu instid0(VALU_DEP_1) | instskip(SKIP_4) | instid1(VALU_DEP_1)
	v_fma_f64 v[2:3], v[125:126], v[121:122], v[2:3]
	scratch_load_b128 v[119:122], off, off offset:392
	s_waitcnt lgkmcnt(0)
	v_fma_f64 v[2:3], v[127:128], v[133:134], v[2:3]
	s_waitcnt vmcnt(4)
	v_fma_f64 v[2:3], v[129:130], v[135:136], v[2:3]
	ds_load_b128 v[123:126], v1 offset:768
	ds_load_b128 v[127:130], v1 offset:784
	s_waitcnt lgkmcnt(1)
	v_fma_f64 v[2:3], v[131:132], v[123:124], v[2:3]
	scratch_load_b128 v[131:134], off, off offset:408
	s_waitcnt vmcnt(4)
	v_fma_f64 v[2:3], v[141:142], v[125:126], v[2:3]
	s_waitcnt lgkmcnt(0)
	s_delay_alu instid0(VALU_DEP_1) | instskip(SKIP_1) | instid1(VALU_DEP_1)
	v_fma_f64 v[2:3], v[143:144], v[127:128], v[2:3]
	s_waitcnt vmcnt(3)
	v_fma_f64 v[2:3], v[115:116], v[129:130], v[2:3]
	ds_load_b128 v[123:126], v1 offset:800
	ds_load_b128 v[127:130], v1 offset:816
	s_waitcnt lgkmcnt(1)
	v_fma_f64 v[2:3], v[117:118], v[123:124], v[2:3]
	s_waitcnt vmcnt(2)
	s_delay_alu instid0(VALU_DEP_1) | instskip(SKIP_1) | instid1(VALU_DEP_1)
	v_fma_f64 v[2:3], v[137:138], v[125:126], v[2:3]
	s_waitcnt lgkmcnt(0)
	v_fma_f64 v[2:3], v[139:140], v[127:128], v[2:3]
	s_waitcnt vmcnt(1)
	s_delay_alu instid0(VALU_DEP_1)
	v_fma_f64 v[2:3], v[119:120], v[129:130], v[2:3]
	ds_load_b128 v[115:118], v1 offset:832
	ds_load_b64 v[119:120], v1 offset:848
	s_waitcnt lgkmcnt(1)
	v_fma_f64 v[2:3], v[121:122], v[115:116], v[2:3]
	s_waitcnt vmcnt(0)
	s_delay_alu instid0(VALU_DEP_1) | instskip(SKIP_1) | instid1(VALU_DEP_1)
	v_fma_f64 v[2:3], v[131:132], v[117:118], v[2:3]
	s_waitcnt lgkmcnt(0)
	v_fma_f64 v[2:3], v[133:134], v[119:120], v[2:3]
	s_delay_alu instid0(VALU_DEP_1)
	v_add_f64 v[2:3], v[113:114], -v[2:3]
	scratch_store_b64 off, v[2:3], off offset:264
	v_cmpx_lt_u32_e32 32, v0
	s_cbranch_execz .LBB52_263
; %bb.262:
	scratch_load_b64 v[3:4], off, off offset:256
	v_mov_b32_e32 v2, v1
	scratch_store_b64 off, v[1:2], off offset:256
	s_waitcnt vmcnt(0)
	ds_store_b64 v5, v[3:4]
.LBB52_263:
	s_or_b32 exec_lo, exec_lo, s0
	s_waitcnt lgkmcnt(0)
	s_waitcnt_vscnt null, 0x0
	s_barrier
	buffer_gl0_inv
	s_clause 0x4
	scratch_load_b128 v[113:116], off, off offset:256
	scratch_load_b128 v[117:120], off, off offset:272
	;; [unrolled: 1-line block ×5, first 2 shown]
	ds_load_2addr_b64 v[133:136], v1 offset0:87 offset1:88
	ds_load_2addr_b64 v[137:140], v1 offset0:89 offset1:90
	scratch_load_b128 v[141:144], off, off offset:336
	s_mov_b32 s0, exec_lo
	s_waitcnt vmcnt(5) lgkmcnt(1)
	v_fma_f64 v[2:3], v[115:116], v[133:134], 0
	s_waitcnt vmcnt(4)
	s_delay_alu instid0(VALU_DEP_1) | instskip(SKIP_4) | instid1(VALU_DEP_1)
	v_fma_f64 v[2:3], v[117:118], v[135:136], v[2:3]
	scratch_load_b128 v[115:118], off, off offset:352
	s_waitcnt lgkmcnt(0)
	v_fma_f64 v[2:3], v[119:120], v[137:138], v[2:3]
	s_waitcnt vmcnt(4)
	v_fma_f64 v[2:3], v[121:122], v[139:140], v[2:3]
	ds_load_2addr_b64 v[119:122], v1 offset0:91 offset1:92
	ds_load_2addr_b64 v[133:136], v1 offset0:93 offset1:94
	scratch_load_b128 v[137:140], off, off offset:368
	s_waitcnt lgkmcnt(1)
	v_fma_f64 v[2:3], v[123:124], v[119:120], v[2:3]
	s_waitcnt vmcnt(4)
	s_delay_alu instid0(VALU_DEP_1) | instskip(SKIP_4) | instid1(VALU_DEP_1)
	v_fma_f64 v[2:3], v[125:126], v[121:122], v[2:3]
	scratch_load_b128 v[119:122], off, off offset:384
	s_waitcnt lgkmcnt(0)
	v_fma_f64 v[2:3], v[127:128], v[133:134], v[2:3]
	s_waitcnt vmcnt(4)
	v_fma_f64 v[2:3], v[129:130], v[135:136], v[2:3]
	ds_load_2addr_b64 v[123:126], v1 offset0:95 offset1:96
	ds_load_2addr_b64 v[127:130], v1 offset0:97 offset1:98
	scratch_load_b64 v[135:136], off, off offset:416
	s_waitcnt lgkmcnt(1)
	v_fma_f64 v[2:3], v[131:132], v[123:124], v[2:3]
	scratch_load_b128 v[131:134], off, off offset:400
	s_waitcnt vmcnt(5)
	v_fma_f64 v[2:3], v[141:142], v[125:126], v[2:3]
	s_waitcnt lgkmcnt(0)
	s_delay_alu instid0(VALU_DEP_1) | instskip(SKIP_1) | instid1(VALU_DEP_1)
	v_fma_f64 v[2:3], v[143:144], v[127:128], v[2:3]
	s_waitcnt vmcnt(4)
	v_fma_f64 v[2:3], v[115:116], v[129:130], v[2:3]
	ds_load_2addr_b64 v[123:126], v1 offset0:99 offset1:100
	ds_load_2addr_b64 v[127:130], v1 offset0:101 offset1:102
	s_waitcnt lgkmcnt(1)
	v_fma_f64 v[2:3], v[117:118], v[123:124], v[2:3]
	s_waitcnt vmcnt(3)
	s_delay_alu instid0(VALU_DEP_1) | instskip(SKIP_1) | instid1(VALU_DEP_1)
	v_fma_f64 v[2:3], v[137:138], v[125:126], v[2:3]
	s_waitcnt lgkmcnt(0)
	v_fma_f64 v[2:3], v[139:140], v[127:128], v[2:3]
	s_waitcnt vmcnt(2)
	s_delay_alu instid0(VALU_DEP_1)
	v_fma_f64 v[119:120], v[119:120], v[129:130], v[2:3]
	ds_load_2addr_b64 v[115:118], v1 offset0:103 offset1:104
	ds_load_2addr_b64 v[1:4], v1 offset0:105 offset1:106
	s_waitcnt lgkmcnt(1)
	v_fma_f64 v[115:116], v[121:122], v[115:116], v[119:120]
	s_waitcnt vmcnt(0)
	s_delay_alu instid0(VALU_DEP_1) | instskip(SKIP_1) | instid1(VALU_DEP_1)
	v_fma_f64 v[115:116], v[131:132], v[117:118], v[115:116]
	s_waitcnt lgkmcnt(0)
	v_fma_f64 v[1:2], v[133:134], v[1:2], v[115:116]
	s_delay_alu instid0(VALU_DEP_1) | instskip(NEXT) | instid1(VALU_DEP_1)
	v_fma_f64 v[1:2], v[135:136], v[3:4], v[1:2]
	v_add_f64 v[1:2], v[113:114], -v[1:2]
	scratch_store_b64 off, v[1:2], off offset:256
	v_cmpx_lt_u32_e32 31, v0
	s_cbranch_execz .LBB52_265
; %bb.264:
	scratch_load_b64 v[1:2], off, off offset:248
	v_mov_b32_e32 v3, 0
	s_delay_alu instid0(VALU_DEP_1)
	v_mov_b32_e32 v4, v3
	scratch_store_b64 off, v[3:4], off offset:248
	s_waitcnt vmcnt(0)
	ds_store_b64 v5, v[1:2]
.LBB52_265:
	s_or_b32 exec_lo, exec_lo, s0
	s_waitcnt lgkmcnt(0)
	s_waitcnt_vscnt null, 0x0
	s_barrier
	buffer_gl0_inv
	s_clause 0x4
	scratch_load_b128 v[113:116], off, off offset:248
	scratch_load_b128 v[117:120], off, off offset:264
	;; [unrolled: 1-line block ×5, first 2 shown]
	v_mov_b32_e32 v1, 0
	ds_load_b128 v[133:136], v1 offset:688
	ds_load_b128 v[137:140], v1 offset:704
	scratch_load_b128 v[141:144], off, off offset:328
	s_mov_b32 s0, exec_lo
	s_waitcnt vmcnt(5) lgkmcnt(1)
	v_fma_f64 v[2:3], v[115:116], v[133:134], 0
	s_waitcnt vmcnt(4)
	s_delay_alu instid0(VALU_DEP_1) | instskip(SKIP_4) | instid1(VALU_DEP_1)
	v_fma_f64 v[2:3], v[117:118], v[135:136], v[2:3]
	scratch_load_b128 v[115:118], off, off offset:344
	s_waitcnt lgkmcnt(0)
	v_fma_f64 v[2:3], v[119:120], v[137:138], v[2:3]
	s_waitcnt vmcnt(4)
	v_fma_f64 v[2:3], v[121:122], v[139:140], v[2:3]
	ds_load_b128 v[119:122], v1 offset:720
	ds_load_b128 v[133:136], v1 offset:736
	scratch_load_b128 v[137:140], off, off offset:360
	s_waitcnt lgkmcnt(1)
	v_fma_f64 v[2:3], v[123:124], v[119:120], v[2:3]
	s_waitcnt vmcnt(4)
	s_delay_alu instid0(VALU_DEP_1) | instskip(SKIP_4) | instid1(VALU_DEP_1)
	v_fma_f64 v[2:3], v[125:126], v[121:122], v[2:3]
	scratch_load_b128 v[119:122], off, off offset:376
	s_waitcnt lgkmcnt(0)
	v_fma_f64 v[2:3], v[127:128], v[133:134], v[2:3]
	s_waitcnt vmcnt(4)
	v_fma_f64 v[2:3], v[129:130], v[135:136], v[2:3]
	ds_load_b128 v[123:126], v1 offset:752
	ds_load_b128 v[127:130], v1 offset:768
	s_waitcnt lgkmcnt(1)
	v_fma_f64 v[2:3], v[131:132], v[123:124], v[2:3]
	scratch_load_b128 v[131:134], off, off offset:392
	s_waitcnt vmcnt(4)
	v_fma_f64 v[2:3], v[141:142], v[125:126], v[2:3]
	scratch_load_b128 v[123:126], off, off offset:408
	s_waitcnt lgkmcnt(0)
	v_fma_f64 v[2:3], v[143:144], v[127:128], v[2:3]
	s_waitcnt vmcnt(4)
	s_delay_alu instid0(VALU_DEP_1)
	v_fma_f64 v[2:3], v[115:116], v[129:130], v[2:3]
	ds_load_b128 v[127:130], v1 offset:784
	ds_load_b128 v[141:144], v1 offset:800
	s_waitcnt lgkmcnt(1)
	v_fma_f64 v[2:3], v[117:118], v[127:128], v[2:3]
	s_waitcnt vmcnt(3)
	s_delay_alu instid0(VALU_DEP_1)
	v_fma_f64 v[2:3], v[137:138], v[129:130], v[2:3]
	ds_load_b128 v[115:118], v1 offset:816
	ds_load_b128 v[127:130], v1 offset:832
	s_waitcnt lgkmcnt(2)
	v_fma_f64 v[2:3], v[139:140], v[141:142], v[2:3]
	s_waitcnt vmcnt(2)
	s_delay_alu instid0(VALU_DEP_1) | instskip(SKIP_1) | instid1(VALU_DEP_1)
	v_fma_f64 v[2:3], v[119:120], v[143:144], v[2:3]
	s_waitcnt lgkmcnt(1)
	v_fma_f64 v[2:3], v[121:122], v[115:116], v[2:3]
	ds_load_b64 v[115:116], v1 offset:848
	s_waitcnt vmcnt(1)
	v_fma_f64 v[2:3], v[131:132], v[117:118], v[2:3]
	s_waitcnt lgkmcnt(1)
	s_delay_alu instid0(VALU_DEP_1) | instskip(SKIP_1) | instid1(VALU_DEP_1)
	v_fma_f64 v[2:3], v[133:134], v[127:128], v[2:3]
	s_waitcnt vmcnt(0)
	v_fma_f64 v[2:3], v[123:124], v[129:130], v[2:3]
	s_waitcnt lgkmcnt(0)
	s_delay_alu instid0(VALU_DEP_1) | instskip(NEXT) | instid1(VALU_DEP_1)
	v_fma_f64 v[2:3], v[125:126], v[115:116], v[2:3]
	v_add_f64 v[2:3], v[113:114], -v[2:3]
	scratch_store_b64 off, v[2:3], off offset:248
	v_cmpx_lt_u32_e32 30, v0
	s_cbranch_execz .LBB52_267
; %bb.266:
	scratch_load_b64 v[3:4], off, off offset:240
	v_mov_b32_e32 v2, v1
	scratch_store_b64 off, v[1:2], off offset:240
	s_waitcnt vmcnt(0)
	ds_store_b64 v5, v[3:4]
.LBB52_267:
	s_or_b32 exec_lo, exec_lo, s0
	s_waitcnt lgkmcnt(0)
	s_waitcnt_vscnt null, 0x0
	s_barrier
	buffer_gl0_inv
	s_clause 0x4
	scratch_load_b128 v[113:116], off, off offset:240
	scratch_load_b128 v[117:120], off, off offset:256
	;; [unrolled: 1-line block ×5, first 2 shown]
	ds_load_2addr_b64 v[133:136], v1 offset0:85 offset1:86
	ds_load_2addr_b64 v[137:140], v1 offset0:87 offset1:88
	scratch_load_b128 v[141:144], off, off offset:320
	s_mov_b32 s0, exec_lo
	s_waitcnt vmcnt(5) lgkmcnt(1)
	v_fma_f64 v[2:3], v[115:116], v[133:134], 0
	s_waitcnt vmcnt(4)
	s_delay_alu instid0(VALU_DEP_1) | instskip(SKIP_4) | instid1(VALU_DEP_1)
	v_fma_f64 v[2:3], v[117:118], v[135:136], v[2:3]
	scratch_load_b128 v[115:118], off, off offset:336
	s_waitcnt lgkmcnt(0)
	v_fma_f64 v[2:3], v[119:120], v[137:138], v[2:3]
	s_waitcnt vmcnt(4)
	v_fma_f64 v[2:3], v[121:122], v[139:140], v[2:3]
	ds_load_2addr_b64 v[119:122], v1 offset0:89 offset1:90
	ds_load_2addr_b64 v[133:136], v1 offset0:91 offset1:92
	scratch_load_b128 v[137:140], off, off offset:352
	s_waitcnt lgkmcnt(1)
	v_fma_f64 v[2:3], v[123:124], v[119:120], v[2:3]
	s_waitcnt vmcnt(4)
	s_delay_alu instid0(VALU_DEP_1) | instskip(SKIP_4) | instid1(VALU_DEP_1)
	v_fma_f64 v[2:3], v[125:126], v[121:122], v[2:3]
	scratch_load_b128 v[119:122], off, off offset:368
	s_waitcnt lgkmcnt(0)
	v_fma_f64 v[2:3], v[127:128], v[133:134], v[2:3]
	s_waitcnt vmcnt(4)
	v_fma_f64 v[2:3], v[129:130], v[135:136], v[2:3]
	ds_load_2addr_b64 v[123:126], v1 offset0:93 offset1:94
	ds_load_2addr_b64 v[127:130], v1 offset0:95 offset1:96
	s_waitcnt lgkmcnt(1)
	v_fma_f64 v[2:3], v[131:132], v[123:124], v[2:3]
	scratch_load_b128 v[131:134], off, off offset:384
	s_waitcnt vmcnt(4)
	v_fma_f64 v[2:3], v[141:142], v[125:126], v[2:3]
	scratch_load_b128 v[123:126], off, off offset:400
	s_waitcnt lgkmcnt(0)
	v_fma_f64 v[2:3], v[143:144], v[127:128], v[2:3]
	s_waitcnt vmcnt(4)
	s_delay_alu instid0(VALU_DEP_1)
	v_fma_f64 v[2:3], v[115:116], v[129:130], v[2:3]
	ds_load_2addr_b64 v[127:130], v1 offset0:97 offset1:98
	ds_load_2addr_b64 v[141:144], v1 offset0:99 offset1:100
	scratch_load_b64 v[135:136], off, off offset:416
	s_waitcnt lgkmcnt(1)
	v_fma_f64 v[2:3], v[117:118], v[127:128], v[2:3]
	s_waitcnt vmcnt(4)
	s_delay_alu instid0(VALU_DEP_1)
	v_fma_f64 v[2:3], v[137:138], v[129:130], v[2:3]
	ds_load_2addr_b64 v[115:118], v1 offset0:101 offset1:102
	ds_load_2addr_b64 v[127:130], v1 offset0:103 offset1:104
	s_waitcnt lgkmcnt(2)
	v_fma_f64 v[2:3], v[139:140], v[141:142], v[2:3]
	s_waitcnt vmcnt(3)
	s_delay_alu instid0(VALU_DEP_1) | instskip(SKIP_1) | instid1(VALU_DEP_1)
	v_fma_f64 v[2:3], v[119:120], v[143:144], v[2:3]
	s_waitcnt lgkmcnt(1)
	v_fma_f64 v[2:3], v[121:122], v[115:116], v[2:3]
	s_waitcnt vmcnt(2)
	s_delay_alu instid0(VALU_DEP_1) | instskip(SKIP_1) | instid1(VALU_DEP_1)
	v_fma_f64 v[2:3], v[131:132], v[117:118], v[2:3]
	s_waitcnt lgkmcnt(0)
	v_fma_f64 v[2:3], v[133:134], v[127:128], v[2:3]
	s_waitcnt vmcnt(1)
	s_delay_alu instid0(VALU_DEP_1) | instskip(SKIP_4) | instid1(VALU_DEP_1)
	v_fma_f64 v[115:116], v[123:124], v[129:130], v[2:3]
	ds_load_2addr_b64 v[1:4], v1 offset0:105 offset1:106
	s_waitcnt lgkmcnt(0)
	v_fma_f64 v[1:2], v[125:126], v[1:2], v[115:116]
	s_waitcnt vmcnt(0)
	v_fma_f64 v[1:2], v[135:136], v[3:4], v[1:2]
	s_delay_alu instid0(VALU_DEP_1)
	v_add_f64 v[1:2], v[113:114], -v[1:2]
	scratch_store_b64 off, v[1:2], off offset:240
	v_cmpx_lt_u32_e32 29, v0
	s_cbranch_execz .LBB52_269
; %bb.268:
	scratch_load_b64 v[1:2], off, off offset:232
	v_mov_b32_e32 v3, 0
	s_delay_alu instid0(VALU_DEP_1)
	v_mov_b32_e32 v4, v3
	scratch_store_b64 off, v[3:4], off offset:232
	s_waitcnt vmcnt(0)
	ds_store_b64 v5, v[1:2]
.LBB52_269:
	s_or_b32 exec_lo, exec_lo, s0
	s_waitcnt lgkmcnt(0)
	s_waitcnt_vscnt null, 0x0
	s_barrier
	buffer_gl0_inv
	s_clause 0x4
	scratch_load_b128 v[113:116], off, off offset:232
	scratch_load_b128 v[117:120], off, off offset:248
	;; [unrolled: 1-line block ×5, first 2 shown]
	v_mov_b32_e32 v1, 0
	ds_load_b128 v[133:136], v1 offset:672
	ds_load_b128 v[137:140], v1 offset:688
	scratch_load_b128 v[141:144], off, off offset:312
	s_mov_b32 s0, exec_lo
	s_waitcnt vmcnt(5) lgkmcnt(1)
	v_fma_f64 v[2:3], v[115:116], v[133:134], 0
	s_waitcnt vmcnt(4)
	s_delay_alu instid0(VALU_DEP_1) | instskip(SKIP_4) | instid1(VALU_DEP_1)
	v_fma_f64 v[2:3], v[117:118], v[135:136], v[2:3]
	scratch_load_b128 v[115:118], off, off offset:328
	s_waitcnt lgkmcnt(0)
	v_fma_f64 v[2:3], v[119:120], v[137:138], v[2:3]
	s_waitcnt vmcnt(4)
	v_fma_f64 v[2:3], v[121:122], v[139:140], v[2:3]
	ds_load_b128 v[119:122], v1 offset:704
	ds_load_b128 v[133:136], v1 offset:720
	scratch_load_b128 v[137:140], off, off offset:344
	s_waitcnt lgkmcnt(1)
	v_fma_f64 v[2:3], v[123:124], v[119:120], v[2:3]
	s_waitcnt vmcnt(4)
	s_delay_alu instid0(VALU_DEP_1) | instskip(SKIP_4) | instid1(VALU_DEP_1)
	v_fma_f64 v[2:3], v[125:126], v[121:122], v[2:3]
	scratch_load_b128 v[119:122], off, off offset:360
	s_waitcnt lgkmcnt(0)
	v_fma_f64 v[2:3], v[127:128], v[133:134], v[2:3]
	s_waitcnt vmcnt(4)
	v_fma_f64 v[2:3], v[129:130], v[135:136], v[2:3]
	ds_load_b128 v[123:126], v1 offset:736
	ds_load_b128 v[127:130], v1 offset:752
	s_waitcnt lgkmcnt(1)
	v_fma_f64 v[2:3], v[131:132], v[123:124], v[2:3]
	scratch_load_b128 v[131:134], off, off offset:376
	s_waitcnt vmcnt(4)
	v_fma_f64 v[2:3], v[141:142], v[125:126], v[2:3]
	scratch_load_b128 v[123:126], off, off offset:392
	s_waitcnt lgkmcnt(0)
	v_fma_f64 v[2:3], v[143:144], v[127:128], v[2:3]
	s_waitcnt vmcnt(4)
	s_delay_alu instid0(VALU_DEP_1)
	v_fma_f64 v[2:3], v[115:116], v[129:130], v[2:3]
	ds_load_b128 v[127:130], v1 offset:768
	ds_load_b128 v[141:144], v1 offset:784
	s_waitcnt lgkmcnt(1)
	v_fma_f64 v[2:3], v[117:118], v[127:128], v[2:3]
	scratch_load_b128 v[115:118], off, off offset:408
	s_waitcnt vmcnt(4)
	v_fma_f64 v[2:3], v[137:138], v[129:130], v[2:3]
	ds_load_b128 v[127:130], v1 offset:800
	ds_load_b128 v[135:138], v1 offset:816
	s_waitcnt lgkmcnt(2)
	v_fma_f64 v[2:3], v[139:140], v[141:142], v[2:3]
	s_waitcnt vmcnt(3)
	s_delay_alu instid0(VALU_DEP_1) | instskip(SKIP_1) | instid1(VALU_DEP_1)
	v_fma_f64 v[2:3], v[119:120], v[143:144], v[2:3]
	s_waitcnt lgkmcnt(1)
	v_fma_f64 v[2:3], v[121:122], v[127:128], v[2:3]
	s_waitcnt vmcnt(2)
	s_delay_alu instid0(VALU_DEP_1) | instskip(SKIP_1) | instid1(VALU_DEP_1)
	v_fma_f64 v[2:3], v[131:132], v[129:130], v[2:3]
	s_waitcnt lgkmcnt(0)
	v_fma_f64 v[2:3], v[133:134], v[135:136], v[2:3]
	s_waitcnt vmcnt(1)
	s_delay_alu instid0(VALU_DEP_1)
	v_fma_f64 v[2:3], v[123:124], v[137:138], v[2:3]
	ds_load_b128 v[119:122], v1 offset:832
	ds_load_b64 v[123:124], v1 offset:848
	s_waitcnt lgkmcnt(1)
	v_fma_f64 v[2:3], v[125:126], v[119:120], v[2:3]
	s_waitcnt vmcnt(0)
	s_delay_alu instid0(VALU_DEP_1) | instskip(SKIP_1) | instid1(VALU_DEP_1)
	v_fma_f64 v[2:3], v[115:116], v[121:122], v[2:3]
	s_waitcnt lgkmcnt(0)
	v_fma_f64 v[2:3], v[117:118], v[123:124], v[2:3]
	s_delay_alu instid0(VALU_DEP_1)
	v_add_f64 v[2:3], v[113:114], -v[2:3]
	scratch_store_b64 off, v[2:3], off offset:232
	v_cmpx_lt_u32_e32 28, v0
	s_cbranch_execz .LBB52_271
; %bb.270:
	scratch_load_b64 v[3:4], off, off offset:224
	v_mov_b32_e32 v2, v1
	scratch_store_b64 off, v[1:2], off offset:224
	s_waitcnt vmcnt(0)
	ds_store_b64 v5, v[3:4]
.LBB52_271:
	s_or_b32 exec_lo, exec_lo, s0
	s_waitcnt lgkmcnt(0)
	s_waitcnt_vscnt null, 0x0
	s_barrier
	buffer_gl0_inv
	s_clause 0x4
	scratch_load_b128 v[113:116], off, off offset:224
	scratch_load_b128 v[117:120], off, off offset:240
	;; [unrolled: 1-line block ×5, first 2 shown]
	ds_load_2addr_b64 v[133:136], v1 offset0:83 offset1:84
	ds_load_2addr_b64 v[137:140], v1 offset0:85 offset1:86
	scratch_load_b128 v[141:144], off, off offset:304
	s_mov_b32 s0, exec_lo
	s_waitcnt vmcnt(5) lgkmcnt(1)
	v_fma_f64 v[2:3], v[115:116], v[133:134], 0
	s_waitcnt vmcnt(4)
	s_delay_alu instid0(VALU_DEP_1) | instskip(SKIP_4) | instid1(VALU_DEP_1)
	v_fma_f64 v[2:3], v[117:118], v[135:136], v[2:3]
	scratch_load_b128 v[115:118], off, off offset:320
	s_waitcnt lgkmcnt(0)
	v_fma_f64 v[2:3], v[119:120], v[137:138], v[2:3]
	s_waitcnt vmcnt(4)
	v_fma_f64 v[2:3], v[121:122], v[139:140], v[2:3]
	ds_load_2addr_b64 v[119:122], v1 offset0:87 offset1:88
	ds_load_2addr_b64 v[133:136], v1 offset0:89 offset1:90
	scratch_load_b128 v[137:140], off, off offset:336
	s_waitcnt lgkmcnt(1)
	v_fma_f64 v[2:3], v[123:124], v[119:120], v[2:3]
	s_waitcnt vmcnt(4)
	s_delay_alu instid0(VALU_DEP_1) | instskip(SKIP_4) | instid1(VALU_DEP_1)
	v_fma_f64 v[2:3], v[125:126], v[121:122], v[2:3]
	scratch_load_b128 v[119:122], off, off offset:352
	s_waitcnt lgkmcnt(0)
	v_fma_f64 v[2:3], v[127:128], v[133:134], v[2:3]
	s_waitcnt vmcnt(4)
	v_fma_f64 v[2:3], v[129:130], v[135:136], v[2:3]
	ds_load_2addr_b64 v[123:126], v1 offset0:91 offset1:92
	ds_load_2addr_b64 v[127:130], v1 offset0:93 offset1:94
	s_waitcnt lgkmcnt(1)
	v_fma_f64 v[2:3], v[131:132], v[123:124], v[2:3]
	scratch_load_b128 v[131:134], off, off offset:368
	s_waitcnt vmcnt(4)
	v_fma_f64 v[2:3], v[141:142], v[125:126], v[2:3]
	scratch_load_b128 v[123:126], off, off offset:384
	s_waitcnt lgkmcnt(0)
	v_fma_f64 v[2:3], v[143:144], v[127:128], v[2:3]
	s_waitcnt vmcnt(4)
	s_delay_alu instid0(VALU_DEP_1)
	v_fma_f64 v[2:3], v[115:116], v[129:130], v[2:3]
	ds_load_2addr_b64 v[127:130], v1 offset0:95 offset1:96
	ds_load_2addr_b64 v[141:144], v1 offset0:97 offset1:98
	s_waitcnt lgkmcnt(1)
	v_fma_f64 v[2:3], v[117:118], v[127:128], v[2:3]
	scratch_load_b128 v[115:118], off, off offset:400
	s_waitcnt vmcnt(4)
	v_fma_f64 v[2:3], v[137:138], v[129:130], v[2:3]
	s_waitcnt lgkmcnt(0)
	s_delay_alu instid0(VALU_DEP_1)
	v_fma_f64 v[2:3], v[139:140], v[141:142], v[2:3]
	scratch_load_b64 v[139:140], off, off offset:416
	ds_load_2addr_b64 v[127:130], v1 offset0:99 offset1:100
	ds_load_2addr_b64 v[135:138], v1 offset0:101 offset1:102
	s_waitcnt vmcnt(4)
	v_fma_f64 v[2:3], v[119:120], v[143:144], v[2:3]
	s_waitcnt lgkmcnt(1)
	s_delay_alu instid0(VALU_DEP_1) | instskip(SKIP_1) | instid1(VALU_DEP_1)
	v_fma_f64 v[2:3], v[121:122], v[127:128], v[2:3]
	s_waitcnt vmcnt(3)
	v_fma_f64 v[2:3], v[131:132], v[129:130], v[2:3]
	s_waitcnt lgkmcnt(0)
	s_delay_alu instid0(VALU_DEP_1) | instskip(SKIP_1) | instid1(VALU_DEP_1)
	v_fma_f64 v[2:3], v[133:134], v[135:136], v[2:3]
	s_waitcnt vmcnt(2)
	v_fma_f64 v[123:124], v[123:124], v[137:138], v[2:3]
	ds_load_2addr_b64 v[119:122], v1 offset0:103 offset1:104
	ds_load_2addr_b64 v[1:4], v1 offset0:105 offset1:106
	s_waitcnt lgkmcnt(1)
	v_fma_f64 v[119:120], v[125:126], v[119:120], v[123:124]
	s_waitcnt vmcnt(1)
	s_delay_alu instid0(VALU_DEP_1) | instskip(SKIP_1) | instid1(VALU_DEP_1)
	v_fma_f64 v[115:116], v[115:116], v[121:122], v[119:120]
	s_waitcnt lgkmcnt(0)
	v_fma_f64 v[1:2], v[117:118], v[1:2], v[115:116]
	s_waitcnt vmcnt(0)
	s_delay_alu instid0(VALU_DEP_1) | instskip(NEXT) | instid1(VALU_DEP_1)
	v_fma_f64 v[1:2], v[139:140], v[3:4], v[1:2]
	v_add_f64 v[1:2], v[113:114], -v[1:2]
	scratch_store_b64 off, v[1:2], off offset:224
	v_cmpx_lt_u32_e32 27, v0
	s_cbranch_execz .LBB52_273
; %bb.272:
	scratch_load_b64 v[1:2], off, off offset:216
	v_mov_b32_e32 v3, 0
	s_delay_alu instid0(VALU_DEP_1)
	v_mov_b32_e32 v4, v3
	scratch_store_b64 off, v[3:4], off offset:216
	s_waitcnt vmcnt(0)
	ds_store_b64 v5, v[1:2]
.LBB52_273:
	s_or_b32 exec_lo, exec_lo, s0
	s_waitcnt lgkmcnt(0)
	s_waitcnt_vscnt null, 0x0
	s_barrier
	buffer_gl0_inv
	s_clause 0x4
	scratch_load_b128 v[113:116], off, off offset:216
	scratch_load_b128 v[117:120], off, off offset:232
	;; [unrolled: 1-line block ×5, first 2 shown]
	v_mov_b32_e32 v1, 0
	ds_load_b128 v[133:136], v1 offset:656
	ds_load_b128 v[137:140], v1 offset:672
	scratch_load_b128 v[141:144], off, off offset:296
	s_mov_b32 s0, exec_lo
	s_waitcnt vmcnt(5) lgkmcnt(1)
	v_fma_f64 v[2:3], v[115:116], v[133:134], 0
	s_waitcnt vmcnt(4)
	s_delay_alu instid0(VALU_DEP_1) | instskip(SKIP_4) | instid1(VALU_DEP_1)
	v_fma_f64 v[2:3], v[117:118], v[135:136], v[2:3]
	scratch_load_b128 v[115:118], off, off offset:312
	s_waitcnt lgkmcnt(0)
	v_fma_f64 v[2:3], v[119:120], v[137:138], v[2:3]
	s_waitcnt vmcnt(4)
	v_fma_f64 v[2:3], v[121:122], v[139:140], v[2:3]
	ds_load_b128 v[119:122], v1 offset:688
	ds_load_b128 v[133:136], v1 offset:704
	scratch_load_b128 v[137:140], off, off offset:328
	s_waitcnt lgkmcnt(1)
	v_fma_f64 v[2:3], v[123:124], v[119:120], v[2:3]
	s_waitcnt vmcnt(4)
	s_delay_alu instid0(VALU_DEP_1) | instskip(SKIP_4) | instid1(VALU_DEP_1)
	v_fma_f64 v[2:3], v[125:126], v[121:122], v[2:3]
	scratch_load_b128 v[119:122], off, off offset:344
	s_waitcnt lgkmcnt(0)
	v_fma_f64 v[2:3], v[127:128], v[133:134], v[2:3]
	s_waitcnt vmcnt(4)
	v_fma_f64 v[2:3], v[129:130], v[135:136], v[2:3]
	ds_load_b128 v[123:126], v1 offset:720
	ds_load_b128 v[127:130], v1 offset:736
	s_waitcnt lgkmcnt(1)
	v_fma_f64 v[2:3], v[131:132], v[123:124], v[2:3]
	scratch_load_b128 v[131:134], off, off offset:360
	s_waitcnt vmcnt(4)
	v_fma_f64 v[2:3], v[141:142], v[125:126], v[2:3]
	scratch_load_b128 v[123:126], off, off offset:376
	s_waitcnt lgkmcnt(0)
	v_fma_f64 v[2:3], v[143:144], v[127:128], v[2:3]
	s_waitcnt vmcnt(4)
	s_delay_alu instid0(VALU_DEP_1)
	v_fma_f64 v[2:3], v[115:116], v[129:130], v[2:3]
	ds_load_b128 v[127:130], v1 offset:752
	ds_load_b128 v[141:144], v1 offset:768
	s_waitcnt lgkmcnt(1)
	v_fma_f64 v[2:3], v[117:118], v[127:128], v[2:3]
	scratch_load_b128 v[115:118], off, off offset:392
	s_waitcnt vmcnt(4)
	v_fma_f64 v[2:3], v[137:138], v[129:130], v[2:3]
	scratch_load_b128 v[127:130], off, off offset:408
	s_waitcnt lgkmcnt(0)
	v_fma_f64 v[2:3], v[139:140], v[141:142], v[2:3]
	ds_load_b128 v[135:138], v1 offset:784
	ds_load_b128 v[139:142], v1 offset:800
	s_waitcnt vmcnt(4)
	v_fma_f64 v[2:3], v[119:120], v[143:144], v[2:3]
	s_waitcnt lgkmcnt(1)
	s_delay_alu instid0(VALU_DEP_1) | instskip(SKIP_1) | instid1(VALU_DEP_1)
	v_fma_f64 v[2:3], v[121:122], v[135:136], v[2:3]
	s_waitcnt vmcnt(3)
	v_fma_f64 v[2:3], v[131:132], v[137:138], v[2:3]
	s_waitcnt lgkmcnt(0)
	s_delay_alu instid0(VALU_DEP_1)
	v_fma_f64 v[2:3], v[133:134], v[139:140], v[2:3]
	ds_load_b128 v[119:122], v1 offset:816
	ds_load_b128 v[131:134], v1 offset:832
	s_waitcnt vmcnt(2)
	v_fma_f64 v[2:3], v[123:124], v[141:142], v[2:3]
	s_waitcnt lgkmcnt(1)
	s_delay_alu instid0(VALU_DEP_1) | instskip(SKIP_1) | instid1(VALU_DEP_1)
	v_fma_f64 v[2:3], v[125:126], v[119:120], v[2:3]
	s_waitcnt vmcnt(1)
	v_fma_f64 v[2:3], v[115:116], v[121:122], v[2:3]
	ds_load_b64 v[115:116], v1 offset:848
	s_waitcnt lgkmcnt(1)
	v_fma_f64 v[2:3], v[117:118], v[131:132], v[2:3]
	s_waitcnt vmcnt(0)
	s_delay_alu instid0(VALU_DEP_1) | instskip(SKIP_1) | instid1(VALU_DEP_1)
	v_fma_f64 v[2:3], v[127:128], v[133:134], v[2:3]
	s_waitcnt lgkmcnt(0)
	v_fma_f64 v[2:3], v[129:130], v[115:116], v[2:3]
	s_delay_alu instid0(VALU_DEP_1)
	v_add_f64 v[2:3], v[113:114], -v[2:3]
	scratch_store_b64 off, v[2:3], off offset:216
	v_cmpx_lt_u32_e32 26, v0
	s_cbranch_execz .LBB52_275
; %bb.274:
	scratch_load_b64 v[3:4], off, off offset:208
	v_mov_b32_e32 v2, v1
	scratch_store_b64 off, v[1:2], off offset:208
	s_waitcnt vmcnt(0)
	ds_store_b64 v5, v[3:4]
.LBB52_275:
	s_or_b32 exec_lo, exec_lo, s0
	s_waitcnt lgkmcnt(0)
	s_waitcnt_vscnt null, 0x0
	s_barrier
	buffer_gl0_inv
	s_clause 0x4
	scratch_load_b128 v[113:116], off, off offset:208
	scratch_load_b128 v[117:120], off, off offset:224
	;; [unrolled: 1-line block ×5, first 2 shown]
	ds_load_2addr_b64 v[133:136], v1 offset0:81 offset1:82
	ds_load_2addr_b64 v[137:140], v1 offset0:83 offset1:84
	scratch_load_b128 v[141:144], off, off offset:288
	s_mov_b32 s0, exec_lo
	s_waitcnt vmcnt(5) lgkmcnt(1)
	v_fma_f64 v[2:3], v[115:116], v[133:134], 0
	s_waitcnt vmcnt(4)
	s_delay_alu instid0(VALU_DEP_1) | instskip(SKIP_4) | instid1(VALU_DEP_1)
	v_fma_f64 v[2:3], v[117:118], v[135:136], v[2:3]
	scratch_load_b128 v[115:118], off, off offset:304
	s_waitcnt lgkmcnt(0)
	v_fma_f64 v[2:3], v[119:120], v[137:138], v[2:3]
	s_waitcnt vmcnt(4)
	v_fma_f64 v[2:3], v[121:122], v[139:140], v[2:3]
	ds_load_2addr_b64 v[119:122], v1 offset0:85 offset1:86
	ds_load_2addr_b64 v[133:136], v1 offset0:87 offset1:88
	scratch_load_b128 v[137:140], off, off offset:320
	s_waitcnt lgkmcnt(1)
	v_fma_f64 v[2:3], v[123:124], v[119:120], v[2:3]
	s_waitcnt vmcnt(4)
	s_delay_alu instid0(VALU_DEP_1) | instskip(SKIP_4) | instid1(VALU_DEP_1)
	v_fma_f64 v[2:3], v[125:126], v[121:122], v[2:3]
	scratch_load_b128 v[119:122], off, off offset:336
	s_waitcnt lgkmcnt(0)
	v_fma_f64 v[2:3], v[127:128], v[133:134], v[2:3]
	s_waitcnt vmcnt(4)
	v_fma_f64 v[2:3], v[129:130], v[135:136], v[2:3]
	ds_load_2addr_b64 v[123:126], v1 offset0:89 offset1:90
	ds_load_2addr_b64 v[127:130], v1 offset0:91 offset1:92
	s_waitcnt lgkmcnt(1)
	v_fma_f64 v[2:3], v[131:132], v[123:124], v[2:3]
	scratch_load_b128 v[131:134], off, off offset:352
	s_waitcnt vmcnt(4)
	v_fma_f64 v[2:3], v[141:142], v[125:126], v[2:3]
	scratch_load_b128 v[123:126], off, off offset:368
	s_waitcnt lgkmcnt(0)
	v_fma_f64 v[2:3], v[143:144], v[127:128], v[2:3]
	s_waitcnt vmcnt(4)
	s_delay_alu instid0(VALU_DEP_1)
	v_fma_f64 v[2:3], v[115:116], v[129:130], v[2:3]
	ds_load_2addr_b64 v[127:130], v1 offset0:93 offset1:94
	ds_load_2addr_b64 v[141:144], v1 offset0:95 offset1:96
	s_waitcnt lgkmcnt(1)
	v_fma_f64 v[2:3], v[117:118], v[127:128], v[2:3]
	scratch_load_b128 v[115:118], off, off offset:384
	s_waitcnt vmcnt(4)
	v_fma_f64 v[2:3], v[137:138], v[129:130], v[2:3]
	scratch_load_b128 v[127:130], off, off offset:400
	s_waitcnt lgkmcnt(0)
	v_fma_f64 v[2:3], v[139:140], v[141:142], v[2:3]
	ds_load_2addr_b64 v[135:138], v1 offset0:97 offset1:98
	ds_load_2addr_b64 v[139:142], v1 offset0:99 offset1:100
	s_waitcnt vmcnt(4)
	v_fma_f64 v[2:3], v[119:120], v[143:144], v[2:3]
	s_waitcnt lgkmcnt(1)
	s_delay_alu instid0(VALU_DEP_1) | instskip(SKIP_4) | instid1(VALU_DEP_1)
	v_fma_f64 v[2:3], v[121:122], v[135:136], v[2:3]
	scratch_load_b64 v[135:136], off, off offset:416
	s_waitcnt vmcnt(4)
	v_fma_f64 v[2:3], v[131:132], v[137:138], v[2:3]
	s_waitcnt lgkmcnt(0)
	v_fma_f64 v[2:3], v[133:134], v[139:140], v[2:3]
	ds_load_2addr_b64 v[119:122], v1 offset0:101 offset1:102
	ds_load_2addr_b64 v[131:134], v1 offset0:103 offset1:104
	s_waitcnt vmcnt(3)
	v_fma_f64 v[2:3], v[123:124], v[141:142], v[2:3]
	s_waitcnt lgkmcnt(1)
	s_delay_alu instid0(VALU_DEP_1) | instskip(SKIP_1) | instid1(VALU_DEP_1)
	v_fma_f64 v[2:3], v[125:126], v[119:120], v[2:3]
	s_waitcnt vmcnt(2)
	v_fma_f64 v[2:3], v[115:116], v[121:122], v[2:3]
	s_waitcnt lgkmcnt(0)
	s_delay_alu instid0(VALU_DEP_1) | instskip(SKIP_1) | instid1(VALU_DEP_1)
	v_fma_f64 v[2:3], v[117:118], v[131:132], v[2:3]
	s_waitcnt vmcnt(1)
	v_fma_f64 v[115:116], v[127:128], v[133:134], v[2:3]
	ds_load_2addr_b64 v[1:4], v1 offset0:105 offset1:106
	s_waitcnt lgkmcnt(0)
	v_fma_f64 v[1:2], v[129:130], v[1:2], v[115:116]
	s_waitcnt vmcnt(0)
	s_delay_alu instid0(VALU_DEP_1) | instskip(NEXT) | instid1(VALU_DEP_1)
	v_fma_f64 v[1:2], v[135:136], v[3:4], v[1:2]
	v_add_f64 v[1:2], v[113:114], -v[1:2]
	scratch_store_b64 off, v[1:2], off offset:208
	v_cmpx_lt_u32_e32 25, v0
	s_cbranch_execz .LBB52_277
; %bb.276:
	scratch_load_b64 v[1:2], off, off offset:200
	v_mov_b32_e32 v3, 0
	s_delay_alu instid0(VALU_DEP_1)
	v_mov_b32_e32 v4, v3
	scratch_store_b64 off, v[3:4], off offset:200
	s_waitcnt vmcnt(0)
	ds_store_b64 v5, v[1:2]
.LBB52_277:
	s_or_b32 exec_lo, exec_lo, s0
	s_waitcnt lgkmcnt(0)
	s_waitcnt_vscnt null, 0x0
	s_barrier
	buffer_gl0_inv
	s_clause 0x4
	scratch_load_b128 v[113:116], off, off offset:200
	scratch_load_b128 v[117:120], off, off offset:216
	scratch_load_b128 v[121:124], off, off offset:232
	scratch_load_b128 v[125:128], off, off offset:248
	scratch_load_b128 v[129:132], off, off offset:264
	v_mov_b32_e32 v1, 0
	ds_load_b128 v[133:136], v1 offset:640
	ds_load_b128 v[137:140], v1 offset:656
	scratch_load_b128 v[141:144], off, off offset:280
	s_mov_b32 s0, exec_lo
	s_waitcnt vmcnt(5) lgkmcnt(1)
	v_fma_f64 v[2:3], v[115:116], v[133:134], 0
	s_waitcnt vmcnt(4)
	s_delay_alu instid0(VALU_DEP_1) | instskip(SKIP_4) | instid1(VALU_DEP_1)
	v_fma_f64 v[2:3], v[117:118], v[135:136], v[2:3]
	scratch_load_b128 v[115:118], off, off offset:296
	s_waitcnt lgkmcnt(0)
	v_fma_f64 v[2:3], v[119:120], v[137:138], v[2:3]
	s_waitcnt vmcnt(4)
	v_fma_f64 v[2:3], v[121:122], v[139:140], v[2:3]
	ds_load_b128 v[119:122], v1 offset:672
	ds_load_b128 v[133:136], v1 offset:688
	scratch_load_b128 v[137:140], off, off offset:312
	s_waitcnt lgkmcnt(1)
	v_fma_f64 v[2:3], v[123:124], v[119:120], v[2:3]
	s_waitcnt vmcnt(4)
	s_delay_alu instid0(VALU_DEP_1) | instskip(SKIP_4) | instid1(VALU_DEP_1)
	v_fma_f64 v[2:3], v[125:126], v[121:122], v[2:3]
	scratch_load_b128 v[119:122], off, off offset:328
	s_waitcnt lgkmcnt(0)
	v_fma_f64 v[2:3], v[127:128], v[133:134], v[2:3]
	s_waitcnt vmcnt(4)
	v_fma_f64 v[2:3], v[129:130], v[135:136], v[2:3]
	ds_load_b128 v[123:126], v1 offset:704
	ds_load_b128 v[127:130], v1 offset:720
	s_waitcnt lgkmcnt(1)
	v_fma_f64 v[2:3], v[131:132], v[123:124], v[2:3]
	scratch_load_b128 v[131:134], off, off offset:344
	s_waitcnt vmcnt(4)
	v_fma_f64 v[2:3], v[141:142], v[125:126], v[2:3]
	scratch_load_b128 v[123:126], off, off offset:360
	s_waitcnt lgkmcnt(0)
	v_fma_f64 v[2:3], v[143:144], v[127:128], v[2:3]
	s_waitcnt vmcnt(4)
	s_delay_alu instid0(VALU_DEP_1)
	v_fma_f64 v[2:3], v[115:116], v[129:130], v[2:3]
	ds_load_b128 v[127:130], v1 offset:736
	ds_load_b128 v[141:144], v1 offset:752
	s_waitcnt lgkmcnt(1)
	v_fma_f64 v[2:3], v[117:118], v[127:128], v[2:3]
	scratch_load_b128 v[115:118], off, off offset:376
	s_waitcnt vmcnt(4)
	v_fma_f64 v[2:3], v[137:138], v[129:130], v[2:3]
	scratch_load_b128 v[127:130], off, off offset:392
	s_waitcnt lgkmcnt(0)
	v_fma_f64 v[2:3], v[139:140], v[141:142], v[2:3]
	ds_load_b128 v[135:138], v1 offset:768
	ds_load_b128 v[139:142], v1 offset:784
	s_waitcnt vmcnt(4)
	v_fma_f64 v[2:3], v[119:120], v[143:144], v[2:3]
	s_waitcnt lgkmcnt(1)
	s_delay_alu instid0(VALU_DEP_1) | instskip(SKIP_4) | instid1(VALU_DEP_1)
	v_fma_f64 v[2:3], v[121:122], v[135:136], v[2:3]
	scratch_load_b128 v[119:122], off, off offset:408
	s_waitcnt vmcnt(4)
	v_fma_f64 v[2:3], v[131:132], v[137:138], v[2:3]
	s_waitcnt lgkmcnt(0)
	v_fma_f64 v[2:3], v[133:134], v[139:140], v[2:3]
	ds_load_b128 v[131:134], v1 offset:800
	ds_load_b128 v[135:138], v1 offset:816
	s_waitcnt vmcnt(3)
	v_fma_f64 v[2:3], v[123:124], v[141:142], v[2:3]
	s_waitcnt lgkmcnt(1)
	s_delay_alu instid0(VALU_DEP_1) | instskip(SKIP_1) | instid1(VALU_DEP_1)
	v_fma_f64 v[2:3], v[125:126], v[131:132], v[2:3]
	s_waitcnt vmcnt(2)
	v_fma_f64 v[2:3], v[115:116], v[133:134], v[2:3]
	s_waitcnt lgkmcnt(0)
	s_delay_alu instid0(VALU_DEP_1)
	v_fma_f64 v[2:3], v[117:118], v[135:136], v[2:3]
	ds_load_b128 v[115:118], v1 offset:832
	ds_load_b64 v[123:124], v1 offset:848
	s_waitcnt vmcnt(1)
	v_fma_f64 v[2:3], v[127:128], v[137:138], v[2:3]
	s_waitcnt lgkmcnt(1)
	s_delay_alu instid0(VALU_DEP_1) | instskip(SKIP_1) | instid1(VALU_DEP_1)
	v_fma_f64 v[2:3], v[129:130], v[115:116], v[2:3]
	s_waitcnt vmcnt(0)
	v_fma_f64 v[2:3], v[119:120], v[117:118], v[2:3]
	s_waitcnt lgkmcnt(0)
	s_delay_alu instid0(VALU_DEP_1) | instskip(NEXT) | instid1(VALU_DEP_1)
	v_fma_f64 v[2:3], v[121:122], v[123:124], v[2:3]
	v_add_f64 v[2:3], v[113:114], -v[2:3]
	scratch_store_b64 off, v[2:3], off offset:200
	v_cmpx_lt_u32_e32 24, v0
	s_cbranch_execz .LBB52_279
; %bb.278:
	scratch_load_b64 v[3:4], off, off offset:192
	v_mov_b32_e32 v2, v1
	scratch_store_b64 off, v[1:2], off offset:192
	s_waitcnt vmcnt(0)
	ds_store_b64 v5, v[3:4]
.LBB52_279:
	s_or_b32 exec_lo, exec_lo, s0
	s_waitcnt lgkmcnt(0)
	s_waitcnt_vscnt null, 0x0
	s_barrier
	buffer_gl0_inv
	s_clause 0x4
	scratch_load_b128 v[113:116], off, off offset:192
	scratch_load_b128 v[117:120], off, off offset:208
	;; [unrolled: 1-line block ×5, first 2 shown]
	ds_load_2addr_b64 v[133:136], v1 offset0:79 offset1:80
	ds_load_2addr_b64 v[137:140], v1 offset0:81 offset1:82
	scratch_load_b128 v[141:144], off, off offset:272
	s_mov_b32 s0, exec_lo
	s_waitcnt vmcnt(5) lgkmcnt(1)
	v_fma_f64 v[2:3], v[115:116], v[133:134], 0
	s_waitcnt vmcnt(4)
	s_delay_alu instid0(VALU_DEP_1) | instskip(SKIP_4) | instid1(VALU_DEP_1)
	v_fma_f64 v[2:3], v[117:118], v[135:136], v[2:3]
	scratch_load_b128 v[115:118], off, off offset:288
	s_waitcnt lgkmcnt(0)
	v_fma_f64 v[2:3], v[119:120], v[137:138], v[2:3]
	s_waitcnt vmcnt(4)
	v_fma_f64 v[2:3], v[121:122], v[139:140], v[2:3]
	ds_load_2addr_b64 v[119:122], v1 offset0:83 offset1:84
	ds_load_2addr_b64 v[133:136], v1 offset0:85 offset1:86
	scratch_load_b128 v[137:140], off, off offset:304
	s_waitcnt lgkmcnt(1)
	v_fma_f64 v[2:3], v[123:124], v[119:120], v[2:3]
	s_waitcnt vmcnt(4)
	s_delay_alu instid0(VALU_DEP_1) | instskip(SKIP_4) | instid1(VALU_DEP_1)
	v_fma_f64 v[2:3], v[125:126], v[121:122], v[2:3]
	scratch_load_b128 v[119:122], off, off offset:320
	s_waitcnt lgkmcnt(0)
	v_fma_f64 v[2:3], v[127:128], v[133:134], v[2:3]
	s_waitcnt vmcnt(4)
	v_fma_f64 v[2:3], v[129:130], v[135:136], v[2:3]
	ds_load_2addr_b64 v[123:126], v1 offset0:87 offset1:88
	ds_load_2addr_b64 v[127:130], v1 offset0:89 offset1:90
	s_waitcnt lgkmcnt(1)
	v_fma_f64 v[2:3], v[131:132], v[123:124], v[2:3]
	scratch_load_b128 v[131:134], off, off offset:336
	s_waitcnt vmcnt(4)
	v_fma_f64 v[2:3], v[141:142], v[125:126], v[2:3]
	scratch_load_b128 v[123:126], off, off offset:352
	s_waitcnt lgkmcnt(0)
	v_fma_f64 v[2:3], v[143:144], v[127:128], v[2:3]
	s_waitcnt vmcnt(4)
	s_delay_alu instid0(VALU_DEP_1)
	v_fma_f64 v[2:3], v[115:116], v[129:130], v[2:3]
	ds_load_2addr_b64 v[127:130], v1 offset0:91 offset1:92
	ds_load_2addr_b64 v[141:144], v1 offset0:93 offset1:94
	s_waitcnt lgkmcnt(1)
	v_fma_f64 v[2:3], v[117:118], v[127:128], v[2:3]
	scratch_load_b128 v[115:118], off, off offset:368
	s_waitcnt vmcnt(4)
	v_fma_f64 v[2:3], v[137:138], v[129:130], v[2:3]
	scratch_load_b128 v[127:130], off, off offset:384
	s_waitcnt lgkmcnt(0)
	v_fma_f64 v[2:3], v[139:140], v[141:142], v[2:3]
	ds_load_2addr_b64 v[135:138], v1 offset0:95 offset1:96
	ds_load_2addr_b64 v[139:142], v1 offset0:97 offset1:98
	s_waitcnt vmcnt(4)
	v_fma_f64 v[2:3], v[119:120], v[143:144], v[2:3]
	s_waitcnt lgkmcnt(1)
	s_delay_alu instid0(VALU_DEP_1) | instskip(SKIP_4) | instid1(VALU_DEP_1)
	v_fma_f64 v[2:3], v[121:122], v[135:136], v[2:3]
	scratch_load_b128 v[119:122], off, off offset:400
	s_waitcnt vmcnt(4)
	v_fma_f64 v[2:3], v[131:132], v[137:138], v[2:3]
	s_waitcnt lgkmcnt(0)
	v_fma_f64 v[2:3], v[133:134], v[139:140], v[2:3]
	scratch_load_b64 v[139:140], off, off offset:416
	ds_load_2addr_b64 v[131:134], v1 offset0:99 offset1:100
	ds_load_2addr_b64 v[135:138], v1 offset0:101 offset1:102
	s_waitcnt vmcnt(4)
	v_fma_f64 v[2:3], v[123:124], v[141:142], v[2:3]
	s_waitcnt lgkmcnt(1)
	s_delay_alu instid0(VALU_DEP_1) | instskip(SKIP_1) | instid1(VALU_DEP_1)
	v_fma_f64 v[2:3], v[125:126], v[131:132], v[2:3]
	s_waitcnt vmcnt(3)
	v_fma_f64 v[2:3], v[115:116], v[133:134], v[2:3]
	s_waitcnt lgkmcnt(0)
	s_delay_alu instid0(VALU_DEP_1) | instskip(SKIP_1) | instid1(VALU_DEP_1)
	v_fma_f64 v[2:3], v[117:118], v[135:136], v[2:3]
	s_waitcnt vmcnt(2)
	v_fma_f64 v[123:124], v[127:128], v[137:138], v[2:3]
	ds_load_2addr_b64 v[115:118], v1 offset0:103 offset1:104
	ds_load_2addr_b64 v[1:4], v1 offset0:105 offset1:106
	s_waitcnt lgkmcnt(1)
	v_fma_f64 v[115:116], v[129:130], v[115:116], v[123:124]
	s_waitcnt vmcnt(1)
	s_delay_alu instid0(VALU_DEP_1) | instskip(SKIP_1) | instid1(VALU_DEP_1)
	v_fma_f64 v[115:116], v[119:120], v[117:118], v[115:116]
	s_waitcnt lgkmcnt(0)
	v_fma_f64 v[1:2], v[121:122], v[1:2], v[115:116]
	s_waitcnt vmcnt(0)
	s_delay_alu instid0(VALU_DEP_1) | instskip(NEXT) | instid1(VALU_DEP_1)
	v_fma_f64 v[1:2], v[139:140], v[3:4], v[1:2]
	v_add_f64 v[1:2], v[113:114], -v[1:2]
	scratch_store_b64 off, v[1:2], off offset:192
	v_cmpx_lt_u32_e32 23, v0
	s_cbranch_execz .LBB52_281
; %bb.280:
	scratch_load_b64 v[1:2], off, off offset:184
	v_mov_b32_e32 v3, 0
	s_delay_alu instid0(VALU_DEP_1)
	v_mov_b32_e32 v4, v3
	scratch_store_b64 off, v[3:4], off offset:184
	s_waitcnt vmcnt(0)
	ds_store_b64 v5, v[1:2]
.LBB52_281:
	s_or_b32 exec_lo, exec_lo, s0
	s_waitcnt lgkmcnt(0)
	s_waitcnt_vscnt null, 0x0
	s_barrier
	buffer_gl0_inv
	s_clause 0x4
	scratch_load_b128 v[113:116], off, off offset:184
	scratch_load_b128 v[117:120], off, off offset:200
	;; [unrolled: 1-line block ×5, first 2 shown]
	v_mov_b32_e32 v1, 0
	ds_load_b128 v[133:136], v1 offset:624
	ds_load_b128 v[137:140], v1 offset:640
	scratch_load_b128 v[141:144], off, off offset:264
	s_mov_b32 s0, exec_lo
	s_waitcnt vmcnt(5) lgkmcnt(1)
	v_fma_f64 v[2:3], v[115:116], v[133:134], 0
	s_waitcnt vmcnt(4)
	s_delay_alu instid0(VALU_DEP_1) | instskip(SKIP_4) | instid1(VALU_DEP_1)
	v_fma_f64 v[2:3], v[117:118], v[135:136], v[2:3]
	scratch_load_b128 v[115:118], off, off offset:280
	s_waitcnt lgkmcnt(0)
	v_fma_f64 v[2:3], v[119:120], v[137:138], v[2:3]
	s_waitcnt vmcnt(4)
	v_fma_f64 v[2:3], v[121:122], v[139:140], v[2:3]
	ds_load_b128 v[119:122], v1 offset:656
	ds_load_b128 v[133:136], v1 offset:672
	scratch_load_b128 v[137:140], off, off offset:296
	s_waitcnt lgkmcnt(1)
	v_fma_f64 v[2:3], v[123:124], v[119:120], v[2:3]
	s_waitcnt vmcnt(4)
	s_delay_alu instid0(VALU_DEP_1) | instskip(SKIP_4) | instid1(VALU_DEP_1)
	v_fma_f64 v[2:3], v[125:126], v[121:122], v[2:3]
	scratch_load_b128 v[119:122], off, off offset:312
	s_waitcnt lgkmcnt(0)
	v_fma_f64 v[2:3], v[127:128], v[133:134], v[2:3]
	s_waitcnt vmcnt(4)
	v_fma_f64 v[2:3], v[129:130], v[135:136], v[2:3]
	ds_load_b128 v[123:126], v1 offset:688
	ds_load_b128 v[127:130], v1 offset:704
	s_waitcnt lgkmcnt(1)
	v_fma_f64 v[2:3], v[131:132], v[123:124], v[2:3]
	scratch_load_b128 v[131:134], off, off offset:328
	s_waitcnt vmcnt(4)
	v_fma_f64 v[2:3], v[141:142], v[125:126], v[2:3]
	scratch_load_b128 v[123:126], off, off offset:344
	s_waitcnt lgkmcnt(0)
	v_fma_f64 v[2:3], v[143:144], v[127:128], v[2:3]
	s_waitcnt vmcnt(4)
	s_delay_alu instid0(VALU_DEP_1)
	v_fma_f64 v[2:3], v[115:116], v[129:130], v[2:3]
	ds_load_b128 v[127:130], v1 offset:720
	ds_load_b128 v[141:144], v1 offset:736
	s_waitcnt lgkmcnt(1)
	v_fma_f64 v[2:3], v[117:118], v[127:128], v[2:3]
	scratch_load_b128 v[115:118], off, off offset:360
	s_waitcnt vmcnt(4)
	v_fma_f64 v[2:3], v[137:138], v[129:130], v[2:3]
	scratch_load_b128 v[127:130], off, off offset:376
	s_waitcnt lgkmcnt(0)
	v_fma_f64 v[2:3], v[139:140], v[141:142], v[2:3]
	ds_load_b128 v[135:138], v1 offset:752
	ds_load_b128 v[139:142], v1 offset:768
	s_waitcnt vmcnt(4)
	v_fma_f64 v[2:3], v[119:120], v[143:144], v[2:3]
	s_waitcnt lgkmcnt(1)
	s_delay_alu instid0(VALU_DEP_1) | instskip(SKIP_4) | instid1(VALU_DEP_1)
	v_fma_f64 v[2:3], v[121:122], v[135:136], v[2:3]
	scratch_load_b128 v[119:122], off, off offset:392
	s_waitcnt vmcnt(4)
	v_fma_f64 v[2:3], v[131:132], v[137:138], v[2:3]
	s_waitcnt lgkmcnt(0)
	v_fma_f64 v[2:3], v[133:134], v[139:140], v[2:3]
	scratch_load_b128 v[131:134], off, off offset:408
	s_waitcnt vmcnt(4)
	v_fma_f64 v[2:3], v[123:124], v[141:142], v[2:3]
	ds_load_b128 v[135:138], v1 offset:784
	ds_load_b128 v[139:142], v1 offset:800
	s_waitcnt lgkmcnt(1)
	v_fma_f64 v[2:3], v[125:126], v[135:136], v[2:3]
	s_waitcnt vmcnt(3)
	s_delay_alu instid0(VALU_DEP_1) | instskip(SKIP_1) | instid1(VALU_DEP_1)
	v_fma_f64 v[2:3], v[115:116], v[137:138], v[2:3]
	s_waitcnt lgkmcnt(0)
	v_fma_f64 v[2:3], v[117:118], v[139:140], v[2:3]
	ds_load_b128 v[115:118], v1 offset:816
	ds_load_b128 v[123:126], v1 offset:832
	s_waitcnt vmcnt(2)
	v_fma_f64 v[2:3], v[127:128], v[141:142], v[2:3]
	s_waitcnt lgkmcnt(1)
	s_delay_alu instid0(VALU_DEP_1) | instskip(SKIP_4) | instid1(VALU_DEP_1)
	v_fma_f64 v[2:3], v[129:130], v[115:116], v[2:3]
	ds_load_b64 v[115:116], v1 offset:848
	s_waitcnt vmcnt(1)
	v_fma_f64 v[2:3], v[119:120], v[117:118], v[2:3]
	s_waitcnt lgkmcnt(1)
	v_fma_f64 v[2:3], v[121:122], v[123:124], v[2:3]
	s_waitcnt vmcnt(0)
	s_delay_alu instid0(VALU_DEP_1) | instskip(SKIP_1) | instid1(VALU_DEP_1)
	v_fma_f64 v[2:3], v[131:132], v[125:126], v[2:3]
	s_waitcnt lgkmcnt(0)
	v_fma_f64 v[2:3], v[133:134], v[115:116], v[2:3]
	s_delay_alu instid0(VALU_DEP_1)
	v_add_f64 v[2:3], v[113:114], -v[2:3]
	scratch_store_b64 off, v[2:3], off offset:184
	v_cmpx_lt_u32_e32 22, v0
	s_cbranch_execz .LBB52_283
; %bb.282:
	scratch_load_b64 v[3:4], off, off offset:176
	v_mov_b32_e32 v2, v1
	scratch_store_b64 off, v[1:2], off offset:176
	s_waitcnt vmcnt(0)
	ds_store_b64 v5, v[3:4]
.LBB52_283:
	s_or_b32 exec_lo, exec_lo, s0
	s_waitcnt lgkmcnt(0)
	s_waitcnt_vscnt null, 0x0
	s_barrier
	buffer_gl0_inv
	s_clause 0x4
	scratch_load_b128 v[113:116], off, off offset:176
	scratch_load_b128 v[117:120], off, off offset:192
	;; [unrolled: 1-line block ×5, first 2 shown]
	ds_load_2addr_b64 v[133:136], v1 offset0:77 offset1:78
	ds_load_2addr_b64 v[137:140], v1 offset0:79 offset1:80
	scratch_load_b128 v[141:144], off, off offset:256
	s_mov_b32 s0, exec_lo
	s_waitcnt vmcnt(5) lgkmcnt(1)
	v_fma_f64 v[2:3], v[115:116], v[133:134], 0
	s_waitcnt vmcnt(4)
	s_delay_alu instid0(VALU_DEP_1) | instskip(SKIP_4) | instid1(VALU_DEP_1)
	v_fma_f64 v[2:3], v[117:118], v[135:136], v[2:3]
	scratch_load_b128 v[115:118], off, off offset:272
	s_waitcnt lgkmcnt(0)
	v_fma_f64 v[2:3], v[119:120], v[137:138], v[2:3]
	s_waitcnt vmcnt(4)
	v_fma_f64 v[2:3], v[121:122], v[139:140], v[2:3]
	ds_load_2addr_b64 v[119:122], v1 offset0:81 offset1:82
	ds_load_2addr_b64 v[133:136], v1 offset0:83 offset1:84
	scratch_load_b128 v[137:140], off, off offset:288
	s_waitcnt lgkmcnt(1)
	v_fma_f64 v[2:3], v[123:124], v[119:120], v[2:3]
	s_waitcnt vmcnt(4)
	s_delay_alu instid0(VALU_DEP_1) | instskip(SKIP_4) | instid1(VALU_DEP_1)
	v_fma_f64 v[2:3], v[125:126], v[121:122], v[2:3]
	scratch_load_b128 v[119:122], off, off offset:304
	s_waitcnt lgkmcnt(0)
	v_fma_f64 v[2:3], v[127:128], v[133:134], v[2:3]
	s_waitcnt vmcnt(4)
	v_fma_f64 v[2:3], v[129:130], v[135:136], v[2:3]
	ds_load_2addr_b64 v[123:126], v1 offset0:85 offset1:86
	ds_load_2addr_b64 v[127:130], v1 offset0:87 offset1:88
	s_waitcnt lgkmcnt(1)
	v_fma_f64 v[2:3], v[131:132], v[123:124], v[2:3]
	scratch_load_b128 v[131:134], off, off offset:320
	s_waitcnt vmcnt(4)
	v_fma_f64 v[2:3], v[141:142], v[125:126], v[2:3]
	scratch_load_b128 v[123:126], off, off offset:336
	s_waitcnt lgkmcnt(0)
	v_fma_f64 v[2:3], v[143:144], v[127:128], v[2:3]
	s_waitcnt vmcnt(4)
	s_delay_alu instid0(VALU_DEP_1)
	v_fma_f64 v[2:3], v[115:116], v[129:130], v[2:3]
	ds_load_2addr_b64 v[127:130], v1 offset0:89 offset1:90
	ds_load_2addr_b64 v[141:144], v1 offset0:91 offset1:92
	s_waitcnt lgkmcnt(1)
	v_fma_f64 v[2:3], v[117:118], v[127:128], v[2:3]
	scratch_load_b128 v[115:118], off, off offset:352
	s_waitcnt vmcnt(4)
	v_fma_f64 v[2:3], v[137:138], v[129:130], v[2:3]
	scratch_load_b128 v[127:130], off, off offset:368
	s_waitcnt lgkmcnt(0)
	v_fma_f64 v[2:3], v[139:140], v[141:142], v[2:3]
	ds_load_2addr_b64 v[135:138], v1 offset0:93 offset1:94
	ds_load_2addr_b64 v[139:142], v1 offset0:95 offset1:96
	s_waitcnt vmcnt(4)
	v_fma_f64 v[2:3], v[119:120], v[143:144], v[2:3]
	s_waitcnt lgkmcnt(1)
	s_delay_alu instid0(VALU_DEP_1) | instskip(SKIP_4) | instid1(VALU_DEP_1)
	v_fma_f64 v[2:3], v[121:122], v[135:136], v[2:3]
	scratch_load_b128 v[119:122], off, off offset:384
	s_waitcnt vmcnt(4)
	v_fma_f64 v[2:3], v[131:132], v[137:138], v[2:3]
	s_waitcnt lgkmcnt(0)
	v_fma_f64 v[2:3], v[133:134], v[139:140], v[2:3]
	scratch_load_b128 v[131:134], off, off offset:400
	s_waitcnt vmcnt(4)
	v_fma_f64 v[2:3], v[123:124], v[141:142], v[2:3]
	ds_load_2addr_b64 v[135:138], v1 offset0:97 offset1:98
	ds_load_2addr_b64 v[139:142], v1 offset0:99 offset1:100
	s_waitcnt lgkmcnt(1)
	v_fma_f64 v[2:3], v[125:126], v[135:136], v[2:3]
	scratch_load_b64 v[135:136], off, off offset:416
	s_waitcnt vmcnt(4)
	v_fma_f64 v[2:3], v[115:116], v[137:138], v[2:3]
	s_waitcnt lgkmcnt(0)
	s_delay_alu instid0(VALU_DEP_1)
	v_fma_f64 v[2:3], v[117:118], v[139:140], v[2:3]
	ds_load_2addr_b64 v[115:118], v1 offset0:101 offset1:102
	ds_load_2addr_b64 v[123:126], v1 offset0:103 offset1:104
	s_waitcnt vmcnt(3)
	v_fma_f64 v[2:3], v[127:128], v[141:142], v[2:3]
	s_waitcnt lgkmcnt(1)
	s_delay_alu instid0(VALU_DEP_1) | instskip(SKIP_1) | instid1(VALU_DEP_1)
	v_fma_f64 v[2:3], v[129:130], v[115:116], v[2:3]
	s_waitcnt vmcnt(2)
	v_fma_f64 v[2:3], v[119:120], v[117:118], v[2:3]
	s_waitcnt lgkmcnt(0)
	s_delay_alu instid0(VALU_DEP_1) | instskip(SKIP_1) | instid1(VALU_DEP_1)
	v_fma_f64 v[2:3], v[121:122], v[123:124], v[2:3]
	s_waitcnt vmcnt(1)
	v_fma_f64 v[115:116], v[131:132], v[125:126], v[2:3]
	ds_load_2addr_b64 v[1:4], v1 offset0:105 offset1:106
	s_waitcnt lgkmcnt(0)
	v_fma_f64 v[1:2], v[133:134], v[1:2], v[115:116]
	s_waitcnt vmcnt(0)
	s_delay_alu instid0(VALU_DEP_1) | instskip(NEXT) | instid1(VALU_DEP_1)
	v_fma_f64 v[1:2], v[135:136], v[3:4], v[1:2]
	v_add_f64 v[1:2], v[113:114], -v[1:2]
	scratch_store_b64 off, v[1:2], off offset:176
	v_cmpx_lt_u32_e32 21, v0
	s_cbranch_execz .LBB52_285
; %bb.284:
	scratch_load_b64 v[1:2], off, off offset:168
	v_mov_b32_e32 v3, 0
	s_delay_alu instid0(VALU_DEP_1)
	v_mov_b32_e32 v4, v3
	scratch_store_b64 off, v[3:4], off offset:168
	s_waitcnt vmcnt(0)
	ds_store_b64 v5, v[1:2]
.LBB52_285:
	s_or_b32 exec_lo, exec_lo, s0
	s_waitcnt lgkmcnt(0)
	s_waitcnt_vscnt null, 0x0
	s_barrier
	buffer_gl0_inv
	s_clause 0x4
	scratch_load_b128 v[113:116], off, off offset:168
	scratch_load_b128 v[117:120], off, off offset:184
	;; [unrolled: 1-line block ×5, first 2 shown]
	v_mov_b32_e32 v1, 0
	ds_load_b128 v[133:136], v1 offset:608
	ds_load_b128 v[137:140], v1 offset:624
	scratch_load_b128 v[141:144], off, off offset:248
	s_mov_b32 s0, exec_lo
	s_waitcnt vmcnt(5) lgkmcnt(1)
	v_fma_f64 v[2:3], v[115:116], v[133:134], 0
	s_waitcnt vmcnt(4)
	s_delay_alu instid0(VALU_DEP_1) | instskip(SKIP_4) | instid1(VALU_DEP_1)
	v_fma_f64 v[2:3], v[117:118], v[135:136], v[2:3]
	scratch_load_b128 v[115:118], off, off offset:264
	s_waitcnt lgkmcnt(0)
	v_fma_f64 v[2:3], v[119:120], v[137:138], v[2:3]
	s_waitcnt vmcnt(4)
	v_fma_f64 v[2:3], v[121:122], v[139:140], v[2:3]
	ds_load_b128 v[119:122], v1 offset:640
	ds_load_b128 v[133:136], v1 offset:656
	scratch_load_b128 v[137:140], off, off offset:280
	s_waitcnt lgkmcnt(1)
	v_fma_f64 v[2:3], v[123:124], v[119:120], v[2:3]
	s_waitcnt vmcnt(4)
	s_delay_alu instid0(VALU_DEP_1) | instskip(SKIP_4) | instid1(VALU_DEP_1)
	v_fma_f64 v[2:3], v[125:126], v[121:122], v[2:3]
	scratch_load_b128 v[119:122], off, off offset:296
	s_waitcnt lgkmcnt(0)
	v_fma_f64 v[2:3], v[127:128], v[133:134], v[2:3]
	s_waitcnt vmcnt(4)
	v_fma_f64 v[2:3], v[129:130], v[135:136], v[2:3]
	ds_load_b128 v[123:126], v1 offset:672
	ds_load_b128 v[127:130], v1 offset:688
	s_waitcnt lgkmcnt(1)
	v_fma_f64 v[2:3], v[131:132], v[123:124], v[2:3]
	scratch_load_b128 v[131:134], off, off offset:312
	s_waitcnt vmcnt(4)
	v_fma_f64 v[2:3], v[141:142], v[125:126], v[2:3]
	scratch_load_b128 v[123:126], off, off offset:328
	s_waitcnt lgkmcnt(0)
	v_fma_f64 v[2:3], v[143:144], v[127:128], v[2:3]
	s_waitcnt vmcnt(4)
	s_delay_alu instid0(VALU_DEP_1)
	v_fma_f64 v[2:3], v[115:116], v[129:130], v[2:3]
	ds_load_b128 v[127:130], v1 offset:704
	ds_load_b128 v[141:144], v1 offset:720
	s_waitcnt lgkmcnt(1)
	v_fma_f64 v[2:3], v[117:118], v[127:128], v[2:3]
	scratch_load_b128 v[115:118], off, off offset:344
	s_waitcnt vmcnt(4)
	v_fma_f64 v[2:3], v[137:138], v[129:130], v[2:3]
	scratch_load_b128 v[127:130], off, off offset:360
	s_waitcnt lgkmcnt(0)
	v_fma_f64 v[2:3], v[139:140], v[141:142], v[2:3]
	ds_load_b128 v[135:138], v1 offset:736
	ds_load_b128 v[139:142], v1 offset:752
	s_waitcnt vmcnt(4)
	v_fma_f64 v[2:3], v[119:120], v[143:144], v[2:3]
	s_waitcnt lgkmcnt(1)
	s_delay_alu instid0(VALU_DEP_1) | instskip(SKIP_4) | instid1(VALU_DEP_1)
	v_fma_f64 v[2:3], v[121:122], v[135:136], v[2:3]
	scratch_load_b128 v[119:122], off, off offset:376
	s_waitcnt vmcnt(4)
	v_fma_f64 v[2:3], v[131:132], v[137:138], v[2:3]
	s_waitcnt lgkmcnt(0)
	v_fma_f64 v[2:3], v[133:134], v[139:140], v[2:3]
	scratch_load_b128 v[131:134], off, off offset:392
	s_waitcnt vmcnt(4)
	v_fma_f64 v[2:3], v[123:124], v[141:142], v[2:3]
	ds_load_b128 v[135:138], v1 offset:768
	ds_load_b128 v[139:142], v1 offset:784
	s_waitcnt lgkmcnt(1)
	v_fma_f64 v[2:3], v[125:126], v[135:136], v[2:3]
	scratch_load_b128 v[123:126], off, off offset:408
	s_waitcnt vmcnt(4)
	v_fma_f64 v[2:3], v[115:116], v[137:138], v[2:3]
	s_waitcnt lgkmcnt(0)
	s_delay_alu instid0(VALU_DEP_1)
	v_fma_f64 v[2:3], v[117:118], v[139:140], v[2:3]
	ds_load_b128 v[115:118], v1 offset:800
	ds_load_b128 v[135:138], v1 offset:816
	s_waitcnt vmcnt(3)
	v_fma_f64 v[2:3], v[127:128], v[141:142], v[2:3]
	s_waitcnt lgkmcnt(1)
	s_delay_alu instid0(VALU_DEP_1) | instskip(SKIP_1) | instid1(VALU_DEP_1)
	v_fma_f64 v[2:3], v[129:130], v[115:116], v[2:3]
	s_waitcnt vmcnt(2)
	v_fma_f64 v[2:3], v[119:120], v[117:118], v[2:3]
	ds_load_b128 v[115:118], v1 offset:832
	ds_load_b64 v[119:120], v1 offset:848
	s_waitcnt lgkmcnt(2)
	v_fma_f64 v[2:3], v[121:122], v[135:136], v[2:3]
	s_waitcnt vmcnt(1)
	s_delay_alu instid0(VALU_DEP_1) | instskip(SKIP_1) | instid1(VALU_DEP_1)
	v_fma_f64 v[2:3], v[131:132], v[137:138], v[2:3]
	s_waitcnt lgkmcnt(1)
	v_fma_f64 v[2:3], v[133:134], v[115:116], v[2:3]
	s_waitcnt vmcnt(0)
	s_delay_alu instid0(VALU_DEP_1) | instskip(SKIP_1) | instid1(VALU_DEP_1)
	v_fma_f64 v[2:3], v[123:124], v[117:118], v[2:3]
	s_waitcnt lgkmcnt(0)
	v_fma_f64 v[2:3], v[125:126], v[119:120], v[2:3]
	s_delay_alu instid0(VALU_DEP_1)
	v_add_f64 v[2:3], v[113:114], -v[2:3]
	scratch_store_b64 off, v[2:3], off offset:168
	v_cmpx_lt_u32_e32 20, v0
	s_cbranch_execz .LBB52_287
; %bb.286:
	scratch_load_b64 v[3:4], off, off offset:160
	v_mov_b32_e32 v2, v1
	scratch_store_b64 off, v[1:2], off offset:160
	s_waitcnt vmcnt(0)
	ds_store_b64 v5, v[3:4]
.LBB52_287:
	s_or_b32 exec_lo, exec_lo, s0
	s_waitcnt lgkmcnt(0)
	s_waitcnt_vscnt null, 0x0
	s_barrier
	buffer_gl0_inv
	s_clause 0x4
	scratch_load_b128 v[113:116], off, off offset:160
	scratch_load_b128 v[117:120], off, off offset:176
	;; [unrolled: 1-line block ×5, first 2 shown]
	ds_load_2addr_b64 v[133:136], v1 offset0:75 offset1:76
	ds_load_2addr_b64 v[137:140], v1 offset0:77 offset1:78
	scratch_load_b128 v[141:144], off, off offset:240
	s_mov_b32 s0, exec_lo
	s_waitcnt vmcnt(5) lgkmcnt(1)
	v_fma_f64 v[2:3], v[115:116], v[133:134], 0
	s_waitcnt vmcnt(4)
	s_delay_alu instid0(VALU_DEP_1) | instskip(SKIP_4) | instid1(VALU_DEP_1)
	v_fma_f64 v[2:3], v[117:118], v[135:136], v[2:3]
	scratch_load_b128 v[115:118], off, off offset:256
	s_waitcnt lgkmcnt(0)
	v_fma_f64 v[2:3], v[119:120], v[137:138], v[2:3]
	s_waitcnt vmcnt(4)
	v_fma_f64 v[2:3], v[121:122], v[139:140], v[2:3]
	ds_load_2addr_b64 v[119:122], v1 offset0:79 offset1:80
	ds_load_2addr_b64 v[133:136], v1 offset0:81 offset1:82
	scratch_load_b128 v[137:140], off, off offset:272
	s_waitcnt lgkmcnt(1)
	v_fma_f64 v[2:3], v[123:124], v[119:120], v[2:3]
	s_waitcnt vmcnt(4)
	s_delay_alu instid0(VALU_DEP_1) | instskip(SKIP_4) | instid1(VALU_DEP_1)
	v_fma_f64 v[2:3], v[125:126], v[121:122], v[2:3]
	scratch_load_b128 v[119:122], off, off offset:288
	s_waitcnt lgkmcnt(0)
	v_fma_f64 v[2:3], v[127:128], v[133:134], v[2:3]
	s_waitcnt vmcnt(4)
	v_fma_f64 v[2:3], v[129:130], v[135:136], v[2:3]
	ds_load_2addr_b64 v[123:126], v1 offset0:83 offset1:84
	ds_load_2addr_b64 v[127:130], v1 offset0:85 offset1:86
	s_waitcnt lgkmcnt(1)
	v_fma_f64 v[2:3], v[131:132], v[123:124], v[2:3]
	scratch_load_b128 v[131:134], off, off offset:304
	s_waitcnt vmcnt(4)
	v_fma_f64 v[2:3], v[141:142], v[125:126], v[2:3]
	scratch_load_b128 v[123:126], off, off offset:320
	s_waitcnt lgkmcnt(0)
	v_fma_f64 v[2:3], v[143:144], v[127:128], v[2:3]
	s_waitcnt vmcnt(4)
	s_delay_alu instid0(VALU_DEP_1)
	v_fma_f64 v[2:3], v[115:116], v[129:130], v[2:3]
	ds_load_2addr_b64 v[127:130], v1 offset0:87 offset1:88
	ds_load_2addr_b64 v[141:144], v1 offset0:89 offset1:90
	s_waitcnt lgkmcnt(1)
	v_fma_f64 v[2:3], v[117:118], v[127:128], v[2:3]
	scratch_load_b128 v[115:118], off, off offset:336
	s_waitcnt vmcnt(4)
	v_fma_f64 v[2:3], v[137:138], v[129:130], v[2:3]
	scratch_load_b128 v[127:130], off, off offset:352
	s_waitcnt lgkmcnt(0)
	v_fma_f64 v[2:3], v[139:140], v[141:142], v[2:3]
	ds_load_2addr_b64 v[135:138], v1 offset0:91 offset1:92
	ds_load_2addr_b64 v[139:142], v1 offset0:93 offset1:94
	s_waitcnt vmcnt(4)
	v_fma_f64 v[2:3], v[119:120], v[143:144], v[2:3]
	s_waitcnt lgkmcnt(1)
	s_delay_alu instid0(VALU_DEP_1) | instskip(SKIP_4) | instid1(VALU_DEP_1)
	v_fma_f64 v[2:3], v[121:122], v[135:136], v[2:3]
	scratch_load_b128 v[119:122], off, off offset:368
	s_waitcnt vmcnt(4)
	v_fma_f64 v[2:3], v[131:132], v[137:138], v[2:3]
	s_waitcnt lgkmcnt(0)
	v_fma_f64 v[2:3], v[133:134], v[139:140], v[2:3]
	scratch_load_b128 v[131:134], off, off offset:384
	s_waitcnt vmcnt(4)
	v_fma_f64 v[2:3], v[123:124], v[141:142], v[2:3]
	ds_load_2addr_b64 v[135:138], v1 offset0:95 offset1:96
	ds_load_2addr_b64 v[139:142], v1 offset0:97 offset1:98
	s_waitcnt lgkmcnt(1)
	v_fma_f64 v[2:3], v[125:126], v[135:136], v[2:3]
	scratch_load_b128 v[123:126], off, off offset:400
	s_waitcnt vmcnt(4)
	v_fma_f64 v[2:3], v[115:116], v[137:138], v[2:3]
	s_waitcnt lgkmcnt(0)
	s_delay_alu instid0(VALU_DEP_1)
	v_fma_f64 v[2:3], v[117:118], v[139:140], v[2:3]
	scratch_load_b64 v[139:140], off, off offset:416
	ds_load_2addr_b64 v[115:118], v1 offset0:99 offset1:100
	ds_load_2addr_b64 v[135:138], v1 offset0:101 offset1:102
	s_waitcnt vmcnt(4)
	v_fma_f64 v[2:3], v[127:128], v[141:142], v[2:3]
	s_waitcnt lgkmcnt(1)
	s_delay_alu instid0(VALU_DEP_1) | instskip(SKIP_1) | instid1(VALU_DEP_1)
	v_fma_f64 v[2:3], v[129:130], v[115:116], v[2:3]
	s_waitcnt vmcnt(3)
	v_fma_f64 v[2:3], v[119:120], v[117:118], v[2:3]
	s_waitcnt lgkmcnt(0)
	s_delay_alu instid0(VALU_DEP_1) | instskip(SKIP_1) | instid1(VALU_DEP_1)
	v_fma_f64 v[2:3], v[121:122], v[135:136], v[2:3]
	s_waitcnt vmcnt(2)
	v_fma_f64 v[119:120], v[131:132], v[137:138], v[2:3]
	ds_load_2addr_b64 v[115:118], v1 offset0:103 offset1:104
	ds_load_2addr_b64 v[1:4], v1 offset0:105 offset1:106
	s_waitcnt lgkmcnt(1)
	v_fma_f64 v[115:116], v[133:134], v[115:116], v[119:120]
	s_waitcnt vmcnt(1)
	s_delay_alu instid0(VALU_DEP_1) | instskip(SKIP_1) | instid1(VALU_DEP_1)
	v_fma_f64 v[115:116], v[123:124], v[117:118], v[115:116]
	s_waitcnt lgkmcnt(0)
	v_fma_f64 v[1:2], v[125:126], v[1:2], v[115:116]
	s_waitcnt vmcnt(0)
	s_delay_alu instid0(VALU_DEP_1) | instskip(NEXT) | instid1(VALU_DEP_1)
	v_fma_f64 v[1:2], v[139:140], v[3:4], v[1:2]
	v_add_f64 v[1:2], v[113:114], -v[1:2]
	scratch_store_b64 off, v[1:2], off offset:160
	v_cmpx_lt_u32_e32 19, v0
	s_cbranch_execz .LBB52_289
; %bb.288:
	scratch_load_b64 v[1:2], off, off offset:152
	v_mov_b32_e32 v3, 0
	s_delay_alu instid0(VALU_DEP_1)
	v_mov_b32_e32 v4, v3
	scratch_store_b64 off, v[3:4], off offset:152
	s_waitcnt vmcnt(0)
	ds_store_b64 v5, v[1:2]
.LBB52_289:
	s_or_b32 exec_lo, exec_lo, s0
	s_waitcnt lgkmcnt(0)
	s_waitcnt_vscnt null, 0x0
	s_barrier
	buffer_gl0_inv
	s_clause 0x4
	scratch_load_b128 v[113:116], off, off offset:152
	scratch_load_b128 v[117:120], off, off offset:168
	;; [unrolled: 1-line block ×5, first 2 shown]
	v_mov_b32_e32 v1, 0
	ds_load_b128 v[133:136], v1 offset:592
	ds_load_b128 v[137:140], v1 offset:608
	scratch_load_b128 v[141:144], off, off offset:232
	s_mov_b32 s0, exec_lo
	s_waitcnt vmcnt(5) lgkmcnt(1)
	v_fma_f64 v[2:3], v[115:116], v[133:134], 0
	s_waitcnt vmcnt(4)
	s_delay_alu instid0(VALU_DEP_1) | instskip(SKIP_4) | instid1(VALU_DEP_1)
	v_fma_f64 v[2:3], v[117:118], v[135:136], v[2:3]
	scratch_load_b128 v[115:118], off, off offset:248
	s_waitcnt lgkmcnt(0)
	v_fma_f64 v[2:3], v[119:120], v[137:138], v[2:3]
	s_waitcnt vmcnt(4)
	v_fma_f64 v[2:3], v[121:122], v[139:140], v[2:3]
	ds_load_b128 v[119:122], v1 offset:624
	ds_load_b128 v[133:136], v1 offset:640
	scratch_load_b128 v[137:140], off, off offset:264
	s_waitcnt lgkmcnt(1)
	v_fma_f64 v[2:3], v[123:124], v[119:120], v[2:3]
	s_waitcnt vmcnt(4)
	s_delay_alu instid0(VALU_DEP_1) | instskip(SKIP_4) | instid1(VALU_DEP_1)
	v_fma_f64 v[2:3], v[125:126], v[121:122], v[2:3]
	scratch_load_b128 v[119:122], off, off offset:280
	s_waitcnt lgkmcnt(0)
	v_fma_f64 v[2:3], v[127:128], v[133:134], v[2:3]
	s_waitcnt vmcnt(4)
	v_fma_f64 v[2:3], v[129:130], v[135:136], v[2:3]
	ds_load_b128 v[123:126], v1 offset:656
	ds_load_b128 v[127:130], v1 offset:672
	s_waitcnt lgkmcnt(1)
	v_fma_f64 v[2:3], v[131:132], v[123:124], v[2:3]
	scratch_load_b128 v[131:134], off, off offset:296
	s_waitcnt vmcnt(4)
	v_fma_f64 v[2:3], v[141:142], v[125:126], v[2:3]
	scratch_load_b128 v[123:126], off, off offset:312
	s_waitcnt lgkmcnt(0)
	v_fma_f64 v[2:3], v[143:144], v[127:128], v[2:3]
	s_waitcnt vmcnt(4)
	s_delay_alu instid0(VALU_DEP_1)
	v_fma_f64 v[2:3], v[115:116], v[129:130], v[2:3]
	ds_load_b128 v[127:130], v1 offset:688
	ds_load_b128 v[141:144], v1 offset:704
	s_waitcnt lgkmcnt(1)
	v_fma_f64 v[2:3], v[117:118], v[127:128], v[2:3]
	scratch_load_b128 v[115:118], off, off offset:328
	s_waitcnt vmcnt(4)
	v_fma_f64 v[2:3], v[137:138], v[129:130], v[2:3]
	scratch_load_b128 v[127:130], off, off offset:344
	s_waitcnt lgkmcnt(0)
	v_fma_f64 v[2:3], v[139:140], v[141:142], v[2:3]
	ds_load_b128 v[135:138], v1 offset:720
	ds_load_b128 v[139:142], v1 offset:736
	s_waitcnt vmcnt(4)
	v_fma_f64 v[2:3], v[119:120], v[143:144], v[2:3]
	s_waitcnt lgkmcnt(1)
	s_delay_alu instid0(VALU_DEP_1) | instskip(SKIP_4) | instid1(VALU_DEP_1)
	v_fma_f64 v[2:3], v[121:122], v[135:136], v[2:3]
	scratch_load_b128 v[119:122], off, off offset:360
	s_waitcnt vmcnt(4)
	v_fma_f64 v[2:3], v[131:132], v[137:138], v[2:3]
	s_waitcnt lgkmcnt(0)
	v_fma_f64 v[2:3], v[133:134], v[139:140], v[2:3]
	scratch_load_b128 v[131:134], off, off offset:376
	s_waitcnt vmcnt(4)
	v_fma_f64 v[2:3], v[123:124], v[141:142], v[2:3]
	ds_load_b128 v[135:138], v1 offset:752
	ds_load_b128 v[139:142], v1 offset:768
	s_waitcnt lgkmcnt(1)
	v_fma_f64 v[2:3], v[125:126], v[135:136], v[2:3]
	scratch_load_b128 v[123:126], off, off offset:392
	s_waitcnt vmcnt(4)
	v_fma_f64 v[2:3], v[115:116], v[137:138], v[2:3]
	s_waitcnt lgkmcnt(0)
	s_delay_alu instid0(VALU_DEP_1)
	v_fma_f64 v[2:3], v[117:118], v[139:140], v[2:3]
	scratch_load_b128 v[115:118], off, off offset:408
	s_waitcnt vmcnt(4)
	v_fma_f64 v[2:3], v[127:128], v[141:142], v[2:3]
	ds_load_b128 v[135:138], v1 offset:784
	ds_load_b128 v[139:142], v1 offset:800
	s_waitcnt lgkmcnt(1)
	v_fma_f64 v[2:3], v[129:130], v[135:136], v[2:3]
	s_waitcnt vmcnt(3)
	s_delay_alu instid0(VALU_DEP_1) | instskip(SKIP_1) | instid1(VALU_DEP_1)
	v_fma_f64 v[2:3], v[119:120], v[137:138], v[2:3]
	s_waitcnt lgkmcnt(0)
	v_fma_f64 v[2:3], v[121:122], v[139:140], v[2:3]
	ds_load_b128 v[119:122], v1 offset:816
	ds_load_b128 v[127:130], v1 offset:832
	s_waitcnt vmcnt(2)
	v_fma_f64 v[2:3], v[131:132], v[141:142], v[2:3]
	s_waitcnt lgkmcnt(1)
	s_delay_alu instid0(VALU_DEP_1) | instskip(SKIP_1) | instid1(VALU_DEP_1)
	v_fma_f64 v[2:3], v[133:134], v[119:120], v[2:3]
	s_waitcnt vmcnt(1)
	v_fma_f64 v[2:3], v[123:124], v[121:122], v[2:3]
	s_waitcnt lgkmcnt(0)
	s_delay_alu instid0(VALU_DEP_1) | instskip(SKIP_1) | instid1(VALU_DEP_1)
	v_fma_f64 v[2:3], v[125:126], v[127:128], v[2:3]
	s_waitcnt vmcnt(0)
	v_fma_f64 v[2:3], v[115:116], v[129:130], v[2:3]
	ds_load_b64 v[115:116], v1 offset:848
	s_waitcnt lgkmcnt(0)
	v_fma_f64 v[2:3], v[117:118], v[115:116], v[2:3]
	s_delay_alu instid0(VALU_DEP_1)
	v_add_f64 v[2:3], v[113:114], -v[2:3]
	scratch_store_b64 off, v[2:3], off offset:152
	v_cmpx_lt_u32_e32 18, v0
	s_cbranch_execz .LBB52_291
; %bb.290:
	scratch_load_b64 v[3:4], off, off offset:144
	v_mov_b32_e32 v2, v1
	scratch_store_b64 off, v[1:2], off offset:144
	s_waitcnt vmcnt(0)
	ds_store_b64 v5, v[3:4]
.LBB52_291:
	s_or_b32 exec_lo, exec_lo, s0
	s_waitcnt lgkmcnt(0)
	s_waitcnt_vscnt null, 0x0
	s_barrier
	buffer_gl0_inv
	s_clause 0x4
	scratch_load_b128 v[113:116], off, off offset:144
	scratch_load_b128 v[117:120], off, off offset:160
	;; [unrolled: 1-line block ×5, first 2 shown]
	ds_load_2addr_b64 v[133:136], v1 offset0:73 offset1:74
	ds_load_2addr_b64 v[137:140], v1 offset0:75 offset1:76
	scratch_load_b128 v[141:144], off, off offset:224
	s_mov_b32 s0, exec_lo
	s_waitcnt vmcnt(5) lgkmcnt(1)
	v_fma_f64 v[2:3], v[115:116], v[133:134], 0
	s_waitcnt vmcnt(4)
	s_delay_alu instid0(VALU_DEP_1) | instskip(SKIP_4) | instid1(VALU_DEP_1)
	v_fma_f64 v[2:3], v[117:118], v[135:136], v[2:3]
	scratch_load_b128 v[115:118], off, off offset:240
	s_waitcnt lgkmcnt(0)
	v_fma_f64 v[2:3], v[119:120], v[137:138], v[2:3]
	s_waitcnt vmcnt(4)
	v_fma_f64 v[2:3], v[121:122], v[139:140], v[2:3]
	ds_load_2addr_b64 v[119:122], v1 offset0:77 offset1:78
	ds_load_2addr_b64 v[133:136], v1 offset0:79 offset1:80
	scratch_load_b128 v[137:140], off, off offset:256
	s_waitcnt lgkmcnt(1)
	v_fma_f64 v[2:3], v[123:124], v[119:120], v[2:3]
	s_waitcnt vmcnt(4)
	s_delay_alu instid0(VALU_DEP_1) | instskip(SKIP_4) | instid1(VALU_DEP_1)
	v_fma_f64 v[2:3], v[125:126], v[121:122], v[2:3]
	scratch_load_b128 v[119:122], off, off offset:272
	s_waitcnt lgkmcnt(0)
	v_fma_f64 v[2:3], v[127:128], v[133:134], v[2:3]
	s_waitcnt vmcnt(4)
	v_fma_f64 v[2:3], v[129:130], v[135:136], v[2:3]
	ds_load_2addr_b64 v[123:126], v1 offset0:81 offset1:82
	ds_load_2addr_b64 v[127:130], v1 offset0:83 offset1:84
	s_waitcnt lgkmcnt(1)
	v_fma_f64 v[2:3], v[131:132], v[123:124], v[2:3]
	scratch_load_b128 v[131:134], off, off offset:288
	s_waitcnt vmcnt(4)
	v_fma_f64 v[2:3], v[141:142], v[125:126], v[2:3]
	scratch_load_b128 v[123:126], off, off offset:304
	s_waitcnt lgkmcnt(0)
	v_fma_f64 v[2:3], v[143:144], v[127:128], v[2:3]
	s_waitcnt vmcnt(4)
	s_delay_alu instid0(VALU_DEP_1)
	v_fma_f64 v[2:3], v[115:116], v[129:130], v[2:3]
	ds_load_2addr_b64 v[127:130], v1 offset0:85 offset1:86
	ds_load_2addr_b64 v[141:144], v1 offset0:87 offset1:88
	s_waitcnt lgkmcnt(1)
	v_fma_f64 v[2:3], v[117:118], v[127:128], v[2:3]
	scratch_load_b128 v[115:118], off, off offset:320
	s_waitcnt vmcnt(4)
	v_fma_f64 v[2:3], v[137:138], v[129:130], v[2:3]
	scratch_load_b128 v[127:130], off, off offset:336
	s_waitcnt lgkmcnt(0)
	v_fma_f64 v[2:3], v[139:140], v[141:142], v[2:3]
	ds_load_2addr_b64 v[135:138], v1 offset0:89 offset1:90
	ds_load_2addr_b64 v[139:142], v1 offset0:91 offset1:92
	s_waitcnt vmcnt(4)
	v_fma_f64 v[2:3], v[119:120], v[143:144], v[2:3]
	s_waitcnt lgkmcnt(1)
	s_delay_alu instid0(VALU_DEP_1) | instskip(SKIP_4) | instid1(VALU_DEP_1)
	v_fma_f64 v[2:3], v[121:122], v[135:136], v[2:3]
	scratch_load_b128 v[119:122], off, off offset:352
	s_waitcnt vmcnt(4)
	v_fma_f64 v[2:3], v[131:132], v[137:138], v[2:3]
	s_waitcnt lgkmcnt(0)
	v_fma_f64 v[2:3], v[133:134], v[139:140], v[2:3]
	scratch_load_b128 v[131:134], off, off offset:368
	s_waitcnt vmcnt(4)
	v_fma_f64 v[2:3], v[123:124], v[141:142], v[2:3]
	ds_load_2addr_b64 v[135:138], v1 offset0:93 offset1:94
	ds_load_2addr_b64 v[139:142], v1 offset0:95 offset1:96
	s_waitcnt lgkmcnt(1)
	v_fma_f64 v[2:3], v[125:126], v[135:136], v[2:3]
	scratch_load_b128 v[123:126], off, off offset:384
	s_waitcnt vmcnt(4)
	v_fma_f64 v[2:3], v[115:116], v[137:138], v[2:3]
	s_waitcnt lgkmcnt(0)
	s_delay_alu instid0(VALU_DEP_1)
	v_fma_f64 v[2:3], v[117:118], v[139:140], v[2:3]
	scratch_load_b128 v[115:118], off, off offset:400
	s_waitcnt vmcnt(4)
	v_fma_f64 v[2:3], v[127:128], v[141:142], v[2:3]
	ds_load_2addr_b64 v[135:138], v1 offset0:97 offset1:98
	ds_load_2addr_b64 v[139:142], v1 offset0:99 offset1:100
	s_waitcnt lgkmcnt(1)
	v_fma_f64 v[2:3], v[129:130], v[135:136], v[2:3]
	scratch_load_b64 v[135:136], off, off offset:416
	s_waitcnt vmcnt(4)
	v_fma_f64 v[2:3], v[119:120], v[137:138], v[2:3]
	s_waitcnt lgkmcnt(0)
	s_delay_alu instid0(VALU_DEP_1)
	v_fma_f64 v[2:3], v[121:122], v[139:140], v[2:3]
	ds_load_2addr_b64 v[119:122], v1 offset0:101 offset1:102
	ds_load_2addr_b64 v[127:130], v1 offset0:103 offset1:104
	s_waitcnt vmcnt(3)
	v_fma_f64 v[2:3], v[131:132], v[141:142], v[2:3]
	s_waitcnt lgkmcnt(1)
	s_delay_alu instid0(VALU_DEP_1) | instskip(SKIP_1) | instid1(VALU_DEP_1)
	v_fma_f64 v[2:3], v[133:134], v[119:120], v[2:3]
	s_waitcnt vmcnt(2)
	v_fma_f64 v[2:3], v[123:124], v[121:122], v[2:3]
	s_waitcnt lgkmcnt(0)
	s_delay_alu instid0(VALU_DEP_1) | instskip(SKIP_1) | instid1(VALU_DEP_1)
	v_fma_f64 v[2:3], v[125:126], v[127:128], v[2:3]
	s_waitcnt vmcnt(1)
	v_fma_f64 v[115:116], v[115:116], v[129:130], v[2:3]
	ds_load_2addr_b64 v[1:4], v1 offset0:105 offset1:106
	s_waitcnt lgkmcnt(0)
	v_fma_f64 v[1:2], v[117:118], v[1:2], v[115:116]
	s_waitcnt vmcnt(0)
	s_delay_alu instid0(VALU_DEP_1) | instskip(NEXT) | instid1(VALU_DEP_1)
	v_fma_f64 v[1:2], v[135:136], v[3:4], v[1:2]
	v_add_f64 v[1:2], v[113:114], -v[1:2]
	scratch_store_b64 off, v[1:2], off offset:144
	v_cmpx_lt_u32_e32 17, v0
	s_cbranch_execz .LBB52_293
; %bb.292:
	scratch_load_b64 v[1:2], off, off offset:136
	v_mov_b32_e32 v3, 0
	s_delay_alu instid0(VALU_DEP_1)
	v_mov_b32_e32 v4, v3
	scratch_store_b64 off, v[3:4], off offset:136
	s_waitcnt vmcnt(0)
	ds_store_b64 v5, v[1:2]
.LBB52_293:
	s_or_b32 exec_lo, exec_lo, s0
	s_waitcnt lgkmcnt(0)
	s_waitcnt_vscnt null, 0x0
	s_barrier
	buffer_gl0_inv
	s_clause 0x4
	scratch_load_b128 v[113:116], off, off offset:136
	scratch_load_b128 v[117:120], off, off offset:152
	scratch_load_b128 v[121:124], off, off offset:168
	scratch_load_b128 v[125:128], off, off offset:184
	scratch_load_b128 v[129:132], off, off offset:200
	v_mov_b32_e32 v1, 0
	ds_load_b128 v[133:136], v1 offset:576
	ds_load_b128 v[137:140], v1 offset:592
	scratch_load_b128 v[141:144], off, off offset:216
	s_mov_b32 s0, exec_lo
	s_waitcnt vmcnt(5) lgkmcnt(1)
	v_fma_f64 v[2:3], v[115:116], v[133:134], 0
	s_waitcnt vmcnt(4)
	s_delay_alu instid0(VALU_DEP_1) | instskip(SKIP_4) | instid1(VALU_DEP_1)
	v_fma_f64 v[2:3], v[117:118], v[135:136], v[2:3]
	scratch_load_b128 v[115:118], off, off offset:232
	s_waitcnt lgkmcnt(0)
	v_fma_f64 v[2:3], v[119:120], v[137:138], v[2:3]
	s_waitcnt vmcnt(4)
	v_fma_f64 v[2:3], v[121:122], v[139:140], v[2:3]
	ds_load_b128 v[119:122], v1 offset:608
	ds_load_b128 v[133:136], v1 offset:624
	scratch_load_b128 v[137:140], off, off offset:248
	s_waitcnt lgkmcnt(1)
	v_fma_f64 v[2:3], v[123:124], v[119:120], v[2:3]
	s_waitcnt vmcnt(4)
	s_delay_alu instid0(VALU_DEP_1) | instskip(SKIP_4) | instid1(VALU_DEP_1)
	v_fma_f64 v[2:3], v[125:126], v[121:122], v[2:3]
	scratch_load_b128 v[119:122], off, off offset:264
	s_waitcnt lgkmcnt(0)
	v_fma_f64 v[2:3], v[127:128], v[133:134], v[2:3]
	s_waitcnt vmcnt(4)
	v_fma_f64 v[2:3], v[129:130], v[135:136], v[2:3]
	ds_load_b128 v[123:126], v1 offset:640
	ds_load_b128 v[127:130], v1 offset:656
	s_waitcnt lgkmcnt(1)
	v_fma_f64 v[2:3], v[131:132], v[123:124], v[2:3]
	scratch_load_b128 v[131:134], off, off offset:280
	s_waitcnt vmcnt(4)
	v_fma_f64 v[2:3], v[141:142], v[125:126], v[2:3]
	scratch_load_b128 v[123:126], off, off offset:296
	s_waitcnt lgkmcnt(0)
	v_fma_f64 v[2:3], v[143:144], v[127:128], v[2:3]
	s_waitcnt vmcnt(4)
	s_delay_alu instid0(VALU_DEP_1)
	v_fma_f64 v[2:3], v[115:116], v[129:130], v[2:3]
	ds_load_b128 v[127:130], v1 offset:672
	ds_load_b128 v[141:144], v1 offset:688
	s_waitcnt lgkmcnt(1)
	v_fma_f64 v[2:3], v[117:118], v[127:128], v[2:3]
	scratch_load_b128 v[115:118], off, off offset:312
	s_waitcnt vmcnt(4)
	v_fma_f64 v[2:3], v[137:138], v[129:130], v[2:3]
	scratch_load_b128 v[127:130], off, off offset:328
	s_waitcnt lgkmcnt(0)
	v_fma_f64 v[2:3], v[139:140], v[141:142], v[2:3]
	ds_load_b128 v[135:138], v1 offset:704
	ds_load_b128 v[139:142], v1 offset:720
	s_waitcnt vmcnt(4)
	v_fma_f64 v[2:3], v[119:120], v[143:144], v[2:3]
	s_waitcnt lgkmcnt(1)
	s_delay_alu instid0(VALU_DEP_1) | instskip(SKIP_4) | instid1(VALU_DEP_1)
	v_fma_f64 v[2:3], v[121:122], v[135:136], v[2:3]
	scratch_load_b128 v[119:122], off, off offset:344
	s_waitcnt vmcnt(4)
	v_fma_f64 v[2:3], v[131:132], v[137:138], v[2:3]
	s_waitcnt lgkmcnt(0)
	v_fma_f64 v[2:3], v[133:134], v[139:140], v[2:3]
	scratch_load_b128 v[131:134], off, off offset:360
	s_waitcnt vmcnt(4)
	v_fma_f64 v[2:3], v[123:124], v[141:142], v[2:3]
	ds_load_b128 v[135:138], v1 offset:736
	ds_load_b128 v[139:142], v1 offset:752
	s_waitcnt lgkmcnt(1)
	v_fma_f64 v[2:3], v[125:126], v[135:136], v[2:3]
	scratch_load_b128 v[123:126], off, off offset:376
	s_waitcnt vmcnt(4)
	v_fma_f64 v[2:3], v[115:116], v[137:138], v[2:3]
	s_waitcnt lgkmcnt(0)
	s_delay_alu instid0(VALU_DEP_1)
	v_fma_f64 v[2:3], v[117:118], v[139:140], v[2:3]
	scratch_load_b128 v[115:118], off, off offset:392
	s_waitcnt vmcnt(4)
	v_fma_f64 v[2:3], v[127:128], v[141:142], v[2:3]
	ds_load_b128 v[135:138], v1 offset:768
	ds_load_b128 v[139:142], v1 offset:784
	s_waitcnt lgkmcnt(1)
	v_fma_f64 v[2:3], v[129:130], v[135:136], v[2:3]
	scratch_load_b128 v[127:130], off, off offset:408
	s_waitcnt vmcnt(4)
	v_fma_f64 v[2:3], v[119:120], v[137:138], v[2:3]
	s_waitcnt lgkmcnt(0)
	s_delay_alu instid0(VALU_DEP_1)
	v_fma_f64 v[2:3], v[121:122], v[139:140], v[2:3]
	ds_load_b128 v[119:122], v1 offset:800
	ds_load_b128 v[135:138], v1 offset:816
	s_waitcnt vmcnt(3)
	v_fma_f64 v[2:3], v[131:132], v[141:142], v[2:3]
	s_waitcnt lgkmcnt(1)
	s_delay_alu instid0(VALU_DEP_1) | instskip(SKIP_1) | instid1(VALU_DEP_1)
	v_fma_f64 v[2:3], v[133:134], v[119:120], v[2:3]
	s_waitcnt vmcnt(2)
	v_fma_f64 v[2:3], v[123:124], v[121:122], v[2:3]
	s_waitcnt lgkmcnt(0)
	s_delay_alu instid0(VALU_DEP_1) | instskip(SKIP_1) | instid1(VALU_DEP_1)
	v_fma_f64 v[2:3], v[125:126], v[135:136], v[2:3]
	s_waitcnt vmcnt(1)
	v_fma_f64 v[2:3], v[115:116], v[137:138], v[2:3]
	ds_load_b128 v[119:122], v1 offset:832
	ds_load_b64 v[115:116], v1 offset:848
	s_waitcnt lgkmcnt(1)
	v_fma_f64 v[2:3], v[117:118], v[119:120], v[2:3]
	s_waitcnt vmcnt(0)
	s_delay_alu instid0(VALU_DEP_1) | instskip(SKIP_1) | instid1(VALU_DEP_1)
	v_fma_f64 v[2:3], v[127:128], v[121:122], v[2:3]
	s_waitcnt lgkmcnt(0)
	v_fma_f64 v[2:3], v[129:130], v[115:116], v[2:3]
	s_delay_alu instid0(VALU_DEP_1)
	v_add_f64 v[2:3], v[113:114], -v[2:3]
	scratch_store_b64 off, v[2:3], off offset:136
	v_cmpx_lt_u32_e32 16, v0
	s_cbranch_execz .LBB52_295
; %bb.294:
	scratch_load_b64 v[3:4], off, off offset:128
	v_mov_b32_e32 v2, v1
	scratch_store_b64 off, v[1:2], off offset:128
	s_waitcnt vmcnt(0)
	ds_store_b64 v5, v[3:4]
.LBB52_295:
	s_or_b32 exec_lo, exec_lo, s0
	s_waitcnt lgkmcnt(0)
	s_waitcnt_vscnt null, 0x0
	s_barrier
	buffer_gl0_inv
	s_clause 0x4
	scratch_load_b128 v[113:116], off, off offset:128
	scratch_load_b128 v[117:120], off, off offset:144
	;; [unrolled: 1-line block ×5, first 2 shown]
	ds_load_2addr_b64 v[133:136], v1 offset0:71 offset1:72
	ds_load_2addr_b64 v[137:140], v1 offset0:73 offset1:74
	scratch_load_b128 v[141:144], off, off offset:208
	s_mov_b32 s0, exec_lo
	s_waitcnt vmcnt(5) lgkmcnt(1)
	v_fma_f64 v[2:3], v[115:116], v[133:134], 0
	s_waitcnt vmcnt(4)
	s_delay_alu instid0(VALU_DEP_1) | instskip(SKIP_4) | instid1(VALU_DEP_1)
	v_fma_f64 v[2:3], v[117:118], v[135:136], v[2:3]
	scratch_load_b128 v[115:118], off, off offset:224
	s_waitcnt lgkmcnt(0)
	v_fma_f64 v[2:3], v[119:120], v[137:138], v[2:3]
	s_waitcnt vmcnt(4)
	v_fma_f64 v[2:3], v[121:122], v[139:140], v[2:3]
	ds_load_2addr_b64 v[119:122], v1 offset0:75 offset1:76
	ds_load_2addr_b64 v[133:136], v1 offset0:77 offset1:78
	scratch_load_b128 v[137:140], off, off offset:240
	s_waitcnt lgkmcnt(1)
	v_fma_f64 v[2:3], v[123:124], v[119:120], v[2:3]
	s_waitcnt vmcnt(4)
	s_delay_alu instid0(VALU_DEP_1) | instskip(SKIP_4) | instid1(VALU_DEP_1)
	v_fma_f64 v[2:3], v[125:126], v[121:122], v[2:3]
	scratch_load_b128 v[119:122], off, off offset:256
	s_waitcnt lgkmcnt(0)
	v_fma_f64 v[2:3], v[127:128], v[133:134], v[2:3]
	s_waitcnt vmcnt(4)
	v_fma_f64 v[2:3], v[129:130], v[135:136], v[2:3]
	ds_load_2addr_b64 v[123:126], v1 offset0:79 offset1:80
	ds_load_2addr_b64 v[127:130], v1 offset0:81 offset1:82
	s_waitcnt lgkmcnt(1)
	v_fma_f64 v[2:3], v[131:132], v[123:124], v[2:3]
	scratch_load_b128 v[131:134], off, off offset:272
	s_waitcnt vmcnt(4)
	v_fma_f64 v[2:3], v[141:142], v[125:126], v[2:3]
	scratch_load_b128 v[123:126], off, off offset:288
	s_waitcnt lgkmcnt(0)
	v_fma_f64 v[2:3], v[143:144], v[127:128], v[2:3]
	s_waitcnt vmcnt(4)
	s_delay_alu instid0(VALU_DEP_1)
	v_fma_f64 v[2:3], v[115:116], v[129:130], v[2:3]
	ds_load_2addr_b64 v[127:130], v1 offset0:83 offset1:84
	ds_load_2addr_b64 v[141:144], v1 offset0:85 offset1:86
	s_waitcnt lgkmcnt(1)
	v_fma_f64 v[2:3], v[117:118], v[127:128], v[2:3]
	scratch_load_b128 v[115:118], off, off offset:304
	s_waitcnt vmcnt(4)
	v_fma_f64 v[2:3], v[137:138], v[129:130], v[2:3]
	scratch_load_b128 v[127:130], off, off offset:320
	s_waitcnt lgkmcnt(0)
	v_fma_f64 v[2:3], v[139:140], v[141:142], v[2:3]
	ds_load_2addr_b64 v[135:138], v1 offset0:87 offset1:88
	ds_load_2addr_b64 v[139:142], v1 offset0:89 offset1:90
	s_waitcnt vmcnt(4)
	v_fma_f64 v[2:3], v[119:120], v[143:144], v[2:3]
	s_waitcnt lgkmcnt(1)
	s_delay_alu instid0(VALU_DEP_1) | instskip(SKIP_4) | instid1(VALU_DEP_1)
	v_fma_f64 v[2:3], v[121:122], v[135:136], v[2:3]
	scratch_load_b128 v[119:122], off, off offset:336
	s_waitcnt vmcnt(4)
	v_fma_f64 v[2:3], v[131:132], v[137:138], v[2:3]
	s_waitcnt lgkmcnt(0)
	v_fma_f64 v[2:3], v[133:134], v[139:140], v[2:3]
	scratch_load_b128 v[131:134], off, off offset:352
	s_waitcnt vmcnt(4)
	v_fma_f64 v[2:3], v[123:124], v[141:142], v[2:3]
	ds_load_2addr_b64 v[135:138], v1 offset0:91 offset1:92
	ds_load_2addr_b64 v[139:142], v1 offset0:93 offset1:94
	s_waitcnt lgkmcnt(1)
	v_fma_f64 v[2:3], v[125:126], v[135:136], v[2:3]
	scratch_load_b128 v[123:126], off, off offset:368
	s_waitcnt vmcnt(4)
	v_fma_f64 v[2:3], v[115:116], v[137:138], v[2:3]
	s_waitcnt lgkmcnt(0)
	s_delay_alu instid0(VALU_DEP_1)
	v_fma_f64 v[2:3], v[117:118], v[139:140], v[2:3]
	scratch_load_b128 v[115:118], off, off offset:384
	s_waitcnt vmcnt(4)
	v_fma_f64 v[2:3], v[127:128], v[141:142], v[2:3]
	ds_load_2addr_b64 v[135:138], v1 offset0:95 offset1:96
	ds_load_2addr_b64 v[139:142], v1 offset0:97 offset1:98
	s_waitcnt lgkmcnt(1)
	v_fma_f64 v[2:3], v[129:130], v[135:136], v[2:3]
	scratch_load_b128 v[127:130], off, off offset:400
	s_waitcnt vmcnt(4)
	v_fma_f64 v[2:3], v[119:120], v[137:138], v[2:3]
	s_waitcnt lgkmcnt(0)
	s_delay_alu instid0(VALU_DEP_1)
	v_fma_f64 v[2:3], v[121:122], v[139:140], v[2:3]
	scratch_load_b64 v[139:140], off, off offset:416
	ds_load_2addr_b64 v[119:122], v1 offset0:99 offset1:100
	ds_load_2addr_b64 v[135:138], v1 offset0:101 offset1:102
	s_waitcnt vmcnt(4)
	v_fma_f64 v[2:3], v[131:132], v[141:142], v[2:3]
	s_waitcnt lgkmcnt(1)
	s_delay_alu instid0(VALU_DEP_1) | instskip(SKIP_1) | instid1(VALU_DEP_1)
	v_fma_f64 v[2:3], v[133:134], v[119:120], v[2:3]
	s_waitcnt vmcnt(3)
	v_fma_f64 v[2:3], v[123:124], v[121:122], v[2:3]
	s_waitcnt lgkmcnt(0)
	s_delay_alu instid0(VALU_DEP_1) | instskip(SKIP_1) | instid1(VALU_DEP_1)
	v_fma_f64 v[2:3], v[125:126], v[135:136], v[2:3]
	s_waitcnt vmcnt(2)
	v_fma_f64 v[115:116], v[115:116], v[137:138], v[2:3]
	ds_load_2addr_b64 v[119:122], v1 offset0:103 offset1:104
	ds_load_2addr_b64 v[1:4], v1 offset0:105 offset1:106
	s_waitcnt lgkmcnt(1)
	v_fma_f64 v[115:116], v[117:118], v[119:120], v[115:116]
	s_waitcnt vmcnt(1)
	s_delay_alu instid0(VALU_DEP_1) | instskip(SKIP_1) | instid1(VALU_DEP_1)
	v_fma_f64 v[115:116], v[127:128], v[121:122], v[115:116]
	s_waitcnt lgkmcnt(0)
	v_fma_f64 v[1:2], v[129:130], v[1:2], v[115:116]
	s_waitcnt vmcnt(0)
	s_delay_alu instid0(VALU_DEP_1) | instskip(NEXT) | instid1(VALU_DEP_1)
	v_fma_f64 v[1:2], v[139:140], v[3:4], v[1:2]
	v_add_f64 v[1:2], v[113:114], -v[1:2]
	scratch_store_b64 off, v[1:2], off offset:128
	v_cmpx_lt_u32_e32 15, v0
	s_cbranch_execz .LBB52_297
; %bb.296:
	scratch_load_b64 v[1:2], off, off offset:120
	v_mov_b32_e32 v3, 0
	s_delay_alu instid0(VALU_DEP_1)
	v_mov_b32_e32 v4, v3
	scratch_store_b64 off, v[3:4], off offset:120
	s_waitcnt vmcnt(0)
	ds_store_b64 v5, v[1:2]
.LBB52_297:
	s_or_b32 exec_lo, exec_lo, s0
	s_waitcnt lgkmcnt(0)
	s_waitcnt_vscnt null, 0x0
	s_barrier
	buffer_gl0_inv
	s_clause 0x4
	scratch_load_b128 v[113:116], off, off offset:120
	scratch_load_b128 v[117:120], off, off offset:136
	;; [unrolled: 1-line block ×5, first 2 shown]
	v_mov_b32_e32 v1, 0
	ds_load_b128 v[133:136], v1 offset:560
	ds_load_b128 v[137:140], v1 offset:576
	scratch_load_b128 v[141:144], off, off offset:200
	s_mov_b32 s0, exec_lo
	s_waitcnt vmcnt(5) lgkmcnt(1)
	v_fma_f64 v[2:3], v[115:116], v[133:134], 0
	s_waitcnt vmcnt(4)
	s_delay_alu instid0(VALU_DEP_1) | instskip(SKIP_4) | instid1(VALU_DEP_1)
	v_fma_f64 v[2:3], v[117:118], v[135:136], v[2:3]
	scratch_load_b128 v[115:118], off, off offset:216
	s_waitcnt lgkmcnt(0)
	v_fma_f64 v[2:3], v[119:120], v[137:138], v[2:3]
	s_waitcnt vmcnt(4)
	v_fma_f64 v[2:3], v[121:122], v[139:140], v[2:3]
	ds_load_b128 v[119:122], v1 offset:592
	ds_load_b128 v[133:136], v1 offset:608
	scratch_load_b128 v[137:140], off, off offset:232
	s_waitcnt lgkmcnt(1)
	v_fma_f64 v[2:3], v[123:124], v[119:120], v[2:3]
	s_waitcnt vmcnt(4)
	s_delay_alu instid0(VALU_DEP_1) | instskip(SKIP_4) | instid1(VALU_DEP_1)
	v_fma_f64 v[2:3], v[125:126], v[121:122], v[2:3]
	scratch_load_b128 v[119:122], off, off offset:248
	s_waitcnt lgkmcnt(0)
	v_fma_f64 v[2:3], v[127:128], v[133:134], v[2:3]
	s_waitcnt vmcnt(4)
	v_fma_f64 v[2:3], v[129:130], v[135:136], v[2:3]
	ds_load_b128 v[123:126], v1 offset:624
	ds_load_b128 v[127:130], v1 offset:640
	s_waitcnt lgkmcnt(1)
	v_fma_f64 v[2:3], v[131:132], v[123:124], v[2:3]
	scratch_load_b128 v[131:134], off, off offset:264
	s_waitcnt vmcnt(4)
	v_fma_f64 v[2:3], v[141:142], v[125:126], v[2:3]
	scratch_load_b128 v[123:126], off, off offset:280
	s_waitcnt lgkmcnt(0)
	v_fma_f64 v[2:3], v[143:144], v[127:128], v[2:3]
	s_waitcnt vmcnt(4)
	s_delay_alu instid0(VALU_DEP_1)
	v_fma_f64 v[2:3], v[115:116], v[129:130], v[2:3]
	ds_load_b128 v[127:130], v1 offset:656
	ds_load_b128 v[141:144], v1 offset:672
	s_waitcnt lgkmcnt(1)
	v_fma_f64 v[2:3], v[117:118], v[127:128], v[2:3]
	scratch_load_b128 v[115:118], off, off offset:296
	s_waitcnt vmcnt(4)
	v_fma_f64 v[2:3], v[137:138], v[129:130], v[2:3]
	scratch_load_b128 v[127:130], off, off offset:312
	s_waitcnt lgkmcnt(0)
	v_fma_f64 v[2:3], v[139:140], v[141:142], v[2:3]
	ds_load_b128 v[135:138], v1 offset:688
	ds_load_b128 v[139:142], v1 offset:704
	s_waitcnt vmcnt(4)
	v_fma_f64 v[2:3], v[119:120], v[143:144], v[2:3]
	s_waitcnt lgkmcnt(1)
	s_delay_alu instid0(VALU_DEP_1) | instskip(SKIP_4) | instid1(VALU_DEP_1)
	v_fma_f64 v[2:3], v[121:122], v[135:136], v[2:3]
	scratch_load_b128 v[119:122], off, off offset:328
	s_waitcnt vmcnt(4)
	v_fma_f64 v[2:3], v[131:132], v[137:138], v[2:3]
	s_waitcnt lgkmcnt(0)
	v_fma_f64 v[2:3], v[133:134], v[139:140], v[2:3]
	scratch_load_b128 v[131:134], off, off offset:344
	s_waitcnt vmcnt(4)
	v_fma_f64 v[2:3], v[123:124], v[141:142], v[2:3]
	ds_load_b128 v[135:138], v1 offset:720
	ds_load_b128 v[139:142], v1 offset:736
	s_waitcnt lgkmcnt(1)
	v_fma_f64 v[2:3], v[125:126], v[135:136], v[2:3]
	scratch_load_b128 v[123:126], off, off offset:360
	s_waitcnt vmcnt(4)
	v_fma_f64 v[2:3], v[115:116], v[137:138], v[2:3]
	s_waitcnt lgkmcnt(0)
	s_delay_alu instid0(VALU_DEP_1)
	v_fma_f64 v[2:3], v[117:118], v[139:140], v[2:3]
	scratch_load_b128 v[115:118], off, off offset:376
	s_waitcnt vmcnt(4)
	v_fma_f64 v[2:3], v[127:128], v[141:142], v[2:3]
	ds_load_b128 v[135:138], v1 offset:752
	ds_load_b128 v[139:142], v1 offset:768
	s_waitcnt lgkmcnt(1)
	v_fma_f64 v[2:3], v[129:130], v[135:136], v[2:3]
	scratch_load_b128 v[127:130], off, off offset:392
	s_waitcnt vmcnt(4)
	v_fma_f64 v[2:3], v[119:120], v[137:138], v[2:3]
	s_waitcnt lgkmcnt(0)
	s_delay_alu instid0(VALU_DEP_1)
	v_fma_f64 v[2:3], v[121:122], v[139:140], v[2:3]
	scratch_load_b128 v[119:122], off, off offset:408
	s_waitcnt vmcnt(4)
	v_fma_f64 v[2:3], v[131:132], v[141:142], v[2:3]
	ds_load_b128 v[135:138], v1 offset:784
	ds_load_b128 v[139:142], v1 offset:800
	s_waitcnt lgkmcnt(1)
	v_fma_f64 v[2:3], v[133:134], v[135:136], v[2:3]
	s_waitcnt vmcnt(3)
	s_delay_alu instid0(VALU_DEP_1) | instskip(SKIP_1) | instid1(VALU_DEP_1)
	v_fma_f64 v[2:3], v[123:124], v[137:138], v[2:3]
	s_waitcnt lgkmcnt(0)
	v_fma_f64 v[2:3], v[125:126], v[139:140], v[2:3]
	ds_load_b128 v[123:126], v1 offset:816
	ds_load_b128 v[131:134], v1 offset:832
	s_waitcnt vmcnt(2)
	v_fma_f64 v[2:3], v[115:116], v[141:142], v[2:3]
	ds_load_b64 v[115:116], v1 offset:848
	s_waitcnt lgkmcnt(2)
	v_fma_f64 v[2:3], v[117:118], v[123:124], v[2:3]
	s_waitcnt vmcnt(1)
	s_delay_alu instid0(VALU_DEP_1) | instskip(SKIP_1) | instid1(VALU_DEP_1)
	v_fma_f64 v[2:3], v[127:128], v[125:126], v[2:3]
	s_waitcnt lgkmcnt(1)
	v_fma_f64 v[2:3], v[129:130], v[131:132], v[2:3]
	s_waitcnt vmcnt(0)
	s_delay_alu instid0(VALU_DEP_1) | instskip(SKIP_1) | instid1(VALU_DEP_1)
	v_fma_f64 v[2:3], v[119:120], v[133:134], v[2:3]
	s_waitcnt lgkmcnt(0)
	v_fma_f64 v[2:3], v[121:122], v[115:116], v[2:3]
	s_delay_alu instid0(VALU_DEP_1)
	v_add_f64 v[2:3], v[113:114], -v[2:3]
	scratch_store_b64 off, v[2:3], off offset:120
	v_cmpx_lt_u32_e32 14, v0
	s_cbranch_execz .LBB52_299
; %bb.298:
	scratch_load_b64 v[3:4], off, off offset:112
	v_mov_b32_e32 v2, v1
	scratch_store_b64 off, v[1:2], off offset:112
	s_waitcnt vmcnt(0)
	ds_store_b64 v5, v[3:4]
.LBB52_299:
	s_or_b32 exec_lo, exec_lo, s0
	s_waitcnt lgkmcnt(0)
	s_waitcnt_vscnt null, 0x0
	s_barrier
	buffer_gl0_inv
	s_clause 0x4
	scratch_load_b128 v[113:116], off, off offset:112
	scratch_load_b128 v[117:120], off, off offset:128
	;; [unrolled: 1-line block ×5, first 2 shown]
	ds_load_2addr_b64 v[133:136], v1 offset0:69 offset1:70
	ds_load_2addr_b64 v[137:140], v1 offset0:71 offset1:72
	scratch_load_b128 v[141:144], off, off offset:192
	s_mov_b32 s0, exec_lo
	s_waitcnt vmcnt(5) lgkmcnt(1)
	v_fma_f64 v[2:3], v[115:116], v[133:134], 0
	s_waitcnt vmcnt(4)
	s_delay_alu instid0(VALU_DEP_1) | instskip(SKIP_4) | instid1(VALU_DEP_1)
	v_fma_f64 v[2:3], v[117:118], v[135:136], v[2:3]
	scratch_load_b128 v[115:118], off, off offset:208
	s_waitcnt lgkmcnt(0)
	v_fma_f64 v[2:3], v[119:120], v[137:138], v[2:3]
	s_waitcnt vmcnt(4)
	v_fma_f64 v[2:3], v[121:122], v[139:140], v[2:3]
	ds_load_2addr_b64 v[119:122], v1 offset0:73 offset1:74
	ds_load_2addr_b64 v[133:136], v1 offset0:75 offset1:76
	scratch_load_b128 v[137:140], off, off offset:224
	s_waitcnt lgkmcnt(1)
	v_fma_f64 v[2:3], v[123:124], v[119:120], v[2:3]
	s_waitcnt vmcnt(4)
	s_delay_alu instid0(VALU_DEP_1) | instskip(SKIP_4) | instid1(VALU_DEP_1)
	v_fma_f64 v[2:3], v[125:126], v[121:122], v[2:3]
	scratch_load_b128 v[119:122], off, off offset:240
	s_waitcnt lgkmcnt(0)
	v_fma_f64 v[2:3], v[127:128], v[133:134], v[2:3]
	s_waitcnt vmcnt(4)
	v_fma_f64 v[2:3], v[129:130], v[135:136], v[2:3]
	ds_load_2addr_b64 v[123:126], v1 offset0:77 offset1:78
	ds_load_2addr_b64 v[127:130], v1 offset0:79 offset1:80
	s_waitcnt lgkmcnt(1)
	v_fma_f64 v[2:3], v[131:132], v[123:124], v[2:3]
	scratch_load_b128 v[131:134], off, off offset:256
	s_waitcnt vmcnt(4)
	v_fma_f64 v[2:3], v[141:142], v[125:126], v[2:3]
	scratch_load_b128 v[123:126], off, off offset:272
	s_waitcnt lgkmcnt(0)
	v_fma_f64 v[2:3], v[143:144], v[127:128], v[2:3]
	s_waitcnt vmcnt(4)
	s_delay_alu instid0(VALU_DEP_1)
	v_fma_f64 v[2:3], v[115:116], v[129:130], v[2:3]
	ds_load_2addr_b64 v[127:130], v1 offset0:81 offset1:82
	ds_load_2addr_b64 v[141:144], v1 offset0:83 offset1:84
	s_waitcnt lgkmcnt(1)
	v_fma_f64 v[2:3], v[117:118], v[127:128], v[2:3]
	scratch_load_b128 v[115:118], off, off offset:288
	s_waitcnt vmcnt(4)
	v_fma_f64 v[2:3], v[137:138], v[129:130], v[2:3]
	scratch_load_b128 v[127:130], off, off offset:304
	s_waitcnt lgkmcnt(0)
	v_fma_f64 v[2:3], v[139:140], v[141:142], v[2:3]
	ds_load_2addr_b64 v[135:138], v1 offset0:85 offset1:86
	ds_load_2addr_b64 v[139:142], v1 offset0:87 offset1:88
	s_waitcnt vmcnt(4)
	v_fma_f64 v[2:3], v[119:120], v[143:144], v[2:3]
	s_waitcnt lgkmcnt(1)
	s_delay_alu instid0(VALU_DEP_1) | instskip(SKIP_4) | instid1(VALU_DEP_1)
	v_fma_f64 v[2:3], v[121:122], v[135:136], v[2:3]
	scratch_load_b128 v[119:122], off, off offset:320
	s_waitcnt vmcnt(4)
	v_fma_f64 v[2:3], v[131:132], v[137:138], v[2:3]
	s_waitcnt lgkmcnt(0)
	v_fma_f64 v[2:3], v[133:134], v[139:140], v[2:3]
	scratch_load_b128 v[131:134], off, off offset:336
	s_waitcnt vmcnt(4)
	v_fma_f64 v[2:3], v[123:124], v[141:142], v[2:3]
	ds_load_2addr_b64 v[135:138], v1 offset0:89 offset1:90
	ds_load_2addr_b64 v[139:142], v1 offset0:91 offset1:92
	s_waitcnt lgkmcnt(1)
	v_fma_f64 v[2:3], v[125:126], v[135:136], v[2:3]
	scratch_load_b128 v[123:126], off, off offset:352
	s_waitcnt vmcnt(4)
	v_fma_f64 v[2:3], v[115:116], v[137:138], v[2:3]
	s_waitcnt lgkmcnt(0)
	s_delay_alu instid0(VALU_DEP_1)
	v_fma_f64 v[2:3], v[117:118], v[139:140], v[2:3]
	scratch_load_b128 v[115:118], off, off offset:368
	s_waitcnt vmcnt(4)
	v_fma_f64 v[2:3], v[127:128], v[141:142], v[2:3]
	ds_load_2addr_b64 v[135:138], v1 offset0:93 offset1:94
	ds_load_2addr_b64 v[139:142], v1 offset0:95 offset1:96
	s_waitcnt lgkmcnt(1)
	v_fma_f64 v[2:3], v[129:130], v[135:136], v[2:3]
	scratch_load_b128 v[127:130], off, off offset:384
	s_waitcnt vmcnt(4)
	v_fma_f64 v[2:3], v[119:120], v[137:138], v[2:3]
	s_waitcnt lgkmcnt(0)
	s_delay_alu instid0(VALU_DEP_1)
	v_fma_f64 v[2:3], v[121:122], v[139:140], v[2:3]
	scratch_load_b128 v[119:122], off, off offset:400
	s_waitcnt vmcnt(4)
	v_fma_f64 v[2:3], v[131:132], v[141:142], v[2:3]
	ds_load_2addr_b64 v[135:138], v1 offset0:97 offset1:98
	ds_load_2addr_b64 v[139:142], v1 offset0:99 offset1:100
	s_waitcnt lgkmcnt(1)
	v_fma_f64 v[2:3], v[133:134], v[135:136], v[2:3]
	scratch_load_b64 v[135:136], off, off offset:416
	s_waitcnt vmcnt(4)
	v_fma_f64 v[2:3], v[123:124], v[137:138], v[2:3]
	s_waitcnt lgkmcnt(0)
	s_delay_alu instid0(VALU_DEP_1)
	v_fma_f64 v[2:3], v[125:126], v[139:140], v[2:3]
	ds_load_2addr_b64 v[123:126], v1 offset0:101 offset1:102
	ds_load_2addr_b64 v[131:134], v1 offset0:103 offset1:104
	s_waitcnt vmcnt(3)
	v_fma_f64 v[2:3], v[115:116], v[141:142], v[2:3]
	s_waitcnt lgkmcnt(1)
	s_delay_alu instid0(VALU_DEP_1) | instskip(SKIP_1) | instid1(VALU_DEP_1)
	v_fma_f64 v[2:3], v[117:118], v[123:124], v[2:3]
	s_waitcnt vmcnt(2)
	v_fma_f64 v[2:3], v[127:128], v[125:126], v[2:3]
	s_waitcnt lgkmcnt(0)
	s_delay_alu instid0(VALU_DEP_1) | instskip(SKIP_1) | instid1(VALU_DEP_1)
	v_fma_f64 v[2:3], v[129:130], v[131:132], v[2:3]
	s_waitcnt vmcnt(1)
	v_fma_f64 v[115:116], v[119:120], v[133:134], v[2:3]
	ds_load_2addr_b64 v[1:4], v1 offset0:105 offset1:106
	s_waitcnt lgkmcnt(0)
	v_fma_f64 v[1:2], v[121:122], v[1:2], v[115:116]
	s_waitcnt vmcnt(0)
	s_delay_alu instid0(VALU_DEP_1) | instskip(NEXT) | instid1(VALU_DEP_1)
	v_fma_f64 v[1:2], v[135:136], v[3:4], v[1:2]
	v_add_f64 v[1:2], v[113:114], -v[1:2]
	scratch_store_b64 off, v[1:2], off offset:112
	v_cmpx_lt_u32_e32 13, v0
	s_cbranch_execz .LBB52_301
; %bb.300:
	scratch_load_b64 v[1:2], off, off offset:104
	v_mov_b32_e32 v3, 0
	s_delay_alu instid0(VALU_DEP_1)
	v_mov_b32_e32 v4, v3
	scratch_store_b64 off, v[3:4], off offset:104
	s_waitcnt vmcnt(0)
	ds_store_b64 v5, v[1:2]
.LBB52_301:
	s_or_b32 exec_lo, exec_lo, s0
	s_waitcnt lgkmcnt(0)
	s_waitcnt_vscnt null, 0x0
	s_barrier
	buffer_gl0_inv
	s_clause 0x4
	scratch_load_b128 v[113:116], off, off offset:104
	scratch_load_b128 v[117:120], off, off offset:120
	;; [unrolled: 1-line block ×5, first 2 shown]
	v_mov_b32_e32 v1, 0
	ds_load_b128 v[133:136], v1 offset:544
	ds_load_b128 v[137:140], v1 offset:560
	scratch_load_b128 v[141:144], off, off offset:184
	s_mov_b32 s0, exec_lo
	s_waitcnt vmcnt(5) lgkmcnt(1)
	v_fma_f64 v[2:3], v[115:116], v[133:134], 0
	s_waitcnt vmcnt(4)
	s_delay_alu instid0(VALU_DEP_1) | instskip(SKIP_4) | instid1(VALU_DEP_1)
	v_fma_f64 v[2:3], v[117:118], v[135:136], v[2:3]
	scratch_load_b128 v[115:118], off, off offset:200
	s_waitcnt lgkmcnt(0)
	v_fma_f64 v[2:3], v[119:120], v[137:138], v[2:3]
	s_waitcnt vmcnt(4)
	v_fma_f64 v[2:3], v[121:122], v[139:140], v[2:3]
	ds_load_b128 v[119:122], v1 offset:576
	ds_load_b128 v[133:136], v1 offset:592
	scratch_load_b128 v[137:140], off, off offset:216
	s_waitcnt lgkmcnt(1)
	v_fma_f64 v[2:3], v[123:124], v[119:120], v[2:3]
	s_waitcnt vmcnt(4)
	s_delay_alu instid0(VALU_DEP_1) | instskip(SKIP_4) | instid1(VALU_DEP_1)
	v_fma_f64 v[2:3], v[125:126], v[121:122], v[2:3]
	scratch_load_b128 v[119:122], off, off offset:232
	s_waitcnt lgkmcnt(0)
	v_fma_f64 v[2:3], v[127:128], v[133:134], v[2:3]
	s_waitcnt vmcnt(4)
	v_fma_f64 v[2:3], v[129:130], v[135:136], v[2:3]
	ds_load_b128 v[123:126], v1 offset:608
	ds_load_b128 v[127:130], v1 offset:624
	s_waitcnt lgkmcnt(1)
	v_fma_f64 v[2:3], v[131:132], v[123:124], v[2:3]
	scratch_load_b128 v[131:134], off, off offset:248
	s_waitcnt vmcnt(4)
	v_fma_f64 v[2:3], v[141:142], v[125:126], v[2:3]
	scratch_load_b128 v[123:126], off, off offset:264
	s_waitcnt lgkmcnt(0)
	v_fma_f64 v[2:3], v[143:144], v[127:128], v[2:3]
	s_waitcnt vmcnt(4)
	s_delay_alu instid0(VALU_DEP_1)
	v_fma_f64 v[2:3], v[115:116], v[129:130], v[2:3]
	ds_load_b128 v[127:130], v1 offset:640
	ds_load_b128 v[141:144], v1 offset:656
	s_waitcnt lgkmcnt(1)
	v_fma_f64 v[2:3], v[117:118], v[127:128], v[2:3]
	scratch_load_b128 v[115:118], off, off offset:280
	s_waitcnt vmcnt(4)
	v_fma_f64 v[2:3], v[137:138], v[129:130], v[2:3]
	scratch_load_b128 v[127:130], off, off offset:296
	s_waitcnt lgkmcnt(0)
	v_fma_f64 v[2:3], v[139:140], v[141:142], v[2:3]
	ds_load_b128 v[135:138], v1 offset:672
	ds_load_b128 v[139:142], v1 offset:688
	s_waitcnt vmcnt(4)
	v_fma_f64 v[2:3], v[119:120], v[143:144], v[2:3]
	s_waitcnt lgkmcnt(1)
	s_delay_alu instid0(VALU_DEP_1) | instskip(SKIP_4) | instid1(VALU_DEP_1)
	v_fma_f64 v[2:3], v[121:122], v[135:136], v[2:3]
	scratch_load_b128 v[119:122], off, off offset:312
	s_waitcnt vmcnt(4)
	v_fma_f64 v[2:3], v[131:132], v[137:138], v[2:3]
	s_waitcnt lgkmcnt(0)
	v_fma_f64 v[2:3], v[133:134], v[139:140], v[2:3]
	scratch_load_b128 v[131:134], off, off offset:328
	s_waitcnt vmcnt(4)
	v_fma_f64 v[2:3], v[123:124], v[141:142], v[2:3]
	ds_load_b128 v[135:138], v1 offset:704
	ds_load_b128 v[139:142], v1 offset:720
	s_waitcnt lgkmcnt(1)
	v_fma_f64 v[2:3], v[125:126], v[135:136], v[2:3]
	scratch_load_b128 v[123:126], off, off offset:344
	s_waitcnt vmcnt(4)
	v_fma_f64 v[2:3], v[115:116], v[137:138], v[2:3]
	s_waitcnt lgkmcnt(0)
	s_delay_alu instid0(VALU_DEP_1)
	v_fma_f64 v[2:3], v[117:118], v[139:140], v[2:3]
	scratch_load_b128 v[115:118], off, off offset:360
	s_waitcnt vmcnt(4)
	v_fma_f64 v[2:3], v[127:128], v[141:142], v[2:3]
	ds_load_b128 v[135:138], v1 offset:736
	ds_load_b128 v[139:142], v1 offset:752
	s_waitcnt lgkmcnt(1)
	v_fma_f64 v[2:3], v[129:130], v[135:136], v[2:3]
	scratch_load_b128 v[127:130], off, off offset:376
	s_waitcnt vmcnt(4)
	v_fma_f64 v[2:3], v[119:120], v[137:138], v[2:3]
	s_waitcnt lgkmcnt(0)
	s_delay_alu instid0(VALU_DEP_1)
	;; [unrolled: 13-line block ×3, first 2 shown]
	v_fma_f64 v[2:3], v[125:126], v[139:140], v[2:3]
	ds_load_b128 v[123:126], v1 offset:800
	ds_load_b128 v[135:138], v1 offset:816
	s_waitcnt vmcnt(3)
	v_fma_f64 v[2:3], v[115:116], v[141:142], v[2:3]
	s_waitcnt lgkmcnt(1)
	s_delay_alu instid0(VALU_DEP_1) | instskip(SKIP_1) | instid1(VALU_DEP_1)
	v_fma_f64 v[2:3], v[117:118], v[123:124], v[2:3]
	s_waitcnt vmcnt(2)
	v_fma_f64 v[2:3], v[127:128], v[125:126], v[2:3]
	s_waitcnt lgkmcnt(0)
	s_delay_alu instid0(VALU_DEP_1) | instskip(SKIP_1) | instid1(VALU_DEP_1)
	v_fma_f64 v[2:3], v[129:130], v[135:136], v[2:3]
	s_waitcnt vmcnt(1)
	v_fma_f64 v[2:3], v[119:120], v[137:138], v[2:3]
	ds_load_b128 v[115:118], v1 offset:832
	ds_load_b64 v[119:120], v1 offset:848
	s_waitcnt lgkmcnt(1)
	v_fma_f64 v[2:3], v[121:122], v[115:116], v[2:3]
	s_waitcnt vmcnt(0)
	s_delay_alu instid0(VALU_DEP_1) | instskip(SKIP_1) | instid1(VALU_DEP_1)
	v_fma_f64 v[2:3], v[131:132], v[117:118], v[2:3]
	s_waitcnt lgkmcnt(0)
	v_fma_f64 v[2:3], v[133:134], v[119:120], v[2:3]
	s_delay_alu instid0(VALU_DEP_1)
	v_add_f64 v[2:3], v[113:114], -v[2:3]
	scratch_store_b64 off, v[2:3], off offset:104
	v_cmpx_lt_u32_e32 12, v0
	s_cbranch_execz .LBB52_303
; %bb.302:
	scratch_load_b64 v[3:4], off, off offset:96
	v_mov_b32_e32 v2, v1
	scratch_store_b64 off, v[1:2], off offset:96
	s_waitcnt vmcnt(0)
	ds_store_b64 v5, v[3:4]
.LBB52_303:
	s_or_b32 exec_lo, exec_lo, s0
	s_waitcnt lgkmcnt(0)
	s_waitcnt_vscnt null, 0x0
	s_barrier
	buffer_gl0_inv
	s_clause 0x4
	scratch_load_b128 v[113:116], off, off offset:96
	scratch_load_b128 v[117:120], off, off offset:112
	;; [unrolled: 1-line block ×5, first 2 shown]
	ds_load_2addr_b64 v[133:136], v1 offset0:67 offset1:68
	ds_load_2addr_b64 v[137:140], v1 offset0:69 offset1:70
	scratch_load_b128 v[141:144], off, off offset:176
	s_mov_b32 s0, exec_lo
	s_waitcnt vmcnt(5) lgkmcnt(1)
	v_fma_f64 v[2:3], v[115:116], v[133:134], 0
	s_waitcnt vmcnt(4)
	s_delay_alu instid0(VALU_DEP_1) | instskip(SKIP_4) | instid1(VALU_DEP_1)
	v_fma_f64 v[2:3], v[117:118], v[135:136], v[2:3]
	scratch_load_b128 v[115:118], off, off offset:192
	s_waitcnt lgkmcnt(0)
	v_fma_f64 v[2:3], v[119:120], v[137:138], v[2:3]
	s_waitcnt vmcnt(4)
	v_fma_f64 v[2:3], v[121:122], v[139:140], v[2:3]
	ds_load_2addr_b64 v[119:122], v1 offset0:71 offset1:72
	ds_load_2addr_b64 v[133:136], v1 offset0:73 offset1:74
	scratch_load_b128 v[137:140], off, off offset:208
	s_waitcnt lgkmcnt(1)
	v_fma_f64 v[2:3], v[123:124], v[119:120], v[2:3]
	s_waitcnt vmcnt(4)
	s_delay_alu instid0(VALU_DEP_1) | instskip(SKIP_4) | instid1(VALU_DEP_1)
	v_fma_f64 v[2:3], v[125:126], v[121:122], v[2:3]
	scratch_load_b128 v[119:122], off, off offset:224
	s_waitcnt lgkmcnt(0)
	v_fma_f64 v[2:3], v[127:128], v[133:134], v[2:3]
	s_waitcnt vmcnt(4)
	v_fma_f64 v[2:3], v[129:130], v[135:136], v[2:3]
	ds_load_2addr_b64 v[123:126], v1 offset0:75 offset1:76
	ds_load_2addr_b64 v[127:130], v1 offset0:77 offset1:78
	s_waitcnt lgkmcnt(1)
	v_fma_f64 v[2:3], v[131:132], v[123:124], v[2:3]
	scratch_load_b128 v[131:134], off, off offset:240
	s_waitcnt vmcnt(4)
	v_fma_f64 v[2:3], v[141:142], v[125:126], v[2:3]
	scratch_load_b128 v[123:126], off, off offset:256
	s_waitcnt lgkmcnt(0)
	v_fma_f64 v[2:3], v[143:144], v[127:128], v[2:3]
	s_waitcnt vmcnt(4)
	s_delay_alu instid0(VALU_DEP_1)
	v_fma_f64 v[2:3], v[115:116], v[129:130], v[2:3]
	ds_load_2addr_b64 v[127:130], v1 offset0:79 offset1:80
	ds_load_2addr_b64 v[141:144], v1 offset0:81 offset1:82
	s_waitcnt lgkmcnt(1)
	v_fma_f64 v[2:3], v[117:118], v[127:128], v[2:3]
	scratch_load_b128 v[115:118], off, off offset:272
	s_waitcnt vmcnt(4)
	v_fma_f64 v[2:3], v[137:138], v[129:130], v[2:3]
	scratch_load_b128 v[127:130], off, off offset:288
	s_waitcnt lgkmcnt(0)
	v_fma_f64 v[2:3], v[139:140], v[141:142], v[2:3]
	ds_load_2addr_b64 v[135:138], v1 offset0:83 offset1:84
	ds_load_2addr_b64 v[139:142], v1 offset0:85 offset1:86
	s_waitcnt vmcnt(4)
	v_fma_f64 v[2:3], v[119:120], v[143:144], v[2:3]
	s_waitcnt lgkmcnt(1)
	s_delay_alu instid0(VALU_DEP_1) | instskip(SKIP_4) | instid1(VALU_DEP_1)
	v_fma_f64 v[2:3], v[121:122], v[135:136], v[2:3]
	scratch_load_b128 v[119:122], off, off offset:304
	s_waitcnt vmcnt(4)
	v_fma_f64 v[2:3], v[131:132], v[137:138], v[2:3]
	s_waitcnt lgkmcnt(0)
	v_fma_f64 v[2:3], v[133:134], v[139:140], v[2:3]
	scratch_load_b128 v[131:134], off, off offset:320
	s_waitcnt vmcnt(4)
	v_fma_f64 v[2:3], v[123:124], v[141:142], v[2:3]
	ds_load_2addr_b64 v[135:138], v1 offset0:87 offset1:88
	ds_load_2addr_b64 v[139:142], v1 offset0:89 offset1:90
	s_waitcnt lgkmcnt(1)
	v_fma_f64 v[2:3], v[125:126], v[135:136], v[2:3]
	scratch_load_b128 v[123:126], off, off offset:336
	s_waitcnt vmcnt(4)
	v_fma_f64 v[2:3], v[115:116], v[137:138], v[2:3]
	s_waitcnt lgkmcnt(0)
	s_delay_alu instid0(VALU_DEP_1)
	v_fma_f64 v[2:3], v[117:118], v[139:140], v[2:3]
	scratch_load_b128 v[115:118], off, off offset:352
	s_waitcnt vmcnt(4)
	v_fma_f64 v[2:3], v[127:128], v[141:142], v[2:3]
	ds_load_2addr_b64 v[135:138], v1 offset0:91 offset1:92
	ds_load_2addr_b64 v[139:142], v1 offset0:93 offset1:94
	s_waitcnt lgkmcnt(1)
	v_fma_f64 v[2:3], v[129:130], v[135:136], v[2:3]
	scratch_load_b128 v[127:130], off, off offset:368
	s_waitcnt vmcnt(4)
	v_fma_f64 v[2:3], v[119:120], v[137:138], v[2:3]
	s_waitcnt lgkmcnt(0)
	s_delay_alu instid0(VALU_DEP_1)
	;; [unrolled: 13-line block ×3, first 2 shown]
	v_fma_f64 v[2:3], v[125:126], v[139:140], v[2:3]
	scratch_load_b64 v[139:140], off, off offset:416
	ds_load_2addr_b64 v[123:126], v1 offset0:99 offset1:100
	ds_load_2addr_b64 v[135:138], v1 offset0:101 offset1:102
	s_waitcnt vmcnt(4)
	v_fma_f64 v[2:3], v[115:116], v[141:142], v[2:3]
	s_waitcnt lgkmcnt(1)
	s_delay_alu instid0(VALU_DEP_1) | instskip(SKIP_1) | instid1(VALU_DEP_1)
	v_fma_f64 v[2:3], v[117:118], v[123:124], v[2:3]
	s_waitcnt vmcnt(3)
	v_fma_f64 v[2:3], v[127:128], v[125:126], v[2:3]
	s_waitcnt lgkmcnt(0)
	s_delay_alu instid0(VALU_DEP_1) | instskip(SKIP_1) | instid1(VALU_DEP_1)
	v_fma_f64 v[2:3], v[129:130], v[135:136], v[2:3]
	s_waitcnt vmcnt(2)
	v_fma_f64 v[119:120], v[119:120], v[137:138], v[2:3]
	ds_load_2addr_b64 v[115:118], v1 offset0:103 offset1:104
	ds_load_2addr_b64 v[1:4], v1 offset0:105 offset1:106
	s_waitcnt lgkmcnt(1)
	v_fma_f64 v[115:116], v[121:122], v[115:116], v[119:120]
	s_waitcnt vmcnt(1)
	s_delay_alu instid0(VALU_DEP_1) | instskip(SKIP_1) | instid1(VALU_DEP_1)
	v_fma_f64 v[115:116], v[131:132], v[117:118], v[115:116]
	s_waitcnt lgkmcnt(0)
	v_fma_f64 v[1:2], v[133:134], v[1:2], v[115:116]
	s_waitcnt vmcnt(0)
	s_delay_alu instid0(VALU_DEP_1) | instskip(NEXT) | instid1(VALU_DEP_1)
	v_fma_f64 v[1:2], v[139:140], v[3:4], v[1:2]
	v_add_f64 v[1:2], v[113:114], -v[1:2]
	scratch_store_b64 off, v[1:2], off offset:96
	v_cmpx_lt_u32_e32 11, v0
	s_cbranch_execz .LBB52_305
; %bb.304:
	scratch_load_b64 v[1:2], off, off offset:88
	v_mov_b32_e32 v3, 0
	s_delay_alu instid0(VALU_DEP_1)
	v_mov_b32_e32 v4, v3
	scratch_store_b64 off, v[3:4], off offset:88
	s_waitcnt vmcnt(0)
	ds_store_b64 v5, v[1:2]
.LBB52_305:
	s_or_b32 exec_lo, exec_lo, s0
	s_waitcnt lgkmcnt(0)
	s_waitcnt_vscnt null, 0x0
	s_barrier
	buffer_gl0_inv
	s_clause 0x4
	scratch_load_b128 v[113:116], off, off offset:88
	scratch_load_b128 v[117:120], off, off offset:104
	;; [unrolled: 1-line block ×5, first 2 shown]
	v_mov_b32_e32 v1, 0
	ds_load_b128 v[133:136], v1 offset:528
	ds_load_b128 v[137:140], v1 offset:544
	scratch_load_b128 v[141:144], off, off offset:168
	s_mov_b32 s0, exec_lo
	s_waitcnt vmcnt(5) lgkmcnt(1)
	v_fma_f64 v[2:3], v[115:116], v[133:134], 0
	s_waitcnt vmcnt(4)
	s_delay_alu instid0(VALU_DEP_1) | instskip(SKIP_4) | instid1(VALU_DEP_1)
	v_fma_f64 v[2:3], v[117:118], v[135:136], v[2:3]
	scratch_load_b128 v[115:118], off, off offset:184
	s_waitcnt lgkmcnt(0)
	v_fma_f64 v[2:3], v[119:120], v[137:138], v[2:3]
	s_waitcnt vmcnt(4)
	v_fma_f64 v[2:3], v[121:122], v[139:140], v[2:3]
	ds_load_b128 v[119:122], v1 offset:560
	ds_load_b128 v[133:136], v1 offset:576
	scratch_load_b128 v[137:140], off, off offset:200
	s_waitcnt lgkmcnt(1)
	v_fma_f64 v[2:3], v[123:124], v[119:120], v[2:3]
	s_waitcnt vmcnt(4)
	s_delay_alu instid0(VALU_DEP_1) | instskip(SKIP_4) | instid1(VALU_DEP_1)
	v_fma_f64 v[2:3], v[125:126], v[121:122], v[2:3]
	scratch_load_b128 v[119:122], off, off offset:216
	s_waitcnt lgkmcnt(0)
	v_fma_f64 v[2:3], v[127:128], v[133:134], v[2:3]
	s_waitcnt vmcnt(4)
	v_fma_f64 v[2:3], v[129:130], v[135:136], v[2:3]
	ds_load_b128 v[123:126], v1 offset:592
	ds_load_b128 v[127:130], v1 offset:608
	s_waitcnt lgkmcnt(1)
	v_fma_f64 v[2:3], v[131:132], v[123:124], v[2:3]
	scratch_load_b128 v[131:134], off, off offset:232
	s_waitcnt vmcnt(4)
	v_fma_f64 v[2:3], v[141:142], v[125:126], v[2:3]
	scratch_load_b128 v[123:126], off, off offset:248
	s_waitcnt lgkmcnt(0)
	v_fma_f64 v[2:3], v[143:144], v[127:128], v[2:3]
	s_waitcnt vmcnt(4)
	s_delay_alu instid0(VALU_DEP_1)
	v_fma_f64 v[2:3], v[115:116], v[129:130], v[2:3]
	ds_load_b128 v[127:130], v1 offset:624
	ds_load_b128 v[141:144], v1 offset:640
	s_waitcnt lgkmcnt(1)
	v_fma_f64 v[2:3], v[117:118], v[127:128], v[2:3]
	scratch_load_b128 v[115:118], off, off offset:264
	s_waitcnt vmcnt(4)
	v_fma_f64 v[2:3], v[137:138], v[129:130], v[2:3]
	scratch_load_b128 v[127:130], off, off offset:280
	s_waitcnt lgkmcnt(0)
	v_fma_f64 v[2:3], v[139:140], v[141:142], v[2:3]
	ds_load_b128 v[135:138], v1 offset:656
	ds_load_b128 v[139:142], v1 offset:672
	s_waitcnt vmcnt(4)
	v_fma_f64 v[2:3], v[119:120], v[143:144], v[2:3]
	s_waitcnt lgkmcnt(1)
	s_delay_alu instid0(VALU_DEP_1) | instskip(SKIP_4) | instid1(VALU_DEP_1)
	v_fma_f64 v[2:3], v[121:122], v[135:136], v[2:3]
	scratch_load_b128 v[119:122], off, off offset:296
	s_waitcnt vmcnt(4)
	v_fma_f64 v[2:3], v[131:132], v[137:138], v[2:3]
	s_waitcnt lgkmcnt(0)
	v_fma_f64 v[2:3], v[133:134], v[139:140], v[2:3]
	scratch_load_b128 v[131:134], off, off offset:312
	s_waitcnt vmcnt(4)
	v_fma_f64 v[2:3], v[123:124], v[141:142], v[2:3]
	ds_load_b128 v[135:138], v1 offset:688
	ds_load_b128 v[139:142], v1 offset:704
	s_waitcnt lgkmcnt(1)
	v_fma_f64 v[2:3], v[125:126], v[135:136], v[2:3]
	scratch_load_b128 v[123:126], off, off offset:328
	s_waitcnt vmcnt(4)
	v_fma_f64 v[2:3], v[115:116], v[137:138], v[2:3]
	s_waitcnt lgkmcnt(0)
	s_delay_alu instid0(VALU_DEP_1)
	v_fma_f64 v[2:3], v[117:118], v[139:140], v[2:3]
	scratch_load_b128 v[115:118], off, off offset:344
	s_waitcnt vmcnt(4)
	v_fma_f64 v[2:3], v[127:128], v[141:142], v[2:3]
	ds_load_b128 v[135:138], v1 offset:720
	ds_load_b128 v[139:142], v1 offset:736
	s_waitcnt lgkmcnt(1)
	v_fma_f64 v[2:3], v[129:130], v[135:136], v[2:3]
	scratch_load_b128 v[127:130], off, off offset:360
	s_waitcnt vmcnt(4)
	v_fma_f64 v[2:3], v[119:120], v[137:138], v[2:3]
	s_waitcnt lgkmcnt(0)
	s_delay_alu instid0(VALU_DEP_1)
	;; [unrolled: 13-line block ×3, first 2 shown]
	v_fma_f64 v[2:3], v[125:126], v[139:140], v[2:3]
	scratch_load_b128 v[123:126], off, off offset:408
	s_waitcnt vmcnt(4)
	v_fma_f64 v[2:3], v[115:116], v[141:142], v[2:3]
	ds_load_b128 v[135:138], v1 offset:784
	ds_load_b128 v[139:142], v1 offset:800
	s_waitcnt lgkmcnt(1)
	v_fma_f64 v[2:3], v[117:118], v[135:136], v[2:3]
	s_waitcnt vmcnt(3)
	s_delay_alu instid0(VALU_DEP_1) | instskip(SKIP_1) | instid1(VALU_DEP_1)
	v_fma_f64 v[2:3], v[127:128], v[137:138], v[2:3]
	s_waitcnt lgkmcnt(0)
	v_fma_f64 v[2:3], v[129:130], v[139:140], v[2:3]
	ds_load_b128 v[115:118], v1 offset:816
	ds_load_b128 v[127:130], v1 offset:832
	s_waitcnt vmcnt(2)
	v_fma_f64 v[2:3], v[119:120], v[141:142], v[2:3]
	s_waitcnt lgkmcnt(1)
	s_delay_alu instid0(VALU_DEP_1) | instskip(SKIP_4) | instid1(VALU_DEP_1)
	v_fma_f64 v[2:3], v[121:122], v[115:116], v[2:3]
	ds_load_b64 v[115:116], v1 offset:848
	s_waitcnt vmcnt(1)
	v_fma_f64 v[2:3], v[131:132], v[117:118], v[2:3]
	s_waitcnt lgkmcnt(1)
	v_fma_f64 v[2:3], v[133:134], v[127:128], v[2:3]
	s_waitcnt vmcnt(0)
	s_delay_alu instid0(VALU_DEP_1) | instskip(SKIP_1) | instid1(VALU_DEP_1)
	v_fma_f64 v[2:3], v[123:124], v[129:130], v[2:3]
	s_waitcnt lgkmcnt(0)
	v_fma_f64 v[2:3], v[125:126], v[115:116], v[2:3]
	s_delay_alu instid0(VALU_DEP_1)
	v_add_f64 v[2:3], v[113:114], -v[2:3]
	scratch_store_b64 off, v[2:3], off offset:88
	v_cmpx_lt_u32_e32 10, v0
	s_cbranch_execz .LBB52_307
; %bb.306:
	scratch_load_b64 v[3:4], off, off offset:80
	v_mov_b32_e32 v2, v1
	scratch_store_b64 off, v[1:2], off offset:80
	s_waitcnt vmcnt(0)
	ds_store_b64 v5, v[3:4]
.LBB52_307:
	s_or_b32 exec_lo, exec_lo, s0
	s_waitcnt lgkmcnt(0)
	s_waitcnt_vscnt null, 0x0
	s_barrier
	buffer_gl0_inv
	s_clause 0x4
	scratch_load_b128 v[113:116], off, off offset:80
	scratch_load_b128 v[117:120], off, off offset:96
	;; [unrolled: 1-line block ×5, first 2 shown]
	ds_load_2addr_b64 v[133:136], v1 offset0:65 offset1:66
	ds_load_2addr_b64 v[137:140], v1 offset0:67 offset1:68
	scratch_load_b128 v[141:144], off, off offset:160
	s_mov_b32 s0, exec_lo
	s_waitcnt vmcnt(5) lgkmcnt(1)
	v_fma_f64 v[2:3], v[115:116], v[133:134], 0
	s_waitcnt vmcnt(4)
	s_delay_alu instid0(VALU_DEP_1) | instskip(SKIP_4) | instid1(VALU_DEP_1)
	v_fma_f64 v[2:3], v[117:118], v[135:136], v[2:3]
	scratch_load_b128 v[115:118], off, off offset:176
	s_waitcnt lgkmcnt(0)
	v_fma_f64 v[2:3], v[119:120], v[137:138], v[2:3]
	s_waitcnt vmcnt(4)
	v_fma_f64 v[2:3], v[121:122], v[139:140], v[2:3]
	ds_load_2addr_b64 v[119:122], v1 offset0:69 offset1:70
	ds_load_2addr_b64 v[133:136], v1 offset0:71 offset1:72
	scratch_load_b128 v[137:140], off, off offset:192
	s_waitcnt lgkmcnt(1)
	v_fma_f64 v[2:3], v[123:124], v[119:120], v[2:3]
	s_waitcnt vmcnt(4)
	s_delay_alu instid0(VALU_DEP_1) | instskip(SKIP_4) | instid1(VALU_DEP_1)
	v_fma_f64 v[2:3], v[125:126], v[121:122], v[2:3]
	scratch_load_b128 v[119:122], off, off offset:208
	s_waitcnt lgkmcnt(0)
	v_fma_f64 v[2:3], v[127:128], v[133:134], v[2:3]
	s_waitcnt vmcnt(4)
	v_fma_f64 v[2:3], v[129:130], v[135:136], v[2:3]
	ds_load_2addr_b64 v[123:126], v1 offset0:73 offset1:74
	ds_load_2addr_b64 v[127:130], v1 offset0:75 offset1:76
	s_waitcnt lgkmcnt(1)
	v_fma_f64 v[2:3], v[131:132], v[123:124], v[2:3]
	scratch_load_b128 v[131:134], off, off offset:224
	s_waitcnt vmcnt(4)
	v_fma_f64 v[2:3], v[141:142], v[125:126], v[2:3]
	scratch_load_b128 v[123:126], off, off offset:240
	s_waitcnt lgkmcnt(0)
	v_fma_f64 v[2:3], v[143:144], v[127:128], v[2:3]
	s_waitcnt vmcnt(4)
	s_delay_alu instid0(VALU_DEP_1)
	v_fma_f64 v[2:3], v[115:116], v[129:130], v[2:3]
	ds_load_2addr_b64 v[127:130], v1 offset0:77 offset1:78
	ds_load_2addr_b64 v[141:144], v1 offset0:79 offset1:80
	s_waitcnt lgkmcnt(1)
	v_fma_f64 v[2:3], v[117:118], v[127:128], v[2:3]
	scratch_load_b128 v[115:118], off, off offset:256
	s_waitcnt vmcnt(4)
	v_fma_f64 v[2:3], v[137:138], v[129:130], v[2:3]
	scratch_load_b128 v[127:130], off, off offset:272
	s_waitcnt lgkmcnt(0)
	v_fma_f64 v[2:3], v[139:140], v[141:142], v[2:3]
	ds_load_2addr_b64 v[135:138], v1 offset0:81 offset1:82
	ds_load_2addr_b64 v[139:142], v1 offset0:83 offset1:84
	s_waitcnt vmcnt(4)
	v_fma_f64 v[2:3], v[119:120], v[143:144], v[2:3]
	s_waitcnt lgkmcnt(1)
	s_delay_alu instid0(VALU_DEP_1) | instskip(SKIP_4) | instid1(VALU_DEP_1)
	v_fma_f64 v[2:3], v[121:122], v[135:136], v[2:3]
	scratch_load_b128 v[119:122], off, off offset:288
	s_waitcnt vmcnt(4)
	v_fma_f64 v[2:3], v[131:132], v[137:138], v[2:3]
	s_waitcnt lgkmcnt(0)
	v_fma_f64 v[2:3], v[133:134], v[139:140], v[2:3]
	scratch_load_b128 v[131:134], off, off offset:304
	s_waitcnt vmcnt(4)
	v_fma_f64 v[2:3], v[123:124], v[141:142], v[2:3]
	ds_load_2addr_b64 v[135:138], v1 offset0:85 offset1:86
	ds_load_2addr_b64 v[139:142], v1 offset0:87 offset1:88
	s_waitcnt lgkmcnt(1)
	v_fma_f64 v[2:3], v[125:126], v[135:136], v[2:3]
	scratch_load_b128 v[123:126], off, off offset:320
	s_waitcnt vmcnt(4)
	v_fma_f64 v[2:3], v[115:116], v[137:138], v[2:3]
	s_waitcnt lgkmcnt(0)
	s_delay_alu instid0(VALU_DEP_1)
	v_fma_f64 v[2:3], v[117:118], v[139:140], v[2:3]
	scratch_load_b128 v[115:118], off, off offset:336
	s_waitcnt vmcnt(4)
	v_fma_f64 v[2:3], v[127:128], v[141:142], v[2:3]
	ds_load_2addr_b64 v[135:138], v1 offset0:89 offset1:90
	ds_load_2addr_b64 v[139:142], v1 offset0:91 offset1:92
	s_waitcnt lgkmcnt(1)
	v_fma_f64 v[2:3], v[129:130], v[135:136], v[2:3]
	scratch_load_b128 v[127:130], off, off offset:352
	s_waitcnt vmcnt(4)
	v_fma_f64 v[2:3], v[119:120], v[137:138], v[2:3]
	s_waitcnt lgkmcnt(0)
	s_delay_alu instid0(VALU_DEP_1)
	;; [unrolled: 13-line block ×3, first 2 shown]
	v_fma_f64 v[2:3], v[125:126], v[139:140], v[2:3]
	scratch_load_b128 v[123:126], off, off offset:400
	s_waitcnt vmcnt(4)
	v_fma_f64 v[2:3], v[115:116], v[141:142], v[2:3]
	ds_load_2addr_b64 v[135:138], v1 offset0:97 offset1:98
	ds_load_2addr_b64 v[139:142], v1 offset0:99 offset1:100
	s_waitcnt lgkmcnt(1)
	v_fma_f64 v[2:3], v[117:118], v[135:136], v[2:3]
	scratch_load_b64 v[135:136], off, off offset:416
	s_waitcnt vmcnt(4)
	v_fma_f64 v[2:3], v[127:128], v[137:138], v[2:3]
	s_waitcnt lgkmcnt(0)
	s_delay_alu instid0(VALU_DEP_1)
	v_fma_f64 v[2:3], v[129:130], v[139:140], v[2:3]
	ds_load_2addr_b64 v[115:118], v1 offset0:101 offset1:102
	ds_load_2addr_b64 v[127:130], v1 offset0:103 offset1:104
	s_waitcnt vmcnt(3)
	v_fma_f64 v[2:3], v[119:120], v[141:142], v[2:3]
	s_waitcnt lgkmcnt(1)
	s_delay_alu instid0(VALU_DEP_1) | instskip(SKIP_1) | instid1(VALU_DEP_1)
	v_fma_f64 v[2:3], v[121:122], v[115:116], v[2:3]
	s_waitcnt vmcnt(2)
	v_fma_f64 v[2:3], v[131:132], v[117:118], v[2:3]
	s_waitcnt lgkmcnt(0)
	s_delay_alu instid0(VALU_DEP_1) | instskip(SKIP_1) | instid1(VALU_DEP_1)
	v_fma_f64 v[2:3], v[133:134], v[127:128], v[2:3]
	s_waitcnt vmcnt(1)
	v_fma_f64 v[115:116], v[123:124], v[129:130], v[2:3]
	ds_load_2addr_b64 v[1:4], v1 offset0:105 offset1:106
	s_waitcnt lgkmcnt(0)
	v_fma_f64 v[1:2], v[125:126], v[1:2], v[115:116]
	s_waitcnt vmcnt(0)
	s_delay_alu instid0(VALU_DEP_1) | instskip(NEXT) | instid1(VALU_DEP_1)
	v_fma_f64 v[1:2], v[135:136], v[3:4], v[1:2]
	v_add_f64 v[1:2], v[113:114], -v[1:2]
	scratch_store_b64 off, v[1:2], off offset:80
	v_cmpx_lt_u32_e32 9, v0
	s_cbranch_execz .LBB52_309
; %bb.308:
	scratch_load_b64 v[1:2], off, off offset:72
	v_mov_b32_e32 v3, 0
	s_delay_alu instid0(VALU_DEP_1)
	v_mov_b32_e32 v4, v3
	scratch_store_b64 off, v[3:4], off offset:72
	s_waitcnt vmcnt(0)
	ds_store_b64 v5, v[1:2]
.LBB52_309:
	s_or_b32 exec_lo, exec_lo, s0
	s_waitcnt lgkmcnt(0)
	s_waitcnt_vscnt null, 0x0
	s_barrier
	buffer_gl0_inv
	s_clause 0x4
	scratch_load_b128 v[113:116], off, off offset:72
	scratch_load_b128 v[117:120], off, off offset:88
	;; [unrolled: 1-line block ×5, first 2 shown]
	v_mov_b32_e32 v1, 0
	ds_load_b128 v[133:136], v1 offset:512
	ds_load_b128 v[137:140], v1 offset:528
	scratch_load_b128 v[141:144], off, off offset:152
	s_mov_b32 s0, exec_lo
	s_waitcnt vmcnt(5) lgkmcnt(1)
	v_fma_f64 v[2:3], v[115:116], v[133:134], 0
	s_waitcnt vmcnt(4)
	s_delay_alu instid0(VALU_DEP_1) | instskip(SKIP_4) | instid1(VALU_DEP_1)
	v_fma_f64 v[2:3], v[117:118], v[135:136], v[2:3]
	scratch_load_b128 v[115:118], off, off offset:168
	s_waitcnt lgkmcnt(0)
	v_fma_f64 v[2:3], v[119:120], v[137:138], v[2:3]
	s_waitcnt vmcnt(4)
	v_fma_f64 v[2:3], v[121:122], v[139:140], v[2:3]
	ds_load_b128 v[119:122], v1 offset:544
	ds_load_b128 v[133:136], v1 offset:560
	scratch_load_b128 v[137:140], off, off offset:184
	s_waitcnt lgkmcnt(1)
	v_fma_f64 v[2:3], v[123:124], v[119:120], v[2:3]
	s_waitcnt vmcnt(4)
	s_delay_alu instid0(VALU_DEP_1) | instskip(SKIP_4) | instid1(VALU_DEP_1)
	v_fma_f64 v[2:3], v[125:126], v[121:122], v[2:3]
	scratch_load_b128 v[119:122], off, off offset:200
	s_waitcnt lgkmcnt(0)
	v_fma_f64 v[2:3], v[127:128], v[133:134], v[2:3]
	s_waitcnt vmcnt(4)
	v_fma_f64 v[2:3], v[129:130], v[135:136], v[2:3]
	ds_load_b128 v[123:126], v1 offset:576
	ds_load_b128 v[127:130], v1 offset:592
	s_waitcnt lgkmcnt(1)
	v_fma_f64 v[2:3], v[131:132], v[123:124], v[2:3]
	scratch_load_b128 v[131:134], off, off offset:216
	s_waitcnt vmcnt(4)
	v_fma_f64 v[2:3], v[141:142], v[125:126], v[2:3]
	scratch_load_b128 v[123:126], off, off offset:232
	s_waitcnt lgkmcnt(0)
	v_fma_f64 v[2:3], v[143:144], v[127:128], v[2:3]
	s_waitcnt vmcnt(4)
	s_delay_alu instid0(VALU_DEP_1)
	v_fma_f64 v[2:3], v[115:116], v[129:130], v[2:3]
	ds_load_b128 v[127:130], v1 offset:608
	ds_load_b128 v[141:144], v1 offset:624
	s_waitcnt lgkmcnt(1)
	v_fma_f64 v[2:3], v[117:118], v[127:128], v[2:3]
	scratch_load_b128 v[115:118], off, off offset:248
	s_waitcnt vmcnt(4)
	v_fma_f64 v[2:3], v[137:138], v[129:130], v[2:3]
	scratch_load_b128 v[127:130], off, off offset:264
	s_waitcnt lgkmcnt(0)
	v_fma_f64 v[2:3], v[139:140], v[141:142], v[2:3]
	ds_load_b128 v[135:138], v1 offset:640
	ds_load_b128 v[139:142], v1 offset:656
	s_waitcnt vmcnt(4)
	v_fma_f64 v[2:3], v[119:120], v[143:144], v[2:3]
	s_waitcnt lgkmcnt(1)
	s_delay_alu instid0(VALU_DEP_1) | instskip(SKIP_4) | instid1(VALU_DEP_1)
	v_fma_f64 v[2:3], v[121:122], v[135:136], v[2:3]
	scratch_load_b128 v[119:122], off, off offset:280
	s_waitcnt vmcnt(4)
	v_fma_f64 v[2:3], v[131:132], v[137:138], v[2:3]
	s_waitcnt lgkmcnt(0)
	v_fma_f64 v[2:3], v[133:134], v[139:140], v[2:3]
	scratch_load_b128 v[131:134], off, off offset:296
	s_waitcnt vmcnt(4)
	v_fma_f64 v[2:3], v[123:124], v[141:142], v[2:3]
	ds_load_b128 v[135:138], v1 offset:672
	ds_load_b128 v[139:142], v1 offset:688
	s_waitcnt lgkmcnt(1)
	v_fma_f64 v[2:3], v[125:126], v[135:136], v[2:3]
	scratch_load_b128 v[123:126], off, off offset:312
	s_waitcnt vmcnt(4)
	v_fma_f64 v[2:3], v[115:116], v[137:138], v[2:3]
	s_waitcnt lgkmcnt(0)
	s_delay_alu instid0(VALU_DEP_1)
	v_fma_f64 v[2:3], v[117:118], v[139:140], v[2:3]
	scratch_load_b128 v[115:118], off, off offset:328
	s_waitcnt vmcnt(4)
	v_fma_f64 v[2:3], v[127:128], v[141:142], v[2:3]
	ds_load_b128 v[135:138], v1 offset:704
	ds_load_b128 v[139:142], v1 offset:720
	s_waitcnt lgkmcnt(1)
	v_fma_f64 v[2:3], v[129:130], v[135:136], v[2:3]
	scratch_load_b128 v[127:130], off, off offset:344
	s_waitcnt vmcnt(4)
	v_fma_f64 v[2:3], v[119:120], v[137:138], v[2:3]
	s_waitcnt lgkmcnt(0)
	s_delay_alu instid0(VALU_DEP_1)
	;; [unrolled: 13-line block ×4, first 2 shown]
	v_fma_f64 v[2:3], v[129:130], v[139:140], v[2:3]
	ds_load_b128 v[127:130], v1 offset:800
	ds_load_b128 v[135:138], v1 offset:816
	s_waitcnt vmcnt(3)
	v_fma_f64 v[2:3], v[119:120], v[141:142], v[2:3]
	s_waitcnt lgkmcnt(1)
	s_delay_alu instid0(VALU_DEP_1) | instskip(SKIP_1) | instid1(VALU_DEP_1)
	v_fma_f64 v[2:3], v[121:122], v[127:128], v[2:3]
	s_waitcnt vmcnt(2)
	v_fma_f64 v[2:3], v[131:132], v[129:130], v[2:3]
	s_waitcnt lgkmcnt(0)
	s_delay_alu instid0(VALU_DEP_1) | instskip(SKIP_1) | instid1(VALU_DEP_1)
	v_fma_f64 v[2:3], v[133:134], v[135:136], v[2:3]
	s_waitcnt vmcnt(1)
	v_fma_f64 v[2:3], v[123:124], v[137:138], v[2:3]
	ds_load_b128 v[119:122], v1 offset:832
	ds_load_b64 v[123:124], v1 offset:848
	s_waitcnt lgkmcnt(1)
	v_fma_f64 v[2:3], v[125:126], v[119:120], v[2:3]
	s_waitcnt vmcnt(0)
	s_delay_alu instid0(VALU_DEP_1) | instskip(SKIP_1) | instid1(VALU_DEP_1)
	v_fma_f64 v[2:3], v[115:116], v[121:122], v[2:3]
	s_waitcnt lgkmcnt(0)
	v_fma_f64 v[2:3], v[117:118], v[123:124], v[2:3]
	s_delay_alu instid0(VALU_DEP_1)
	v_add_f64 v[2:3], v[113:114], -v[2:3]
	scratch_store_b64 off, v[2:3], off offset:72
	v_cmpx_lt_u32_e32 8, v0
	s_cbranch_execz .LBB52_311
; %bb.310:
	scratch_load_b64 v[3:4], off, off offset:64
	v_mov_b32_e32 v2, v1
	scratch_store_b64 off, v[1:2], off offset:64
	s_waitcnt vmcnt(0)
	ds_store_b64 v5, v[3:4]
.LBB52_311:
	s_or_b32 exec_lo, exec_lo, s0
	s_waitcnt lgkmcnt(0)
	s_waitcnt_vscnt null, 0x0
	s_barrier
	buffer_gl0_inv
	s_clause 0x4
	scratch_load_b128 v[113:116], off, off offset:64
	scratch_load_b128 v[117:120], off, off offset:80
	;; [unrolled: 1-line block ×5, first 2 shown]
	ds_load_2addr_b64 v[133:136], v1 offset0:63 offset1:64
	ds_load_2addr_b64 v[137:140], v1 offset0:65 offset1:66
	scratch_load_b128 v[141:144], off, off offset:144
	s_mov_b32 s0, exec_lo
	s_waitcnt vmcnt(5) lgkmcnt(1)
	v_fma_f64 v[2:3], v[115:116], v[133:134], 0
	s_waitcnt vmcnt(4)
	s_delay_alu instid0(VALU_DEP_1) | instskip(SKIP_4) | instid1(VALU_DEP_1)
	v_fma_f64 v[2:3], v[117:118], v[135:136], v[2:3]
	scratch_load_b128 v[115:118], off, off offset:160
	s_waitcnt lgkmcnt(0)
	v_fma_f64 v[2:3], v[119:120], v[137:138], v[2:3]
	s_waitcnt vmcnt(4)
	v_fma_f64 v[2:3], v[121:122], v[139:140], v[2:3]
	ds_load_2addr_b64 v[119:122], v1 offset0:67 offset1:68
	ds_load_2addr_b64 v[133:136], v1 offset0:69 offset1:70
	scratch_load_b128 v[137:140], off, off offset:176
	s_waitcnt lgkmcnt(1)
	v_fma_f64 v[2:3], v[123:124], v[119:120], v[2:3]
	s_waitcnt vmcnt(4)
	s_delay_alu instid0(VALU_DEP_1) | instskip(SKIP_4) | instid1(VALU_DEP_1)
	v_fma_f64 v[2:3], v[125:126], v[121:122], v[2:3]
	scratch_load_b128 v[119:122], off, off offset:192
	s_waitcnt lgkmcnt(0)
	v_fma_f64 v[2:3], v[127:128], v[133:134], v[2:3]
	s_waitcnt vmcnt(4)
	v_fma_f64 v[2:3], v[129:130], v[135:136], v[2:3]
	ds_load_2addr_b64 v[123:126], v1 offset0:71 offset1:72
	ds_load_2addr_b64 v[127:130], v1 offset0:73 offset1:74
	s_waitcnt lgkmcnt(1)
	v_fma_f64 v[2:3], v[131:132], v[123:124], v[2:3]
	scratch_load_b128 v[131:134], off, off offset:208
	s_waitcnt vmcnt(4)
	v_fma_f64 v[2:3], v[141:142], v[125:126], v[2:3]
	scratch_load_b128 v[123:126], off, off offset:224
	s_waitcnt lgkmcnt(0)
	v_fma_f64 v[2:3], v[143:144], v[127:128], v[2:3]
	s_waitcnt vmcnt(4)
	s_delay_alu instid0(VALU_DEP_1)
	v_fma_f64 v[2:3], v[115:116], v[129:130], v[2:3]
	ds_load_2addr_b64 v[127:130], v1 offset0:75 offset1:76
	ds_load_2addr_b64 v[141:144], v1 offset0:77 offset1:78
	s_waitcnt lgkmcnt(1)
	v_fma_f64 v[2:3], v[117:118], v[127:128], v[2:3]
	scratch_load_b128 v[115:118], off, off offset:240
	s_waitcnt vmcnt(4)
	v_fma_f64 v[2:3], v[137:138], v[129:130], v[2:3]
	scratch_load_b128 v[127:130], off, off offset:256
	s_waitcnt lgkmcnt(0)
	v_fma_f64 v[2:3], v[139:140], v[141:142], v[2:3]
	ds_load_2addr_b64 v[135:138], v1 offset0:79 offset1:80
	ds_load_2addr_b64 v[139:142], v1 offset0:81 offset1:82
	s_waitcnt vmcnt(4)
	v_fma_f64 v[2:3], v[119:120], v[143:144], v[2:3]
	s_waitcnt lgkmcnt(1)
	s_delay_alu instid0(VALU_DEP_1) | instskip(SKIP_4) | instid1(VALU_DEP_1)
	v_fma_f64 v[2:3], v[121:122], v[135:136], v[2:3]
	scratch_load_b128 v[119:122], off, off offset:272
	s_waitcnt vmcnt(4)
	v_fma_f64 v[2:3], v[131:132], v[137:138], v[2:3]
	s_waitcnt lgkmcnt(0)
	v_fma_f64 v[2:3], v[133:134], v[139:140], v[2:3]
	scratch_load_b128 v[131:134], off, off offset:288
	s_waitcnt vmcnt(4)
	v_fma_f64 v[2:3], v[123:124], v[141:142], v[2:3]
	ds_load_2addr_b64 v[135:138], v1 offset0:83 offset1:84
	ds_load_2addr_b64 v[139:142], v1 offset0:85 offset1:86
	s_waitcnt lgkmcnt(1)
	v_fma_f64 v[2:3], v[125:126], v[135:136], v[2:3]
	scratch_load_b128 v[123:126], off, off offset:304
	s_waitcnt vmcnt(4)
	v_fma_f64 v[2:3], v[115:116], v[137:138], v[2:3]
	s_waitcnt lgkmcnt(0)
	s_delay_alu instid0(VALU_DEP_1)
	v_fma_f64 v[2:3], v[117:118], v[139:140], v[2:3]
	scratch_load_b128 v[115:118], off, off offset:320
	s_waitcnt vmcnt(4)
	v_fma_f64 v[2:3], v[127:128], v[141:142], v[2:3]
	ds_load_2addr_b64 v[135:138], v1 offset0:87 offset1:88
	ds_load_2addr_b64 v[139:142], v1 offset0:89 offset1:90
	s_waitcnt lgkmcnt(1)
	v_fma_f64 v[2:3], v[129:130], v[135:136], v[2:3]
	scratch_load_b128 v[127:130], off, off offset:336
	s_waitcnt vmcnt(4)
	v_fma_f64 v[2:3], v[119:120], v[137:138], v[2:3]
	s_waitcnt lgkmcnt(0)
	s_delay_alu instid0(VALU_DEP_1)
	;; [unrolled: 13-line block ×4, first 2 shown]
	v_fma_f64 v[2:3], v[129:130], v[139:140], v[2:3]
	scratch_load_b64 v[139:140], off, off offset:416
	ds_load_2addr_b64 v[127:130], v1 offset0:99 offset1:100
	ds_load_2addr_b64 v[135:138], v1 offset0:101 offset1:102
	s_waitcnt vmcnt(4)
	v_fma_f64 v[2:3], v[119:120], v[141:142], v[2:3]
	s_waitcnt lgkmcnt(1)
	s_delay_alu instid0(VALU_DEP_1) | instskip(SKIP_1) | instid1(VALU_DEP_1)
	v_fma_f64 v[2:3], v[121:122], v[127:128], v[2:3]
	s_waitcnt vmcnt(3)
	v_fma_f64 v[2:3], v[131:132], v[129:130], v[2:3]
	s_waitcnt lgkmcnt(0)
	s_delay_alu instid0(VALU_DEP_1) | instskip(SKIP_1) | instid1(VALU_DEP_1)
	v_fma_f64 v[2:3], v[133:134], v[135:136], v[2:3]
	s_waitcnt vmcnt(2)
	v_fma_f64 v[123:124], v[123:124], v[137:138], v[2:3]
	ds_load_2addr_b64 v[119:122], v1 offset0:103 offset1:104
	ds_load_2addr_b64 v[1:4], v1 offset0:105 offset1:106
	s_waitcnt lgkmcnt(1)
	v_fma_f64 v[119:120], v[125:126], v[119:120], v[123:124]
	s_waitcnt vmcnt(1)
	s_delay_alu instid0(VALU_DEP_1) | instskip(SKIP_1) | instid1(VALU_DEP_1)
	v_fma_f64 v[115:116], v[115:116], v[121:122], v[119:120]
	s_waitcnt lgkmcnt(0)
	v_fma_f64 v[1:2], v[117:118], v[1:2], v[115:116]
	s_waitcnt vmcnt(0)
	s_delay_alu instid0(VALU_DEP_1) | instskip(NEXT) | instid1(VALU_DEP_1)
	v_fma_f64 v[1:2], v[139:140], v[3:4], v[1:2]
	v_add_f64 v[1:2], v[113:114], -v[1:2]
	scratch_store_b64 off, v[1:2], off offset:64
	v_cmpx_lt_u32_e32 7, v0
	s_cbranch_execz .LBB52_313
; %bb.312:
	scratch_load_b64 v[1:2], off, off offset:56
	v_mov_b32_e32 v3, 0
	s_delay_alu instid0(VALU_DEP_1)
	v_mov_b32_e32 v4, v3
	scratch_store_b64 off, v[3:4], off offset:56
	s_waitcnt vmcnt(0)
	ds_store_b64 v5, v[1:2]
.LBB52_313:
	s_or_b32 exec_lo, exec_lo, s0
	s_waitcnt lgkmcnt(0)
	s_waitcnt_vscnt null, 0x0
	s_barrier
	buffer_gl0_inv
	s_clause 0x4
	scratch_load_b128 v[1:4], off, off offset:56
	scratch_load_b128 v[114:117], off, off offset:72
	;; [unrolled: 1-line block ×5, first 2 shown]
	v_mov_b32_e32 v113, 0
	ds_load_b128 v[130:133], v113 offset:496
	ds_load_b128 v[134:137], v113 offset:512
	scratch_load_b128 v[138:141], off, off offset:136
	s_mov_b32 s0, exec_lo
	s_waitcnt vmcnt(5) lgkmcnt(1)
	v_fma_f64 v[3:4], v[3:4], v[130:131], 0
	s_waitcnt vmcnt(4)
	s_delay_alu instid0(VALU_DEP_1) | instskip(SKIP_1) | instid1(VALU_DEP_1)
	v_fma_f64 v[3:4], v[114:115], v[132:133], v[3:4]
	s_waitcnt lgkmcnt(0)
	v_fma_f64 v[3:4], v[116:117], v[134:135], v[3:4]
	scratch_load_b128 v[114:117], off, off offset:152
	s_waitcnt vmcnt(4)
	v_fma_f64 v[3:4], v[118:119], v[136:137], v[3:4]
	ds_load_b128 v[130:133], v113 offset:528
	ds_load_b128 v[134:137], v113 offset:544
	s_waitcnt lgkmcnt(1)
	v_fma_f64 v[3:4], v[120:121], v[130:131], v[3:4]
	scratch_load_b128 v[118:121], off, off offset:168
	s_waitcnt vmcnt(4)
	v_fma_f64 v[3:4], v[122:123], v[132:133], v[3:4]
	s_waitcnt lgkmcnt(0)
	s_delay_alu instid0(VALU_DEP_1)
	v_fma_f64 v[3:4], v[124:125], v[134:135], v[3:4]
	scratch_load_b128 v[122:125], off, off offset:184
	s_waitcnt vmcnt(4)
	v_fma_f64 v[3:4], v[126:127], v[136:137], v[3:4]
	ds_load_b128 v[130:133], v113 offset:560
	ds_load_b128 v[134:137], v113 offset:576
	s_waitcnt lgkmcnt(1)
	v_fma_f64 v[3:4], v[128:129], v[130:131], v[3:4]
	scratch_load_b128 v[126:129], off, off offset:200
	s_waitcnt vmcnt(4)
	v_fma_f64 v[3:4], v[138:139], v[132:133], v[3:4]
	scratch_load_b128 v[130:133], off, off offset:216
	s_waitcnt lgkmcnt(0)
	v_fma_f64 v[3:4], v[140:141], v[134:135], v[3:4]
	s_waitcnt vmcnt(4)
	s_delay_alu instid0(VALU_DEP_1)
	v_fma_f64 v[3:4], v[114:115], v[136:137], v[3:4]
	ds_load_b128 v[134:137], v113 offset:592
	ds_load_b128 v[138:141], v113 offset:608
	s_waitcnt lgkmcnt(1)
	v_fma_f64 v[3:4], v[116:117], v[134:135], v[3:4]
	scratch_load_b128 v[114:117], off, off offset:232
	s_waitcnt vmcnt(4)
	v_fma_f64 v[3:4], v[118:119], v[136:137], v[3:4]
	s_waitcnt lgkmcnt(0)
	s_delay_alu instid0(VALU_DEP_1)
	v_fma_f64 v[3:4], v[120:121], v[138:139], v[3:4]
	scratch_load_b128 v[118:121], off, off offset:248
	s_waitcnt vmcnt(4)
	v_fma_f64 v[3:4], v[122:123], v[140:141], v[3:4]
	ds_load_b128 v[134:137], v113 offset:624
	ds_load_b128 v[138:141], v113 offset:640
	s_waitcnt lgkmcnt(1)
	v_fma_f64 v[3:4], v[124:125], v[134:135], v[3:4]
	scratch_load_b128 v[122:125], off, off offset:264
	s_waitcnt vmcnt(4)
	v_fma_f64 v[3:4], v[126:127], v[136:137], v[3:4]
	s_waitcnt lgkmcnt(0)
	s_delay_alu instid0(VALU_DEP_1)
	v_fma_f64 v[3:4], v[128:129], v[138:139], v[3:4]
	scratch_load_b128 v[126:129], off, off offset:280
	s_waitcnt vmcnt(4)
	;; [unrolled: 13-line block ×6, first 2 shown]
	v_fma_f64 v[3:4], v[122:123], v[140:141], v[3:4]
	ds_load_b128 v[134:137], v113 offset:784
	ds_load_b128 v[138:141], v113 offset:800
	s_waitcnt lgkmcnt(1)
	v_fma_f64 v[3:4], v[124:125], v[134:135], v[3:4]
	s_waitcnt vmcnt(3)
	s_delay_alu instid0(VALU_DEP_1) | instskip(SKIP_1) | instid1(VALU_DEP_1)
	v_fma_f64 v[3:4], v[126:127], v[136:137], v[3:4]
	s_waitcnt lgkmcnt(0)
	v_fma_f64 v[3:4], v[128:129], v[138:139], v[3:4]
	ds_load_b128 v[122:125], v113 offset:816
	ds_load_b128 v[126:129], v113 offset:832
	s_waitcnt vmcnt(2)
	v_fma_f64 v[3:4], v[130:131], v[140:141], v[3:4]
	s_waitcnt lgkmcnt(1)
	s_delay_alu instid0(VALU_DEP_1) | instskip(SKIP_1) | instid1(VALU_DEP_1)
	v_fma_f64 v[3:4], v[132:133], v[122:123], v[3:4]
	s_waitcnt vmcnt(1)
	v_fma_f64 v[3:4], v[114:115], v[124:125], v[3:4]
	ds_load_b64 v[114:115], v113 offset:848
	s_waitcnt lgkmcnt(1)
	v_fma_f64 v[3:4], v[116:117], v[126:127], v[3:4]
	s_waitcnt vmcnt(0)
	s_delay_alu instid0(VALU_DEP_1) | instskip(SKIP_1) | instid1(VALU_DEP_1)
	v_fma_f64 v[3:4], v[118:119], v[128:129], v[3:4]
	s_waitcnt lgkmcnt(0)
	v_fma_f64 v[3:4], v[120:121], v[114:115], v[3:4]
	s_delay_alu instid0(VALU_DEP_1)
	v_add_f64 v[1:2], v[1:2], -v[3:4]
	scratch_store_b64 off, v[1:2], off offset:56
	v_cmpx_lt_u32_e32 6, v0
	s_cbranch_execz .LBB52_315
; %bb.314:
	scratch_load_b64 v[1:2], off, off offset:48
	v_mov_b32_e32 v114, v113
	scratch_store_b64 off, v[113:114], off offset:48
	s_waitcnt vmcnt(0)
	ds_store_b64 v5, v[1:2]
.LBB52_315:
	s_or_b32 exec_lo, exec_lo, s0
	s_waitcnt lgkmcnt(0)
	s_waitcnt_vscnt null, 0x0
	s_barrier
	buffer_gl0_inv
	s_clause 0x4
	scratch_load_b128 v[1:4], off, off offset:48
	scratch_load_b128 v[114:117], off, off offset:64
	;; [unrolled: 1-line block ×5, first 2 shown]
	ds_load_2addr_b64 v[130:133], v113 offset0:61 offset1:62
	ds_load_2addr_b64 v[134:137], v113 offset0:63 offset1:64
	scratch_load_b128 v[138:141], off, off offset:128
	s_mov_b32 s0, exec_lo
	s_waitcnt vmcnt(5) lgkmcnt(1)
	v_fma_f64 v[3:4], v[3:4], v[130:131], 0
	s_waitcnt vmcnt(4)
	s_delay_alu instid0(VALU_DEP_1) | instskip(SKIP_1) | instid1(VALU_DEP_1)
	v_fma_f64 v[3:4], v[114:115], v[132:133], v[3:4]
	s_waitcnt lgkmcnt(0)
	v_fma_f64 v[3:4], v[116:117], v[134:135], v[3:4]
	scratch_load_b128 v[114:117], off, off offset:144
	s_waitcnt vmcnt(4)
	v_fma_f64 v[3:4], v[118:119], v[136:137], v[3:4]
	ds_load_2addr_b64 v[130:133], v113 offset0:65 offset1:66
	ds_load_2addr_b64 v[134:137], v113 offset0:67 offset1:68
	s_waitcnt lgkmcnt(1)
	v_fma_f64 v[3:4], v[120:121], v[130:131], v[3:4]
	scratch_load_b128 v[118:121], off, off offset:160
	s_waitcnt vmcnt(4)
	v_fma_f64 v[3:4], v[122:123], v[132:133], v[3:4]
	s_waitcnt lgkmcnt(0)
	s_delay_alu instid0(VALU_DEP_1)
	v_fma_f64 v[3:4], v[124:125], v[134:135], v[3:4]
	scratch_load_b128 v[122:125], off, off offset:176
	s_waitcnt vmcnt(4)
	v_fma_f64 v[3:4], v[126:127], v[136:137], v[3:4]
	ds_load_2addr_b64 v[130:133], v113 offset0:69 offset1:70
	ds_load_2addr_b64 v[134:137], v113 offset0:71 offset1:72
	s_waitcnt lgkmcnt(1)
	v_fma_f64 v[3:4], v[128:129], v[130:131], v[3:4]
	scratch_load_b128 v[126:129], off, off offset:192
	s_waitcnt vmcnt(4)
	v_fma_f64 v[3:4], v[138:139], v[132:133], v[3:4]
	scratch_load_b128 v[130:133], off, off offset:208
	s_waitcnt lgkmcnt(0)
	v_fma_f64 v[3:4], v[140:141], v[134:135], v[3:4]
	s_waitcnt vmcnt(4)
	s_delay_alu instid0(VALU_DEP_1)
	v_fma_f64 v[3:4], v[114:115], v[136:137], v[3:4]
	ds_load_2addr_b64 v[134:137], v113 offset0:73 offset1:74
	ds_load_2addr_b64 v[138:141], v113 offset0:75 offset1:76
	s_waitcnt lgkmcnt(1)
	v_fma_f64 v[3:4], v[116:117], v[134:135], v[3:4]
	scratch_load_b128 v[114:117], off, off offset:224
	s_waitcnt vmcnt(4)
	v_fma_f64 v[3:4], v[118:119], v[136:137], v[3:4]
	s_waitcnt lgkmcnt(0)
	s_delay_alu instid0(VALU_DEP_1)
	v_fma_f64 v[3:4], v[120:121], v[138:139], v[3:4]
	scratch_load_b128 v[118:121], off, off offset:240
	s_waitcnt vmcnt(4)
	v_fma_f64 v[3:4], v[122:123], v[140:141], v[3:4]
	ds_load_2addr_b64 v[134:137], v113 offset0:77 offset1:78
	ds_load_2addr_b64 v[138:141], v113 offset0:79 offset1:80
	s_waitcnt lgkmcnt(1)
	v_fma_f64 v[3:4], v[124:125], v[134:135], v[3:4]
	scratch_load_b128 v[122:125], off, off offset:256
	s_waitcnt vmcnt(4)
	v_fma_f64 v[3:4], v[126:127], v[136:137], v[3:4]
	s_waitcnt lgkmcnt(0)
	s_delay_alu instid0(VALU_DEP_1)
	v_fma_f64 v[3:4], v[128:129], v[138:139], v[3:4]
	scratch_load_b128 v[126:129], off, off offset:272
	s_waitcnt vmcnt(4)
	v_fma_f64 v[3:4], v[130:131], v[140:141], v[3:4]
	ds_load_2addr_b64 v[134:137], v113 offset0:81 offset1:82
	ds_load_2addr_b64 v[138:141], v113 offset0:83 offset1:84
	s_waitcnt lgkmcnt(1)
	v_fma_f64 v[3:4], v[132:133], v[134:135], v[3:4]
	scratch_load_b128 v[130:133], off, off offset:288
	s_waitcnt vmcnt(4)
	v_fma_f64 v[3:4], v[114:115], v[136:137], v[3:4]
	s_waitcnt lgkmcnt(0)
	s_delay_alu instid0(VALU_DEP_1)
	v_fma_f64 v[3:4], v[116:117], v[138:139], v[3:4]
	scratch_load_b128 v[114:117], off, off offset:304
	s_waitcnt vmcnt(4)
	v_fma_f64 v[3:4], v[118:119], v[140:141], v[3:4]
	ds_load_2addr_b64 v[134:137], v113 offset0:85 offset1:86
	ds_load_2addr_b64 v[138:141], v113 offset0:87 offset1:88
	s_waitcnt lgkmcnt(1)
	v_fma_f64 v[3:4], v[120:121], v[134:135], v[3:4]
	scratch_load_b128 v[118:121], off, off offset:320
	s_waitcnt vmcnt(4)
	v_fma_f64 v[3:4], v[122:123], v[136:137], v[3:4]
	s_waitcnt lgkmcnt(0)
	s_delay_alu instid0(VALU_DEP_1)
	v_fma_f64 v[3:4], v[124:125], v[138:139], v[3:4]
	scratch_load_b128 v[122:125], off, off offset:336
	s_waitcnt vmcnt(4)
	v_fma_f64 v[3:4], v[126:127], v[140:141], v[3:4]
	ds_load_2addr_b64 v[134:137], v113 offset0:89 offset1:90
	ds_load_2addr_b64 v[138:141], v113 offset0:91 offset1:92
	s_waitcnt lgkmcnt(1)
	v_fma_f64 v[3:4], v[128:129], v[134:135], v[3:4]
	scratch_load_b128 v[126:129], off, off offset:352
	s_waitcnt vmcnt(4)
	v_fma_f64 v[3:4], v[130:131], v[136:137], v[3:4]
	s_waitcnt lgkmcnt(0)
	s_delay_alu instid0(VALU_DEP_1)
	v_fma_f64 v[3:4], v[132:133], v[138:139], v[3:4]
	scratch_load_b128 v[130:133], off, off offset:368
	s_waitcnt vmcnt(4)
	v_fma_f64 v[3:4], v[114:115], v[140:141], v[3:4]
	ds_load_2addr_b64 v[134:137], v113 offset0:93 offset1:94
	ds_load_2addr_b64 v[138:141], v113 offset0:95 offset1:96
	s_waitcnt lgkmcnt(1)
	v_fma_f64 v[3:4], v[116:117], v[134:135], v[3:4]
	scratch_load_b128 v[114:117], off, off offset:384
	s_waitcnt vmcnt(4)
	v_fma_f64 v[3:4], v[118:119], v[136:137], v[3:4]
	s_waitcnt lgkmcnt(0)
	s_delay_alu instid0(VALU_DEP_1)
	v_fma_f64 v[3:4], v[120:121], v[138:139], v[3:4]
	scratch_load_b128 v[118:121], off, off offset:400
	s_waitcnt vmcnt(4)
	v_fma_f64 v[3:4], v[122:123], v[140:141], v[3:4]
	ds_load_2addr_b64 v[134:137], v113 offset0:97 offset1:98
	ds_load_2addr_b64 v[138:141], v113 offset0:99 offset1:100
	s_waitcnt lgkmcnt(1)
	v_fma_f64 v[3:4], v[124:125], v[134:135], v[3:4]
	scratch_load_b64 v[134:135], off, off offset:416
	s_waitcnt vmcnt(4)
	v_fma_f64 v[3:4], v[126:127], v[136:137], v[3:4]
	s_waitcnt lgkmcnt(0)
	s_delay_alu instid0(VALU_DEP_1)
	v_fma_f64 v[3:4], v[128:129], v[138:139], v[3:4]
	ds_load_2addr_b64 v[122:125], v113 offset0:101 offset1:102
	ds_load_2addr_b64 v[126:129], v113 offset0:103 offset1:104
	s_waitcnt vmcnt(3)
	v_fma_f64 v[3:4], v[130:131], v[140:141], v[3:4]
	s_waitcnt lgkmcnt(1)
	s_delay_alu instid0(VALU_DEP_1) | instskip(SKIP_1) | instid1(VALU_DEP_1)
	v_fma_f64 v[3:4], v[132:133], v[122:123], v[3:4]
	s_waitcnt vmcnt(2)
	v_fma_f64 v[3:4], v[114:115], v[124:125], v[3:4]
	s_waitcnt lgkmcnt(0)
	s_delay_alu instid0(VALU_DEP_1) | instskip(SKIP_4) | instid1(VALU_DEP_1)
	v_fma_f64 v[3:4], v[116:117], v[126:127], v[3:4]
	ds_load_2addr_b64 v[113:116], v113 offset0:105 offset1:106
	s_waitcnt vmcnt(1)
	v_fma_f64 v[3:4], v[118:119], v[128:129], v[3:4]
	s_waitcnt lgkmcnt(0)
	v_fma_f64 v[3:4], v[120:121], v[113:114], v[3:4]
	s_waitcnt vmcnt(0)
	s_delay_alu instid0(VALU_DEP_1) | instskip(NEXT) | instid1(VALU_DEP_1)
	v_fma_f64 v[3:4], v[134:135], v[115:116], v[3:4]
	v_add_f64 v[1:2], v[1:2], -v[3:4]
	scratch_store_b64 off, v[1:2], off offset:48
	v_cmpx_lt_u32_e32 5, v0
	s_cbranch_execz .LBB52_317
; %bb.316:
	scratch_load_b64 v[1:2], off, off offset:40
	v_mov_b32_e32 v3, 0
	s_delay_alu instid0(VALU_DEP_1)
	v_mov_b32_e32 v4, v3
	scratch_store_b64 off, v[3:4], off offset:40
	s_waitcnt vmcnt(0)
	ds_store_b64 v5, v[1:2]
.LBB52_317:
	s_or_b32 exec_lo, exec_lo, s0
	s_waitcnt lgkmcnt(0)
	s_waitcnt_vscnt null, 0x0
	s_barrier
	buffer_gl0_inv
	s_clause 0x4
	scratch_load_b128 v[1:4], off, off offset:40
	scratch_load_b128 v[114:117], off, off offset:56
	;; [unrolled: 1-line block ×5, first 2 shown]
	v_mov_b32_e32 v113, 0
	ds_load_b128 v[130:133], v113 offset:480
	ds_load_b128 v[134:137], v113 offset:496
	scratch_load_b128 v[138:141], off, off offset:120
	s_mov_b32 s0, exec_lo
	s_waitcnt vmcnt(5) lgkmcnt(1)
	v_fma_f64 v[3:4], v[3:4], v[130:131], 0
	s_waitcnt vmcnt(4)
	s_delay_alu instid0(VALU_DEP_1) | instskip(SKIP_1) | instid1(VALU_DEP_1)
	v_fma_f64 v[3:4], v[114:115], v[132:133], v[3:4]
	s_waitcnt lgkmcnt(0)
	v_fma_f64 v[3:4], v[116:117], v[134:135], v[3:4]
	scratch_load_b128 v[114:117], off, off offset:136
	s_waitcnt vmcnt(4)
	v_fma_f64 v[3:4], v[118:119], v[136:137], v[3:4]
	ds_load_b128 v[130:133], v113 offset:512
	ds_load_b128 v[134:137], v113 offset:528
	s_waitcnt lgkmcnt(1)
	v_fma_f64 v[3:4], v[120:121], v[130:131], v[3:4]
	scratch_load_b128 v[118:121], off, off offset:152
	s_waitcnt vmcnt(4)
	v_fma_f64 v[3:4], v[122:123], v[132:133], v[3:4]
	s_waitcnt lgkmcnt(0)
	s_delay_alu instid0(VALU_DEP_1)
	v_fma_f64 v[3:4], v[124:125], v[134:135], v[3:4]
	scratch_load_b128 v[122:125], off, off offset:168
	s_waitcnt vmcnt(4)
	v_fma_f64 v[3:4], v[126:127], v[136:137], v[3:4]
	ds_load_b128 v[130:133], v113 offset:544
	ds_load_b128 v[134:137], v113 offset:560
	s_waitcnt lgkmcnt(1)
	v_fma_f64 v[3:4], v[128:129], v[130:131], v[3:4]
	scratch_load_b128 v[126:129], off, off offset:184
	s_waitcnt vmcnt(4)
	v_fma_f64 v[3:4], v[138:139], v[132:133], v[3:4]
	scratch_load_b128 v[130:133], off, off offset:200
	s_waitcnt lgkmcnt(0)
	v_fma_f64 v[3:4], v[140:141], v[134:135], v[3:4]
	s_waitcnt vmcnt(4)
	s_delay_alu instid0(VALU_DEP_1)
	v_fma_f64 v[3:4], v[114:115], v[136:137], v[3:4]
	ds_load_b128 v[134:137], v113 offset:576
	ds_load_b128 v[138:141], v113 offset:592
	s_waitcnt lgkmcnt(1)
	v_fma_f64 v[3:4], v[116:117], v[134:135], v[3:4]
	scratch_load_b128 v[114:117], off, off offset:216
	s_waitcnt vmcnt(4)
	v_fma_f64 v[3:4], v[118:119], v[136:137], v[3:4]
	s_waitcnt lgkmcnt(0)
	s_delay_alu instid0(VALU_DEP_1)
	v_fma_f64 v[3:4], v[120:121], v[138:139], v[3:4]
	scratch_load_b128 v[118:121], off, off offset:232
	s_waitcnt vmcnt(4)
	v_fma_f64 v[3:4], v[122:123], v[140:141], v[3:4]
	ds_load_b128 v[134:137], v113 offset:608
	ds_load_b128 v[138:141], v113 offset:624
	s_waitcnt lgkmcnt(1)
	v_fma_f64 v[3:4], v[124:125], v[134:135], v[3:4]
	scratch_load_b128 v[122:125], off, off offset:248
	s_waitcnt vmcnt(4)
	v_fma_f64 v[3:4], v[126:127], v[136:137], v[3:4]
	s_waitcnt lgkmcnt(0)
	s_delay_alu instid0(VALU_DEP_1)
	v_fma_f64 v[3:4], v[128:129], v[138:139], v[3:4]
	scratch_load_b128 v[126:129], off, off offset:264
	s_waitcnt vmcnt(4)
	;; [unrolled: 13-line block ×6, first 2 shown]
	v_fma_f64 v[3:4], v[122:123], v[140:141], v[3:4]
	ds_load_b128 v[134:137], v113 offset:768
	ds_load_b128 v[138:141], v113 offset:784
	s_waitcnt lgkmcnt(1)
	v_fma_f64 v[3:4], v[124:125], v[134:135], v[3:4]
	scratch_load_b128 v[122:125], off, off offset:408
	s_waitcnt vmcnt(4)
	v_fma_f64 v[3:4], v[126:127], v[136:137], v[3:4]
	s_waitcnt lgkmcnt(0)
	s_delay_alu instid0(VALU_DEP_1)
	v_fma_f64 v[3:4], v[128:129], v[138:139], v[3:4]
	ds_load_b128 v[126:129], v113 offset:800
	ds_load_b128 v[134:137], v113 offset:816
	s_waitcnt vmcnt(3)
	v_fma_f64 v[3:4], v[130:131], v[140:141], v[3:4]
	s_waitcnt lgkmcnt(1)
	s_delay_alu instid0(VALU_DEP_1) | instskip(SKIP_1) | instid1(VALU_DEP_1)
	v_fma_f64 v[3:4], v[132:133], v[126:127], v[3:4]
	s_waitcnt vmcnt(2)
	v_fma_f64 v[3:4], v[114:115], v[128:129], v[3:4]
	s_waitcnt lgkmcnt(0)
	s_delay_alu instid0(VALU_DEP_1) | instskip(SKIP_1) | instid1(VALU_DEP_1)
	v_fma_f64 v[3:4], v[116:117], v[134:135], v[3:4]
	s_waitcnt vmcnt(1)
	v_fma_f64 v[3:4], v[118:119], v[136:137], v[3:4]
	ds_load_b128 v[114:117], v113 offset:832
	ds_load_b64 v[118:119], v113 offset:848
	s_waitcnt lgkmcnt(1)
	v_fma_f64 v[3:4], v[120:121], v[114:115], v[3:4]
	s_waitcnt vmcnt(0)
	s_delay_alu instid0(VALU_DEP_1) | instskip(SKIP_1) | instid1(VALU_DEP_1)
	v_fma_f64 v[3:4], v[122:123], v[116:117], v[3:4]
	s_waitcnt lgkmcnt(0)
	v_fma_f64 v[3:4], v[124:125], v[118:119], v[3:4]
	s_delay_alu instid0(VALU_DEP_1)
	v_add_f64 v[1:2], v[1:2], -v[3:4]
	scratch_store_b64 off, v[1:2], off offset:40
	v_cmpx_lt_u32_e32 4, v0
	s_cbranch_execz .LBB52_319
; %bb.318:
	scratch_load_b64 v[1:2], off, off offset:32
	v_mov_b32_e32 v114, v113
	scratch_store_b64 off, v[113:114], off offset:32
	s_waitcnt vmcnt(0)
	ds_store_b64 v5, v[1:2]
.LBB52_319:
	s_or_b32 exec_lo, exec_lo, s0
	s_waitcnt lgkmcnt(0)
	s_waitcnt_vscnt null, 0x0
	s_barrier
	buffer_gl0_inv
	s_clause 0x4
	scratch_load_b128 v[1:4], off, off offset:32
	scratch_load_b128 v[114:117], off, off offset:48
	;; [unrolled: 1-line block ×5, first 2 shown]
	ds_load_2addr_b64 v[130:133], v113 offset0:59 offset1:60
	ds_load_2addr_b64 v[134:137], v113 offset0:61 offset1:62
	scratch_load_b128 v[138:141], off, off offset:112
	s_mov_b32 s0, exec_lo
	s_waitcnt vmcnt(5) lgkmcnt(1)
	v_fma_f64 v[3:4], v[3:4], v[130:131], 0
	s_waitcnt vmcnt(4)
	s_delay_alu instid0(VALU_DEP_1) | instskip(SKIP_1) | instid1(VALU_DEP_1)
	v_fma_f64 v[3:4], v[114:115], v[132:133], v[3:4]
	s_waitcnt lgkmcnt(0)
	v_fma_f64 v[3:4], v[116:117], v[134:135], v[3:4]
	scratch_load_b128 v[114:117], off, off offset:128
	s_waitcnt vmcnt(4)
	v_fma_f64 v[3:4], v[118:119], v[136:137], v[3:4]
	ds_load_2addr_b64 v[130:133], v113 offset0:63 offset1:64
	ds_load_2addr_b64 v[134:137], v113 offset0:65 offset1:66
	s_waitcnt lgkmcnt(1)
	v_fma_f64 v[3:4], v[120:121], v[130:131], v[3:4]
	scratch_load_b128 v[118:121], off, off offset:144
	s_waitcnt vmcnt(4)
	v_fma_f64 v[3:4], v[122:123], v[132:133], v[3:4]
	s_waitcnt lgkmcnt(0)
	s_delay_alu instid0(VALU_DEP_1)
	v_fma_f64 v[3:4], v[124:125], v[134:135], v[3:4]
	scratch_load_b128 v[122:125], off, off offset:160
	s_waitcnt vmcnt(4)
	v_fma_f64 v[3:4], v[126:127], v[136:137], v[3:4]
	ds_load_2addr_b64 v[130:133], v113 offset0:67 offset1:68
	ds_load_2addr_b64 v[134:137], v113 offset0:69 offset1:70
	s_waitcnt lgkmcnt(1)
	v_fma_f64 v[3:4], v[128:129], v[130:131], v[3:4]
	scratch_load_b128 v[126:129], off, off offset:176
	s_waitcnt vmcnt(4)
	v_fma_f64 v[3:4], v[138:139], v[132:133], v[3:4]
	scratch_load_b128 v[130:133], off, off offset:192
	s_waitcnt lgkmcnt(0)
	v_fma_f64 v[3:4], v[140:141], v[134:135], v[3:4]
	s_waitcnt vmcnt(4)
	s_delay_alu instid0(VALU_DEP_1)
	v_fma_f64 v[3:4], v[114:115], v[136:137], v[3:4]
	ds_load_2addr_b64 v[134:137], v113 offset0:71 offset1:72
	ds_load_2addr_b64 v[138:141], v113 offset0:73 offset1:74
	s_waitcnt lgkmcnt(1)
	v_fma_f64 v[3:4], v[116:117], v[134:135], v[3:4]
	scratch_load_b128 v[114:117], off, off offset:208
	s_waitcnt vmcnt(4)
	v_fma_f64 v[3:4], v[118:119], v[136:137], v[3:4]
	s_waitcnt lgkmcnt(0)
	s_delay_alu instid0(VALU_DEP_1)
	v_fma_f64 v[3:4], v[120:121], v[138:139], v[3:4]
	scratch_load_b128 v[118:121], off, off offset:224
	s_waitcnt vmcnt(4)
	v_fma_f64 v[3:4], v[122:123], v[140:141], v[3:4]
	ds_load_2addr_b64 v[134:137], v113 offset0:75 offset1:76
	ds_load_2addr_b64 v[138:141], v113 offset0:77 offset1:78
	s_waitcnt lgkmcnt(1)
	v_fma_f64 v[3:4], v[124:125], v[134:135], v[3:4]
	scratch_load_b128 v[122:125], off, off offset:240
	s_waitcnt vmcnt(4)
	v_fma_f64 v[3:4], v[126:127], v[136:137], v[3:4]
	s_waitcnt lgkmcnt(0)
	s_delay_alu instid0(VALU_DEP_1)
	v_fma_f64 v[3:4], v[128:129], v[138:139], v[3:4]
	scratch_load_b128 v[126:129], off, off offset:256
	s_waitcnt vmcnt(4)
	;; [unrolled: 13-line block ×6, first 2 shown]
	v_fma_f64 v[3:4], v[122:123], v[140:141], v[3:4]
	ds_load_2addr_b64 v[134:137], v113 offset0:95 offset1:96
	ds_load_2addr_b64 v[138:141], v113 offset0:97 offset1:98
	s_waitcnt lgkmcnt(1)
	v_fma_f64 v[3:4], v[124:125], v[134:135], v[3:4]
	scratch_load_b128 v[122:125], off, off offset:400
	s_waitcnt vmcnt(4)
	v_fma_f64 v[3:4], v[126:127], v[136:137], v[3:4]
	s_waitcnt lgkmcnt(0)
	s_delay_alu instid0(VALU_DEP_1)
	v_fma_f64 v[3:4], v[128:129], v[138:139], v[3:4]
	scratch_load_b64 v[138:139], off, off offset:416
	ds_load_2addr_b64 v[126:129], v113 offset0:99 offset1:100
	ds_load_2addr_b64 v[134:137], v113 offset0:101 offset1:102
	s_waitcnt vmcnt(4)
	v_fma_f64 v[3:4], v[130:131], v[140:141], v[3:4]
	s_waitcnt lgkmcnt(1)
	s_delay_alu instid0(VALU_DEP_1) | instskip(SKIP_1) | instid1(VALU_DEP_1)
	v_fma_f64 v[3:4], v[132:133], v[126:127], v[3:4]
	s_waitcnt vmcnt(3)
	v_fma_f64 v[3:4], v[114:115], v[128:129], v[3:4]
	s_waitcnt lgkmcnt(0)
	s_delay_alu instid0(VALU_DEP_1)
	v_fma_f64 v[3:4], v[116:117], v[134:135], v[3:4]
	ds_load_2addr_b64 v[114:117], v113 offset0:103 offset1:104
	ds_load_2addr_b64 v[126:129], v113 offset0:105 offset1:106
	s_waitcnt vmcnt(2)
	v_fma_f64 v[3:4], v[118:119], v[136:137], v[3:4]
	s_waitcnt lgkmcnt(1)
	s_delay_alu instid0(VALU_DEP_1) | instskip(SKIP_1) | instid1(VALU_DEP_1)
	v_fma_f64 v[3:4], v[120:121], v[114:115], v[3:4]
	s_waitcnt vmcnt(1)
	v_fma_f64 v[3:4], v[122:123], v[116:117], v[3:4]
	s_waitcnt lgkmcnt(0)
	s_delay_alu instid0(VALU_DEP_1) | instskip(SKIP_1) | instid1(VALU_DEP_1)
	v_fma_f64 v[3:4], v[124:125], v[126:127], v[3:4]
	s_waitcnt vmcnt(0)
	v_fma_f64 v[3:4], v[138:139], v[128:129], v[3:4]
	s_delay_alu instid0(VALU_DEP_1)
	v_add_f64 v[1:2], v[1:2], -v[3:4]
	scratch_store_b64 off, v[1:2], off offset:32
	v_cmpx_lt_u32_e32 3, v0
	s_cbranch_execz .LBB52_321
; %bb.320:
	scratch_load_b64 v[1:2], off, off offset:24
	v_mov_b32_e32 v3, 0
	s_delay_alu instid0(VALU_DEP_1)
	v_mov_b32_e32 v4, v3
	scratch_store_b64 off, v[3:4], off offset:24
	s_waitcnt vmcnt(0)
	ds_store_b64 v5, v[1:2]
.LBB52_321:
	s_or_b32 exec_lo, exec_lo, s0
	s_waitcnt lgkmcnt(0)
	s_waitcnt_vscnt null, 0x0
	s_barrier
	buffer_gl0_inv
	s_clause 0x4
	scratch_load_b128 v[1:4], off, off offset:24
	scratch_load_b128 v[114:117], off, off offset:40
	;; [unrolled: 1-line block ×5, first 2 shown]
	v_mov_b32_e32 v113, 0
	ds_load_b128 v[130:133], v113 offset:464
	ds_load_b128 v[134:137], v113 offset:480
	scratch_load_b128 v[138:141], off, off offset:104
	s_mov_b32 s0, exec_lo
	s_waitcnt vmcnt(5) lgkmcnt(1)
	v_fma_f64 v[3:4], v[3:4], v[130:131], 0
	s_waitcnt vmcnt(4)
	s_delay_alu instid0(VALU_DEP_1) | instskip(SKIP_1) | instid1(VALU_DEP_1)
	v_fma_f64 v[3:4], v[114:115], v[132:133], v[3:4]
	s_waitcnt lgkmcnt(0)
	v_fma_f64 v[3:4], v[116:117], v[134:135], v[3:4]
	scratch_load_b128 v[114:117], off, off offset:120
	s_waitcnt vmcnt(4)
	v_fma_f64 v[3:4], v[118:119], v[136:137], v[3:4]
	ds_load_b128 v[130:133], v113 offset:496
	ds_load_b128 v[134:137], v113 offset:512
	s_waitcnt lgkmcnt(1)
	v_fma_f64 v[3:4], v[120:121], v[130:131], v[3:4]
	scratch_load_b128 v[118:121], off, off offset:136
	s_waitcnt vmcnt(4)
	v_fma_f64 v[3:4], v[122:123], v[132:133], v[3:4]
	s_waitcnt lgkmcnt(0)
	s_delay_alu instid0(VALU_DEP_1)
	v_fma_f64 v[3:4], v[124:125], v[134:135], v[3:4]
	scratch_load_b128 v[122:125], off, off offset:152
	s_waitcnt vmcnt(4)
	v_fma_f64 v[3:4], v[126:127], v[136:137], v[3:4]
	ds_load_b128 v[130:133], v113 offset:528
	ds_load_b128 v[134:137], v113 offset:544
	s_waitcnt lgkmcnt(1)
	v_fma_f64 v[3:4], v[128:129], v[130:131], v[3:4]
	scratch_load_b128 v[126:129], off, off offset:168
	s_waitcnt vmcnt(4)
	v_fma_f64 v[3:4], v[138:139], v[132:133], v[3:4]
	scratch_load_b128 v[130:133], off, off offset:184
	s_waitcnt lgkmcnt(0)
	v_fma_f64 v[3:4], v[140:141], v[134:135], v[3:4]
	s_waitcnt vmcnt(4)
	s_delay_alu instid0(VALU_DEP_1)
	v_fma_f64 v[3:4], v[114:115], v[136:137], v[3:4]
	ds_load_b128 v[134:137], v113 offset:560
	ds_load_b128 v[138:141], v113 offset:576
	s_waitcnt lgkmcnt(1)
	v_fma_f64 v[3:4], v[116:117], v[134:135], v[3:4]
	scratch_load_b128 v[114:117], off, off offset:200
	s_waitcnt vmcnt(4)
	v_fma_f64 v[3:4], v[118:119], v[136:137], v[3:4]
	s_waitcnt lgkmcnt(0)
	s_delay_alu instid0(VALU_DEP_1)
	v_fma_f64 v[3:4], v[120:121], v[138:139], v[3:4]
	scratch_load_b128 v[118:121], off, off offset:216
	s_waitcnt vmcnt(4)
	v_fma_f64 v[3:4], v[122:123], v[140:141], v[3:4]
	ds_load_b128 v[134:137], v113 offset:592
	ds_load_b128 v[138:141], v113 offset:608
	s_waitcnt lgkmcnt(1)
	v_fma_f64 v[3:4], v[124:125], v[134:135], v[3:4]
	scratch_load_b128 v[122:125], off, off offset:232
	s_waitcnt vmcnt(4)
	v_fma_f64 v[3:4], v[126:127], v[136:137], v[3:4]
	s_waitcnt lgkmcnt(0)
	s_delay_alu instid0(VALU_DEP_1)
	v_fma_f64 v[3:4], v[128:129], v[138:139], v[3:4]
	scratch_load_b128 v[126:129], off, off offset:248
	s_waitcnt vmcnt(4)
	;; [unrolled: 13-line block ×7, first 2 shown]
	v_fma_f64 v[3:4], v[130:131], v[140:141], v[3:4]
	ds_load_b128 v[134:137], v113 offset:784
	ds_load_b128 v[138:141], v113 offset:800
	s_waitcnt lgkmcnt(1)
	v_fma_f64 v[3:4], v[132:133], v[134:135], v[3:4]
	s_waitcnt vmcnt(3)
	s_delay_alu instid0(VALU_DEP_1) | instskip(SKIP_1) | instid1(VALU_DEP_1)
	v_fma_f64 v[3:4], v[114:115], v[136:137], v[3:4]
	s_waitcnt lgkmcnt(0)
	v_fma_f64 v[3:4], v[116:117], v[138:139], v[3:4]
	ds_load_b128 v[114:117], v113 offset:816
	ds_load_b128 v[130:133], v113 offset:832
	s_waitcnt vmcnt(2)
	v_fma_f64 v[3:4], v[118:119], v[140:141], v[3:4]
	s_waitcnt lgkmcnt(1)
	s_delay_alu instid0(VALU_DEP_1) | instskip(SKIP_4) | instid1(VALU_DEP_1)
	v_fma_f64 v[3:4], v[120:121], v[114:115], v[3:4]
	ds_load_b64 v[114:115], v113 offset:848
	s_waitcnt vmcnt(1)
	v_fma_f64 v[3:4], v[122:123], v[116:117], v[3:4]
	s_waitcnt lgkmcnt(1)
	v_fma_f64 v[3:4], v[124:125], v[130:131], v[3:4]
	s_waitcnt vmcnt(0)
	s_delay_alu instid0(VALU_DEP_1) | instskip(SKIP_1) | instid1(VALU_DEP_1)
	v_fma_f64 v[3:4], v[126:127], v[132:133], v[3:4]
	s_waitcnt lgkmcnt(0)
	v_fma_f64 v[3:4], v[128:129], v[114:115], v[3:4]
	s_delay_alu instid0(VALU_DEP_1)
	v_add_f64 v[1:2], v[1:2], -v[3:4]
	scratch_store_b64 off, v[1:2], off offset:24
	v_cmpx_lt_u32_e32 2, v0
	s_cbranch_execz .LBB52_323
; %bb.322:
	scratch_load_b64 v[1:2], off, off offset:16
	v_mov_b32_e32 v114, v113
	scratch_store_b64 off, v[113:114], off offset:16
	s_waitcnt vmcnt(0)
	ds_store_b64 v5, v[1:2]
.LBB52_323:
	s_or_b32 exec_lo, exec_lo, s0
	s_waitcnt lgkmcnt(0)
	s_waitcnt_vscnt null, 0x0
	s_barrier
	buffer_gl0_inv
	s_clause 0x4
	scratch_load_b128 v[1:4], off, off offset:16
	scratch_load_b128 v[114:117], off, off offset:32
	;; [unrolled: 1-line block ×5, first 2 shown]
	ds_load_2addr_b64 v[130:133], v113 offset0:57 offset1:58
	ds_load_2addr_b64 v[134:137], v113 offset0:59 offset1:60
	scratch_load_b128 v[138:141], off, off offset:96
	s_mov_b32 s0, exec_lo
	s_waitcnt vmcnt(5) lgkmcnt(1)
	v_fma_f64 v[3:4], v[3:4], v[130:131], 0
	s_waitcnt vmcnt(4)
	s_delay_alu instid0(VALU_DEP_1) | instskip(SKIP_1) | instid1(VALU_DEP_1)
	v_fma_f64 v[3:4], v[114:115], v[132:133], v[3:4]
	s_waitcnt lgkmcnt(0)
	v_fma_f64 v[3:4], v[116:117], v[134:135], v[3:4]
	scratch_load_b128 v[114:117], off, off offset:112
	s_waitcnt vmcnt(4)
	v_fma_f64 v[3:4], v[118:119], v[136:137], v[3:4]
	ds_load_2addr_b64 v[130:133], v113 offset0:61 offset1:62
	ds_load_2addr_b64 v[134:137], v113 offset0:63 offset1:64
	s_waitcnt lgkmcnt(1)
	v_fma_f64 v[3:4], v[120:121], v[130:131], v[3:4]
	scratch_load_b128 v[118:121], off, off offset:128
	s_waitcnt vmcnt(4)
	v_fma_f64 v[3:4], v[122:123], v[132:133], v[3:4]
	s_waitcnt lgkmcnt(0)
	s_delay_alu instid0(VALU_DEP_1)
	v_fma_f64 v[3:4], v[124:125], v[134:135], v[3:4]
	scratch_load_b128 v[122:125], off, off offset:144
	s_waitcnt vmcnt(4)
	v_fma_f64 v[3:4], v[126:127], v[136:137], v[3:4]
	ds_load_2addr_b64 v[130:133], v113 offset0:65 offset1:66
	ds_load_2addr_b64 v[134:137], v113 offset0:67 offset1:68
	s_waitcnt lgkmcnt(1)
	v_fma_f64 v[3:4], v[128:129], v[130:131], v[3:4]
	scratch_load_b128 v[126:129], off, off offset:160
	s_waitcnt vmcnt(4)
	v_fma_f64 v[3:4], v[138:139], v[132:133], v[3:4]
	scratch_load_b128 v[130:133], off, off offset:176
	s_waitcnt lgkmcnt(0)
	v_fma_f64 v[3:4], v[140:141], v[134:135], v[3:4]
	s_waitcnt vmcnt(4)
	s_delay_alu instid0(VALU_DEP_1)
	v_fma_f64 v[3:4], v[114:115], v[136:137], v[3:4]
	ds_load_2addr_b64 v[134:137], v113 offset0:69 offset1:70
	ds_load_2addr_b64 v[138:141], v113 offset0:71 offset1:72
	s_waitcnt lgkmcnt(1)
	v_fma_f64 v[3:4], v[116:117], v[134:135], v[3:4]
	scratch_load_b128 v[114:117], off, off offset:192
	s_waitcnt vmcnt(4)
	v_fma_f64 v[3:4], v[118:119], v[136:137], v[3:4]
	s_waitcnt lgkmcnt(0)
	s_delay_alu instid0(VALU_DEP_1)
	v_fma_f64 v[3:4], v[120:121], v[138:139], v[3:4]
	scratch_load_b128 v[118:121], off, off offset:208
	s_waitcnt vmcnt(4)
	v_fma_f64 v[3:4], v[122:123], v[140:141], v[3:4]
	ds_load_2addr_b64 v[134:137], v113 offset0:73 offset1:74
	ds_load_2addr_b64 v[138:141], v113 offset0:75 offset1:76
	s_waitcnt lgkmcnt(1)
	v_fma_f64 v[3:4], v[124:125], v[134:135], v[3:4]
	scratch_load_b128 v[122:125], off, off offset:224
	s_waitcnt vmcnt(4)
	v_fma_f64 v[3:4], v[126:127], v[136:137], v[3:4]
	s_waitcnt lgkmcnt(0)
	s_delay_alu instid0(VALU_DEP_1)
	v_fma_f64 v[3:4], v[128:129], v[138:139], v[3:4]
	scratch_load_b128 v[126:129], off, off offset:240
	s_waitcnt vmcnt(4)
	;; [unrolled: 13-line block ×7, first 2 shown]
	v_fma_f64 v[3:4], v[130:131], v[140:141], v[3:4]
	ds_load_2addr_b64 v[134:137], v113 offset0:97 offset1:98
	ds_load_2addr_b64 v[138:141], v113 offset0:99 offset1:100
	s_waitcnt lgkmcnt(1)
	v_fma_f64 v[3:4], v[132:133], v[134:135], v[3:4]
	scratch_load_b64 v[134:135], off, off offset:416
	s_waitcnt vmcnt(4)
	v_fma_f64 v[3:4], v[114:115], v[136:137], v[3:4]
	s_waitcnt lgkmcnt(0)
	s_delay_alu instid0(VALU_DEP_1)
	v_fma_f64 v[3:4], v[116:117], v[138:139], v[3:4]
	ds_load_2addr_b64 v[114:117], v113 offset0:101 offset1:102
	ds_load_2addr_b64 v[130:133], v113 offset0:103 offset1:104
	s_waitcnt vmcnt(3)
	v_fma_f64 v[3:4], v[118:119], v[140:141], v[3:4]
	s_waitcnt lgkmcnt(1)
	s_delay_alu instid0(VALU_DEP_1) | instskip(SKIP_1) | instid1(VALU_DEP_1)
	v_fma_f64 v[3:4], v[120:121], v[114:115], v[3:4]
	s_waitcnt vmcnt(2)
	v_fma_f64 v[3:4], v[122:123], v[116:117], v[3:4]
	ds_load_2addr_b64 v[113:116], v113 offset0:105 offset1:106
	s_waitcnt lgkmcnt(1)
	v_fma_f64 v[3:4], v[124:125], v[130:131], v[3:4]
	s_waitcnt vmcnt(1)
	s_delay_alu instid0(VALU_DEP_1) | instskip(SKIP_1) | instid1(VALU_DEP_1)
	v_fma_f64 v[3:4], v[126:127], v[132:133], v[3:4]
	s_waitcnt lgkmcnt(0)
	v_fma_f64 v[3:4], v[128:129], v[113:114], v[3:4]
	s_waitcnt vmcnt(0)
	s_delay_alu instid0(VALU_DEP_1) | instskip(NEXT) | instid1(VALU_DEP_1)
	v_fma_f64 v[3:4], v[134:135], v[115:116], v[3:4]
	v_add_f64 v[1:2], v[1:2], -v[3:4]
	scratch_store_b64 off, v[1:2], off offset:16
	v_cmpx_lt_u32_e32 1, v0
	s_cbranch_execz .LBB52_325
; %bb.324:
	scratch_load_b64 v[1:2], off, off offset:8
	v_mov_b32_e32 v3, 0
	s_delay_alu instid0(VALU_DEP_1)
	v_mov_b32_e32 v4, v3
	scratch_store_b64 off, v[3:4], off offset:8
	s_waitcnt vmcnt(0)
	ds_store_b64 v5, v[1:2]
.LBB52_325:
	s_or_b32 exec_lo, exec_lo, s0
	s_waitcnt lgkmcnt(0)
	s_waitcnt_vscnt null, 0x0
	s_barrier
	buffer_gl0_inv
	s_clause 0x4
	scratch_load_b128 v[1:4], off, off offset:8
	scratch_load_b128 v[114:117], off, off offset:24
	;; [unrolled: 1-line block ×5, first 2 shown]
	v_mov_b32_e32 v113, 0
	ds_load_b128 v[130:133], v113 offset:448
	ds_load_b128 v[134:137], v113 offset:464
	scratch_load_b128 v[138:141], off, off offset:88
	s_mov_b32 s0, exec_lo
	s_waitcnt vmcnt(5) lgkmcnt(1)
	v_fma_f64 v[3:4], v[3:4], v[130:131], 0
	s_waitcnt vmcnt(4)
	s_delay_alu instid0(VALU_DEP_1) | instskip(SKIP_1) | instid1(VALU_DEP_1)
	v_fma_f64 v[3:4], v[114:115], v[132:133], v[3:4]
	s_waitcnt lgkmcnt(0)
	v_fma_f64 v[3:4], v[116:117], v[134:135], v[3:4]
	scratch_load_b128 v[114:117], off, off offset:104
	s_waitcnt vmcnt(4)
	v_fma_f64 v[3:4], v[118:119], v[136:137], v[3:4]
	ds_load_b128 v[130:133], v113 offset:480
	ds_load_b128 v[134:137], v113 offset:496
	s_waitcnt lgkmcnt(1)
	v_fma_f64 v[3:4], v[120:121], v[130:131], v[3:4]
	scratch_load_b128 v[118:121], off, off offset:120
	s_waitcnt vmcnt(4)
	v_fma_f64 v[3:4], v[122:123], v[132:133], v[3:4]
	s_waitcnt lgkmcnt(0)
	s_delay_alu instid0(VALU_DEP_1)
	v_fma_f64 v[3:4], v[124:125], v[134:135], v[3:4]
	scratch_load_b128 v[122:125], off, off offset:136
	s_waitcnt vmcnt(4)
	v_fma_f64 v[3:4], v[126:127], v[136:137], v[3:4]
	ds_load_b128 v[130:133], v113 offset:512
	ds_load_b128 v[134:137], v113 offset:528
	s_waitcnt lgkmcnt(1)
	v_fma_f64 v[3:4], v[128:129], v[130:131], v[3:4]
	scratch_load_b128 v[126:129], off, off offset:152
	s_waitcnt vmcnt(4)
	v_fma_f64 v[3:4], v[138:139], v[132:133], v[3:4]
	scratch_load_b128 v[130:133], off, off offset:168
	s_waitcnt lgkmcnt(0)
	v_fma_f64 v[3:4], v[140:141], v[134:135], v[3:4]
	s_waitcnt vmcnt(4)
	s_delay_alu instid0(VALU_DEP_1)
	v_fma_f64 v[3:4], v[114:115], v[136:137], v[3:4]
	ds_load_b128 v[134:137], v113 offset:544
	ds_load_b128 v[138:141], v113 offset:560
	s_waitcnt lgkmcnt(1)
	v_fma_f64 v[3:4], v[116:117], v[134:135], v[3:4]
	scratch_load_b128 v[114:117], off, off offset:184
	s_waitcnt vmcnt(4)
	v_fma_f64 v[3:4], v[118:119], v[136:137], v[3:4]
	s_waitcnt lgkmcnt(0)
	s_delay_alu instid0(VALU_DEP_1)
	v_fma_f64 v[3:4], v[120:121], v[138:139], v[3:4]
	scratch_load_b128 v[118:121], off, off offset:200
	s_waitcnt vmcnt(4)
	v_fma_f64 v[3:4], v[122:123], v[140:141], v[3:4]
	ds_load_b128 v[134:137], v113 offset:576
	ds_load_b128 v[138:141], v113 offset:592
	s_waitcnt lgkmcnt(1)
	v_fma_f64 v[3:4], v[124:125], v[134:135], v[3:4]
	scratch_load_b128 v[122:125], off, off offset:216
	s_waitcnt vmcnt(4)
	v_fma_f64 v[3:4], v[126:127], v[136:137], v[3:4]
	s_waitcnt lgkmcnt(0)
	s_delay_alu instid0(VALU_DEP_1)
	v_fma_f64 v[3:4], v[128:129], v[138:139], v[3:4]
	scratch_load_b128 v[126:129], off, off offset:232
	s_waitcnt vmcnt(4)
	;; [unrolled: 13-line block ×7, first 2 shown]
	v_fma_f64 v[3:4], v[130:131], v[140:141], v[3:4]
	ds_load_b128 v[134:137], v113 offset:768
	ds_load_b128 v[138:141], v113 offset:784
	s_waitcnt lgkmcnt(1)
	v_fma_f64 v[3:4], v[132:133], v[134:135], v[3:4]
	scratch_load_b128 v[130:133], off, off offset:408
	s_waitcnt vmcnt(4)
	v_fma_f64 v[3:4], v[114:115], v[136:137], v[3:4]
	s_waitcnt lgkmcnt(0)
	s_delay_alu instid0(VALU_DEP_1)
	v_fma_f64 v[3:4], v[116:117], v[138:139], v[3:4]
	ds_load_b128 v[114:117], v113 offset:800
	ds_load_b128 v[134:137], v113 offset:816
	s_waitcnt vmcnt(3)
	v_fma_f64 v[3:4], v[118:119], v[140:141], v[3:4]
	s_waitcnt lgkmcnt(1)
	s_delay_alu instid0(VALU_DEP_1) | instskip(SKIP_1) | instid1(VALU_DEP_1)
	v_fma_f64 v[3:4], v[120:121], v[114:115], v[3:4]
	s_waitcnt vmcnt(2)
	v_fma_f64 v[3:4], v[122:123], v[116:117], v[3:4]
	ds_load_b128 v[114:117], v113 offset:832
	ds_load_b64 v[118:119], v113 offset:848
	s_waitcnt lgkmcnt(2)
	v_fma_f64 v[3:4], v[124:125], v[134:135], v[3:4]
	s_waitcnt vmcnt(1)
	s_delay_alu instid0(VALU_DEP_1) | instskip(SKIP_1) | instid1(VALU_DEP_1)
	v_fma_f64 v[3:4], v[126:127], v[136:137], v[3:4]
	s_waitcnt lgkmcnt(1)
	v_fma_f64 v[3:4], v[128:129], v[114:115], v[3:4]
	s_waitcnt vmcnt(0)
	s_delay_alu instid0(VALU_DEP_1) | instskip(SKIP_1) | instid1(VALU_DEP_1)
	v_fma_f64 v[3:4], v[130:131], v[116:117], v[3:4]
	s_waitcnt lgkmcnt(0)
	v_fma_f64 v[3:4], v[132:133], v[118:119], v[3:4]
	s_delay_alu instid0(VALU_DEP_1)
	v_add_f64 v[1:2], v[1:2], -v[3:4]
	scratch_store_b64 off, v[1:2], off offset:8
	v_cmpx_ne_u32_e32 0, v0
	s_cbranch_execz .LBB52_327
; %bb.326:
	scratch_load_b64 v[0:1], off, off
	v_mov_b32_e32 v114, v113
	scratch_store_b64 off, v[113:114], off
	s_waitcnt vmcnt(0)
	ds_store_b64 v5, v[0:1]
.LBB52_327:
	s_or_b32 exec_lo, exec_lo, s0
	s_waitcnt lgkmcnt(0)
	s_waitcnt_vscnt null, 0x0
	s_barrier
	buffer_gl0_inv
	s_clause 0x4
	scratch_load_b128 v[0:3], off, off
	scratch_load_b128 v[114:117], off, off offset:16
	scratch_load_b128 v[118:121], off, off offset:32
	;; [unrolled: 1-line block ×4, first 2 shown]
	ds_load_2addr_b64 v[130:133], v113 offset0:55 offset1:56
	ds_load_2addr_b64 v[134:137], v113 offset0:57 offset1:58
	s_and_b32 vcc_lo, exec_lo, s16
	s_waitcnt vmcnt(4) lgkmcnt(1)
	v_fma_f64 v[130:131], v[2:3], v[130:131], 0
	scratch_load_b128 v[2:5], off, off offset:80
	s_waitcnt vmcnt(4)
	v_fma_f64 v[114:115], v[114:115], v[132:133], v[130:131]
	s_waitcnt lgkmcnt(0)
	s_delay_alu instid0(VALU_DEP_1)
	v_fma_f64 v[130:131], v[116:117], v[134:135], v[114:115]
	scratch_load_b128 v[114:117], off, off offset:96
	s_waitcnt vmcnt(4)
	v_fma_f64 v[118:119], v[118:119], v[136:137], v[130:131]
	ds_load_2addr_b64 v[130:133], v113 offset0:59 offset1:60
	ds_load_2addr_b64 v[134:137], v113 offset0:61 offset1:62
	s_waitcnt lgkmcnt(1)
	v_fma_f64 v[130:131], v[120:121], v[130:131], v[118:119]
	scratch_load_b128 v[118:121], off, off offset:112
	s_waitcnt vmcnt(4)
	v_fma_f64 v[122:123], v[122:123], v[132:133], v[130:131]
	s_waitcnt lgkmcnt(0)
	s_delay_alu instid0(VALU_DEP_1)
	v_fma_f64 v[130:131], v[124:125], v[134:135], v[122:123]
	scratch_load_b128 v[122:125], off, off offset:128
	s_waitcnt vmcnt(4)
	v_fma_f64 v[126:127], v[126:127], v[136:137], v[130:131]
	ds_load_2addr_b64 v[130:133], v113 offset0:63 offset1:64
	ds_load_2addr_b64 v[134:137], v113 offset0:65 offset1:66
	s_waitcnt lgkmcnt(1)
	;; [unrolled: 13-line block ×10, first 2 shown]
	v_fma_f64 v[130:131], v[4:5], v[130:131], v[2:3]
	scratch_load_b128 v[2:5], off, off offset:400
	s_waitcnt vmcnt(4)
	v_fma_f64 v[114:115], v[114:115], v[132:133], v[130:131]
	s_waitcnt lgkmcnt(0)
	s_delay_alu instid0(VALU_DEP_1)
	v_fma_f64 v[114:115], v[116:117], v[134:135], v[114:115]
	scratch_load_b64 v[134:135], off, off offset:416
	s_waitcnt vmcnt(4)
	v_fma_f64 v[118:119], v[118:119], v[136:137], v[114:115]
	ds_load_2addr_b64 v[114:117], v113 offset0:99 offset1:100
	ds_load_2addr_b64 v[130:133], v113 offset0:101 offset1:102
	s_waitcnt lgkmcnt(1)
	v_fma_f64 v[114:115], v[120:121], v[114:115], v[118:119]
	s_waitcnt vmcnt(3)
	s_delay_alu instid0(VALU_DEP_1) | instskip(SKIP_1) | instid1(VALU_DEP_1)
	v_fma_f64 v[114:115], v[122:123], v[116:117], v[114:115]
	s_waitcnt lgkmcnt(0)
	v_fma_f64 v[114:115], v[124:125], v[130:131], v[114:115]
	s_waitcnt vmcnt(2)
	s_delay_alu instid0(VALU_DEP_1)
	v_fma_f64 v[122:123], v[126:127], v[132:133], v[114:115]
	ds_load_2addr_b64 v[114:117], v113 offset0:103 offset1:104
	ds_load_2addr_b64 v[118:121], v113 offset0:105 offset1:106
	s_waitcnt lgkmcnt(1)
	v_fma_f64 v[113:114], v[128:129], v[114:115], v[122:123]
	s_waitcnt vmcnt(1)
	s_delay_alu instid0(VALU_DEP_1) | instskip(SKIP_1) | instid1(VALU_DEP_1)
	v_fma_f64 v[2:3], v[2:3], v[116:117], v[113:114]
	s_waitcnt lgkmcnt(0)
	v_fma_f64 v[2:3], v[4:5], v[118:119], v[2:3]
	s_waitcnt vmcnt(0)
	s_delay_alu instid0(VALU_DEP_1) | instskip(NEXT) | instid1(VALU_DEP_1)
	v_fma_f64 v[2:3], v[134:135], v[120:121], v[2:3]
	v_add_f64 v[0:1], v[0:1], -v[2:3]
	scratch_store_b64 off, v[0:1], off
	s_cbranch_vccz .LBB52_433
; %bb.328:
	v_dual_mov_b32 v0, s12 :: v_dual_mov_b32 v1, s13
	s_mov_b32 s0, exec_lo
	flat_load_b32 v0, v[0:1] offset:204
	s_waitcnt vmcnt(0) lgkmcnt(0)
	v_cmpx_ne_u32_e32 52, v0
	s_cbranch_execz .LBB52_330
; %bb.329:
	v_lshl_add_u32 v2, v0, 3, 0
	scratch_load_b64 v[0:1], v2, off offset:-8
	s_waitcnt vmcnt(0)
	scratch_store_b64 off, v[0:1], off offset:408
	scratch_store_b64 v2, v[4:5], off offset:-8
.LBB52_330:
	s_or_b32 exec_lo, exec_lo, s0
	v_dual_mov_b32 v0, s12 :: v_dual_mov_b32 v1, s13
	s_mov_b32 s0, exec_lo
	flat_load_b32 v0, v[0:1] offset:200
	s_waitcnt vmcnt(0) lgkmcnt(0)
	v_cmpx_ne_u32_e32 51, v0
	s_cbranch_execz .LBB52_332
; %bb.331:
	v_lshl_add_u32 v4, v0, 3, 0
	scratch_load_b64 v[0:1], v4, off offset:-8
	scratch_load_b64 v[2:3], off, off offset:400
	s_waitcnt vmcnt(1)
	scratch_store_b64 off, v[0:1], off offset:400
	s_waitcnt vmcnt(0)
	scratch_store_b64 v4, v[2:3], off offset:-8
.LBB52_332:
	s_or_b32 exec_lo, exec_lo, s0
	v_dual_mov_b32 v0, s12 :: v_dual_mov_b32 v1, s13
	s_mov_b32 s0, exec_lo
	flat_load_b32 v0, v[0:1] offset:196
	s_waitcnt vmcnt(0) lgkmcnt(0)
	v_cmpx_ne_u32_e32 50, v0
	s_cbranch_execz .LBB52_334
; %bb.333:
	v_lshl_add_u32 v4, v0, 3, 0
	scratch_load_b64 v[0:1], v4, off offset:-8
	scratch_load_b64 v[2:3], off, off offset:392
	s_waitcnt vmcnt(1)
	scratch_store_b64 off, v[0:1], off offset:392
	s_waitcnt vmcnt(0)
	scratch_store_b64 v4, v[2:3], off offset:-8
.LBB52_334:
	;; [unrolled: 16-line block ×50, first 2 shown]
	s_or_b32 exec_lo, exec_lo, s0
	v_dual_mov_b32 v0, s12 :: v_dual_mov_b32 v1, s13
	s_mov_b32 s0, exec_lo
	flat_load_b32 v2, v[0:1]
	scratch_load_b64 v[0:1], off, off
	s_waitcnt vmcnt(1) lgkmcnt(0)
	v_cmpx_ne_u32_e32 1, v2
	s_cbranch_execz .LBB52_432
; %bb.431:
	v_lshl_add_u32 v4, v2, 3, 0
	scratch_load_b64 v[2:3], v4, off offset:-8
	s_waitcnt vmcnt(0)
	scratch_store_b64 off, v[2:3], off
	scratch_store_b64 v4, v[0:1], off offset:-8
	scratch_load_b64 v[0:1], off, off
.LBB52_432:
	s_or_b32 exec_lo, exec_lo, s0
.LBB52_433:
	s_clause 0x8
	scratch_load_b128 v[2:5], off, off offset:8
	scratch_load_b128 v[113:116], off, off offset:24
	scratch_load_b128 v[117:120], off, off offset:40
	scratch_load_b128 v[121:124], off, off offset:56
	scratch_load_b128 v[125:128], off, off offset:72
	scratch_load_b128 v[129:132], off, off offset:88
	scratch_load_b128 v[133:136], off, off offset:104
	scratch_load_b128 v[137:140], off, off offset:120
	scratch_load_b128 v[141:144], off, off offset:136
	s_waitcnt vmcnt(9)
	global_store_b64 v[13:14], v[0:1], off
	s_waitcnt vmcnt(8)
	s_clause 0x1
	global_store_b64 v[15:16], v[2:3], off
	global_store_b64 v[17:18], v[4:5], off
	s_clause 0x1
	scratch_load_b128 v[0:3], off, off offset:152
	scratch_load_b128 v[12:15], off, off offset:168
	s_waitcnt vmcnt(9)
	global_store_b64 v[19:20], v[113:114], off
	scratch_load_b128 v[16:19], off, off offset:184
	global_store_b64 v[21:22], v[115:116], off
	s_waitcnt vmcnt(9)
	global_store_b64 v[23:24], v[117:118], off
	s_clause 0x1
	scratch_load_b128 v[20:23], off, off offset:200
	scratch_load_b128 v[113:116], off, off offset:216
	global_store_b64 v[25:26], v[119:120], off
	s_waitcnt vmcnt(10)
	global_store_b64 v[27:28], v[121:122], off
	s_clause 0x1
	scratch_load_b128 v[24:27], off, off offset:232
	;; [unrolled: 6-line block ×3, first 2 shown]
	scratch_load_b128 v[121:124], off, off offset:280
	global_store_b64 v[75:76], v[127:128], off
	scratch_load_b128 v[125:128], off, off offset:296
	s_waitcnt vmcnt(13)
	s_clause 0x1
	global_store_b64 v[69:70], v[129:130], off
	global_store_b64 v[65:66], v[131:132], off
	s_clause 0x1
	scratch_load_b128 v[129:132], off, off offset:312
	scratch_load_b128 v[145:148], off, off offset:328
	s_waitcnt vmcnt(14)
	s_clause 0x1
	global_store_b64 v[59:60], v[133:134], off
	global_store_b64 v[57:58], v[135:136], off
	s_clause 0x1
	scratch_load_b128 v[57:60], off, off offset:344
	;; [unrolled: 7-line block ×3, first 2 shown]
	scratch_load_b128 v[149:152], off, off offset:392
	s_waitcnt vmcnt(16)
	s_clause 0x1
	global_store_b64 v[39:40], v[141:142], off
	global_store_b64 v[37:38], v[143:144], off
	scratch_load_b128 v[37:40], off, off offset:408
	s_waitcnt vmcnt(16)
	s_clause 0x1
	global_store_b64 v[33:34], v[0:1], off
	global_store_b64 v[35:36], v[2:3], off
	s_waitcnt vmcnt(15)
	s_clause 0x1
	global_store_b64 v[41:42], v[12:13], off
	global_store_b64 v[43:44], v[14:15], off
	s_waitcnt vmcnt(14)
	s_clause 0x1
	global_store_b64 v[47:48], v[16:17], off
	global_store_b64 v[49:50], v[18:19], off
	s_waitcnt vmcnt(13)
	s_clause 0x1
	global_store_b64 v[53:54], v[20:21], off
	global_store_b64 v[55:56], v[22:23], off
	s_waitcnt vmcnt(12)
	s_clause 0x1
	global_store_b64 v[61:62], v[113:114], off
	global_store_b64 v[63:64], v[115:116], off
	s_waitcnt vmcnt(11)
	s_clause 0x1
	global_store_b64 v[67:68], v[24:25], off
	global_store_b64 v[71:72], v[26:27], off
	s_waitcnt vmcnt(10)
	s_clause 0x1
	global_store_b64 v[73:74], v[117:118], off
	global_store_b64 v[77:78], v[119:120], off
	s_waitcnt vmcnt(9)
	s_clause 0x1
	global_store_b64 v[79:80], v[28:29], off
	global_store_b64 v[81:82], v[30:31], off
	s_waitcnt vmcnt(8)
	s_clause 0x1
	global_store_b64 v[83:84], v[121:122], off
	global_store_b64 v[85:86], v[123:124], off
	s_waitcnt vmcnt(7)
	s_clause 0x1
	global_store_b64 v[87:88], v[125:126], off
	global_store_b64 v[89:90], v[127:128], off
	s_waitcnt vmcnt(6)
	s_clause 0x1
	global_store_b64 v[91:92], v[129:130], off
	global_store_b64 v[93:94], v[131:132], off
	s_waitcnt vmcnt(5)
	s_clause 0x1
	global_store_b64 v[95:96], v[145:146], off
	global_store_b64 v[97:98], v[147:148], off
	s_waitcnt vmcnt(4)
	s_clause 0x1
	global_store_b64 v[99:100], v[57:58], off
	global_store_b64 v[101:102], v[59:60], off
	s_waitcnt vmcnt(3)
	s_clause 0x1
	global_store_b64 v[103:104], v[133:134], off
	global_store_b64 v[105:106], v[135:136], off
	s_waitcnt vmcnt(2)
	s_clause 0x1
	global_store_b64 v[6:7], v[137:138], off
	global_store_b64 v[8:9], v[139:140], off
	s_waitcnt vmcnt(1)
	s_clause 0x1
	global_store_b64 v[107:108], v[149:150], off
	global_store_b64 v[111:112], v[151:152], off
	s_waitcnt vmcnt(0)
	s_clause 0x1
	global_store_b64 v[10:11], v[37:38], off
	global_store_b64 v[109:110], v[39:40], off
	s_endpgm
	.section	.rodata,"a",@progbits
	.p2align	6, 0x0
	.amdhsa_kernel _ZN9rocsolver6v33100L18getri_kernel_smallILi53EdPdEEvT1_iilPiilS4_bb
		.amdhsa_group_segment_fixed_size 856
		.amdhsa_private_segment_fixed_size 432
		.amdhsa_kernarg_size 60
		.amdhsa_user_sgpr_count 15
		.amdhsa_user_sgpr_dispatch_ptr 0
		.amdhsa_user_sgpr_queue_ptr 0
		.amdhsa_user_sgpr_kernarg_segment_ptr 1
		.amdhsa_user_sgpr_dispatch_id 0
		.amdhsa_user_sgpr_private_segment_size 0
		.amdhsa_wavefront_size32 1
		.amdhsa_uses_dynamic_stack 0
		.amdhsa_enable_private_segment 1
		.amdhsa_system_sgpr_workgroup_id_x 1
		.amdhsa_system_sgpr_workgroup_id_y 0
		.amdhsa_system_sgpr_workgroup_id_z 0
		.amdhsa_system_sgpr_workgroup_info 0
		.amdhsa_system_vgpr_workitem_id 0
		.amdhsa_next_free_vgpr 153
		.amdhsa_next_free_sgpr 18
		.amdhsa_reserve_vcc 1
		.amdhsa_float_round_mode_32 0
		.amdhsa_float_round_mode_16_64 0
		.amdhsa_float_denorm_mode_32 3
		.amdhsa_float_denorm_mode_16_64 3
		.amdhsa_dx10_clamp 1
		.amdhsa_ieee_mode 1
		.amdhsa_fp16_overflow 0
		.amdhsa_workgroup_processor_mode 1
		.amdhsa_memory_ordered 1
		.amdhsa_forward_progress 0
		.amdhsa_shared_vgpr_count 0
		.amdhsa_exception_fp_ieee_invalid_op 0
		.amdhsa_exception_fp_denorm_src 0
		.amdhsa_exception_fp_ieee_div_zero 0
		.amdhsa_exception_fp_ieee_overflow 0
		.amdhsa_exception_fp_ieee_underflow 0
		.amdhsa_exception_fp_ieee_inexact 0
		.amdhsa_exception_int_div_zero 0
	.end_amdhsa_kernel
	.section	.text._ZN9rocsolver6v33100L18getri_kernel_smallILi53EdPdEEvT1_iilPiilS4_bb,"axG",@progbits,_ZN9rocsolver6v33100L18getri_kernel_smallILi53EdPdEEvT1_iilPiilS4_bb,comdat
.Lfunc_end52:
	.size	_ZN9rocsolver6v33100L18getri_kernel_smallILi53EdPdEEvT1_iilPiilS4_bb, .Lfunc_end52-_ZN9rocsolver6v33100L18getri_kernel_smallILi53EdPdEEvT1_iilPiilS4_bb
                                        ; -- End function
	.section	.AMDGPU.csdata,"",@progbits
; Kernel info:
; codeLenInByte = 52768
; NumSgprs: 20
; NumVgprs: 153
; ScratchSize: 432
; MemoryBound: 0
; FloatMode: 240
; IeeeMode: 1
; LDSByteSize: 856 bytes/workgroup (compile time only)
; SGPRBlocks: 2
; VGPRBlocks: 19
; NumSGPRsForWavesPerEU: 20
; NumVGPRsForWavesPerEU: 153
; Occupancy: 9
; WaveLimiterHint : 1
; COMPUTE_PGM_RSRC2:SCRATCH_EN: 1
; COMPUTE_PGM_RSRC2:USER_SGPR: 15
; COMPUTE_PGM_RSRC2:TRAP_HANDLER: 0
; COMPUTE_PGM_RSRC2:TGID_X_EN: 1
; COMPUTE_PGM_RSRC2:TGID_Y_EN: 0
; COMPUTE_PGM_RSRC2:TGID_Z_EN: 0
; COMPUTE_PGM_RSRC2:TIDIG_COMP_CNT: 0
	.section	.text._ZN9rocsolver6v33100L18getri_kernel_smallILi54EdPdEEvT1_iilPiilS4_bb,"axG",@progbits,_ZN9rocsolver6v33100L18getri_kernel_smallILi54EdPdEEvT1_iilPiilS4_bb,comdat
	.globl	_ZN9rocsolver6v33100L18getri_kernel_smallILi54EdPdEEvT1_iilPiilS4_bb ; -- Begin function _ZN9rocsolver6v33100L18getri_kernel_smallILi54EdPdEEvT1_iilPiilS4_bb
	.p2align	8
	.type	_ZN9rocsolver6v33100L18getri_kernel_smallILi54EdPdEEvT1_iilPiilS4_bb,@function
_ZN9rocsolver6v33100L18getri_kernel_smallILi54EdPdEEvT1_iilPiilS4_bb: ; @_ZN9rocsolver6v33100L18getri_kernel_smallILi54EdPdEEvT1_iilPiilS4_bb
; %bb.0:
	s_mov_b32 s2, exec_lo
	v_cmpx_gt_u32_e32 54, v0
	s_cbranch_execz .LBB53_226
; %bb.1:
	s_clause 0x2
	s_load_b32 s17, s[0:1], 0x38
	s_load_b128 s[8:11], s[0:1], 0x10
	s_load_b128 s[4:7], s[0:1], 0x28
	s_mov_b32 s14, s15
                                        ; implicit-def: $sgpr12_sgpr13
	s_waitcnt lgkmcnt(0)
	s_bitcmp1_b32 s17, 8
	s_cselect_b32 s16, -1, 0
	s_bfe_u32 s2, s17, 0x10008
	s_ashr_i32 s15, s15, 31
	s_cmp_eq_u32 s2, 0
	s_cbranch_scc1 .LBB53_3
; %bb.2:
	s_load_b32 s2, s[0:1], 0x20
	s_mul_i32 s3, s14, s5
	s_mul_hi_u32 s5, s14, s4
	s_mul_i32 s12, s15, s4
	s_add_i32 s3, s5, s3
	s_mul_i32 s4, s14, s4
	s_add_i32 s5, s3, s12
	s_delay_alu instid0(SALU_CYCLE_1)
	s_lshl_b64 s[4:5], s[4:5], 2
	s_waitcnt lgkmcnt(0)
	s_ashr_i32 s3, s2, 31
	s_add_u32 s4, s10, s4
	s_addc_u32 s5, s11, s5
	s_lshl_b64 s[2:3], s[2:3], 2
	s_delay_alu instid0(SALU_CYCLE_1)
	s_add_u32 s12, s4, s2
	s_addc_u32 s13, s5, s3
.LBB53_3:
	s_load_b128 s[0:3], s[0:1], 0x0
	s_mul_i32 s4, s14, s9
	s_mul_hi_u32 s5, s14, s8
	s_mul_i32 s9, s15, s8
	s_add_i32 s5, s5, s4
	s_mul_i32 s4, s14, s8
	s_add_i32 s5, s5, s9
	v_lshlrev_b32_e32 v5, 3, v0
	s_lshl_b64 s[4:5], s[4:5], 3
	s_waitcnt lgkmcnt(0)
	v_add3_u32 v10, s3, s3, v0
	s_ashr_i32 s9, s2, 31
	s_mov_b32 s8, s2
	s_add_u32 s2, s0, s4
	s_addc_u32 s5, s1, s5
	v_add_nc_u32_e32 v14, s3, v10
	s_lshl_b64 s[0:1], s[8:9], 3
	v_ashrrev_i32_e32 v11, 31, v10
	s_add_u32 s0, s2, s0
	s_addc_u32 s1, s5, s1
	v_add_co_u32 v8, s2, s0, v5
	v_ashrrev_i32_e32 v15, 31, v14
	s_mov_b32 s4, s3
	s_ashr_i32 s5, s3, 31
	v_add_co_ci_u32_e64 v9, null, s1, 0, s2
	v_lshlrev_b64 v[10:11], 3, v[10:11]
	s_lshl_b64 s[4:5], s[4:5], 3
	v_lshlrev_b64 v[12:13], 3, v[14:15]
	v_add_co_u32 v6, vcc_lo, v8, s4
	v_add_co_ci_u32_e32 v7, vcc_lo, s5, v9, vcc_lo
	s_delay_alu instid0(VALU_DEP_4)
	v_add_co_u32 v10, vcc_lo, s0, v10
	v_add_co_ci_u32_e32 v11, vcc_lo, s1, v11, vcc_lo
	v_add_co_u32 v12, vcc_lo, s0, v12
	v_add_co_ci_u32_e32 v13, vcc_lo, s1, v13, vcc_lo
	s_clause 0x3
	global_load_b64 v[1:2], v5, s[0:1]
	global_load_b64 v[3:4], v[6:7], off
	global_load_b64 v[26:27], v[10:11], off
	;; [unrolled: 1-line block ×3, first 2 shown]
	v_add_nc_u32_e32 v14, s3, v14
	s_bitcmp0_b32 s17, 0
	s_delay_alu instid0(VALU_DEP_1) | instskip(SKIP_1) | instid1(VALU_DEP_2)
	v_add_nc_u32_e32 v16, s3, v14
	v_ashrrev_i32_e32 v15, 31, v14
	v_add_nc_u32_e32 v18, s3, v16
	v_ashrrev_i32_e32 v17, 31, v16
	s_delay_alu instid0(VALU_DEP_3) | instskip(NEXT) | instid1(VALU_DEP_3)
	v_lshlrev_b64 v[14:15], 3, v[14:15]
	v_add_nc_u32_e32 v22, s3, v18
	v_ashrrev_i32_e32 v19, 31, v18
	s_delay_alu instid0(VALU_DEP_4) | instskip(NEXT) | instid1(VALU_DEP_4)
	v_lshlrev_b64 v[16:17], 3, v[16:17]
	v_add_co_u32 v24, vcc_lo, s0, v14
	s_delay_alu instid0(VALU_DEP_4) | instskip(SKIP_3) | instid1(VALU_DEP_4)
	v_add_nc_u32_e32 v34, s3, v22
	v_add_co_ci_u32_e32 v25, vcc_lo, s1, v15, vcc_lo
	v_lshlrev_b64 v[14:15], 3, v[18:19]
	v_ashrrev_i32_e32 v23, 31, v22
	v_add_nc_u32_e32 v36, s3, v34
	v_add_co_u32 v20, vcc_lo, s0, v16
	v_ashrrev_i32_e32 v35, 31, v34
	v_add_co_ci_u32_e32 v21, vcc_lo, s1, v17, vcc_lo
	s_delay_alu instid0(VALU_DEP_4) | instskip(SKIP_3) | instid1(VALU_DEP_4)
	v_add_nc_u32_e32 v38, s3, v36
	v_lshlrev_b64 v[16:17], 3, v[22:23]
	v_add_co_u32 v18, vcc_lo, s0, v14
	v_add_co_ci_u32_e32 v19, vcc_lo, s1, v15, vcc_lo
	v_add_nc_u32_e32 v40, s3, v38
	v_lshlrev_b64 v[14:15], 3, v[34:35]
	v_ashrrev_i32_e32 v37, 31, v36
	v_add_co_u32 v16, vcc_lo, s0, v16
	s_delay_alu instid0(VALU_DEP_4) | instskip(SKIP_3) | instid1(VALU_DEP_4)
	v_add_nc_u32_e32 v42, s3, v40
	v_ashrrev_i32_e32 v39, 31, v38
	v_add_co_ci_u32_e32 v17, vcc_lo, s1, v17, vcc_lo
	v_lshlrev_b64 v[22:23], 3, v[36:37]
	v_add_nc_u32_e32 v48, s3, v42
	v_add_co_u32 v66, vcc_lo, s0, v14
	v_add_co_ci_u32_e32 v67, vcc_lo, s1, v15, vcc_lo
	s_delay_alu instid0(VALU_DEP_3)
	v_add_nc_u32_e32 v50, s3, v48
	v_lshlrev_b64 v[14:15], 3, v[38:39]
	v_ashrrev_i32_e32 v41, 31, v40
	s_clause 0x1
	global_load_b64 v[30:31], v[24:25], off
	global_load_b64 v[32:33], v[20:21], off
	v_add_nc_u32_e32 v54, s3, v50
	v_add_co_u32 v62, vcc_lo, s0, v22
	v_ashrrev_i32_e32 v43, 31, v42
	v_add_co_ci_u32_e32 v63, vcc_lo, s1, v23, vcc_lo
	s_delay_alu instid0(VALU_DEP_4) | instskip(SKIP_3) | instid1(VALU_DEP_4)
	v_add_nc_u32_e32 v56, s3, v54
	v_lshlrev_b64 v[22:23], 3, v[40:41]
	v_add_co_u32 v74, vcc_lo, s0, v14
	v_add_co_ci_u32_e32 v75, vcc_lo, s1, v15, vcc_lo
	v_add_nc_u32_e32 v60, s3, v56
	v_lshlrev_b64 v[14:15], 3, v[42:43]
	s_clause 0x2
	global_load_b64 v[36:37], v[18:19], off
	global_load_b64 v[38:39], v[16:17], off
	;; [unrolled: 1-line block ×3, first 2 shown]
	v_ashrrev_i32_e32 v49, 31, v48
	global_load_b64 v[46:47], v[62:63], off
	v_add_nc_u32_e32 v64, s3, v60
	v_add_co_u32 v70, vcc_lo, s0, v22
	v_add_co_ci_u32_e32 v71, vcc_lo, s1, v23, vcc_lo
	s_delay_alu instid0(VALU_DEP_3) | instskip(SKIP_3) | instid1(VALU_DEP_4)
	v_add_nc_u32_e32 v68, s3, v64
	v_lshlrev_b64 v[22:23], 3, v[48:49]
	v_add_co_u32 v58, vcc_lo, s0, v14
	v_add_co_ci_u32_e32 v59, vcc_lo, s1, v15, vcc_lo
	v_add_nc_u32_e32 v72, s3, v68
	v_ashrrev_i32_e32 v51, 31, v50
	v_ashrrev_i32_e32 v55, 31, v54
	;; [unrolled: 1-line block ×4, first 2 shown]
	v_add_nc_u32_e32 v88, s3, v72
	v_ashrrev_i32_e32 v65, 31, v64
	v_ashrrev_i32_e32 v69, 31, v68
	;; [unrolled: 1-line block ×3, first 2 shown]
	s_delay_alu instid0(VALU_DEP_4) | instskip(SKIP_1) | instid1(VALU_DEP_2)
	v_add_nc_u32_e32 v90, s3, v88
	v_ashrrev_i32_e32 v89, 31, v88
	v_add_nc_u32_e32 v96, s3, v90
	v_ashrrev_i32_e32 v91, 31, v90
	s_delay_alu instid0(VALU_DEP_2) | instskip(SKIP_1) | instid1(VALU_DEP_2)
	v_add_nc_u32_e32 v98, s3, v96
	v_ashrrev_i32_e32 v97, 31, v96
	v_add_nc_u32_e32 v100, s3, v98
	v_ashrrev_i32_e32 v99, 31, v98
	s_delay_alu instid0(VALU_DEP_2) | instskip(SKIP_1) | instid1(VALU_DEP_2)
	v_add_nc_u32_e32 v102, s3, v100
	v_ashrrev_i32_e32 v101, 31, v100
	v_add_nc_u32_e32 v104, s3, v102
	v_ashrrev_i32_e32 v103, 31, v102
	s_delay_alu instid0(VALU_DEP_2) | instskip(SKIP_1) | instid1(VALU_DEP_2)
	v_add_nc_u32_e32 v106, s3, v104
	v_ashrrev_i32_e32 v105, 31, v104
	v_add_nc_u32_e32 v108, s3, v106
	v_ashrrev_i32_e32 v107, 31, v106
	s_delay_alu instid0(VALU_DEP_2) | instskip(SKIP_1) | instid1(VALU_DEP_2)
	v_add_nc_u32_e32 v110, s3, v108
	v_ashrrev_i32_e32 v109, 31, v108
	v_add_nc_u32_e32 v112, s3, v110
	v_ashrrev_i32_e32 v111, 31, v110
	s_delay_alu instid0(VALU_DEP_2) | instskip(SKIP_1) | instid1(VALU_DEP_2)
	v_add_nc_u32_e32 v114, s3, v112
	v_ashrrev_i32_e32 v113, 31, v112
	v_add_nc_u32_e32 v118, s3, v114
	v_ashrrev_i32_e32 v115, 31, v114
	s_delay_alu instid0(VALU_DEP_2) | instskip(SKIP_1) | instid1(VALU_DEP_2)
	v_add_nc_u32_e32 v120, s3, v118
	v_ashrrev_i32_e32 v119, 31, v118
	v_add_nc_u32_e32 v122, s3, v120
	v_ashrrev_i32_e32 v121, 31, v120
	s_delay_alu instid0(VALU_DEP_2) | instskip(SKIP_1) | instid1(VALU_DEP_2)
	v_add_nc_u32_e32 v124, s3, v122
	v_ashrrev_i32_e32 v123, 31, v122
	v_add_nc_u32_e32 v126, s3, v124
	v_ashrrev_i32_e32 v125, 31, v124
	s_delay_alu instid0(VALU_DEP_2) | instskip(SKIP_1) | instid1(VALU_DEP_2)
	v_add_nc_u32_e32 v128, s3, v126
	v_ashrrev_i32_e32 v127, 31, v126
	v_add_nc_u32_e32 v130, s3, v128
	v_ashrrev_i32_e32 v129, 31, v128
	s_delay_alu instid0(VALU_DEP_2) | instskip(SKIP_1) | instid1(VALU_DEP_2)
	v_add_nc_u32_e32 v132, s3, v130
	v_ashrrev_i32_e32 v131, 31, v130
	v_add_nc_u32_e32 v134, s3, v132
	v_ashrrev_i32_e32 v133, 31, v132
	s_delay_alu instid0(VALU_DEP_2) | instskip(SKIP_1) | instid1(VALU_DEP_2)
	v_add_nc_u32_e32 v136, s3, v134
	v_ashrrev_i32_e32 v135, 31, v134
	v_add_nc_u32_e32 v138, s3, v136
	v_ashrrev_i32_e32 v137, 31, v136
	s_delay_alu instid0(VALU_DEP_2) | instskip(SKIP_1) | instid1(VALU_DEP_2)
	v_add_nc_u32_e32 v140, s3, v138
	v_ashrrev_i32_e32 v139, 31, v138
	v_add_nc_u32_e32 v142, s3, v140
	v_ashrrev_i32_e32 v141, 31, v140
	s_delay_alu instid0(VALU_DEP_2) | instskip(SKIP_1) | instid1(VALU_DEP_2)
	v_add_nc_u32_e32 v144, s3, v142
	v_ashrrev_i32_e32 v143, 31, v142
	v_add_nc_u32_e32 v146, s3, v144
	v_ashrrev_i32_e32 v145, 31, v144
	s_delay_alu instid0(VALU_DEP_2) | instskip(SKIP_1) | instid1(VALU_DEP_2)
	v_add_nc_u32_e32 v148, s3, v146
	v_ashrrev_i32_e32 v147, 31, v146
	v_add_nc_u32_e32 v150, s3, v148
	v_ashrrev_i32_e32 v149, 31, v148
	s_delay_alu instid0(VALU_DEP_2) | instskip(SKIP_1) | instid1(VALU_DEP_2)
	v_add_nc_u32_e32 v152, s3, v150
	v_ashrrev_i32_e32 v151, 31, v150
	v_add_nc_u32_e32 v154, s3, v152
	v_ashrrev_i32_e32 v153, 31, v152
	s_delay_alu instid0(VALU_DEP_2) | instskip(SKIP_1) | instid1(VALU_DEP_2)
	v_add_nc_u32_e32 v156, s3, v154
	v_ashrrev_i32_e32 v155, 31, v154
	v_add_nc_u32_e32 v34, s3, v156
	v_ashrrev_i32_e32 v157, 31, v156
	s_delay_alu instid0(VALU_DEP_2) | instskip(NEXT) | instid1(VALU_DEP_1)
	v_ashrrev_i32_e32 v35, 31, v34
	v_lshlrev_b64 v[34:35], 3, v[34:35]
	s_delay_alu instid0(VALU_DEP_1) | instskip(NEXT) | instid1(VALU_DEP_2)
	v_add_co_u32 v14, vcc_lo, s0, v34
	v_add_co_ci_u32_e32 v15, vcc_lo, s1, v35, vcc_lo
	v_add_co_u32 v52, vcc_lo, s0, v22
	v_add_co_ci_u32_e32 v53, vcc_lo, s1, v23, vcc_lo
	global_load_b64 v[116:117], v[14:15], off
	v_lshlrev_b64 v[22:23], 3, v[50:51]
	v_lshlrev_b64 v[34:35], 3, v[54:55]
	;; [unrolled: 1-line block ×3, first 2 shown]
	s_delay_alu instid0(VALU_DEP_3) | instskip(NEXT) | instid1(VALU_DEP_4)
	v_add_co_u32 v54, vcc_lo, s0, v22
	v_add_co_ci_u32_e32 v55, vcc_lo, s1, v23, vcc_lo
	s_delay_alu instid0(VALU_DEP_4) | instskip(SKIP_3) | instid1(VALU_DEP_2)
	v_add_co_u32 v48, vcc_lo, s0, v34
	v_add_co_ci_u32_e32 v49, vcc_lo, s1, v35, vcc_lo
	v_lshlrev_b64 v[22:23], 3, v[56:57]
	v_lshlrev_b64 v[56:57], 3, v[108:109]
	v_add_co_u32 v42, vcc_lo, s0, v22
	s_delay_alu instid0(VALU_DEP_3)
	v_add_co_ci_u32_e32 v43, vcc_lo, s1, v23, vcc_lo
	v_lshlrev_b64 v[22:23], 3, v[64:65]
	v_lshlrev_b64 v[64:65], 3, v[112:113]
	s_waitcnt vmcnt(9)
	scratch_store_b128 off, v[1:4], off
	s_clause 0x3
	global_load_b64 v[1:2], v[74:75], off
	global_load_b64 v[3:4], v[70:71], off
	;; [unrolled: 1-line block ×4, first 2 shown]
	s_waitcnt vmcnt(11)
	scratch_store_b128 off, v[26:29], off offset:16
	s_clause 0x1
	global_load_b64 v[80:81], v[54:55], off
	global_load_b64 v[82:83], v[48:49], off
	v_lshlrev_b64 v[26:27], 3, v[60:61]
	v_lshlrev_b64 v[28:29], 3, v[72:73]
	global_load_b64 v[84:85], v[42:43], off
	v_lshlrev_b64 v[60:61], 3, v[110:111]
	v_lshlrev_b64 v[72:73], 3, v[118:119]
	v_add_co_u32 v40, vcc_lo, s0, v26
	v_add_co_ci_u32_e32 v41, vcc_lo, s1, v27, vcc_lo
	v_lshlrev_b64 v[26:27], 3, v[68:69]
	v_add_co_u32 v34, vcc_lo, s0, v22
	global_load_b64 v[86:87], v[40:41], off
	v_add_co_ci_u32_e32 v35, vcc_lo, s1, v23, vcc_lo
	v_add_co_u32 v22, vcc_lo, s0, v26
	v_add_co_ci_u32_e32 v23, vcc_lo, s1, v27, vcc_lo
	v_add_co_u32 v26, vcc_lo, s0, v28
	v_add_co_ci_u32_e32 v27, vcc_lo, s1, v29, vcc_lo
	v_lshlrev_b64 v[68:69], 3, v[114:115]
	s_waitcnt vmcnt(13)
	scratch_store_b128 off, v[30:33], off offset:32
	v_lshlrev_b64 v[30:31], 3, v[88:89]
	v_lshlrev_b64 v[32:33], 3, v[90:91]
	s_waitcnt vmcnt(11)
	scratch_store_b128 off, v[36:39], off offset:48
	s_waitcnt vmcnt(9)
	scratch_store_b128 off, v[44:47], off offset:64
	v_add_co_u32 v28, vcc_lo, s0, v30
	v_lshlrev_b64 v[36:37], 3, v[96:97]
	v_add_co_ci_u32_e32 v29, vcc_lo, s1, v31, vcc_lo
	v_add_co_u32 v30, vcc_lo, s0, v32
	v_lshlrev_b64 v[38:39], 3, v[98:99]
	v_add_co_ci_u32_e32 v31, vcc_lo, s1, v33, vcc_lo
	;; [unrolled: 3-line block ×3, first 2 shown]
	v_add_co_u32 v36, vcc_lo, s0, v38
	v_add_co_ci_u32_e32 v37, vcc_lo, s1, v39, vcc_lo
	s_delay_alu instid0(VALU_DEP_4)
	v_add_co_u32 v38, vcc_lo, s0, v44
	s_clause 0x3
	global_load_b64 v[88:89], v[34:35], off
	global_load_b64 v[90:91], v[22:23], off
	;; [unrolled: 1-line block ×4, first 2 shown]
	v_add_co_ci_u32_e32 v39, vcc_lo, s1, v45, vcc_lo
	v_lshlrev_b64 v[44:45], 3, v[102:103]
	v_lshlrev_b64 v[46:47], 3, v[104:105]
	s_waitcnt vmcnt(10)
	scratch_store_b128 off, v[1:4], off offset:80
	s_waitcnt vmcnt(8)
	scratch_store_b128 off, v[76:79], off offset:96
	v_add_co_u32 v44, vcc_lo, s0, v44
	v_add_co_ci_u32_e32 v45, vcc_lo, s1, v45, vcc_lo
	v_add_co_u32 v46, vcc_lo, s0, v46
	v_add_co_ci_u32_e32 v47, vcc_lo, s1, v47, vcc_lo
	s_clause 0x3
	global_load_b64 v[1:2], v[30:31], off
	global_load_b64 v[3:4], v[32:33], off
	;; [unrolled: 1-line block ×4, first 2 shown]
	s_waitcnt vmcnt(10)
	scratch_store_b128 off, v[80:83], off offset:112
	s_clause 0x1
	global_load_b64 v[100:101], v[44:45], off
	global_load_b64 v[102:103], v[46:47], off
	v_add_co_u32 v50, vcc_lo, s0, v50
	v_add_co_ci_u32_e32 v51, vcc_lo, s1, v51, vcc_lo
	v_add_co_u32 v56, vcc_lo, s0, v56
	v_add_co_ci_u32_e32 v57, vcc_lo, s1, v57, vcc_lo
	;; [unrolled: 2-line block ×4, first 2 shown]
	v_add_co_u32 v68, vcc_lo, s0, v68
	v_lshlrev_b64 v[76:77], 3, v[120:121]
	v_add_co_ci_u32_e32 v69, vcc_lo, s1, v69, vcc_lo
	v_add_co_u32 v72, vcc_lo, s0, v72
	v_lshlrev_b64 v[78:79], 3, v[122:123]
	v_add_co_ci_u32_e32 v73, vcc_lo, s1, v73, vcc_lo
	s_clause 0x1
	global_load_b64 v[104:105], v[50:51], off
	global_load_b64 v[106:107], v[56:57], off
	v_add_co_u32 v76, vcc_lo, s0, v76
	v_lshlrev_b64 v[80:81], 3, v[124:125]
	v_add_co_ci_u32_e32 v77, vcc_lo, s1, v77, vcc_lo
	v_add_co_u32 v78, vcc_lo, s0, v78
	v_lshlrev_b64 v[82:83], 3, v[126:127]
	s_waitcnt vmcnt(12)
	scratch_store_b128 off, v[84:87], off offset:128
	s_waitcnt vmcnt(10)
	scratch_store_b128 off, v[88:91], off offset:144
	;; [unrolled: 2-line block ×3, first 2 shown]
	v_add_co_ci_u32_e32 v79, vcc_lo, s1, v79, vcc_lo
	s_clause 0x3
	global_load_b64 v[108:109], v[60:61], off
	global_load_b64 v[110:111], v[64:65], off
	;; [unrolled: 1-line block ×4, first 2 shown]
	v_add_co_u32 v80, vcc_lo, s0, v80
	v_lshlrev_b64 v[84:85], 3, v[128:129]
	v_add_co_ci_u32_e32 v81, vcc_lo, s1, v81, vcc_lo
	v_add_co_u32 v82, vcc_lo, s0, v82
	v_lshlrev_b64 v[86:87], 3, v[130:131]
	v_add_co_ci_u32_e32 v83, vcc_lo, s1, v83, vcc_lo
	v_add_co_u32 v84, vcc_lo, s0, v84
	v_add_co_ci_u32_e32 v85, vcc_lo, s1, v85, vcc_lo
	s_delay_alu instid0(VALU_DEP_4)
	v_add_co_u32 v86, vcc_lo, s0, v86
	v_add_co_ci_u32_e32 v87, vcc_lo, s1, v87, vcc_lo
	v_lshlrev_b64 v[88:89], 3, v[132:133]
	v_lshlrev_b64 v[90:91], 3, v[134:135]
	;; [unrolled: 1-line block ×4, first 2 shown]
	s_waitcnt vmcnt(10)
	scratch_store_b128 off, v[1:4], off offset:176
	s_waitcnt vmcnt(8)
	scratch_store_b128 off, v[96:99], off offset:192
	s_clause 0x3
	global_load_b64 v[1:2], v[76:77], off
	global_load_b64 v[3:4], v[78:79], off
	;; [unrolled: 1-line block ×4, first 2 shown]
	s_waitcnt vmcnt(10)
	scratch_store_b128 off, v[100:103], off offset:208
	s_clause 0x1
	global_load_b64 v[122:123], v[84:85], off
	global_load_b64 v[124:125], v[86:87], off
	v_add_co_u32 v88, vcc_lo, s0, v88
	v_add_co_ci_u32_e32 v89, vcc_lo, s1, v89, vcc_lo
	v_add_co_u32 v90, vcc_lo, s0, v90
	v_add_co_ci_u32_e32 v91, vcc_lo, s1, v91, vcc_lo
	v_add_co_u32 v92, vcc_lo, s0, v92
	v_lshlrev_b64 v[96:97], 3, v[140:141]
	v_add_co_ci_u32_e32 v93, vcc_lo, s1, v93, vcc_lo
	v_add_co_u32 v94, vcc_lo, s0, v94
	v_lshlrev_b64 v[98:99], 3, v[142:143]
	v_add_co_ci_u32_e32 v95, vcc_lo, s1, v95, vcc_lo
	v_add_co_u32 v96, vcc_lo, s0, v96
	v_lshlrev_b64 v[100:101], 3, v[144:145]
	v_add_co_ci_u32_e32 v97, vcc_lo, s1, v97, vcc_lo
	v_add_co_u32 v98, vcc_lo, s0, v98
	v_lshlrev_b64 v[102:103], 3, v[146:147]
	v_add_co_ci_u32_e32 v99, vcc_lo, s1, v99, vcc_lo
	s_waitcnt vmcnt(10)
	scratch_store_b128 off, v[104:107], off offset:224
	v_add_co_u32 v100, vcc_lo, s0, v100
	v_lshlrev_b64 v[104:105], 3, v[148:149]
	v_add_co_ci_u32_e32 v101, vcc_lo, s1, v101, vcc_lo
	v_add_co_u32 v102, vcc_lo, s0, v102
	v_lshlrev_b64 v[106:107], 3, v[150:151]
	v_add_co_ci_u32_e32 v103, vcc_lo, s1, v103, vcc_lo
	global_load_b64 v[126:127], v[88:89], off
	s_waitcnt vmcnt(9)
	scratch_store_b128 off, v[108:111], off offset:240
	s_waitcnt vmcnt(7)
	scratch_store_b128 off, v[112:115], off offset:256
	v_add_co_u32 v104, vcc_lo, s0, v104
	v_lshlrev_b64 v[108:109], 3, v[152:153]
	v_add_co_ci_u32_e32 v105, vcc_lo, s1, v105, vcc_lo
	v_add_co_u32 v106, vcc_lo, s0, v106
	v_lshlrev_b64 v[110:111], 3, v[154:155]
	v_add_co_ci_u32_e32 v107, vcc_lo, s1, v107, vcc_lo
	;; [unrolled: 3-line block ×3, first 2 shown]
	v_add_co_u32 v110, vcc_lo, s0, v110
	v_add_co_ci_u32_e32 v111, vcc_lo, s1, v111, vcc_lo
	s_delay_alu instid0(VALU_DEP_4)
	v_add_co_u32 v112, vcc_lo, s0, v112
	s_clause 0x3
	global_load_b64 v[128:129], v[90:91], off
	global_load_b64 v[130:131], v[92:93], off
	;; [unrolled: 1-line block ×4, first 2 shown]
	v_add_co_ci_u32_e32 v113, vcc_lo, s1, v113, vcc_lo
	s_mov_b32 s1, -1
	s_waitcnt vmcnt(9)
	scratch_store_b128 off, v[1:4], off offset:272
	s_waitcnt vmcnt(7)
	scratch_store_b128 off, v[118:121], off offset:288
	s_clause 0x3
	global_load_b64 v[136:137], v[98:99], off
	global_load_b64 v[1:2], v[100:101], off
	global_load_b64 v[3:4], v[102:103], off
	global_load_b64 v[118:119], v[104:105], off
	s_waitcnt vmcnt(9)
	scratch_store_b128 off, v[122:125], off offset:304
	s_clause 0x3
	global_load_b64 v[120:121], v[106:107], off
	global_load_b64 v[122:123], v[108:109], off
	;; [unrolled: 1-line block ×4, first 2 shown]
	s_waitcnt vmcnt(11)
	scratch_store_b128 off, v[126:129], off offset:320
	s_waitcnt vmcnt(9)
	scratch_store_b128 off, v[130:133], off offset:336
	;; [unrolled: 2-line block ×7, first 2 shown]
	s_cbranch_scc1 .LBB53_224
; %bb.4:
	v_cmp_eq_u32_e64 s0, 0, v0
	s_delay_alu instid0(VALU_DEP_1)
	s_and_saveexec_b32 s1, s0
	s_cbranch_execz .LBB53_6
; %bb.5:
	v_mov_b32_e32 v1, 0
	ds_store_b32 v1, v1 offset:864
.LBB53_6:
	s_or_b32 exec_lo, exec_lo, s1
	s_waitcnt lgkmcnt(0)
	s_waitcnt_vscnt null, 0x0
	s_barrier
	buffer_gl0_inv
	scratch_load_b64 v[1:2], v5, off
	s_mov_b32 s2, exec_lo
	s_waitcnt vmcnt(0)
	v_cmpx_eq_f64_e32 0, v[1:2]
	s_cbranch_execz .LBB53_10
; %bb.7:
	v_mov_b32_e32 v1, 0
	s_mov_b32 s3, 0
	ds_load_b32 v2, v1 offset:864
	s_waitcnt lgkmcnt(0)
	v_readfirstlane_b32 s1, v2
	v_add_nc_u32_e32 v2, 1, v0
	s_delay_alu instid0(VALU_DEP_2) | instskip(NEXT) | instid1(VALU_DEP_1)
	s_cmp_eq_u32 s1, 0
	v_cmp_gt_i32_e32 vcc_lo, s1, v2
	s_cselect_b32 s4, -1, 0
	s_delay_alu instid0(SALU_CYCLE_1) | instskip(NEXT) | instid1(SALU_CYCLE_1)
	s_or_b32 s4, s4, vcc_lo
	s_and_b32 exec_lo, exec_lo, s4
	s_cbranch_execz .LBB53_10
; %bb.8:
	v_mov_b32_e32 v3, s1
.LBB53_9:                               ; =>This Inner Loop Header: Depth=1
	ds_cmpstore_rtn_b32 v3, v1, v2, v3 offset:864
	s_waitcnt lgkmcnt(0)
	v_cmp_ne_u32_e32 vcc_lo, 0, v3
	v_cmp_le_i32_e64 s1, v3, v2
	s_delay_alu instid0(VALU_DEP_1) | instskip(NEXT) | instid1(SALU_CYCLE_1)
	s_and_b32 s1, vcc_lo, s1
	s_and_b32 s1, exec_lo, s1
	s_delay_alu instid0(SALU_CYCLE_1) | instskip(NEXT) | instid1(SALU_CYCLE_1)
	s_or_b32 s3, s1, s3
	s_and_not1_b32 exec_lo, exec_lo, s3
	s_cbranch_execnz .LBB53_9
.LBB53_10:
	s_or_b32 exec_lo, exec_lo, s2
	v_mov_b32_e32 v1, 0
	s_barrier
	buffer_gl0_inv
	ds_load_b32 v2, v1 offset:864
	s_and_saveexec_b32 s1, s0
	s_cbranch_execz .LBB53_12
; %bb.11:
	s_lshl_b64 s[2:3], s[14:15], 2
	s_delay_alu instid0(SALU_CYCLE_1)
	s_add_u32 s2, s6, s2
	s_addc_u32 s3, s7, s3
	s_waitcnt lgkmcnt(0)
	global_store_b32 v1, v2, s[2:3]
.LBB53_12:
	s_or_b32 exec_lo, exec_lo, s1
	s_waitcnt lgkmcnt(0)
	v_cmp_ne_u32_e32 vcc_lo, 0, v2
	s_mov_b32 s1, 0
	s_cbranch_vccnz .LBB53_224
; %bb.13:
	v_add_nc_u32_e32 v3, 0, v5
	v_add_nc_u32_e32 v4, 0x1b0, v5
	scratch_load_b64 v[1:2], v3, off
	s_waitcnt vmcnt(0)
	v_div_scale_f64 v[114:115], null, v[1:2], v[1:2], 1.0
	v_div_scale_f64 v[120:121], vcc_lo, 1.0, v[1:2], 1.0
	s_delay_alu instid0(VALU_DEP_2) | instskip(SKIP_2) | instid1(VALU_DEP_1)
	v_rcp_f64_e32 v[116:117], v[114:115]
	s_waitcnt_depctr 0xfff
	v_fma_f64 v[118:119], -v[114:115], v[116:117], 1.0
	v_fma_f64 v[116:117], v[116:117], v[118:119], v[116:117]
	s_delay_alu instid0(VALU_DEP_1) | instskip(NEXT) | instid1(VALU_DEP_1)
	v_fma_f64 v[118:119], -v[114:115], v[116:117], 1.0
	v_fma_f64 v[116:117], v[116:117], v[118:119], v[116:117]
	s_delay_alu instid0(VALU_DEP_1) | instskip(NEXT) | instid1(VALU_DEP_1)
	v_mul_f64 v[118:119], v[120:121], v[116:117]
	v_fma_f64 v[114:115], -v[114:115], v[118:119], v[120:121]
	s_delay_alu instid0(VALU_DEP_1) | instskip(NEXT) | instid1(VALU_DEP_1)
	v_div_fmas_f64 v[114:115], v[114:115], v[116:117], v[118:119]
	v_div_fixup_f64 v[1:2], v[114:115], v[1:2], 1.0
	scratch_store_b64 v3, v[1:2], off
	scratch_load_b64 v[114:115], off, off offset:8
	v_xor_b32_e32 v2, 0x80000000, v2
	s_waitcnt vmcnt(0)
	ds_store_2addr_b64 v5, v[1:2], v[114:115] offset1:54
	s_waitcnt lgkmcnt(0)
	s_waitcnt_vscnt null, 0x0
	s_barrier
	buffer_gl0_inv
	s_and_saveexec_b32 s1, s0
	s_cbranch_execz .LBB53_15
; %bb.14:
	scratch_load_b64 v[1:2], v3, off
	ds_load_b64 v[114:115], v4
	s_waitcnt vmcnt(0) lgkmcnt(0)
	v_fma_f64 v[1:2], v[1:2], v[114:115], 0
	v_mov_b32_e32 v114, 0
	ds_load_b64 v[114:115], v114 offset:8
	s_waitcnt lgkmcnt(0)
	v_mul_f64 v[1:2], v[1:2], v[114:115]
	scratch_store_b64 off, v[1:2], off offset:8
.LBB53_15:
	s_or_b32 exec_lo, exec_lo, s1
	s_waitcnt_vscnt null, 0x0
	s_barrier
	buffer_gl0_inv
	scratch_load_b64 v[1:2], off, off offset:16
	s_mov_b32 s1, exec_lo
	s_waitcnt vmcnt(0)
	ds_store_b64 v4, v[1:2]
	s_waitcnt lgkmcnt(0)
	s_barrier
	buffer_gl0_inv
	v_cmpx_gt_u32_e32 2, v0
	s_cbranch_execz .LBB53_19
; %bb.16:
	scratch_load_b64 v[1:2], v3, off
	ds_load_b64 v[114:115], v4
	s_waitcnt vmcnt(0) lgkmcnt(0)
	v_fma_f64 v[1:2], v[1:2], v[114:115], 0
	s_and_saveexec_b32 s2, s0
	s_cbranch_execz .LBB53_18
; %bb.17:
	scratch_load_b64 v[114:115], off, off offset:8
	v_mov_b32_e32 v116, 0
	ds_load_b64 v[116:117], v116 offset:440
	s_waitcnt vmcnt(0) lgkmcnt(0)
	v_fma_f64 v[1:2], v[114:115], v[116:117], v[1:2]
.LBB53_18:
	s_or_b32 exec_lo, exec_lo, s2
	v_mov_b32_e32 v114, 0
	ds_load_b64 v[114:115], v114 offset:16
	s_waitcnt lgkmcnt(0)
	v_mul_f64 v[1:2], v[1:2], v[114:115]
	scratch_store_b64 off, v[1:2], off offset:16
.LBB53_19:
	s_or_b32 exec_lo, exec_lo, s1
	s_waitcnt_vscnt null, 0x0
	s_barrier
	buffer_gl0_inv
	scratch_load_b64 v[1:2], off, off offset:24
	v_add_nc_u32_e32 v114, -1, v0
	s_mov_b32 s0, exec_lo
	s_waitcnt vmcnt(0)
	ds_store_b64 v4, v[1:2]
	s_waitcnt lgkmcnt(0)
	s_barrier
	buffer_gl0_inv
	v_cmpx_gt_u32_e32 3, v0
	s_cbranch_execz .LBB53_23
; %bb.20:
	v_dual_mov_b32 v1, 0 :: v_dual_add_nc_u32 v116, 0x1b0, v5
	v_dual_mov_b32 v2, 0 :: v_dual_add_nc_u32 v115, -1, v0
	v_add_nc_u32_e32 v117, 0, v5
	s_mov_b32 s1, 0
.LBB53_21:                              ; =>This Inner Loop Header: Depth=1
	scratch_load_b64 v[118:119], v117, off
	ds_load_b64 v[120:121], v116
	v_add_nc_u32_e32 v115, 1, v115
	v_add_nc_u32_e32 v116, 8, v116
	v_add_nc_u32_e32 v117, 8, v117
	s_delay_alu instid0(VALU_DEP_3)
	v_cmp_lt_u32_e32 vcc_lo, 1, v115
	s_or_b32 s1, vcc_lo, s1
	s_waitcnt vmcnt(0) lgkmcnt(0)
	v_fma_f64 v[1:2], v[118:119], v[120:121], v[1:2]
	s_and_not1_b32 exec_lo, exec_lo, s1
	s_cbranch_execnz .LBB53_21
; %bb.22:
	s_or_b32 exec_lo, exec_lo, s1
	v_mov_b32_e32 v115, 0
	ds_load_b64 v[115:116], v115 offset:24
	s_waitcnt lgkmcnt(0)
	v_mul_f64 v[1:2], v[1:2], v[115:116]
	scratch_store_b64 off, v[1:2], off offset:24
.LBB53_23:
	s_or_b32 exec_lo, exec_lo, s0
	s_waitcnt_vscnt null, 0x0
	s_barrier
	buffer_gl0_inv
	scratch_load_b64 v[1:2], off, off offset:32
	s_mov_b32 s0, exec_lo
	s_waitcnt vmcnt(0)
	ds_store_b64 v4, v[1:2]
	s_waitcnt lgkmcnt(0)
	s_barrier
	buffer_gl0_inv
	v_cmpx_gt_u32_e32 4, v0
	s_cbranch_execz .LBB53_27
; %bb.24:
	v_dual_mov_b32 v1, 0 :: v_dual_add_nc_u32 v116, 0x1b0, v5
	v_dual_mov_b32 v2, 0 :: v_dual_add_nc_u32 v115, -1, v0
	v_add_nc_u32_e32 v117, 0, v5
	s_mov_b32 s1, 0
.LBB53_25:                              ; =>This Inner Loop Header: Depth=1
	scratch_load_b64 v[118:119], v117, off
	ds_load_b64 v[120:121], v116
	v_add_nc_u32_e32 v115, 1, v115
	v_add_nc_u32_e32 v116, 8, v116
	v_add_nc_u32_e32 v117, 8, v117
	s_delay_alu instid0(VALU_DEP_3)
	v_cmp_lt_u32_e32 vcc_lo, 2, v115
	s_or_b32 s1, vcc_lo, s1
	s_waitcnt vmcnt(0) lgkmcnt(0)
	v_fma_f64 v[1:2], v[118:119], v[120:121], v[1:2]
	s_and_not1_b32 exec_lo, exec_lo, s1
	s_cbranch_execnz .LBB53_25
; %bb.26:
	s_or_b32 exec_lo, exec_lo, s1
	v_mov_b32_e32 v115, 0
	ds_load_b64 v[115:116], v115 offset:32
	s_waitcnt lgkmcnt(0)
	v_mul_f64 v[1:2], v[1:2], v[115:116]
	scratch_store_b64 off, v[1:2], off offset:32
.LBB53_27:
	s_or_b32 exec_lo, exec_lo, s0
	s_waitcnt_vscnt null, 0x0
	s_barrier
	buffer_gl0_inv
	scratch_load_b64 v[1:2], off, off offset:40
	s_mov_b32 s0, exec_lo
	s_waitcnt vmcnt(0)
	ds_store_b64 v4, v[1:2]
	s_waitcnt lgkmcnt(0)
	s_barrier
	buffer_gl0_inv
	v_cmpx_gt_u32_e32 5, v0
	s_cbranch_execz .LBB53_31
; %bb.28:
	v_dual_mov_b32 v1, 0 :: v_dual_add_nc_u32 v116, 0x1b0, v5
	v_dual_mov_b32 v2, 0 :: v_dual_add_nc_u32 v115, -1, v0
	v_add_nc_u32_e32 v117, 0, v5
	s_mov_b32 s1, 0
.LBB53_29:                              ; =>This Inner Loop Header: Depth=1
	scratch_load_b64 v[118:119], v117, off
	ds_load_b64 v[120:121], v116
	v_add_nc_u32_e32 v115, 1, v115
	v_add_nc_u32_e32 v116, 8, v116
	v_add_nc_u32_e32 v117, 8, v117
	s_delay_alu instid0(VALU_DEP_3)
	v_cmp_lt_u32_e32 vcc_lo, 3, v115
	s_or_b32 s1, vcc_lo, s1
	s_waitcnt vmcnt(0) lgkmcnt(0)
	v_fma_f64 v[1:2], v[118:119], v[120:121], v[1:2]
	s_and_not1_b32 exec_lo, exec_lo, s1
	s_cbranch_execnz .LBB53_29
; %bb.30:
	s_or_b32 exec_lo, exec_lo, s1
	v_mov_b32_e32 v115, 0
	ds_load_b64 v[115:116], v115 offset:40
	s_waitcnt lgkmcnt(0)
	v_mul_f64 v[1:2], v[1:2], v[115:116]
	scratch_store_b64 off, v[1:2], off offset:40
.LBB53_31:
	s_or_b32 exec_lo, exec_lo, s0
	s_waitcnt_vscnt null, 0x0
	s_barrier
	buffer_gl0_inv
	scratch_load_b64 v[1:2], off, off offset:48
	s_mov_b32 s0, exec_lo
	s_waitcnt vmcnt(0)
	ds_store_b64 v4, v[1:2]
	s_waitcnt lgkmcnt(0)
	s_barrier
	buffer_gl0_inv
	v_cmpx_gt_u32_e32 6, v0
	s_cbranch_execz .LBB53_35
; %bb.32:
	v_dual_mov_b32 v1, 0 :: v_dual_add_nc_u32 v116, 0x1b0, v5
	v_dual_mov_b32 v2, 0 :: v_dual_add_nc_u32 v115, -1, v0
	v_add_nc_u32_e32 v117, 0, v5
	s_mov_b32 s1, 0
.LBB53_33:                              ; =>This Inner Loop Header: Depth=1
	scratch_load_b64 v[118:119], v117, off
	ds_load_b64 v[120:121], v116
	v_add_nc_u32_e32 v115, 1, v115
	v_add_nc_u32_e32 v116, 8, v116
	v_add_nc_u32_e32 v117, 8, v117
	s_delay_alu instid0(VALU_DEP_3)
	v_cmp_lt_u32_e32 vcc_lo, 4, v115
	s_or_b32 s1, vcc_lo, s1
	s_waitcnt vmcnt(0) lgkmcnt(0)
	v_fma_f64 v[1:2], v[118:119], v[120:121], v[1:2]
	s_and_not1_b32 exec_lo, exec_lo, s1
	s_cbranch_execnz .LBB53_33
; %bb.34:
	s_or_b32 exec_lo, exec_lo, s1
	v_mov_b32_e32 v115, 0
	ds_load_b64 v[115:116], v115 offset:48
	s_waitcnt lgkmcnt(0)
	v_mul_f64 v[1:2], v[1:2], v[115:116]
	scratch_store_b64 off, v[1:2], off offset:48
.LBB53_35:
	s_or_b32 exec_lo, exec_lo, s0
	s_waitcnt_vscnt null, 0x0
	s_barrier
	buffer_gl0_inv
	scratch_load_b64 v[1:2], off, off offset:56
	s_mov_b32 s0, exec_lo
	s_waitcnt vmcnt(0)
	ds_store_b64 v4, v[1:2]
	s_waitcnt lgkmcnt(0)
	s_barrier
	buffer_gl0_inv
	v_cmpx_gt_u32_e32 7, v0
	s_cbranch_execz .LBB53_39
; %bb.36:
	v_dual_mov_b32 v1, 0 :: v_dual_add_nc_u32 v116, 0x1b0, v5
	v_dual_mov_b32 v2, 0 :: v_dual_add_nc_u32 v115, -1, v0
	v_add_nc_u32_e32 v117, 0, v5
	s_mov_b32 s1, 0
.LBB53_37:                              ; =>This Inner Loop Header: Depth=1
	scratch_load_b64 v[118:119], v117, off
	ds_load_b64 v[120:121], v116
	v_add_nc_u32_e32 v115, 1, v115
	v_add_nc_u32_e32 v116, 8, v116
	v_add_nc_u32_e32 v117, 8, v117
	s_delay_alu instid0(VALU_DEP_3)
	v_cmp_lt_u32_e32 vcc_lo, 5, v115
	s_or_b32 s1, vcc_lo, s1
	s_waitcnt vmcnt(0) lgkmcnt(0)
	v_fma_f64 v[1:2], v[118:119], v[120:121], v[1:2]
	s_and_not1_b32 exec_lo, exec_lo, s1
	s_cbranch_execnz .LBB53_37
; %bb.38:
	s_or_b32 exec_lo, exec_lo, s1
	v_mov_b32_e32 v115, 0
	ds_load_b64 v[115:116], v115 offset:56
	s_waitcnt lgkmcnt(0)
	v_mul_f64 v[1:2], v[1:2], v[115:116]
	scratch_store_b64 off, v[1:2], off offset:56
.LBB53_39:
	s_or_b32 exec_lo, exec_lo, s0
	s_waitcnt_vscnt null, 0x0
	s_barrier
	buffer_gl0_inv
	scratch_load_b64 v[1:2], off, off offset:64
	s_mov_b32 s0, exec_lo
	s_waitcnt vmcnt(0)
	ds_store_b64 v4, v[1:2]
	s_waitcnt lgkmcnt(0)
	s_barrier
	buffer_gl0_inv
	v_cmpx_gt_u32_e32 8, v0
	s_cbranch_execz .LBB53_43
; %bb.40:
	v_dual_mov_b32 v1, 0 :: v_dual_add_nc_u32 v116, 0x1b0, v5
	v_dual_mov_b32 v2, 0 :: v_dual_add_nc_u32 v115, -1, v0
	v_add_nc_u32_e32 v117, 0, v5
	s_mov_b32 s1, 0
.LBB53_41:                              ; =>This Inner Loop Header: Depth=1
	scratch_load_b64 v[118:119], v117, off
	ds_load_b64 v[120:121], v116
	v_add_nc_u32_e32 v115, 1, v115
	v_add_nc_u32_e32 v116, 8, v116
	v_add_nc_u32_e32 v117, 8, v117
	s_delay_alu instid0(VALU_DEP_3)
	v_cmp_lt_u32_e32 vcc_lo, 6, v115
	s_or_b32 s1, vcc_lo, s1
	s_waitcnt vmcnt(0) lgkmcnt(0)
	v_fma_f64 v[1:2], v[118:119], v[120:121], v[1:2]
	s_and_not1_b32 exec_lo, exec_lo, s1
	s_cbranch_execnz .LBB53_41
; %bb.42:
	s_or_b32 exec_lo, exec_lo, s1
	v_mov_b32_e32 v115, 0
	ds_load_b64 v[115:116], v115 offset:64
	s_waitcnt lgkmcnt(0)
	v_mul_f64 v[1:2], v[1:2], v[115:116]
	scratch_store_b64 off, v[1:2], off offset:64
.LBB53_43:
	s_or_b32 exec_lo, exec_lo, s0
	s_waitcnt_vscnt null, 0x0
	s_barrier
	buffer_gl0_inv
	scratch_load_b64 v[1:2], off, off offset:72
	s_mov_b32 s0, exec_lo
	s_waitcnt vmcnt(0)
	ds_store_b64 v4, v[1:2]
	s_waitcnt lgkmcnt(0)
	s_barrier
	buffer_gl0_inv
	v_cmpx_gt_u32_e32 9, v0
	s_cbranch_execz .LBB53_47
; %bb.44:
	v_dual_mov_b32 v1, 0 :: v_dual_add_nc_u32 v116, 0x1b0, v5
	v_dual_mov_b32 v2, 0 :: v_dual_add_nc_u32 v115, -1, v0
	v_add_nc_u32_e32 v117, 0, v5
	s_mov_b32 s1, 0
.LBB53_45:                              ; =>This Inner Loop Header: Depth=1
	scratch_load_b64 v[118:119], v117, off
	ds_load_b64 v[120:121], v116
	v_add_nc_u32_e32 v115, 1, v115
	v_add_nc_u32_e32 v116, 8, v116
	v_add_nc_u32_e32 v117, 8, v117
	s_delay_alu instid0(VALU_DEP_3)
	v_cmp_lt_u32_e32 vcc_lo, 7, v115
	s_or_b32 s1, vcc_lo, s1
	s_waitcnt vmcnt(0) lgkmcnt(0)
	v_fma_f64 v[1:2], v[118:119], v[120:121], v[1:2]
	s_and_not1_b32 exec_lo, exec_lo, s1
	s_cbranch_execnz .LBB53_45
; %bb.46:
	s_or_b32 exec_lo, exec_lo, s1
	v_mov_b32_e32 v115, 0
	ds_load_b64 v[115:116], v115 offset:72
	s_waitcnt lgkmcnt(0)
	v_mul_f64 v[1:2], v[1:2], v[115:116]
	scratch_store_b64 off, v[1:2], off offset:72
.LBB53_47:
	s_or_b32 exec_lo, exec_lo, s0
	s_waitcnt_vscnt null, 0x0
	s_barrier
	buffer_gl0_inv
	scratch_load_b64 v[1:2], off, off offset:80
	s_mov_b32 s0, exec_lo
	s_waitcnt vmcnt(0)
	ds_store_b64 v4, v[1:2]
	s_waitcnt lgkmcnt(0)
	s_barrier
	buffer_gl0_inv
	v_cmpx_gt_u32_e32 10, v0
	s_cbranch_execz .LBB53_51
; %bb.48:
	v_dual_mov_b32 v1, 0 :: v_dual_add_nc_u32 v116, 0x1b0, v5
	v_dual_mov_b32 v2, 0 :: v_dual_add_nc_u32 v115, -1, v0
	v_add_nc_u32_e32 v117, 0, v5
	s_mov_b32 s1, 0
.LBB53_49:                              ; =>This Inner Loop Header: Depth=1
	scratch_load_b64 v[118:119], v117, off
	ds_load_b64 v[120:121], v116
	v_add_nc_u32_e32 v115, 1, v115
	v_add_nc_u32_e32 v116, 8, v116
	v_add_nc_u32_e32 v117, 8, v117
	s_delay_alu instid0(VALU_DEP_3)
	v_cmp_lt_u32_e32 vcc_lo, 8, v115
	s_or_b32 s1, vcc_lo, s1
	s_waitcnt vmcnt(0) lgkmcnt(0)
	v_fma_f64 v[1:2], v[118:119], v[120:121], v[1:2]
	s_and_not1_b32 exec_lo, exec_lo, s1
	s_cbranch_execnz .LBB53_49
; %bb.50:
	s_or_b32 exec_lo, exec_lo, s1
	v_mov_b32_e32 v115, 0
	ds_load_b64 v[115:116], v115 offset:80
	s_waitcnt lgkmcnt(0)
	v_mul_f64 v[1:2], v[1:2], v[115:116]
	scratch_store_b64 off, v[1:2], off offset:80
.LBB53_51:
	s_or_b32 exec_lo, exec_lo, s0
	s_waitcnt_vscnt null, 0x0
	s_barrier
	buffer_gl0_inv
	scratch_load_b64 v[1:2], off, off offset:88
	s_mov_b32 s0, exec_lo
	s_waitcnt vmcnt(0)
	ds_store_b64 v4, v[1:2]
	s_waitcnt lgkmcnt(0)
	s_barrier
	buffer_gl0_inv
	v_cmpx_gt_u32_e32 11, v0
	s_cbranch_execz .LBB53_55
; %bb.52:
	v_dual_mov_b32 v1, 0 :: v_dual_add_nc_u32 v116, 0x1b0, v5
	v_dual_mov_b32 v2, 0 :: v_dual_add_nc_u32 v115, -1, v0
	v_add_nc_u32_e32 v117, 0, v5
	s_mov_b32 s1, 0
.LBB53_53:                              ; =>This Inner Loop Header: Depth=1
	scratch_load_b64 v[118:119], v117, off
	ds_load_b64 v[120:121], v116
	v_add_nc_u32_e32 v115, 1, v115
	v_add_nc_u32_e32 v116, 8, v116
	v_add_nc_u32_e32 v117, 8, v117
	s_delay_alu instid0(VALU_DEP_3)
	v_cmp_lt_u32_e32 vcc_lo, 9, v115
	s_or_b32 s1, vcc_lo, s1
	s_waitcnt vmcnt(0) lgkmcnt(0)
	v_fma_f64 v[1:2], v[118:119], v[120:121], v[1:2]
	s_and_not1_b32 exec_lo, exec_lo, s1
	s_cbranch_execnz .LBB53_53
; %bb.54:
	s_or_b32 exec_lo, exec_lo, s1
	v_mov_b32_e32 v115, 0
	ds_load_b64 v[115:116], v115 offset:88
	s_waitcnt lgkmcnt(0)
	v_mul_f64 v[1:2], v[1:2], v[115:116]
	scratch_store_b64 off, v[1:2], off offset:88
.LBB53_55:
	s_or_b32 exec_lo, exec_lo, s0
	s_waitcnt_vscnt null, 0x0
	s_barrier
	buffer_gl0_inv
	scratch_load_b64 v[1:2], off, off offset:96
	s_mov_b32 s0, exec_lo
	s_waitcnt vmcnt(0)
	ds_store_b64 v4, v[1:2]
	s_waitcnt lgkmcnt(0)
	s_barrier
	buffer_gl0_inv
	v_cmpx_gt_u32_e32 12, v0
	s_cbranch_execz .LBB53_59
; %bb.56:
	v_dual_mov_b32 v1, 0 :: v_dual_add_nc_u32 v116, 0x1b0, v5
	v_dual_mov_b32 v2, 0 :: v_dual_add_nc_u32 v115, -1, v0
	v_add_nc_u32_e32 v117, 0, v5
	s_mov_b32 s1, 0
.LBB53_57:                              ; =>This Inner Loop Header: Depth=1
	scratch_load_b64 v[118:119], v117, off
	ds_load_b64 v[120:121], v116
	v_add_nc_u32_e32 v115, 1, v115
	v_add_nc_u32_e32 v116, 8, v116
	v_add_nc_u32_e32 v117, 8, v117
	s_delay_alu instid0(VALU_DEP_3)
	v_cmp_lt_u32_e32 vcc_lo, 10, v115
	s_or_b32 s1, vcc_lo, s1
	s_waitcnt vmcnt(0) lgkmcnt(0)
	v_fma_f64 v[1:2], v[118:119], v[120:121], v[1:2]
	s_and_not1_b32 exec_lo, exec_lo, s1
	s_cbranch_execnz .LBB53_57
; %bb.58:
	s_or_b32 exec_lo, exec_lo, s1
	v_mov_b32_e32 v115, 0
	ds_load_b64 v[115:116], v115 offset:96
	s_waitcnt lgkmcnt(0)
	v_mul_f64 v[1:2], v[1:2], v[115:116]
	scratch_store_b64 off, v[1:2], off offset:96
.LBB53_59:
	s_or_b32 exec_lo, exec_lo, s0
	s_waitcnt_vscnt null, 0x0
	s_barrier
	buffer_gl0_inv
	scratch_load_b64 v[1:2], off, off offset:104
	s_mov_b32 s0, exec_lo
	s_waitcnt vmcnt(0)
	ds_store_b64 v4, v[1:2]
	s_waitcnt lgkmcnt(0)
	s_barrier
	buffer_gl0_inv
	v_cmpx_gt_u32_e32 13, v0
	s_cbranch_execz .LBB53_63
; %bb.60:
	v_dual_mov_b32 v1, 0 :: v_dual_add_nc_u32 v116, 0x1b0, v5
	v_dual_mov_b32 v2, 0 :: v_dual_add_nc_u32 v115, -1, v0
	v_add_nc_u32_e32 v117, 0, v5
	s_mov_b32 s1, 0
.LBB53_61:                              ; =>This Inner Loop Header: Depth=1
	scratch_load_b64 v[118:119], v117, off
	ds_load_b64 v[120:121], v116
	v_add_nc_u32_e32 v115, 1, v115
	v_add_nc_u32_e32 v116, 8, v116
	v_add_nc_u32_e32 v117, 8, v117
	s_delay_alu instid0(VALU_DEP_3)
	v_cmp_lt_u32_e32 vcc_lo, 11, v115
	s_or_b32 s1, vcc_lo, s1
	s_waitcnt vmcnt(0) lgkmcnt(0)
	v_fma_f64 v[1:2], v[118:119], v[120:121], v[1:2]
	s_and_not1_b32 exec_lo, exec_lo, s1
	s_cbranch_execnz .LBB53_61
; %bb.62:
	s_or_b32 exec_lo, exec_lo, s1
	v_mov_b32_e32 v115, 0
	ds_load_b64 v[115:116], v115 offset:104
	s_waitcnt lgkmcnt(0)
	v_mul_f64 v[1:2], v[1:2], v[115:116]
	scratch_store_b64 off, v[1:2], off offset:104
.LBB53_63:
	s_or_b32 exec_lo, exec_lo, s0
	s_waitcnt_vscnt null, 0x0
	s_barrier
	buffer_gl0_inv
	scratch_load_b64 v[1:2], off, off offset:112
	s_mov_b32 s0, exec_lo
	s_waitcnt vmcnt(0)
	ds_store_b64 v4, v[1:2]
	s_waitcnt lgkmcnt(0)
	s_barrier
	buffer_gl0_inv
	v_cmpx_gt_u32_e32 14, v0
	s_cbranch_execz .LBB53_67
; %bb.64:
	v_dual_mov_b32 v1, 0 :: v_dual_add_nc_u32 v116, 0x1b0, v5
	v_dual_mov_b32 v2, 0 :: v_dual_add_nc_u32 v115, -1, v0
	v_add_nc_u32_e32 v117, 0, v5
	s_mov_b32 s1, 0
.LBB53_65:                              ; =>This Inner Loop Header: Depth=1
	scratch_load_b64 v[118:119], v117, off
	ds_load_b64 v[120:121], v116
	v_add_nc_u32_e32 v115, 1, v115
	v_add_nc_u32_e32 v116, 8, v116
	v_add_nc_u32_e32 v117, 8, v117
	s_delay_alu instid0(VALU_DEP_3)
	v_cmp_lt_u32_e32 vcc_lo, 12, v115
	s_or_b32 s1, vcc_lo, s1
	s_waitcnt vmcnt(0) lgkmcnt(0)
	v_fma_f64 v[1:2], v[118:119], v[120:121], v[1:2]
	s_and_not1_b32 exec_lo, exec_lo, s1
	s_cbranch_execnz .LBB53_65
; %bb.66:
	s_or_b32 exec_lo, exec_lo, s1
	v_mov_b32_e32 v115, 0
	ds_load_b64 v[115:116], v115 offset:112
	s_waitcnt lgkmcnt(0)
	v_mul_f64 v[1:2], v[1:2], v[115:116]
	scratch_store_b64 off, v[1:2], off offset:112
.LBB53_67:
	s_or_b32 exec_lo, exec_lo, s0
	s_waitcnt_vscnt null, 0x0
	s_barrier
	buffer_gl0_inv
	scratch_load_b64 v[1:2], off, off offset:120
	s_mov_b32 s0, exec_lo
	s_waitcnt vmcnt(0)
	ds_store_b64 v4, v[1:2]
	s_waitcnt lgkmcnt(0)
	s_barrier
	buffer_gl0_inv
	v_cmpx_gt_u32_e32 15, v0
	s_cbranch_execz .LBB53_71
; %bb.68:
	v_dual_mov_b32 v1, 0 :: v_dual_add_nc_u32 v116, 0x1b0, v5
	v_dual_mov_b32 v2, 0 :: v_dual_add_nc_u32 v115, -1, v0
	v_add_nc_u32_e32 v117, 0, v5
	s_mov_b32 s1, 0
.LBB53_69:                              ; =>This Inner Loop Header: Depth=1
	scratch_load_b64 v[118:119], v117, off
	ds_load_b64 v[120:121], v116
	v_add_nc_u32_e32 v115, 1, v115
	v_add_nc_u32_e32 v116, 8, v116
	v_add_nc_u32_e32 v117, 8, v117
	s_delay_alu instid0(VALU_DEP_3)
	v_cmp_lt_u32_e32 vcc_lo, 13, v115
	s_or_b32 s1, vcc_lo, s1
	s_waitcnt vmcnt(0) lgkmcnt(0)
	v_fma_f64 v[1:2], v[118:119], v[120:121], v[1:2]
	s_and_not1_b32 exec_lo, exec_lo, s1
	s_cbranch_execnz .LBB53_69
; %bb.70:
	s_or_b32 exec_lo, exec_lo, s1
	v_mov_b32_e32 v115, 0
	ds_load_b64 v[115:116], v115 offset:120
	s_waitcnt lgkmcnt(0)
	v_mul_f64 v[1:2], v[1:2], v[115:116]
	scratch_store_b64 off, v[1:2], off offset:120
.LBB53_71:
	s_or_b32 exec_lo, exec_lo, s0
	s_waitcnt_vscnt null, 0x0
	s_barrier
	buffer_gl0_inv
	scratch_load_b64 v[1:2], off, off offset:128
	s_mov_b32 s0, exec_lo
	s_waitcnt vmcnt(0)
	ds_store_b64 v4, v[1:2]
	s_waitcnt lgkmcnt(0)
	s_barrier
	buffer_gl0_inv
	v_cmpx_gt_u32_e32 16, v0
	s_cbranch_execz .LBB53_75
; %bb.72:
	v_dual_mov_b32 v1, 0 :: v_dual_add_nc_u32 v116, 0x1b0, v5
	v_dual_mov_b32 v2, 0 :: v_dual_add_nc_u32 v115, -1, v0
	v_add_nc_u32_e32 v117, 0, v5
	s_mov_b32 s1, 0
.LBB53_73:                              ; =>This Inner Loop Header: Depth=1
	scratch_load_b64 v[118:119], v117, off
	ds_load_b64 v[120:121], v116
	v_add_nc_u32_e32 v115, 1, v115
	v_add_nc_u32_e32 v116, 8, v116
	v_add_nc_u32_e32 v117, 8, v117
	s_delay_alu instid0(VALU_DEP_3)
	v_cmp_lt_u32_e32 vcc_lo, 14, v115
	s_or_b32 s1, vcc_lo, s1
	s_waitcnt vmcnt(0) lgkmcnt(0)
	v_fma_f64 v[1:2], v[118:119], v[120:121], v[1:2]
	s_and_not1_b32 exec_lo, exec_lo, s1
	s_cbranch_execnz .LBB53_73
; %bb.74:
	s_or_b32 exec_lo, exec_lo, s1
	v_mov_b32_e32 v115, 0
	ds_load_b64 v[115:116], v115 offset:128
	s_waitcnt lgkmcnt(0)
	v_mul_f64 v[1:2], v[1:2], v[115:116]
	scratch_store_b64 off, v[1:2], off offset:128
.LBB53_75:
	s_or_b32 exec_lo, exec_lo, s0
	s_waitcnt_vscnt null, 0x0
	s_barrier
	buffer_gl0_inv
	scratch_load_b64 v[1:2], off, off offset:136
	s_mov_b32 s0, exec_lo
	s_waitcnt vmcnt(0)
	ds_store_b64 v4, v[1:2]
	s_waitcnt lgkmcnt(0)
	s_barrier
	buffer_gl0_inv
	v_cmpx_gt_u32_e32 17, v0
	s_cbranch_execz .LBB53_79
; %bb.76:
	v_dual_mov_b32 v1, 0 :: v_dual_add_nc_u32 v116, 0x1b0, v5
	v_dual_mov_b32 v2, 0 :: v_dual_add_nc_u32 v115, -1, v0
	v_add_nc_u32_e32 v117, 0, v5
	s_mov_b32 s1, 0
.LBB53_77:                              ; =>This Inner Loop Header: Depth=1
	scratch_load_b64 v[118:119], v117, off
	ds_load_b64 v[120:121], v116
	v_add_nc_u32_e32 v115, 1, v115
	v_add_nc_u32_e32 v116, 8, v116
	v_add_nc_u32_e32 v117, 8, v117
	s_delay_alu instid0(VALU_DEP_3)
	v_cmp_lt_u32_e32 vcc_lo, 15, v115
	s_or_b32 s1, vcc_lo, s1
	s_waitcnt vmcnt(0) lgkmcnt(0)
	v_fma_f64 v[1:2], v[118:119], v[120:121], v[1:2]
	s_and_not1_b32 exec_lo, exec_lo, s1
	s_cbranch_execnz .LBB53_77
; %bb.78:
	s_or_b32 exec_lo, exec_lo, s1
	v_mov_b32_e32 v115, 0
	ds_load_b64 v[115:116], v115 offset:136
	s_waitcnt lgkmcnt(0)
	v_mul_f64 v[1:2], v[1:2], v[115:116]
	scratch_store_b64 off, v[1:2], off offset:136
.LBB53_79:
	s_or_b32 exec_lo, exec_lo, s0
	s_waitcnt_vscnt null, 0x0
	s_barrier
	buffer_gl0_inv
	scratch_load_b64 v[1:2], off, off offset:144
	s_mov_b32 s0, exec_lo
	s_waitcnt vmcnt(0)
	ds_store_b64 v4, v[1:2]
	s_waitcnt lgkmcnt(0)
	s_barrier
	buffer_gl0_inv
	v_cmpx_gt_u32_e32 18, v0
	s_cbranch_execz .LBB53_83
; %bb.80:
	v_dual_mov_b32 v1, 0 :: v_dual_add_nc_u32 v116, 0x1b0, v5
	v_dual_mov_b32 v2, 0 :: v_dual_add_nc_u32 v115, -1, v0
	v_add_nc_u32_e32 v117, 0, v5
	s_mov_b32 s1, 0
.LBB53_81:                              ; =>This Inner Loop Header: Depth=1
	scratch_load_b64 v[118:119], v117, off
	ds_load_b64 v[120:121], v116
	v_add_nc_u32_e32 v115, 1, v115
	v_add_nc_u32_e32 v116, 8, v116
	v_add_nc_u32_e32 v117, 8, v117
	s_delay_alu instid0(VALU_DEP_3)
	v_cmp_lt_u32_e32 vcc_lo, 16, v115
	s_or_b32 s1, vcc_lo, s1
	s_waitcnt vmcnt(0) lgkmcnt(0)
	v_fma_f64 v[1:2], v[118:119], v[120:121], v[1:2]
	s_and_not1_b32 exec_lo, exec_lo, s1
	s_cbranch_execnz .LBB53_81
; %bb.82:
	s_or_b32 exec_lo, exec_lo, s1
	v_mov_b32_e32 v115, 0
	ds_load_b64 v[115:116], v115 offset:144
	s_waitcnt lgkmcnt(0)
	v_mul_f64 v[1:2], v[1:2], v[115:116]
	scratch_store_b64 off, v[1:2], off offset:144
.LBB53_83:
	s_or_b32 exec_lo, exec_lo, s0
	s_waitcnt_vscnt null, 0x0
	s_barrier
	buffer_gl0_inv
	scratch_load_b64 v[1:2], off, off offset:152
	s_mov_b32 s0, exec_lo
	s_waitcnt vmcnt(0)
	ds_store_b64 v4, v[1:2]
	s_waitcnt lgkmcnt(0)
	s_barrier
	buffer_gl0_inv
	v_cmpx_gt_u32_e32 19, v0
	s_cbranch_execz .LBB53_87
; %bb.84:
	v_dual_mov_b32 v1, 0 :: v_dual_add_nc_u32 v116, 0x1b0, v5
	v_dual_mov_b32 v2, 0 :: v_dual_add_nc_u32 v115, -1, v0
	v_add_nc_u32_e32 v117, 0, v5
	s_mov_b32 s1, 0
.LBB53_85:                              ; =>This Inner Loop Header: Depth=1
	scratch_load_b64 v[118:119], v117, off
	ds_load_b64 v[120:121], v116
	v_add_nc_u32_e32 v115, 1, v115
	v_add_nc_u32_e32 v116, 8, v116
	v_add_nc_u32_e32 v117, 8, v117
	s_delay_alu instid0(VALU_DEP_3)
	v_cmp_lt_u32_e32 vcc_lo, 17, v115
	s_or_b32 s1, vcc_lo, s1
	s_waitcnt vmcnt(0) lgkmcnt(0)
	v_fma_f64 v[1:2], v[118:119], v[120:121], v[1:2]
	s_and_not1_b32 exec_lo, exec_lo, s1
	s_cbranch_execnz .LBB53_85
; %bb.86:
	s_or_b32 exec_lo, exec_lo, s1
	v_mov_b32_e32 v115, 0
	ds_load_b64 v[115:116], v115 offset:152
	s_waitcnt lgkmcnt(0)
	v_mul_f64 v[1:2], v[1:2], v[115:116]
	scratch_store_b64 off, v[1:2], off offset:152
.LBB53_87:
	s_or_b32 exec_lo, exec_lo, s0
	s_waitcnt_vscnt null, 0x0
	s_barrier
	buffer_gl0_inv
	scratch_load_b64 v[1:2], off, off offset:160
	s_mov_b32 s0, exec_lo
	s_waitcnt vmcnt(0)
	ds_store_b64 v4, v[1:2]
	s_waitcnt lgkmcnt(0)
	s_barrier
	buffer_gl0_inv
	v_cmpx_gt_u32_e32 20, v0
	s_cbranch_execz .LBB53_91
; %bb.88:
	v_dual_mov_b32 v1, 0 :: v_dual_add_nc_u32 v116, 0x1b0, v5
	v_dual_mov_b32 v2, 0 :: v_dual_add_nc_u32 v115, -1, v0
	v_add_nc_u32_e32 v117, 0, v5
	s_mov_b32 s1, 0
.LBB53_89:                              ; =>This Inner Loop Header: Depth=1
	scratch_load_b64 v[118:119], v117, off
	ds_load_b64 v[120:121], v116
	v_add_nc_u32_e32 v115, 1, v115
	v_add_nc_u32_e32 v116, 8, v116
	v_add_nc_u32_e32 v117, 8, v117
	s_delay_alu instid0(VALU_DEP_3)
	v_cmp_lt_u32_e32 vcc_lo, 18, v115
	s_or_b32 s1, vcc_lo, s1
	s_waitcnt vmcnt(0) lgkmcnt(0)
	v_fma_f64 v[1:2], v[118:119], v[120:121], v[1:2]
	s_and_not1_b32 exec_lo, exec_lo, s1
	s_cbranch_execnz .LBB53_89
; %bb.90:
	s_or_b32 exec_lo, exec_lo, s1
	v_mov_b32_e32 v115, 0
	ds_load_b64 v[115:116], v115 offset:160
	s_waitcnt lgkmcnt(0)
	v_mul_f64 v[1:2], v[1:2], v[115:116]
	scratch_store_b64 off, v[1:2], off offset:160
.LBB53_91:
	s_or_b32 exec_lo, exec_lo, s0
	s_waitcnt_vscnt null, 0x0
	s_barrier
	buffer_gl0_inv
	scratch_load_b64 v[1:2], off, off offset:168
	s_mov_b32 s0, exec_lo
	s_waitcnt vmcnt(0)
	ds_store_b64 v4, v[1:2]
	s_waitcnt lgkmcnt(0)
	s_barrier
	buffer_gl0_inv
	v_cmpx_gt_u32_e32 21, v0
	s_cbranch_execz .LBB53_95
; %bb.92:
	v_dual_mov_b32 v1, 0 :: v_dual_add_nc_u32 v116, 0x1b0, v5
	v_dual_mov_b32 v2, 0 :: v_dual_add_nc_u32 v115, -1, v0
	v_add_nc_u32_e32 v117, 0, v5
	s_mov_b32 s1, 0
.LBB53_93:                              ; =>This Inner Loop Header: Depth=1
	scratch_load_b64 v[118:119], v117, off
	ds_load_b64 v[120:121], v116
	v_add_nc_u32_e32 v115, 1, v115
	v_add_nc_u32_e32 v116, 8, v116
	v_add_nc_u32_e32 v117, 8, v117
	s_delay_alu instid0(VALU_DEP_3)
	v_cmp_lt_u32_e32 vcc_lo, 19, v115
	s_or_b32 s1, vcc_lo, s1
	s_waitcnt vmcnt(0) lgkmcnt(0)
	v_fma_f64 v[1:2], v[118:119], v[120:121], v[1:2]
	s_and_not1_b32 exec_lo, exec_lo, s1
	s_cbranch_execnz .LBB53_93
; %bb.94:
	s_or_b32 exec_lo, exec_lo, s1
	v_mov_b32_e32 v115, 0
	ds_load_b64 v[115:116], v115 offset:168
	s_waitcnt lgkmcnt(0)
	v_mul_f64 v[1:2], v[1:2], v[115:116]
	scratch_store_b64 off, v[1:2], off offset:168
.LBB53_95:
	s_or_b32 exec_lo, exec_lo, s0
	s_waitcnt_vscnt null, 0x0
	s_barrier
	buffer_gl0_inv
	scratch_load_b64 v[1:2], off, off offset:176
	s_mov_b32 s0, exec_lo
	s_waitcnt vmcnt(0)
	ds_store_b64 v4, v[1:2]
	s_waitcnt lgkmcnt(0)
	s_barrier
	buffer_gl0_inv
	v_cmpx_gt_u32_e32 22, v0
	s_cbranch_execz .LBB53_99
; %bb.96:
	v_dual_mov_b32 v1, 0 :: v_dual_add_nc_u32 v116, 0x1b0, v5
	v_dual_mov_b32 v2, 0 :: v_dual_add_nc_u32 v115, -1, v0
	v_add_nc_u32_e32 v117, 0, v5
	s_mov_b32 s1, 0
.LBB53_97:                              ; =>This Inner Loop Header: Depth=1
	scratch_load_b64 v[118:119], v117, off
	ds_load_b64 v[120:121], v116
	v_add_nc_u32_e32 v115, 1, v115
	v_add_nc_u32_e32 v116, 8, v116
	v_add_nc_u32_e32 v117, 8, v117
	s_delay_alu instid0(VALU_DEP_3)
	v_cmp_lt_u32_e32 vcc_lo, 20, v115
	s_or_b32 s1, vcc_lo, s1
	s_waitcnt vmcnt(0) lgkmcnt(0)
	v_fma_f64 v[1:2], v[118:119], v[120:121], v[1:2]
	s_and_not1_b32 exec_lo, exec_lo, s1
	s_cbranch_execnz .LBB53_97
; %bb.98:
	s_or_b32 exec_lo, exec_lo, s1
	v_mov_b32_e32 v115, 0
	ds_load_b64 v[115:116], v115 offset:176
	s_waitcnt lgkmcnt(0)
	v_mul_f64 v[1:2], v[1:2], v[115:116]
	scratch_store_b64 off, v[1:2], off offset:176
.LBB53_99:
	s_or_b32 exec_lo, exec_lo, s0
	s_waitcnt_vscnt null, 0x0
	s_barrier
	buffer_gl0_inv
	scratch_load_b64 v[1:2], off, off offset:184
	s_mov_b32 s0, exec_lo
	s_waitcnt vmcnt(0)
	ds_store_b64 v4, v[1:2]
	s_waitcnt lgkmcnt(0)
	s_barrier
	buffer_gl0_inv
	v_cmpx_gt_u32_e32 23, v0
	s_cbranch_execz .LBB53_103
; %bb.100:
	v_dual_mov_b32 v1, 0 :: v_dual_add_nc_u32 v116, 0x1b0, v5
	v_dual_mov_b32 v2, 0 :: v_dual_add_nc_u32 v115, -1, v0
	v_add_nc_u32_e32 v117, 0, v5
	s_mov_b32 s1, 0
.LBB53_101:                             ; =>This Inner Loop Header: Depth=1
	scratch_load_b64 v[118:119], v117, off
	ds_load_b64 v[120:121], v116
	v_add_nc_u32_e32 v115, 1, v115
	v_add_nc_u32_e32 v116, 8, v116
	v_add_nc_u32_e32 v117, 8, v117
	s_delay_alu instid0(VALU_DEP_3)
	v_cmp_lt_u32_e32 vcc_lo, 21, v115
	s_or_b32 s1, vcc_lo, s1
	s_waitcnt vmcnt(0) lgkmcnt(0)
	v_fma_f64 v[1:2], v[118:119], v[120:121], v[1:2]
	s_and_not1_b32 exec_lo, exec_lo, s1
	s_cbranch_execnz .LBB53_101
; %bb.102:
	s_or_b32 exec_lo, exec_lo, s1
	v_mov_b32_e32 v115, 0
	ds_load_b64 v[115:116], v115 offset:184
	s_waitcnt lgkmcnt(0)
	v_mul_f64 v[1:2], v[1:2], v[115:116]
	scratch_store_b64 off, v[1:2], off offset:184
.LBB53_103:
	s_or_b32 exec_lo, exec_lo, s0
	s_waitcnt_vscnt null, 0x0
	s_barrier
	buffer_gl0_inv
	scratch_load_b64 v[1:2], off, off offset:192
	s_mov_b32 s0, exec_lo
	s_waitcnt vmcnt(0)
	ds_store_b64 v4, v[1:2]
	s_waitcnt lgkmcnt(0)
	s_barrier
	buffer_gl0_inv
	v_cmpx_gt_u32_e32 24, v0
	s_cbranch_execz .LBB53_107
; %bb.104:
	v_dual_mov_b32 v1, 0 :: v_dual_add_nc_u32 v116, 0x1b0, v5
	v_dual_mov_b32 v2, 0 :: v_dual_add_nc_u32 v115, -1, v0
	v_add_nc_u32_e32 v117, 0, v5
	s_mov_b32 s1, 0
.LBB53_105:                             ; =>This Inner Loop Header: Depth=1
	scratch_load_b64 v[118:119], v117, off
	ds_load_b64 v[120:121], v116
	v_add_nc_u32_e32 v115, 1, v115
	v_add_nc_u32_e32 v116, 8, v116
	v_add_nc_u32_e32 v117, 8, v117
	s_delay_alu instid0(VALU_DEP_3)
	v_cmp_lt_u32_e32 vcc_lo, 22, v115
	s_or_b32 s1, vcc_lo, s1
	s_waitcnt vmcnt(0) lgkmcnt(0)
	v_fma_f64 v[1:2], v[118:119], v[120:121], v[1:2]
	s_and_not1_b32 exec_lo, exec_lo, s1
	s_cbranch_execnz .LBB53_105
; %bb.106:
	s_or_b32 exec_lo, exec_lo, s1
	v_mov_b32_e32 v115, 0
	ds_load_b64 v[115:116], v115 offset:192
	s_waitcnt lgkmcnt(0)
	v_mul_f64 v[1:2], v[1:2], v[115:116]
	scratch_store_b64 off, v[1:2], off offset:192
.LBB53_107:
	s_or_b32 exec_lo, exec_lo, s0
	s_waitcnt_vscnt null, 0x0
	s_barrier
	buffer_gl0_inv
	scratch_load_b64 v[1:2], off, off offset:200
	;; [unrolled: 39-line block ×30, first 2 shown]
	s_mov_b32 s0, exec_lo
	s_waitcnt vmcnt(0)
	ds_store_b64 v4, v[1:2]
	s_waitcnt lgkmcnt(0)
	s_barrier
	buffer_gl0_inv
	v_cmpx_ne_u32_e32 53, v0
	s_cbranch_execz .LBB53_223
; %bb.220:
	v_mov_b32_e32 v1, 0
	v_mov_b32_e32 v2, 0
	s_mov_b32 s1, 0
.LBB53_221:                             ; =>This Inner Loop Header: Depth=1
	scratch_load_b64 v[115:116], v3, off
	ds_load_b64 v[117:118], v4
	v_add_nc_u32_e32 v114, 1, v114
	v_add_nc_u32_e32 v4, 8, v4
	v_add_nc_u32_e32 v3, 8, v3
	s_delay_alu instid0(VALU_DEP_3)
	v_cmp_lt_u32_e32 vcc_lo, 51, v114
	s_or_b32 s1, vcc_lo, s1
	s_waitcnt vmcnt(0) lgkmcnt(0)
	v_fma_f64 v[1:2], v[115:116], v[117:118], v[1:2]
	s_and_not1_b32 exec_lo, exec_lo, s1
	s_cbranch_execnz .LBB53_221
; %bb.222:
	s_or_b32 exec_lo, exec_lo, s1
	v_mov_b32_e32 v3, 0
	ds_load_b64 v[3:4], v3 offset:424
	s_waitcnt lgkmcnt(0)
	v_mul_f64 v[1:2], v[1:2], v[3:4]
	scratch_store_b64 off, v[1:2], off offset:424
.LBB53_223:
	s_or_b32 exec_lo, exec_lo, s0
	s_mov_b32 s1, -1
	s_waitcnt_vscnt null, 0x0
	s_barrier
	buffer_gl0_inv
.LBB53_224:
	s_and_b32 vcc_lo, exec_lo, s1
	s_cbranch_vccz .LBB53_226
; %bb.225:
	s_lshl_b64 s[0:1], s[14:15], 2
	v_mov_b32_e32 v1, 0
	s_add_u32 s0, s6, s0
	s_addc_u32 s1, s7, s1
	global_load_b32 v1, v1, s[0:1]
	s_waitcnt vmcnt(0)
	v_cmp_ne_u32_e32 vcc_lo, 0, v1
	s_cbranch_vccz .LBB53_227
.LBB53_226:
	s_endpgm
.LBB53_227:
	v_lshl_add_u32 v5, v0, 3, 0x1b0
	s_mov_b32 s0, exec_lo
	v_cmpx_eq_u32_e32 53, v0
	s_cbranch_execz .LBB53_229
; %bb.228:
	scratch_load_b64 v[1:2], off, off offset:416
	v_mov_b32_e32 v3, 0
	s_delay_alu instid0(VALU_DEP_1)
	v_mov_b32_e32 v4, v3
	scratch_store_b64 off, v[3:4], off offset:416
	s_waitcnt vmcnt(0)
	ds_store_b64 v5, v[1:2]
.LBB53_229:
	s_or_b32 exec_lo, exec_lo, s0
	s_waitcnt lgkmcnt(0)
	s_waitcnt_vscnt null, 0x0
	s_barrier
	buffer_gl0_inv
	scratch_load_b128 v[114:117], off, off offset:416
	v_mov_b32_e32 v1, 0
	s_mov_b32 s0, exec_lo
	ds_load_b64 v[2:3], v1 offset:856
	s_waitcnt vmcnt(0) lgkmcnt(0)
	v_fma_f64 v[2:3], v[116:117], v[2:3], 0
	s_delay_alu instid0(VALU_DEP_1)
	v_add_f64 v[2:3], v[114:115], -v[2:3]
	scratch_store_b64 off, v[2:3], off offset:416
	v_cmpx_lt_u32_e32 51, v0
	s_cbranch_execz .LBB53_231
; %bb.230:
	scratch_load_b64 v[3:4], off, off offset:408
	v_mov_b32_e32 v2, v1
	scratch_store_b64 off, v[1:2], off offset:408
	s_waitcnt vmcnt(0)
	ds_store_b64 v5, v[3:4]
.LBB53_231:
	s_or_b32 exec_lo, exec_lo, s0
	s_waitcnt lgkmcnt(0)
	s_waitcnt_vscnt null, 0x0
	s_barrier
	buffer_gl0_inv
	s_clause 0x1
	scratch_load_b128 v[114:117], off, off offset:408
	scratch_load_b64 v[118:119], off, off offset:424
	ds_load_b128 v[1:4], v1 offset:848
	s_mov_b32 s0, exec_lo
	s_waitcnt vmcnt(1) lgkmcnt(0)
	v_fma_f64 v[1:2], v[116:117], v[1:2], 0
	s_waitcnt vmcnt(0)
	s_delay_alu instid0(VALU_DEP_1) | instskip(NEXT) | instid1(VALU_DEP_1)
	v_fma_f64 v[1:2], v[118:119], v[3:4], v[1:2]
	v_add_f64 v[1:2], v[114:115], -v[1:2]
	scratch_store_b64 off, v[1:2], off offset:408
	v_cmpx_lt_u32_e32 50, v0
	s_cbranch_execz .LBB53_233
; %bb.232:
	scratch_load_b64 v[1:2], off, off offset:400
	v_mov_b32_e32 v3, 0
	s_delay_alu instid0(VALU_DEP_1)
	v_mov_b32_e32 v4, v3
	scratch_store_b64 off, v[3:4], off offset:400
	s_waitcnt vmcnt(0)
	ds_store_b64 v5, v[1:2]
.LBB53_233:
	s_or_b32 exec_lo, exec_lo, s0
	s_waitcnt lgkmcnt(0)
	s_waitcnt_vscnt null, 0x0
	s_barrier
	buffer_gl0_inv
	s_clause 0x1
	scratch_load_b128 v[114:117], off, off offset:400
	scratch_load_b128 v[118:121], off, off offset:416
	v_mov_b32_e32 v1, 0
	ds_load_2addr_b64 v[122:125], v1 offset0:105 offset1:106
	ds_load_b64 v[2:3], v1 offset:856
	s_mov_b32 s0, exec_lo
	s_waitcnt vmcnt(1) lgkmcnt(1)
	v_fma_f64 v[116:117], v[116:117], v[122:123], 0
	s_waitcnt vmcnt(0)
	s_delay_alu instid0(VALU_DEP_1) | instskip(SKIP_1) | instid1(VALU_DEP_1)
	v_fma_f64 v[116:117], v[118:119], v[124:125], v[116:117]
	s_waitcnt lgkmcnt(0)
	v_fma_f64 v[2:3], v[120:121], v[2:3], v[116:117]
	s_delay_alu instid0(VALU_DEP_1)
	v_add_f64 v[2:3], v[114:115], -v[2:3]
	scratch_store_b64 off, v[2:3], off offset:400
	v_cmpx_lt_u32_e32 49, v0
	s_cbranch_execz .LBB53_235
; %bb.234:
	scratch_load_b64 v[3:4], off, off offset:392
	v_mov_b32_e32 v2, v1
	scratch_store_b64 off, v[1:2], off offset:392
	s_waitcnt vmcnt(0)
	ds_store_b64 v5, v[3:4]
.LBB53_235:
	s_or_b32 exec_lo, exec_lo, s0
	s_waitcnt lgkmcnt(0)
	s_waitcnt_vscnt null, 0x0
	s_barrier
	buffer_gl0_inv
	s_clause 0x2
	scratch_load_b128 v[114:117], off, off offset:392
	scratch_load_b128 v[118:121], off, off offset:408
	scratch_load_b64 v[126:127], off, off offset:424
	ds_load_b128 v[122:125], v1 offset:832
	ds_load_b128 v[1:4], v1 offset:848
	s_mov_b32 s0, exec_lo
	s_waitcnt vmcnt(2) lgkmcnt(1)
	v_fma_f64 v[116:117], v[116:117], v[122:123], 0
	s_waitcnt vmcnt(1)
	s_delay_alu instid0(VALU_DEP_1) | instskip(SKIP_1) | instid1(VALU_DEP_1)
	v_fma_f64 v[116:117], v[118:119], v[124:125], v[116:117]
	s_waitcnt lgkmcnt(0)
	v_fma_f64 v[1:2], v[120:121], v[1:2], v[116:117]
	s_waitcnt vmcnt(0)
	s_delay_alu instid0(VALU_DEP_1) | instskip(NEXT) | instid1(VALU_DEP_1)
	v_fma_f64 v[1:2], v[126:127], v[3:4], v[1:2]
	v_add_f64 v[1:2], v[114:115], -v[1:2]
	scratch_store_b64 off, v[1:2], off offset:392
	v_cmpx_lt_u32_e32 48, v0
	s_cbranch_execz .LBB53_237
; %bb.236:
	scratch_load_b64 v[1:2], off, off offset:384
	v_mov_b32_e32 v3, 0
	s_delay_alu instid0(VALU_DEP_1)
	v_mov_b32_e32 v4, v3
	scratch_store_b64 off, v[3:4], off offset:384
	s_waitcnt vmcnt(0)
	ds_store_b64 v5, v[1:2]
.LBB53_237:
	s_or_b32 exec_lo, exec_lo, s0
	s_waitcnt lgkmcnt(0)
	s_waitcnt_vscnt null, 0x0
	s_barrier
	buffer_gl0_inv
	s_clause 0x2
	scratch_load_b128 v[114:117], off, off offset:384
	scratch_load_b128 v[118:121], off, off offset:400
	;; [unrolled: 1-line block ×3, first 2 shown]
	v_mov_b32_e32 v1, 0
	ds_load_2addr_b64 v[126:129], v1 offset0:103 offset1:104
	ds_load_2addr_b64 v[130:133], v1 offset0:105 offset1:106
	s_mov_b32 s0, exec_lo
	s_waitcnt vmcnt(2) lgkmcnt(1)
	v_fma_f64 v[2:3], v[116:117], v[126:127], 0
	ds_load_b64 v[116:117], v1 offset:856
	s_waitcnt vmcnt(1)
	v_fma_f64 v[2:3], v[118:119], v[128:129], v[2:3]
	s_waitcnt lgkmcnt(1)
	s_delay_alu instid0(VALU_DEP_1) | instskip(SKIP_1) | instid1(VALU_DEP_1)
	v_fma_f64 v[2:3], v[120:121], v[130:131], v[2:3]
	s_waitcnt vmcnt(0)
	v_fma_f64 v[2:3], v[122:123], v[132:133], v[2:3]
	s_waitcnt lgkmcnt(0)
	s_delay_alu instid0(VALU_DEP_1) | instskip(NEXT) | instid1(VALU_DEP_1)
	v_fma_f64 v[2:3], v[124:125], v[116:117], v[2:3]
	v_add_f64 v[2:3], v[114:115], -v[2:3]
	scratch_store_b64 off, v[2:3], off offset:384
	v_cmpx_lt_u32_e32 47, v0
	s_cbranch_execz .LBB53_239
; %bb.238:
	scratch_load_b64 v[3:4], off, off offset:376
	v_mov_b32_e32 v2, v1
	scratch_store_b64 off, v[1:2], off offset:376
	s_waitcnt vmcnt(0)
	ds_store_b64 v5, v[3:4]
.LBB53_239:
	s_or_b32 exec_lo, exec_lo, s0
	s_waitcnt lgkmcnt(0)
	s_waitcnt_vscnt null, 0x0
	s_barrier
	buffer_gl0_inv
	s_clause 0x3
	scratch_load_b128 v[114:117], off, off offset:376
	scratch_load_b128 v[118:121], off, off offset:392
	;; [unrolled: 1-line block ×3, first 2 shown]
	scratch_load_b64 v[134:135], off, off offset:424
	ds_load_b128 v[126:129], v1 offset:816
	ds_load_b128 v[130:133], v1 offset:832
	s_mov_b32 s0, exec_lo
	s_waitcnt vmcnt(3) lgkmcnt(1)
	v_fma_f64 v[2:3], v[116:117], v[126:127], 0
	s_waitcnt vmcnt(2)
	s_delay_alu instid0(VALU_DEP_1) | instskip(SKIP_1) | instid1(VALU_DEP_1)
	v_fma_f64 v[2:3], v[118:119], v[128:129], v[2:3]
	s_waitcnt lgkmcnt(0)
	v_fma_f64 v[2:3], v[120:121], v[130:131], v[2:3]
	s_waitcnt vmcnt(1)
	s_delay_alu instid0(VALU_DEP_1) | instskip(SKIP_4) | instid1(VALU_DEP_1)
	v_fma_f64 v[116:117], v[122:123], v[132:133], v[2:3]
	ds_load_b128 v[1:4], v1 offset:848
	s_waitcnt lgkmcnt(0)
	v_fma_f64 v[1:2], v[124:125], v[1:2], v[116:117]
	s_waitcnt vmcnt(0)
	v_fma_f64 v[1:2], v[134:135], v[3:4], v[1:2]
	s_delay_alu instid0(VALU_DEP_1)
	v_add_f64 v[1:2], v[114:115], -v[1:2]
	scratch_store_b64 off, v[1:2], off offset:376
	v_cmpx_lt_u32_e32 46, v0
	s_cbranch_execz .LBB53_241
; %bb.240:
	scratch_load_b64 v[1:2], off, off offset:368
	v_mov_b32_e32 v3, 0
	s_delay_alu instid0(VALU_DEP_1)
	v_mov_b32_e32 v4, v3
	scratch_store_b64 off, v[3:4], off offset:368
	s_waitcnt vmcnt(0)
	ds_store_b64 v5, v[1:2]
.LBB53_241:
	s_or_b32 exec_lo, exec_lo, s0
	s_waitcnt lgkmcnt(0)
	s_waitcnt_vscnt null, 0x0
	s_barrier
	buffer_gl0_inv
	s_clause 0x3
	scratch_load_b128 v[114:117], off, off offset:368
	scratch_load_b128 v[118:121], off, off offset:384
	;; [unrolled: 1-line block ×4, first 2 shown]
	v_mov_b32_e32 v1, 0
	ds_load_2addr_b64 v[130:133], v1 offset0:101 offset1:102
	ds_load_2addr_b64 v[134:137], v1 offset0:103 offset1:104
	s_mov_b32 s0, exec_lo
	s_waitcnt vmcnt(3) lgkmcnt(1)
	v_fma_f64 v[2:3], v[116:117], v[130:131], 0
	s_waitcnt vmcnt(2)
	s_delay_alu instid0(VALU_DEP_1) | instskip(SKIP_1) | instid1(VALU_DEP_1)
	v_fma_f64 v[2:3], v[118:119], v[132:133], v[2:3]
	s_waitcnt lgkmcnt(0)
	v_fma_f64 v[2:3], v[120:121], v[134:135], v[2:3]
	ds_load_2addr_b64 v[116:119], v1 offset0:105 offset1:106
	ds_load_b64 v[120:121], v1 offset:856
	s_waitcnt vmcnt(1)
	v_fma_f64 v[2:3], v[122:123], v[136:137], v[2:3]
	s_waitcnt lgkmcnt(1)
	s_delay_alu instid0(VALU_DEP_1) | instskip(SKIP_1) | instid1(VALU_DEP_1)
	v_fma_f64 v[2:3], v[124:125], v[116:117], v[2:3]
	s_waitcnt vmcnt(0)
	v_fma_f64 v[2:3], v[126:127], v[118:119], v[2:3]
	s_waitcnt lgkmcnt(0)
	s_delay_alu instid0(VALU_DEP_1) | instskip(NEXT) | instid1(VALU_DEP_1)
	v_fma_f64 v[2:3], v[128:129], v[120:121], v[2:3]
	v_add_f64 v[2:3], v[114:115], -v[2:3]
	scratch_store_b64 off, v[2:3], off offset:368
	v_cmpx_lt_u32_e32 45, v0
	s_cbranch_execz .LBB53_243
; %bb.242:
	scratch_load_b64 v[3:4], off, off offset:360
	v_mov_b32_e32 v2, v1
	scratch_store_b64 off, v[1:2], off offset:360
	s_waitcnt vmcnt(0)
	ds_store_b64 v5, v[3:4]
.LBB53_243:
	s_or_b32 exec_lo, exec_lo, s0
	s_waitcnt lgkmcnt(0)
	s_waitcnt_vscnt null, 0x0
	s_barrier
	buffer_gl0_inv
	s_clause 0x4
	scratch_load_b128 v[114:117], off, off offset:360
	scratch_load_b128 v[118:121], off, off offset:376
	;; [unrolled: 1-line block ×4, first 2 shown]
	scratch_load_b64 v[138:139], off, off offset:424
	ds_load_b128 v[130:133], v1 offset:800
	ds_load_b128 v[134:137], v1 offset:816
	s_mov_b32 s0, exec_lo
	s_waitcnt vmcnt(4) lgkmcnt(1)
	v_fma_f64 v[2:3], v[116:117], v[130:131], 0
	s_waitcnt vmcnt(3)
	s_delay_alu instid0(VALU_DEP_1) | instskip(SKIP_1) | instid1(VALU_DEP_1)
	v_fma_f64 v[2:3], v[118:119], v[132:133], v[2:3]
	s_waitcnt lgkmcnt(0)
	v_fma_f64 v[2:3], v[120:121], v[134:135], v[2:3]
	s_waitcnt vmcnt(2)
	s_delay_alu instid0(VALU_DEP_1)
	v_fma_f64 v[120:121], v[122:123], v[136:137], v[2:3]
	ds_load_b128 v[116:119], v1 offset:832
	ds_load_b128 v[1:4], v1 offset:848
	s_waitcnt lgkmcnt(1)
	v_fma_f64 v[116:117], v[124:125], v[116:117], v[120:121]
	s_waitcnt vmcnt(1)
	s_delay_alu instid0(VALU_DEP_1) | instskip(SKIP_1) | instid1(VALU_DEP_1)
	v_fma_f64 v[116:117], v[126:127], v[118:119], v[116:117]
	s_waitcnt lgkmcnt(0)
	v_fma_f64 v[1:2], v[128:129], v[1:2], v[116:117]
	s_waitcnt vmcnt(0)
	s_delay_alu instid0(VALU_DEP_1) | instskip(NEXT) | instid1(VALU_DEP_1)
	v_fma_f64 v[1:2], v[138:139], v[3:4], v[1:2]
	v_add_f64 v[1:2], v[114:115], -v[1:2]
	scratch_store_b64 off, v[1:2], off offset:360
	v_cmpx_lt_u32_e32 44, v0
	s_cbranch_execz .LBB53_245
; %bb.244:
	scratch_load_b64 v[1:2], off, off offset:352
	v_mov_b32_e32 v3, 0
	s_delay_alu instid0(VALU_DEP_1)
	v_mov_b32_e32 v4, v3
	scratch_store_b64 off, v[3:4], off offset:352
	s_waitcnt vmcnt(0)
	ds_store_b64 v5, v[1:2]
.LBB53_245:
	s_or_b32 exec_lo, exec_lo, s0
	s_waitcnt lgkmcnt(0)
	s_waitcnt_vscnt null, 0x0
	s_barrier
	buffer_gl0_inv
	s_clause 0x4
	scratch_load_b128 v[114:117], off, off offset:352
	scratch_load_b128 v[118:121], off, off offset:368
	;; [unrolled: 1-line block ×5, first 2 shown]
	v_mov_b32_e32 v1, 0
	ds_load_2addr_b64 v[134:137], v1 offset0:99 offset1:100
	ds_load_2addr_b64 v[138:141], v1 offset0:101 offset1:102
	s_mov_b32 s0, exec_lo
	s_waitcnt vmcnt(4) lgkmcnt(1)
	v_fma_f64 v[2:3], v[116:117], v[134:135], 0
	s_waitcnt vmcnt(3)
	s_delay_alu instid0(VALU_DEP_1) | instskip(SKIP_1) | instid1(VALU_DEP_1)
	v_fma_f64 v[2:3], v[118:119], v[136:137], v[2:3]
	s_waitcnt lgkmcnt(0)
	v_fma_f64 v[2:3], v[120:121], v[138:139], v[2:3]
	s_waitcnt vmcnt(2)
	s_delay_alu instid0(VALU_DEP_1)
	v_fma_f64 v[2:3], v[122:123], v[140:141], v[2:3]
	ds_load_2addr_b64 v[116:119], v1 offset0:103 offset1:104
	ds_load_2addr_b64 v[120:123], v1 offset0:105 offset1:106
	s_waitcnt lgkmcnt(1)
	v_fma_f64 v[2:3], v[124:125], v[116:117], v[2:3]
	ds_load_b64 v[116:117], v1 offset:856
	s_waitcnt vmcnt(1)
	v_fma_f64 v[2:3], v[126:127], v[118:119], v[2:3]
	s_waitcnt lgkmcnt(1)
	s_delay_alu instid0(VALU_DEP_1) | instskip(SKIP_1) | instid1(VALU_DEP_1)
	v_fma_f64 v[2:3], v[128:129], v[120:121], v[2:3]
	s_waitcnt vmcnt(0)
	v_fma_f64 v[2:3], v[130:131], v[122:123], v[2:3]
	s_waitcnt lgkmcnt(0)
	s_delay_alu instid0(VALU_DEP_1) | instskip(NEXT) | instid1(VALU_DEP_1)
	v_fma_f64 v[2:3], v[132:133], v[116:117], v[2:3]
	v_add_f64 v[2:3], v[114:115], -v[2:3]
	scratch_store_b64 off, v[2:3], off offset:352
	v_cmpx_lt_u32_e32 43, v0
	s_cbranch_execz .LBB53_247
; %bb.246:
	scratch_load_b64 v[3:4], off, off offset:344
	v_mov_b32_e32 v2, v1
	scratch_store_b64 off, v[1:2], off offset:344
	s_waitcnt vmcnt(0)
	ds_store_b64 v5, v[3:4]
.LBB53_247:
	s_or_b32 exec_lo, exec_lo, s0
	s_waitcnt lgkmcnt(0)
	s_waitcnt_vscnt null, 0x0
	s_barrier
	buffer_gl0_inv
	s_clause 0x4
	scratch_load_b128 v[114:117], off, off offset:344
	scratch_load_b128 v[118:121], off, off offset:360
	;; [unrolled: 1-line block ×5, first 2 shown]
	ds_load_b128 v[134:137], v1 offset:784
	ds_load_b128 v[138:141], v1 offset:800
	s_mov_b32 s0, exec_lo
	s_waitcnt vmcnt(4) lgkmcnt(1)
	v_fma_f64 v[2:3], v[116:117], v[134:135], 0
	scratch_load_b64 v[134:135], off, off offset:424
	s_waitcnt vmcnt(4)
	v_fma_f64 v[2:3], v[118:119], v[136:137], v[2:3]
	s_waitcnt lgkmcnt(0)
	s_delay_alu instid0(VALU_DEP_1) | instskip(SKIP_1) | instid1(VALU_DEP_1)
	v_fma_f64 v[2:3], v[120:121], v[138:139], v[2:3]
	s_waitcnt vmcnt(3)
	v_fma_f64 v[2:3], v[122:123], v[140:141], v[2:3]
	ds_load_b128 v[116:119], v1 offset:816
	ds_load_b128 v[120:123], v1 offset:832
	s_waitcnt lgkmcnt(1)
	v_fma_f64 v[2:3], v[124:125], v[116:117], v[2:3]
	s_waitcnt vmcnt(2)
	s_delay_alu instid0(VALU_DEP_1) | instskip(SKIP_1) | instid1(VALU_DEP_1)
	v_fma_f64 v[2:3], v[126:127], v[118:119], v[2:3]
	s_waitcnt lgkmcnt(0)
	v_fma_f64 v[2:3], v[128:129], v[120:121], v[2:3]
	s_waitcnt vmcnt(1)
	s_delay_alu instid0(VALU_DEP_1) | instskip(SKIP_4) | instid1(VALU_DEP_1)
	v_fma_f64 v[116:117], v[130:131], v[122:123], v[2:3]
	ds_load_b128 v[1:4], v1 offset:848
	s_waitcnt lgkmcnt(0)
	v_fma_f64 v[1:2], v[132:133], v[1:2], v[116:117]
	s_waitcnt vmcnt(0)
	v_fma_f64 v[1:2], v[134:135], v[3:4], v[1:2]
	s_delay_alu instid0(VALU_DEP_1)
	v_add_f64 v[1:2], v[114:115], -v[1:2]
	scratch_store_b64 off, v[1:2], off offset:344
	v_cmpx_lt_u32_e32 42, v0
	s_cbranch_execz .LBB53_249
; %bb.248:
	scratch_load_b64 v[1:2], off, off offset:336
	v_mov_b32_e32 v3, 0
	s_delay_alu instid0(VALU_DEP_1)
	v_mov_b32_e32 v4, v3
	scratch_store_b64 off, v[3:4], off offset:336
	s_waitcnt vmcnt(0)
	ds_store_b64 v5, v[1:2]
.LBB53_249:
	s_or_b32 exec_lo, exec_lo, s0
	s_waitcnt lgkmcnt(0)
	s_waitcnt_vscnt null, 0x0
	s_barrier
	buffer_gl0_inv
	s_clause 0x4
	scratch_load_b128 v[114:117], off, off offset:336
	scratch_load_b128 v[118:121], off, off offset:352
	;; [unrolled: 1-line block ×5, first 2 shown]
	v_mov_b32_e32 v1, 0
	ds_load_2addr_b64 v[134:137], v1 offset0:97 offset1:98
	ds_load_2addr_b64 v[138:141], v1 offset0:99 offset1:100
	scratch_load_b128 v[142:145], off, off offset:416
	s_mov_b32 s0, exec_lo
	s_waitcnt vmcnt(5) lgkmcnt(1)
	v_fma_f64 v[2:3], v[116:117], v[134:135], 0
	s_waitcnt vmcnt(4)
	s_delay_alu instid0(VALU_DEP_1) | instskip(SKIP_1) | instid1(VALU_DEP_1)
	v_fma_f64 v[2:3], v[118:119], v[136:137], v[2:3]
	s_waitcnt lgkmcnt(0)
	v_fma_f64 v[2:3], v[120:121], v[138:139], v[2:3]
	s_waitcnt vmcnt(3)
	s_delay_alu instid0(VALU_DEP_1)
	v_fma_f64 v[2:3], v[122:123], v[140:141], v[2:3]
	ds_load_2addr_b64 v[116:119], v1 offset0:101 offset1:102
	ds_load_2addr_b64 v[120:123], v1 offset0:103 offset1:104
	s_waitcnt lgkmcnt(1)
	v_fma_f64 v[2:3], v[124:125], v[116:117], v[2:3]
	s_waitcnt vmcnt(2)
	s_delay_alu instid0(VALU_DEP_1) | instskip(SKIP_1) | instid1(VALU_DEP_1)
	v_fma_f64 v[2:3], v[126:127], v[118:119], v[2:3]
	s_waitcnt lgkmcnt(0)
	v_fma_f64 v[2:3], v[128:129], v[120:121], v[2:3]
	ds_load_2addr_b64 v[116:119], v1 offset0:105 offset1:106
	ds_load_b64 v[120:121], v1 offset:856
	s_waitcnt vmcnt(1)
	v_fma_f64 v[2:3], v[130:131], v[122:123], v[2:3]
	s_waitcnt lgkmcnt(1)
	s_delay_alu instid0(VALU_DEP_1) | instskip(SKIP_1) | instid1(VALU_DEP_1)
	v_fma_f64 v[2:3], v[132:133], v[116:117], v[2:3]
	s_waitcnt vmcnt(0)
	v_fma_f64 v[2:3], v[142:143], v[118:119], v[2:3]
	s_waitcnt lgkmcnt(0)
	s_delay_alu instid0(VALU_DEP_1) | instskip(NEXT) | instid1(VALU_DEP_1)
	v_fma_f64 v[2:3], v[144:145], v[120:121], v[2:3]
	v_add_f64 v[2:3], v[114:115], -v[2:3]
	scratch_store_b64 off, v[2:3], off offset:336
	v_cmpx_lt_u32_e32 41, v0
	s_cbranch_execz .LBB53_251
; %bb.250:
	scratch_load_b64 v[3:4], off, off offset:328
	v_mov_b32_e32 v2, v1
	scratch_store_b64 off, v[1:2], off offset:328
	s_waitcnt vmcnt(0)
	ds_store_b64 v5, v[3:4]
.LBB53_251:
	s_or_b32 exec_lo, exec_lo, s0
	s_waitcnt lgkmcnt(0)
	s_waitcnt_vscnt null, 0x0
	s_barrier
	buffer_gl0_inv
	s_clause 0x4
	scratch_load_b128 v[114:117], off, off offset:328
	scratch_load_b128 v[118:121], off, off offset:344
	;; [unrolled: 1-line block ×5, first 2 shown]
	ds_load_b128 v[134:137], v1 offset:768
	ds_load_b128 v[138:141], v1 offset:784
	scratch_load_b128 v[142:145], off, off offset:408
	s_mov_b32 s0, exec_lo
	s_waitcnt vmcnt(5) lgkmcnt(1)
	v_fma_f64 v[2:3], v[116:117], v[134:135], 0
	scratch_load_b64 v[134:135], off, off offset:424
	s_waitcnt vmcnt(5)
	v_fma_f64 v[2:3], v[118:119], v[136:137], v[2:3]
	s_waitcnt lgkmcnt(0)
	s_delay_alu instid0(VALU_DEP_1) | instskip(SKIP_1) | instid1(VALU_DEP_1)
	v_fma_f64 v[2:3], v[120:121], v[138:139], v[2:3]
	s_waitcnt vmcnt(4)
	v_fma_f64 v[2:3], v[122:123], v[140:141], v[2:3]
	ds_load_b128 v[116:119], v1 offset:800
	ds_load_b128 v[120:123], v1 offset:816
	s_waitcnt lgkmcnt(1)
	v_fma_f64 v[2:3], v[124:125], v[116:117], v[2:3]
	s_waitcnt vmcnt(3)
	s_delay_alu instid0(VALU_DEP_1) | instskip(SKIP_1) | instid1(VALU_DEP_1)
	v_fma_f64 v[2:3], v[126:127], v[118:119], v[2:3]
	s_waitcnt lgkmcnt(0)
	v_fma_f64 v[2:3], v[128:129], v[120:121], v[2:3]
	s_waitcnt vmcnt(2)
	s_delay_alu instid0(VALU_DEP_1)
	v_fma_f64 v[120:121], v[130:131], v[122:123], v[2:3]
	ds_load_b128 v[116:119], v1 offset:832
	ds_load_b128 v[1:4], v1 offset:848
	s_waitcnt lgkmcnt(1)
	v_fma_f64 v[116:117], v[132:133], v[116:117], v[120:121]
	s_waitcnt vmcnt(1)
	s_delay_alu instid0(VALU_DEP_1) | instskip(SKIP_1) | instid1(VALU_DEP_1)
	v_fma_f64 v[116:117], v[142:143], v[118:119], v[116:117]
	s_waitcnt lgkmcnt(0)
	v_fma_f64 v[1:2], v[144:145], v[1:2], v[116:117]
	s_waitcnt vmcnt(0)
	s_delay_alu instid0(VALU_DEP_1) | instskip(NEXT) | instid1(VALU_DEP_1)
	v_fma_f64 v[1:2], v[134:135], v[3:4], v[1:2]
	v_add_f64 v[1:2], v[114:115], -v[1:2]
	scratch_store_b64 off, v[1:2], off offset:328
	v_cmpx_lt_u32_e32 40, v0
	s_cbranch_execz .LBB53_253
; %bb.252:
	scratch_load_b64 v[1:2], off, off offset:320
	v_mov_b32_e32 v3, 0
	s_delay_alu instid0(VALU_DEP_1)
	v_mov_b32_e32 v4, v3
	scratch_store_b64 off, v[3:4], off offset:320
	s_waitcnt vmcnt(0)
	ds_store_b64 v5, v[1:2]
.LBB53_253:
	s_or_b32 exec_lo, exec_lo, s0
	s_waitcnt lgkmcnt(0)
	s_waitcnt_vscnt null, 0x0
	s_barrier
	buffer_gl0_inv
	s_clause 0x4
	scratch_load_b128 v[114:117], off, off offset:320
	scratch_load_b128 v[118:121], off, off offset:336
	;; [unrolled: 1-line block ×5, first 2 shown]
	v_mov_b32_e32 v1, 0
	ds_load_2addr_b64 v[134:137], v1 offset0:95 offset1:96
	ds_load_2addr_b64 v[138:141], v1 offset0:97 offset1:98
	scratch_load_b128 v[142:145], off, off offset:400
	s_mov_b32 s0, exec_lo
	s_waitcnt vmcnt(5) lgkmcnt(1)
	v_fma_f64 v[2:3], v[116:117], v[134:135], 0
	s_waitcnt vmcnt(4)
	s_delay_alu instid0(VALU_DEP_1) | instskip(SKIP_4) | instid1(VALU_DEP_1)
	v_fma_f64 v[2:3], v[118:119], v[136:137], v[2:3]
	scratch_load_b128 v[116:119], off, off offset:416
	s_waitcnt lgkmcnt(0)
	v_fma_f64 v[2:3], v[120:121], v[138:139], v[2:3]
	s_waitcnt vmcnt(4)
	v_fma_f64 v[2:3], v[122:123], v[140:141], v[2:3]
	ds_load_2addr_b64 v[120:123], v1 offset0:99 offset1:100
	ds_load_2addr_b64 v[134:137], v1 offset0:101 offset1:102
	s_waitcnt lgkmcnt(1)
	v_fma_f64 v[2:3], v[124:125], v[120:121], v[2:3]
	s_waitcnt vmcnt(3)
	s_delay_alu instid0(VALU_DEP_1)
	v_fma_f64 v[2:3], v[126:127], v[122:123], v[2:3]
	ds_load_2addr_b64 v[120:123], v1 offset0:103 offset1:104
	ds_load_2addr_b64 v[124:127], v1 offset0:105 offset1:106
	s_waitcnt lgkmcnt(2)
	v_fma_f64 v[2:3], v[128:129], v[134:135], v[2:3]
	s_waitcnt vmcnt(2)
	s_delay_alu instid0(VALU_DEP_1) | instskip(SKIP_1) | instid1(VALU_DEP_1)
	v_fma_f64 v[2:3], v[130:131], v[136:137], v[2:3]
	s_waitcnt lgkmcnt(1)
	v_fma_f64 v[2:3], v[132:133], v[120:121], v[2:3]
	s_waitcnt vmcnt(1)
	s_delay_alu instid0(VALU_DEP_1) | instskip(SKIP_1) | instid1(VALU_DEP_1)
	v_fma_f64 v[2:3], v[142:143], v[122:123], v[2:3]
	s_waitcnt lgkmcnt(0)
	v_fma_f64 v[2:3], v[144:145], v[124:125], v[2:3]
	s_waitcnt vmcnt(0)
	s_delay_alu instid0(VALU_DEP_1) | instskip(SKIP_3) | instid1(VALU_DEP_1)
	v_fma_f64 v[2:3], v[116:117], v[126:127], v[2:3]
	ds_load_b64 v[116:117], v1 offset:856
	s_waitcnt lgkmcnt(0)
	v_fma_f64 v[2:3], v[118:119], v[116:117], v[2:3]
	v_add_f64 v[2:3], v[114:115], -v[2:3]
	scratch_store_b64 off, v[2:3], off offset:320
	v_cmpx_lt_u32_e32 39, v0
	s_cbranch_execz .LBB53_255
; %bb.254:
	scratch_load_b64 v[3:4], off, off offset:312
	v_mov_b32_e32 v2, v1
	scratch_store_b64 off, v[1:2], off offset:312
	s_waitcnt vmcnt(0)
	ds_store_b64 v5, v[3:4]
.LBB53_255:
	s_or_b32 exec_lo, exec_lo, s0
	s_waitcnt lgkmcnt(0)
	s_waitcnt_vscnt null, 0x0
	s_barrier
	buffer_gl0_inv
	s_clause 0x4
	scratch_load_b128 v[114:117], off, off offset:312
	scratch_load_b128 v[118:121], off, off offset:328
	;; [unrolled: 1-line block ×5, first 2 shown]
	ds_load_b128 v[134:137], v1 offset:752
	ds_load_b128 v[138:141], v1 offset:768
	scratch_load_b128 v[142:145], off, off offset:392
	s_mov_b32 s0, exec_lo
	s_waitcnt vmcnt(5) lgkmcnt(1)
	v_fma_f64 v[2:3], v[116:117], v[134:135], 0
	s_waitcnt vmcnt(4)
	s_delay_alu instid0(VALU_DEP_1) | instskip(SKIP_4) | instid1(VALU_DEP_1)
	v_fma_f64 v[2:3], v[118:119], v[136:137], v[2:3]
	scratch_load_b128 v[116:119], off, off offset:408
	s_waitcnt lgkmcnt(0)
	v_fma_f64 v[2:3], v[120:121], v[138:139], v[2:3]
	s_waitcnt vmcnt(4)
	v_fma_f64 v[2:3], v[122:123], v[140:141], v[2:3]
	ds_load_b128 v[120:123], v1 offset:784
	ds_load_b128 v[134:137], v1 offset:800
	scratch_load_b64 v[138:139], off, off offset:424
	s_waitcnt lgkmcnt(1)
	v_fma_f64 v[2:3], v[124:125], v[120:121], v[2:3]
	s_waitcnt vmcnt(4)
	s_delay_alu instid0(VALU_DEP_1)
	v_fma_f64 v[2:3], v[126:127], v[122:123], v[2:3]
	ds_load_b128 v[120:123], v1 offset:816
	ds_load_b128 v[124:127], v1 offset:832
	s_waitcnt lgkmcnt(2)
	v_fma_f64 v[2:3], v[128:129], v[134:135], v[2:3]
	s_waitcnt vmcnt(3)
	s_delay_alu instid0(VALU_DEP_1) | instskip(SKIP_1) | instid1(VALU_DEP_1)
	v_fma_f64 v[2:3], v[130:131], v[136:137], v[2:3]
	s_waitcnt lgkmcnt(1)
	v_fma_f64 v[2:3], v[132:133], v[120:121], v[2:3]
	s_waitcnt vmcnt(2)
	s_delay_alu instid0(VALU_DEP_1) | instskip(SKIP_1) | instid1(VALU_DEP_1)
	v_fma_f64 v[2:3], v[142:143], v[122:123], v[2:3]
	s_waitcnt lgkmcnt(0)
	v_fma_f64 v[2:3], v[144:145], v[124:125], v[2:3]
	s_waitcnt vmcnt(1)
	s_delay_alu instid0(VALU_DEP_1) | instskip(SKIP_4) | instid1(VALU_DEP_1)
	v_fma_f64 v[116:117], v[116:117], v[126:127], v[2:3]
	ds_load_b128 v[1:4], v1 offset:848
	s_waitcnt lgkmcnt(0)
	v_fma_f64 v[1:2], v[118:119], v[1:2], v[116:117]
	s_waitcnt vmcnt(0)
	v_fma_f64 v[1:2], v[138:139], v[3:4], v[1:2]
	s_delay_alu instid0(VALU_DEP_1)
	v_add_f64 v[1:2], v[114:115], -v[1:2]
	scratch_store_b64 off, v[1:2], off offset:312
	v_cmpx_lt_u32_e32 38, v0
	s_cbranch_execz .LBB53_257
; %bb.256:
	scratch_load_b64 v[1:2], off, off offset:304
	v_mov_b32_e32 v3, 0
	s_delay_alu instid0(VALU_DEP_1)
	v_mov_b32_e32 v4, v3
	scratch_store_b64 off, v[3:4], off offset:304
	s_waitcnt vmcnt(0)
	ds_store_b64 v5, v[1:2]
.LBB53_257:
	s_or_b32 exec_lo, exec_lo, s0
	s_waitcnt lgkmcnt(0)
	s_waitcnt_vscnt null, 0x0
	s_barrier
	buffer_gl0_inv
	s_clause 0x4
	scratch_load_b128 v[114:117], off, off offset:304
	scratch_load_b128 v[118:121], off, off offset:320
	;; [unrolled: 1-line block ×5, first 2 shown]
	v_mov_b32_e32 v1, 0
	ds_load_2addr_b64 v[134:137], v1 offset0:93 offset1:94
	ds_load_2addr_b64 v[138:141], v1 offset0:95 offset1:96
	scratch_load_b128 v[142:145], off, off offset:384
	s_mov_b32 s0, exec_lo
	s_waitcnt vmcnt(5) lgkmcnt(1)
	v_fma_f64 v[2:3], v[116:117], v[134:135], 0
	s_waitcnt vmcnt(4)
	s_delay_alu instid0(VALU_DEP_1) | instskip(SKIP_4) | instid1(VALU_DEP_1)
	v_fma_f64 v[2:3], v[118:119], v[136:137], v[2:3]
	scratch_load_b128 v[116:119], off, off offset:400
	s_waitcnt lgkmcnt(0)
	v_fma_f64 v[2:3], v[120:121], v[138:139], v[2:3]
	s_waitcnt vmcnt(4)
	v_fma_f64 v[2:3], v[122:123], v[140:141], v[2:3]
	ds_load_2addr_b64 v[120:123], v1 offset0:97 offset1:98
	ds_load_2addr_b64 v[134:137], v1 offset0:99 offset1:100
	scratch_load_b128 v[138:141], off, off offset:416
	s_waitcnt lgkmcnt(1)
	v_fma_f64 v[2:3], v[124:125], v[120:121], v[2:3]
	s_waitcnt vmcnt(4)
	s_delay_alu instid0(VALU_DEP_1)
	v_fma_f64 v[2:3], v[126:127], v[122:123], v[2:3]
	ds_load_2addr_b64 v[120:123], v1 offset0:101 offset1:102
	ds_load_2addr_b64 v[124:127], v1 offset0:103 offset1:104
	s_waitcnt lgkmcnt(2)
	v_fma_f64 v[2:3], v[128:129], v[134:135], v[2:3]
	s_waitcnt vmcnt(3)
	s_delay_alu instid0(VALU_DEP_1) | instskip(SKIP_1) | instid1(VALU_DEP_1)
	v_fma_f64 v[2:3], v[130:131], v[136:137], v[2:3]
	s_waitcnt lgkmcnt(1)
	v_fma_f64 v[2:3], v[132:133], v[120:121], v[2:3]
	s_waitcnt vmcnt(2)
	s_delay_alu instid0(VALU_DEP_1) | instskip(SKIP_1) | instid1(VALU_DEP_1)
	v_fma_f64 v[2:3], v[142:143], v[122:123], v[2:3]
	s_waitcnt lgkmcnt(0)
	v_fma_f64 v[2:3], v[144:145], v[124:125], v[2:3]
	s_waitcnt vmcnt(1)
	s_delay_alu instid0(VALU_DEP_1)
	v_fma_f64 v[2:3], v[116:117], v[126:127], v[2:3]
	ds_load_2addr_b64 v[120:123], v1 offset0:105 offset1:106
	ds_load_b64 v[116:117], v1 offset:856
	s_waitcnt lgkmcnt(1)
	v_fma_f64 v[2:3], v[118:119], v[120:121], v[2:3]
	s_waitcnt vmcnt(0)
	s_delay_alu instid0(VALU_DEP_1) | instskip(SKIP_1) | instid1(VALU_DEP_1)
	v_fma_f64 v[2:3], v[138:139], v[122:123], v[2:3]
	s_waitcnt lgkmcnt(0)
	v_fma_f64 v[2:3], v[140:141], v[116:117], v[2:3]
	s_delay_alu instid0(VALU_DEP_1)
	v_add_f64 v[2:3], v[114:115], -v[2:3]
	scratch_store_b64 off, v[2:3], off offset:304
	v_cmpx_lt_u32_e32 37, v0
	s_cbranch_execz .LBB53_259
; %bb.258:
	scratch_load_b64 v[3:4], off, off offset:296
	v_mov_b32_e32 v2, v1
	scratch_store_b64 off, v[1:2], off offset:296
	s_waitcnt vmcnt(0)
	ds_store_b64 v5, v[3:4]
.LBB53_259:
	s_or_b32 exec_lo, exec_lo, s0
	s_waitcnt lgkmcnt(0)
	s_waitcnt_vscnt null, 0x0
	s_barrier
	buffer_gl0_inv
	s_clause 0x4
	scratch_load_b128 v[114:117], off, off offset:296
	scratch_load_b128 v[118:121], off, off offset:312
	;; [unrolled: 1-line block ×5, first 2 shown]
	ds_load_b128 v[134:137], v1 offset:736
	ds_load_b128 v[138:141], v1 offset:752
	scratch_load_b128 v[142:145], off, off offset:376
	s_mov_b32 s0, exec_lo
	s_waitcnt vmcnt(5) lgkmcnt(1)
	v_fma_f64 v[2:3], v[116:117], v[134:135], 0
	s_waitcnt vmcnt(4)
	s_delay_alu instid0(VALU_DEP_1) | instskip(SKIP_4) | instid1(VALU_DEP_1)
	v_fma_f64 v[2:3], v[118:119], v[136:137], v[2:3]
	scratch_load_b128 v[116:119], off, off offset:392
	s_waitcnt lgkmcnt(0)
	v_fma_f64 v[2:3], v[120:121], v[138:139], v[2:3]
	s_waitcnt vmcnt(4)
	v_fma_f64 v[2:3], v[122:123], v[140:141], v[2:3]
	ds_load_b128 v[120:123], v1 offset:768
	ds_load_b128 v[134:137], v1 offset:784
	scratch_load_b128 v[138:141], off, off offset:408
	s_waitcnt lgkmcnt(1)
	v_fma_f64 v[2:3], v[124:125], v[120:121], v[2:3]
	s_waitcnt vmcnt(4)
	s_delay_alu instid0(VALU_DEP_1) | instskip(SKIP_1) | instid1(VALU_DEP_1)
	v_fma_f64 v[2:3], v[126:127], v[122:123], v[2:3]
	s_waitcnt lgkmcnt(0)
	v_fma_f64 v[2:3], v[128:129], v[134:135], v[2:3]
	scratch_load_b64 v[128:129], off, off offset:424
	ds_load_b128 v[120:123], v1 offset:800
	ds_load_b128 v[124:127], v1 offset:816
	s_waitcnt vmcnt(4)
	v_fma_f64 v[2:3], v[130:131], v[136:137], v[2:3]
	s_waitcnt lgkmcnt(1)
	s_delay_alu instid0(VALU_DEP_1) | instskip(SKIP_1) | instid1(VALU_DEP_1)
	v_fma_f64 v[2:3], v[132:133], v[120:121], v[2:3]
	s_waitcnt vmcnt(3)
	v_fma_f64 v[2:3], v[142:143], v[122:123], v[2:3]
	s_waitcnt lgkmcnt(0)
	s_delay_alu instid0(VALU_DEP_1) | instskip(SKIP_1) | instid1(VALU_DEP_1)
	v_fma_f64 v[2:3], v[144:145], v[124:125], v[2:3]
	s_waitcnt vmcnt(2)
	v_fma_f64 v[116:117], v[116:117], v[126:127], v[2:3]
	ds_load_b128 v[120:123], v1 offset:832
	ds_load_b128 v[1:4], v1 offset:848
	s_waitcnt lgkmcnt(1)
	v_fma_f64 v[116:117], v[118:119], v[120:121], v[116:117]
	s_waitcnt vmcnt(1)
	s_delay_alu instid0(VALU_DEP_1) | instskip(SKIP_1) | instid1(VALU_DEP_1)
	v_fma_f64 v[116:117], v[138:139], v[122:123], v[116:117]
	s_waitcnt lgkmcnt(0)
	v_fma_f64 v[1:2], v[140:141], v[1:2], v[116:117]
	s_waitcnt vmcnt(0)
	s_delay_alu instid0(VALU_DEP_1) | instskip(NEXT) | instid1(VALU_DEP_1)
	v_fma_f64 v[1:2], v[128:129], v[3:4], v[1:2]
	v_add_f64 v[1:2], v[114:115], -v[1:2]
	scratch_store_b64 off, v[1:2], off offset:296
	v_cmpx_lt_u32_e32 36, v0
	s_cbranch_execz .LBB53_261
; %bb.260:
	scratch_load_b64 v[1:2], off, off offset:288
	v_mov_b32_e32 v3, 0
	s_delay_alu instid0(VALU_DEP_1)
	v_mov_b32_e32 v4, v3
	scratch_store_b64 off, v[3:4], off offset:288
	s_waitcnt vmcnt(0)
	ds_store_b64 v5, v[1:2]
.LBB53_261:
	s_or_b32 exec_lo, exec_lo, s0
	s_waitcnt lgkmcnt(0)
	s_waitcnt_vscnt null, 0x0
	s_barrier
	buffer_gl0_inv
	s_clause 0x4
	scratch_load_b128 v[114:117], off, off offset:288
	scratch_load_b128 v[118:121], off, off offset:304
	scratch_load_b128 v[122:125], off, off offset:320
	scratch_load_b128 v[126:129], off, off offset:336
	scratch_load_b128 v[130:133], off, off offset:352
	v_mov_b32_e32 v1, 0
	ds_load_2addr_b64 v[134:137], v1 offset0:91 offset1:92
	ds_load_2addr_b64 v[138:141], v1 offset0:93 offset1:94
	scratch_load_b128 v[142:145], off, off offset:368
	s_mov_b32 s0, exec_lo
	s_waitcnt vmcnt(5) lgkmcnt(1)
	v_fma_f64 v[2:3], v[116:117], v[134:135], 0
	s_waitcnt vmcnt(4)
	s_delay_alu instid0(VALU_DEP_1) | instskip(SKIP_4) | instid1(VALU_DEP_1)
	v_fma_f64 v[2:3], v[118:119], v[136:137], v[2:3]
	scratch_load_b128 v[116:119], off, off offset:384
	s_waitcnt lgkmcnt(0)
	v_fma_f64 v[2:3], v[120:121], v[138:139], v[2:3]
	s_waitcnt vmcnt(4)
	v_fma_f64 v[2:3], v[122:123], v[140:141], v[2:3]
	ds_load_2addr_b64 v[120:123], v1 offset0:95 offset1:96
	ds_load_2addr_b64 v[134:137], v1 offset0:97 offset1:98
	scratch_load_b128 v[138:141], off, off offset:400
	s_waitcnt lgkmcnt(1)
	v_fma_f64 v[2:3], v[124:125], v[120:121], v[2:3]
	s_waitcnt vmcnt(4)
	s_delay_alu instid0(VALU_DEP_1) | instskip(SKIP_4) | instid1(VALU_DEP_1)
	v_fma_f64 v[2:3], v[126:127], v[122:123], v[2:3]
	scratch_load_b128 v[120:123], off, off offset:416
	s_waitcnt lgkmcnt(0)
	v_fma_f64 v[2:3], v[128:129], v[134:135], v[2:3]
	s_waitcnt vmcnt(4)
	v_fma_f64 v[2:3], v[130:131], v[136:137], v[2:3]
	ds_load_2addr_b64 v[124:127], v1 offset0:99 offset1:100
	ds_load_2addr_b64 v[128:131], v1 offset0:101 offset1:102
	s_waitcnt lgkmcnt(1)
	v_fma_f64 v[2:3], v[132:133], v[124:125], v[2:3]
	s_waitcnt vmcnt(3)
	s_delay_alu instid0(VALU_DEP_1) | instskip(SKIP_1) | instid1(VALU_DEP_1)
	v_fma_f64 v[2:3], v[142:143], v[126:127], v[2:3]
	s_waitcnt lgkmcnt(0)
	v_fma_f64 v[2:3], v[144:145], v[128:129], v[2:3]
	s_waitcnt vmcnt(2)
	s_delay_alu instid0(VALU_DEP_1)
	v_fma_f64 v[2:3], v[116:117], v[130:131], v[2:3]
	ds_load_2addr_b64 v[124:127], v1 offset0:103 offset1:104
	ds_load_2addr_b64 v[128:131], v1 offset0:105 offset1:106
	ds_load_b64 v[116:117], v1 offset:856
	s_waitcnt lgkmcnt(2)
	v_fma_f64 v[2:3], v[118:119], v[124:125], v[2:3]
	s_waitcnt vmcnt(1)
	s_delay_alu instid0(VALU_DEP_1) | instskip(SKIP_1) | instid1(VALU_DEP_1)
	v_fma_f64 v[2:3], v[138:139], v[126:127], v[2:3]
	s_waitcnt lgkmcnt(1)
	v_fma_f64 v[2:3], v[140:141], v[128:129], v[2:3]
	s_waitcnt vmcnt(0)
	s_delay_alu instid0(VALU_DEP_1) | instskip(SKIP_1) | instid1(VALU_DEP_1)
	v_fma_f64 v[2:3], v[120:121], v[130:131], v[2:3]
	s_waitcnt lgkmcnt(0)
	v_fma_f64 v[2:3], v[122:123], v[116:117], v[2:3]
	s_delay_alu instid0(VALU_DEP_1)
	v_add_f64 v[2:3], v[114:115], -v[2:3]
	scratch_store_b64 off, v[2:3], off offset:288
	v_cmpx_lt_u32_e32 35, v0
	s_cbranch_execz .LBB53_263
; %bb.262:
	scratch_load_b64 v[3:4], off, off offset:280
	v_mov_b32_e32 v2, v1
	scratch_store_b64 off, v[1:2], off offset:280
	s_waitcnt vmcnt(0)
	ds_store_b64 v5, v[3:4]
.LBB53_263:
	s_or_b32 exec_lo, exec_lo, s0
	s_waitcnt lgkmcnt(0)
	s_waitcnt_vscnt null, 0x0
	s_barrier
	buffer_gl0_inv
	s_clause 0x4
	scratch_load_b128 v[114:117], off, off offset:280
	scratch_load_b128 v[118:121], off, off offset:296
	;; [unrolled: 1-line block ×5, first 2 shown]
	ds_load_b128 v[134:137], v1 offset:720
	ds_load_b128 v[138:141], v1 offset:736
	scratch_load_b128 v[142:145], off, off offset:360
	s_mov_b32 s0, exec_lo
	s_waitcnt vmcnt(5) lgkmcnt(1)
	v_fma_f64 v[2:3], v[116:117], v[134:135], 0
	s_waitcnt vmcnt(4)
	s_delay_alu instid0(VALU_DEP_1) | instskip(SKIP_4) | instid1(VALU_DEP_1)
	v_fma_f64 v[2:3], v[118:119], v[136:137], v[2:3]
	scratch_load_b128 v[116:119], off, off offset:376
	s_waitcnt lgkmcnt(0)
	v_fma_f64 v[2:3], v[120:121], v[138:139], v[2:3]
	s_waitcnt vmcnt(4)
	v_fma_f64 v[2:3], v[122:123], v[140:141], v[2:3]
	ds_load_b128 v[120:123], v1 offset:752
	ds_load_b128 v[134:137], v1 offset:768
	scratch_load_b128 v[138:141], off, off offset:392
	s_waitcnt lgkmcnt(1)
	v_fma_f64 v[2:3], v[124:125], v[120:121], v[2:3]
	s_waitcnt vmcnt(4)
	s_delay_alu instid0(VALU_DEP_1) | instskip(SKIP_4) | instid1(VALU_DEP_1)
	v_fma_f64 v[2:3], v[126:127], v[122:123], v[2:3]
	scratch_load_b128 v[120:123], off, off offset:408
	s_waitcnt lgkmcnt(0)
	v_fma_f64 v[2:3], v[128:129], v[134:135], v[2:3]
	s_waitcnt vmcnt(4)
	v_fma_f64 v[2:3], v[130:131], v[136:137], v[2:3]
	ds_load_b128 v[124:127], v1 offset:784
	ds_load_b128 v[128:131], v1 offset:800
	s_waitcnt lgkmcnt(1)
	v_fma_f64 v[2:3], v[132:133], v[124:125], v[2:3]
	scratch_load_b64 v[132:133], off, off offset:424
	s_waitcnt vmcnt(4)
	v_fma_f64 v[2:3], v[142:143], v[126:127], v[2:3]
	s_waitcnt lgkmcnt(0)
	s_delay_alu instid0(VALU_DEP_1) | instskip(SKIP_1) | instid1(VALU_DEP_1)
	v_fma_f64 v[2:3], v[144:145], v[128:129], v[2:3]
	s_waitcnt vmcnt(3)
	v_fma_f64 v[2:3], v[116:117], v[130:131], v[2:3]
	ds_load_b128 v[124:127], v1 offset:816
	ds_load_b128 v[128:131], v1 offset:832
	s_waitcnt lgkmcnt(1)
	v_fma_f64 v[2:3], v[118:119], v[124:125], v[2:3]
	s_waitcnt vmcnt(2)
	s_delay_alu instid0(VALU_DEP_1) | instskip(SKIP_1) | instid1(VALU_DEP_1)
	v_fma_f64 v[2:3], v[138:139], v[126:127], v[2:3]
	s_waitcnt lgkmcnt(0)
	v_fma_f64 v[2:3], v[140:141], v[128:129], v[2:3]
	s_waitcnt vmcnt(1)
	s_delay_alu instid0(VALU_DEP_1) | instskip(SKIP_4) | instid1(VALU_DEP_1)
	v_fma_f64 v[116:117], v[120:121], v[130:131], v[2:3]
	ds_load_b128 v[1:4], v1 offset:848
	s_waitcnt lgkmcnt(0)
	v_fma_f64 v[1:2], v[122:123], v[1:2], v[116:117]
	s_waitcnt vmcnt(0)
	v_fma_f64 v[1:2], v[132:133], v[3:4], v[1:2]
	s_delay_alu instid0(VALU_DEP_1)
	v_add_f64 v[1:2], v[114:115], -v[1:2]
	scratch_store_b64 off, v[1:2], off offset:280
	v_cmpx_lt_u32_e32 34, v0
	s_cbranch_execz .LBB53_265
; %bb.264:
	scratch_load_b64 v[1:2], off, off offset:272
	v_mov_b32_e32 v3, 0
	s_delay_alu instid0(VALU_DEP_1)
	v_mov_b32_e32 v4, v3
	scratch_store_b64 off, v[3:4], off offset:272
	s_waitcnt vmcnt(0)
	ds_store_b64 v5, v[1:2]
.LBB53_265:
	s_or_b32 exec_lo, exec_lo, s0
	s_waitcnt lgkmcnt(0)
	s_waitcnt_vscnt null, 0x0
	s_barrier
	buffer_gl0_inv
	s_clause 0x4
	scratch_load_b128 v[114:117], off, off offset:272
	scratch_load_b128 v[118:121], off, off offset:288
	;; [unrolled: 1-line block ×5, first 2 shown]
	v_mov_b32_e32 v1, 0
	ds_load_2addr_b64 v[134:137], v1 offset0:89 offset1:90
	ds_load_2addr_b64 v[138:141], v1 offset0:91 offset1:92
	scratch_load_b128 v[142:145], off, off offset:352
	s_mov_b32 s0, exec_lo
	s_waitcnt vmcnt(5) lgkmcnt(1)
	v_fma_f64 v[2:3], v[116:117], v[134:135], 0
	s_waitcnt vmcnt(4)
	s_delay_alu instid0(VALU_DEP_1) | instskip(SKIP_4) | instid1(VALU_DEP_1)
	v_fma_f64 v[2:3], v[118:119], v[136:137], v[2:3]
	scratch_load_b128 v[116:119], off, off offset:368
	s_waitcnt lgkmcnt(0)
	v_fma_f64 v[2:3], v[120:121], v[138:139], v[2:3]
	s_waitcnt vmcnt(4)
	v_fma_f64 v[2:3], v[122:123], v[140:141], v[2:3]
	ds_load_2addr_b64 v[120:123], v1 offset0:93 offset1:94
	ds_load_2addr_b64 v[134:137], v1 offset0:95 offset1:96
	scratch_load_b128 v[138:141], off, off offset:384
	s_waitcnt lgkmcnt(1)
	v_fma_f64 v[2:3], v[124:125], v[120:121], v[2:3]
	s_waitcnt vmcnt(4)
	s_delay_alu instid0(VALU_DEP_1) | instskip(SKIP_4) | instid1(VALU_DEP_1)
	v_fma_f64 v[2:3], v[126:127], v[122:123], v[2:3]
	scratch_load_b128 v[120:123], off, off offset:400
	s_waitcnt lgkmcnt(0)
	v_fma_f64 v[2:3], v[128:129], v[134:135], v[2:3]
	s_waitcnt vmcnt(4)
	v_fma_f64 v[2:3], v[130:131], v[136:137], v[2:3]
	ds_load_2addr_b64 v[124:127], v1 offset0:97 offset1:98
	ds_load_2addr_b64 v[128:131], v1 offset0:99 offset1:100
	s_waitcnt lgkmcnt(1)
	v_fma_f64 v[2:3], v[132:133], v[124:125], v[2:3]
	scratch_load_b128 v[132:135], off, off offset:416
	s_waitcnt vmcnt(4)
	v_fma_f64 v[2:3], v[142:143], v[126:127], v[2:3]
	s_waitcnt lgkmcnt(0)
	s_delay_alu instid0(VALU_DEP_1) | instskip(SKIP_1) | instid1(VALU_DEP_1)
	v_fma_f64 v[2:3], v[144:145], v[128:129], v[2:3]
	s_waitcnt vmcnt(3)
	v_fma_f64 v[2:3], v[116:117], v[130:131], v[2:3]
	ds_load_2addr_b64 v[124:127], v1 offset0:101 offset1:102
	ds_load_2addr_b64 v[128:131], v1 offset0:103 offset1:104
	s_waitcnt lgkmcnt(1)
	v_fma_f64 v[2:3], v[118:119], v[124:125], v[2:3]
	s_waitcnt vmcnt(2)
	s_delay_alu instid0(VALU_DEP_1) | instskip(SKIP_1) | instid1(VALU_DEP_1)
	v_fma_f64 v[2:3], v[138:139], v[126:127], v[2:3]
	s_waitcnt lgkmcnt(0)
	v_fma_f64 v[2:3], v[140:141], v[128:129], v[2:3]
	s_waitcnt vmcnt(1)
	s_delay_alu instid0(VALU_DEP_1)
	v_fma_f64 v[2:3], v[120:121], v[130:131], v[2:3]
	ds_load_2addr_b64 v[116:119], v1 offset0:105 offset1:106
	ds_load_b64 v[120:121], v1 offset:856
	s_waitcnt lgkmcnt(1)
	v_fma_f64 v[2:3], v[122:123], v[116:117], v[2:3]
	s_waitcnt vmcnt(0)
	s_delay_alu instid0(VALU_DEP_1) | instskip(SKIP_1) | instid1(VALU_DEP_1)
	v_fma_f64 v[2:3], v[132:133], v[118:119], v[2:3]
	s_waitcnt lgkmcnt(0)
	v_fma_f64 v[2:3], v[134:135], v[120:121], v[2:3]
	s_delay_alu instid0(VALU_DEP_1)
	v_add_f64 v[2:3], v[114:115], -v[2:3]
	scratch_store_b64 off, v[2:3], off offset:272
	v_cmpx_lt_u32_e32 33, v0
	s_cbranch_execz .LBB53_267
; %bb.266:
	scratch_load_b64 v[3:4], off, off offset:264
	v_mov_b32_e32 v2, v1
	scratch_store_b64 off, v[1:2], off offset:264
	s_waitcnt vmcnt(0)
	ds_store_b64 v5, v[3:4]
.LBB53_267:
	s_or_b32 exec_lo, exec_lo, s0
	s_waitcnt lgkmcnt(0)
	s_waitcnt_vscnt null, 0x0
	s_barrier
	buffer_gl0_inv
	s_clause 0x4
	scratch_load_b128 v[114:117], off, off offset:264
	scratch_load_b128 v[118:121], off, off offset:280
	;; [unrolled: 1-line block ×5, first 2 shown]
	ds_load_b128 v[134:137], v1 offset:704
	ds_load_b128 v[138:141], v1 offset:720
	scratch_load_b128 v[142:145], off, off offset:344
	s_mov_b32 s0, exec_lo
	s_waitcnt vmcnt(5) lgkmcnt(1)
	v_fma_f64 v[2:3], v[116:117], v[134:135], 0
	s_waitcnt vmcnt(4)
	s_delay_alu instid0(VALU_DEP_1) | instskip(SKIP_4) | instid1(VALU_DEP_1)
	v_fma_f64 v[2:3], v[118:119], v[136:137], v[2:3]
	scratch_load_b128 v[116:119], off, off offset:360
	s_waitcnt lgkmcnt(0)
	v_fma_f64 v[2:3], v[120:121], v[138:139], v[2:3]
	s_waitcnt vmcnt(4)
	v_fma_f64 v[2:3], v[122:123], v[140:141], v[2:3]
	ds_load_b128 v[120:123], v1 offset:736
	ds_load_b128 v[134:137], v1 offset:752
	scratch_load_b128 v[138:141], off, off offset:376
	s_waitcnt lgkmcnt(1)
	v_fma_f64 v[2:3], v[124:125], v[120:121], v[2:3]
	s_waitcnt vmcnt(4)
	s_delay_alu instid0(VALU_DEP_1) | instskip(SKIP_4) | instid1(VALU_DEP_1)
	v_fma_f64 v[2:3], v[126:127], v[122:123], v[2:3]
	scratch_load_b128 v[120:123], off, off offset:392
	s_waitcnt lgkmcnt(0)
	v_fma_f64 v[2:3], v[128:129], v[134:135], v[2:3]
	s_waitcnt vmcnt(4)
	v_fma_f64 v[2:3], v[130:131], v[136:137], v[2:3]
	ds_load_b128 v[124:127], v1 offset:768
	ds_load_b128 v[128:131], v1 offset:784
	scratch_load_b64 v[136:137], off, off offset:424
	s_waitcnt lgkmcnt(1)
	v_fma_f64 v[2:3], v[132:133], v[124:125], v[2:3]
	scratch_load_b128 v[132:135], off, off offset:408
	s_waitcnt vmcnt(5)
	v_fma_f64 v[2:3], v[142:143], v[126:127], v[2:3]
	s_waitcnt lgkmcnt(0)
	s_delay_alu instid0(VALU_DEP_1) | instskip(SKIP_1) | instid1(VALU_DEP_1)
	v_fma_f64 v[2:3], v[144:145], v[128:129], v[2:3]
	s_waitcnt vmcnt(4)
	v_fma_f64 v[2:3], v[116:117], v[130:131], v[2:3]
	ds_load_b128 v[124:127], v1 offset:800
	ds_load_b128 v[128:131], v1 offset:816
	s_waitcnt lgkmcnt(1)
	v_fma_f64 v[2:3], v[118:119], v[124:125], v[2:3]
	s_waitcnt vmcnt(3)
	s_delay_alu instid0(VALU_DEP_1) | instskip(SKIP_1) | instid1(VALU_DEP_1)
	v_fma_f64 v[2:3], v[138:139], v[126:127], v[2:3]
	s_waitcnt lgkmcnt(0)
	v_fma_f64 v[2:3], v[140:141], v[128:129], v[2:3]
	s_waitcnt vmcnt(2)
	s_delay_alu instid0(VALU_DEP_1)
	v_fma_f64 v[120:121], v[120:121], v[130:131], v[2:3]
	ds_load_b128 v[116:119], v1 offset:832
	ds_load_b128 v[1:4], v1 offset:848
	s_waitcnt lgkmcnt(1)
	v_fma_f64 v[116:117], v[122:123], v[116:117], v[120:121]
	s_waitcnt vmcnt(0)
	s_delay_alu instid0(VALU_DEP_1) | instskip(SKIP_1) | instid1(VALU_DEP_1)
	v_fma_f64 v[116:117], v[132:133], v[118:119], v[116:117]
	s_waitcnt lgkmcnt(0)
	v_fma_f64 v[1:2], v[134:135], v[1:2], v[116:117]
	s_delay_alu instid0(VALU_DEP_1) | instskip(NEXT) | instid1(VALU_DEP_1)
	v_fma_f64 v[1:2], v[136:137], v[3:4], v[1:2]
	v_add_f64 v[1:2], v[114:115], -v[1:2]
	scratch_store_b64 off, v[1:2], off offset:264
	v_cmpx_lt_u32_e32 32, v0
	s_cbranch_execz .LBB53_269
; %bb.268:
	scratch_load_b64 v[1:2], off, off offset:256
	v_mov_b32_e32 v3, 0
	s_delay_alu instid0(VALU_DEP_1)
	v_mov_b32_e32 v4, v3
	scratch_store_b64 off, v[3:4], off offset:256
	s_waitcnt vmcnt(0)
	ds_store_b64 v5, v[1:2]
.LBB53_269:
	s_or_b32 exec_lo, exec_lo, s0
	s_waitcnt lgkmcnt(0)
	s_waitcnt_vscnt null, 0x0
	s_barrier
	buffer_gl0_inv
	s_clause 0x4
	scratch_load_b128 v[114:117], off, off offset:256
	scratch_load_b128 v[118:121], off, off offset:272
	scratch_load_b128 v[122:125], off, off offset:288
	scratch_load_b128 v[126:129], off, off offset:304
	scratch_load_b128 v[130:133], off, off offset:320
	v_mov_b32_e32 v1, 0
	ds_load_2addr_b64 v[134:137], v1 offset0:87 offset1:88
	ds_load_2addr_b64 v[138:141], v1 offset0:89 offset1:90
	scratch_load_b128 v[142:145], off, off offset:336
	s_mov_b32 s0, exec_lo
	s_waitcnt vmcnt(5) lgkmcnt(1)
	v_fma_f64 v[2:3], v[116:117], v[134:135], 0
	s_waitcnt vmcnt(4)
	s_delay_alu instid0(VALU_DEP_1) | instskip(SKIP_4) | instid1(VALU_DEP_1)
	v_fma_f64 v[2:3], v[118:119], v[136:137], v[2:3]
	scratch_load_b128 v[116:119], off, off offset:352
	s_waitcnt lgkmcnt(0)
	v_fma_f64 v[2:3], v[120:121], v[138:139], v[2:3]
	s_waitcnt vmcnt(4)
	v_fma_f64 v[2:3], v[122:123], v[140:141], v[2:3]
	ds_load_2addr_b64 v[120:123], v1 offset0:91 offset1:92
	ds_load_2addr_b64 v[134:137], v1 offset0:93 offset1:94
	scratch_load_b128 v[138:141], off, off offset:368
	s_waitcnt lgkmcnt(1)
	v_fma_f64 v[2:3], v[124:125], v[120:121], v[2:3]
	s_waitcnt vmcnt(4)
	s_delay_alu instid0(VALU_DEP_1) | instskip(SKIP_4) | instid1(VALU_DEP_1)
	v_fma_f64 v[2:3], v[126:127], v[122:123], v[2:3]
	scratch_load_b128 v[120:123], off, off offset:384
	s_waitcnt lgkmcnt(0)
	v_fma_f64 v[2:3], v[128:129], v[134:135], v[2:3]
	s_waitcnt vmcnt(4)
	v_fma_f64 v[2:3], v[130:131], v[136:137], v[2:3]
	ds_load_2addr_b64 v[124:127], v1 offset0:95 offset1:96
	ds_load_2addr_b64 v[128:131], v1 offset0:97 offset1:98
	s_waitcnt lgkmcnt(1)
	v_fma_f64 v[2:3], v[132:133], v[124:125], v[2:3]
	scratch_load_b128 v[132:135], off, off offset:400
	s_waitcnt vmcnt(4)
	v_fma_f64 v[2:3], v[142:143], v[126:127], v[2:3]
	scratch_load_b128 v[124:127], off, off offset:416
	s_waitcnt lgkmcnt(0)
	v_fma_f64 v[2:3], v[144:145], v[128:129], v[2:3]
	s_waitcnt vmcnt(4)
	s_delay_alu instid0(VALU_DEP_1)
	v_fma_f64 v[2:3], v[116:117], v[130:131], v[2:3]
	ds_load_2addr_b64 v[128:131], v1 offset0:99 offset1:100
	ds_load_2addr_b64 v[142:145], v1 offset0:101 offset1:102
	s_waitcnt lgkmcnt(1)
	v_fma_f64 v[2:3], v[118:119], v[128:129], v[2:3]
	s_waitcnt vmcnt(3)
	s_delay_alu instid0(VALU_DEP_1)
	v_fma_f64 v[2:3], v[138:139], v[130:131], v[2:3]
	ds_load_2addr_b64 v[116:119], v1 offset0:103 offset1:104
	ds_load_2addr_b64 v[128:131], v1 offset0:105 offset1:106
	s_waitcnt lgkmcnt(2)
	v_fma_f64 v[2:3], v[140:141], v[142:143], v[2:3]
	s_waitcnt vmcnt(2)
	s_delay_alu instid0(VALU_DEP_1) | instskip(SKIP_1) | instid1(VALU_DEP_1)
	v_fma_f64 v[2:3], v[120:121], v[144:145], v[2:3]
	s_waitcnt lgkmcnt(1)
	v_fma_f64 v[2:3], v[122:123], v[116:117], v[2:3]
	ds_load_b64 v[116:117], v1 offset:856
	s_waitcnt vmcnt(1)
	v_fma_f64 v[2:3], v[132:133], v[118:119], v[2:3]
	s_waitcnt lgkmcnt(1)
	s_delay_alu instid0(VALU_DEP_1) | instskip(SKIP_1) | instid1(VALU_DEP_1)
	v_fma_f64 v[2:3], v[134:135], v[128:129], v[2:3]
	s_waitcnt vmcnt(0)
	v_fma_f64 v[2:3], v[124:125], v[130:131], v[2:3]
	s_waitcnt lgkmcnt(0)
	s_delay_alu instid0(VALU_DEP_1) | instskip(NEXT) | instid1(VALU_DEP_1)
	v_fma_f64 v[2:3], v[126:127], v[116:117], v[2:3]
	v_add_f64 v[2:3], v[114:115], -v[2:3]
	scratch_store_b64 off, v[2:3], off offset:256
	v_cmpx_lt_u32_e32 31, v0
	s_cbranch_execz .LBB53_271
; %bb.270:
	scratch_load_b64 v[3:4], off, off offset:248
	v_mov_b32_e32 v2, v1
	scratch_store_b64 off, v[1:2], off offset:248
	s_waitcnt vmcnt(0)
	ds_store_b64 v5, v[3:4]
.LBB53_271:
	s_or_b32 exec_lo, exec_lo, s0
	s_waitcnt lgkmcnt(0)
	s_waitcnt_vscnt null, 0x0
	s_barrier
	buffer_gl0_inv
	s_clause 0x4
	scratch_load_b128 v[114:117], off, off offset:248
	scratch_load_b128 v[118:121], off, off offset:264
	;; [unrolled: 1-line block ×5, first 2 shown]
	ds_load_b128 v[134:137], v1 offset:688
	ds_load_b128 v[138:141], v1 offset:704
	scratch_load_b128 v[142:145], off, off offset:328
	s_mov_b32 s0, exec_lo
	s_waitcnt vmcnt(5) lgkmcnt(1)
	v_fma_f64 v[2:3], v[116:117], v[134:135], 0
	s_waitcnt vmcnt(4)
	s_delay_alu instid0(VALU_DEP_1) | instskip(SKIP_4) | instid1(VALU_DEP_1)
	v_fma_f64 v[2:3], v[118:119], v[136:137], v[2:3]
	scratch_load_b128 v[116:119], off, off offset:344
	s_waitcnt lgkmcnt(0)
	v_fma_f64 v[2:3], v[120:121], v[138:139], v[2:3]
	s_waitcnt vmcnt(4)
	v_fma_f64 v[2:3], v[122:123], v[140:141], v[2:3]
	ds_load_b128 v[120:123], v1 offset:720
	ds_load_b128 v[134:137], v1 offset:736
	scratch_load_b128 v[138:141], off, off offset:360
	s_waitcnt lgkmcnt(1)
	v_fma_f64 v[2:3], v[124:125], v[120:121], v[2:3]
	s_waitcnt vmcnt(4)
	s_delay_alu instid0(VALU_DEP_1) | instskip(SKIP_4) | instid1(VALU_DEP_1)
	v_fma_f64 v[2:3], v[126:127], v[122:123], v[2:3]
	scratch_load_b128 v[120:123], off, off offset:376
	s_waitcnt lgkmcnt(0)
	v_fma_f64 v[2:3], v[128:129], v[134:135], v[2:3]
	s_waitcnt vmcnt(4)
	v_fma_f64 v[2:3], v[130:131], v[136:137], v[2:3]
	ds_load_b128 v[124:127], v1 offset:752
	ds_load_b128 v[128:131], v1 offset:768
	s_waitcnt lgkmcnt(1)
	v_fma_f64 v[2:3], v[132:133], v[124:125], v[2:3]
	scratch_load_b128 v[132:135], off, off offset:392
	s_waitcnt vmcnt(4)
	v_fma_f64 v[2:3], v[142:143], v[126:127], v[2:3]
	scratch_load_b128 v[124:127], off, off offset:408
	s_waitcnt lgkmcnt(0)
	v_fma_f64 v[2:3], v[144:145], v[128:129], v[2:3]
	s_waitcnt vmcnt(4)
	s_delay_alu instid0(VALU_DEP_1)
	v_fma_f64 v[2:3], v[116:117], v[130:131], v[2:3]
	ds_load_b128 v[128:131], v1 offset:784
	ds_load_b128 v[142:145], v1 offset:800
	scratch_load_b64 v[136:137], off, off offset:424
	s_waitcnt lgkmcnt(1)
	v_fma_f64 v[2:3], v[118:119], v[128:129], v[2:3]
	s_waitcnt vmcnt(4)
	s_delay_alu instid0(VALU_DEP_1)
	v_fma_f64 v[2:3], v[138:139], v[130:131], v[2:3]
	ds_load_b128 v[116:119], v1 offset:816
	ds_load_b128 v[128:131], v1 offset:832
	s_waitcnt lgkmcnt(2)
	v_fma_f64 v[2:3], v[140:141], v[142:143], v[2:3]
	s_waitcnt vmcnt(3)
	s_delay_alu instid0(VALU_DEP_1) | instskip(SKIP_1) | instid1(VALU_DEP_1)
	v_fma_f64 v[2:3], v[120:121], v[144:145], v[2:3]
	s_waitcnt lgkmcnt(1)
	v_fma_f64 v[2:3], v[122:123], v[116:117], v[2:3]
	s_waitcnt vmcnt(2)
	s_delay_alu instid0(VALU_DEP_1) | instskip(SKIP_1) | instid1(VALU_DEP_1)
	v_fma_f64 v[2:3], v[132:133], v[118:119], v[2:3]
	s_waitcnt lgkmcnt(0)
	v_fma_f64 v[2:3], v[134:135], v[128:129], v[2:3]
	s_waitcnt vmcnt(1)
	s_delay_alu instid0(VALU_DEP_1) | instskip(SKIP_4) | instid1(VALU_DEP_1)
	v_fma_f64 v[116:117], v[124:125], v[130:131], v[2:3]
	ds_load_b128 v[1:4], v1 offset:848
	s_waitcnt lgkmcnt(0)
	v_fma_f64 v[1:2], v[126:127], v[1:2], v[116:117]
	s_waitcnt vmcnt(0)
	v_fma_f64 v[1:2], v[136:137], v[3:4], v[1:2]
	s_delay_alu instid0(VALU_DEP_1)
	v_add_f64 v[1:2], v[114:115], -v[1:2]
	scratch_store_b64 off, v[1:2], off offset:248
	v_cmpx_lt_u32_e32 30, v0
	s_cbranch_execz .LBB53_273
; %bb.272:
	scratch_load_b64 v[1:2], off, off offset:240
	v_mov_b32_e32 v3, 0
	s_delay_alu instid0(VALU_DEP_1)
	v_mov_b32_e32 v4, v3
	scratch_store_b64 off, v[3:4], off offset:240
	s_waitcnt vmcnt(0)
	ds_store_b64 v5, v[1:2]
.LBB53_273:
	s_or_b32 exec_lo, exec_lo, s0
	s_waitcnt lgkmcnt(0)
	s_waitcnt_vscnt null, 0x0
	s_barrier
	buffer_gl0_inv
	s_clause 0x4
	scratch_load_b128 v[114:117], off, off offset:240
	scratch_load_b128 v[118:121], off, off offset:256
	;; [unrolled: 1-line block ×5, first 2 shown]
	v_mov_b32_e32 v1, 0
	ds_load_2addr_b64 v[134:137], v1 offset0:85 offset1:86
	ds_load_2addr_b64 v[138:141], v1 offset0:87 offset1:88
	scratch_load_b128 v[142:145], off, off offset:320
	s_mov_b32 s0, exec_lo
	s_waitcnt vmcnt(5) lgkmcnt(1)
	v_fma_f64 v[2:3], v[116:117], v[134:135], 0
	s_waitcnt vmcnt(4)
	s_delay_alu instid0(VALU_DEP_1) | instskip(SKIP_4) | instid1(VALU_DEP_1)
	v_fma_f64 v[2:3], v[118:119], v[136:137], v[2:3]
	scratch_load_b128 v[116:119], off, off offset:336
	s_waitcnt lgkmcnt(0)
	v_fma_f64 v[2:3], v[120:121], v[138:139], v[2:3]
	s_waitcnt vmcnt(4)
	v_fma_f64 v[2:3], v[122:123], v[140:141], v[2:3]
	ds_load_2addr_b64 v[120:123], v1 offset0:89 offset1:90
	ds_load_2addr_b64 v[134:137], v1 offset0:91 offset1:92
	scratch_load_b128 v[138:141], off, off offset:352
	s_waitcnt lgkmcnt(1)
	v_fma_f64 v[2:3], v[124:125], v[120:121], v[2:3]
	s_waitcnt vmcnt(4)
	s_delay_alu instid0(VALU_DEP_1) | instskip(SKIP_4) | instid1(VALU_DEP_1)
	v_fma_f64 v[2:3], v[126:127], v[122:123], v[2:3]
	scratch_load_b128 v[120:123], off, off offset:368
	s_waitcnt lgkmcnt(0)
	v_fma_f64 v[2:3], v[128:129], v[134:135], v[2:3]
	s_waitcnt vmcnt(4)
	v_fma_f64 v[2:3], v[130:131], v[136:137], v[2:3]
	ds_load_2addr_b64 v[124:127], v1 offset0:93 offset1:94
	ds_load_2addr_b64 v[128:131], v1 offset0:95 offset1:96
	s_waitcnt lgkmcnt(1)
	v_fma_f64 v[2:3], v[132:133], v[124:125], v[2:3]
	scratch_load_b128 v[132:135], off, off offset:384
	s_waitcnt vmcnt(4)
	v_fma_f64 v[2:3], v[142:143], v[126:127], v[2:3]
	scratch_load_b128 v[124:127], off, off offset:400
	s_waitcnt lgkmcnt(0)
	v_fma_f64 v[2:3], v[144:145], v[128:129], v[2:3]
	s_waitcnt vmcnt(4)
	s_delay_alu instid0(VALU_DEP_1)
	v_fma_f64 v[2:3], v[116:117], v[130:131], v[2:3]
	ds_load_2addr_b64 v[128:131], v1 offset0:97 offset1:98
	ds_load_2addr_b64 v[142:145], v1 offset0:99 offset1:100
	s_waitcnt lgkmcnt(1)
	v_fma_f64 v[2:3], v[118:119], v[128:129], v[2:3]
	scratch_load_b128 v[116:119], off, off offset:416
	s_waitcnt vmcnt(4)
	v_fma_f64 v[2:3], v[138:139], v[130:131], v[2:3]
	ds_load_2addr_b64 v[128:131], v1 offset0:101 offset1:102
	ds_load_2addr_b64 v[136:139], v1 offset0:103 offset1:104
	s_waitcnt lgkmcnt(2)
	v_fma_f64 v[2:3], v[140:141], v[142:143], v[2:3]
	s_waitcnt vmcnt(3)
	s_delay_alu instid0(VALU_DEP_1) | instskip(SKIP_1) | instid1(VALU_DEP_1)
	v_fma_f64 v[2:3], v[120:121], v[144:145], v[2:3]
	s_waitcnt lgkmcnt(1)
	v_fma_f64 v[2:3], v[122:123], v[128:129], v[2:3]
	s_waitcnt vmcnt(2)
	s_delay_alu instid0(VALU_DEP_1) | instskip(SKIP_1) | instid1(VALU_DEP_1)
	v_fma_f64 v[2:3], v[132:133], v[130:131], v[2:3]
	s_waitcnt lgkmcnt(0)
	v_fma_f64 v[2:3], v[134:135], v[136:137], v[2:3]
	s_waitcnt vmcnt(1)
	s_delay_alu instid0(VALU_DEP_1)
	v_fma_f64 v[2:3], v[124:125], v[138:139], v[2:3]
	ds_load_2addr_b64 v[120:123], v1 offset0:105 offset1:106
	ds_load_b64 v[124:125], v1 offset:856
	s_waitcnt lgkmcnt(1)
	v_fma_f64 v[2:3], v[126:127], v[120:121], v[2:3]
	s_waitcnt vmcnt(0)
	s_delay_alu instid0(VALU_DEP_1) | instskip(SKIP_1) | instid1(VALU_DEP_1)
	v_fma_f64 v[2:3], v[116:117], v[122:123], v[2:3]
	s_waitcnt lgkmcnt(0)
	v_fma_f64 v[2:3], v[118:119], v[124:125], v[2:3]
	s_delay_alu instid0(VALU_DEP_1)
	v_add_f64 v[2:3], v[114:115], -v[2:3]
	scratch_store_b64 off, v[2:3], off offset:240
	v_cmpx_lt_u32_e32 29, v0
	s_cbranch_execz .LBB53_275
; %bb.274:
	scratch_load_b64 v[3:4], off, off offset:232
	v_mov_b32_e32 v2, v1
	scratch_store_b64 off, v[1:2], off offset:232
	s_waitcnt vmcnt(0)
	ds_store_b64 v5, v[3:4]
.LBB53_275:
	s_or_b32 exec_lo, exec_lo, s0
	s_waitcnt lgkmcnt(0)
	s_waitcnt_vscnt null, 0x0
	s_barrier
	buffer_gl0_inv
	s_clause 0x4
	scratch_load_b128 v[114:117], off, off offset:232
	scratch_load_b128 v[118:121], off, off offset:248
	;; [unrolled: 1-line block ×5, first 2 shown]
	ds_load_b128 v[134:137], v1 offset:672
	ds_load_b128 v[138:141], v1 offset:688
	scratch_load_b128 v[142:145], off, off offset:312
	s_mov_b32 s0, exec_lo
	s_waitcnt vmcnt(5) lgkmcnt(1)
	v_fma_f64 v[2:3], v[116:117], v[134:135], 0
	s_waitcnt vmcnt(4)
	s_delay_alu instid0(VALU_DEP_1) | instskip(SKIP_4) | instid1(VALU_DEP_1)
	v_fma_f64 v[2:3], v[118:119], v[136:137], v[2:3]
	scratch_load_b128 v[116:119], off, off offset:328
	s_waitcnt lgkmcnt(0)
	v_fma_f64 v[2:3], v[120:121], v[138:139], v[2:3]
	s_waitcnt vmcnt(4)
	v_fma_f64 v[2:3], v[122:123], v[140:141], v[2:3]
	ds_load_b128 v[120:123], v1 offset:704
	ds_load_b128 v[134:137], v1 offset:720
	scratch_load_b128 v[138:141], off, off offset:344
	s_waitcnt lgkmcnt(1)
	v_fma_f64 v[2:3], v[124:125], v[120:121], v[2:3]
	s_waitcnt vmcnt(4)
	s_delay_alu instid0(VALU_DEP_1) | instskip(SKIP_4) | instid1(VALU_DEP_1)
	v_fma_f64 v[2:3], v[126:127], v[122:123], v[2:3]
	scratch_load_b128 v[120:123], off, off offset:360
	s_waitcnt lgkmcnt(0)
	v_fma_f64 v[2:3], v[128:129], v[134:135], v[2:3]
	s_waitcnt vmcnt(4)
	v_fma_f64 v[2:3], v[130:131], v[136:137], v[2:3]
	ds_load_b128 v[124:127], v1 offset:736
	ds_load_b128 v[128:131], v1 offset:752
	s_waitcnt lgkmcnt(1)
	v_fma_f64 v[2:3], v[132:133], v[124:125], v[2:3]
	scratch_load_b128 v[132:135], off, off offset:376
	s_waitcnt vmcnt(4)
	v_fma_f64 v[2:3], v[142:143], v[126:127], v[2:3]
	scratch_load_b128 v[124:127], off, off offset:392
	s_waitcnt lgkmcnt(0)
	v_fma_f64 v[2:3], v[144:145], v[128:129], v[2:3]
	s_waitcnt vmcnt(4)
	s_delay_alu instid0(VALU_DEP_1)
	v_fma_f64 v[2:3], v[116:117], v[130:131], v[2:3]
	ds_load_b128 v[128:131], v1 offset:768
	ds_load_b128 v[142:145], v1 offset:784
	s_waitcnt lgkmcnt(1)
	v_fma_f64 v[2:3], v[118:119], v[128:129], v[2:3]
	scratch_load_b128 v[116:119], off, off offset:408
	s_waitcnt vmcnt(4)
	v_fma_f64 v[2:3], v[138:139], v[130:131], v[2:3]
	s_waitcnt lgkmcnt(0)
	s_delay_alu instid0(VALU_DEP_1)
	v_fma_f64 v[2:3], v[140:141], v[142:143], v[2:3]
	scratch_load_b64 v[140:141], off, off offset:424
	ds_load_b128 v[128:131], v1 offset:800
	ds_load_b128 v[136:139], v1 offset:816
	s_waitcnt vmcnt(4)
	v_fma_f64 v[2:3], v[120:121], v[144:145], v[2:3]
	s_waitcnt lgkmcnt(1)
	s_delay_alu instid0(VALU_DEP_1) | instskip(SKIP_1) | instid1(VALU_DEP_1)
	v_fma_f64 v[2:3], v[122:123], v[128:129], v[2:3]
	s_waitcnt vmcnt(3)
	v_fma_f64 v[2:3], v[132:133], v[130:131], v[2:3]
	s_waitcnt lgkmcnt(0)
	s_delay_alu instid0(VALU_DEP_1) | instskip(SKIP_1) | instid1(VALU_DEP_1)
	v_fma_f64 v[2:3], v[134:135], v[136:137], v[2:3]
	s_waitcnt vmcnt(2)
	v_fma_f64 v[124:125], v[124:125], v[138:139], v[2:3]
	ds_load_b128 v[120:123], v1 offset:832
	ds_load_b128 v[1:4], v1 offset:848
	s_waitcnt lgkmcnt(1)
	v_fma_f64 v[120:121], v[126:127], v[120:121], v[124:125]
	s_waitcnt vmcnt(1)
	s_delay_alu instid0(VALU_DEP_1) | instskip(SKIP_1) | instid1(VALU_DEP_1)
	v_fma_f64 v[116:117], v[116:117], v[122:123], v[120:121]
	s_waitcnt lgkmcnt(0)
	v_fma_f64 v[1:2], v[118:119], v[1:2], v[116:117]
	s_waitcnt vmcnt(0)
	s_delay_alu instid0(VALU_DEP_1) | instskip(NEXT) | instid1(VALU_DEP_1)
	v_fma_f64 v[1:2], v[140:141], v[3:4], v[1:2]
	v_add_f64 v[1:2], v[114:115], -v[1:2]
	scratch_store_b64 off, v[1:2], off offset:232
	v_cmpx_lt_u32_e32 28, v0
	s_cbranch_execz .LBB53_277
; %bb.276:
	scratch_load_b64 v[1:2], off, off offset:224
	v_mov_b32_e32 v3, 0
	s_delay_alu instid0(VALU_DEP_1)
	v_mov_b32_e32 v4, v3
	scratch_store_b64 off, v[3:4], off offset:224
	s_waitcnt vmcnt(0)
	ds_store_b64 v5, v[1:2]
.LBB53_277:
	s_or_b32 exec_lo, exec_lo, s0
	s_waitcnt lgkmcnt(0)
	s_waitcnt_vscnt null, 0x0
	s_barrier
	buffer_gl0_inv
	s_clause 0x4
	scratch_load_b128 v[114:117], off, off offset:224
	scratch_load_b128 v[118:121], off, off offset:240
	;; [unrolled: 1-line block ×5, first 2 shown]
	v_mov_b32_e32 v1, 0
	ds_load_2addr_b64 v[134:137], v1 offset0:83 offset1:84
	ds_load_2addr_b64 v[138:141], v1 offset0:85 offset1:86
	scratch_load_b128 v[142:145], off, off offset:304
	s_mov_b32 s0, exec_lo
	s_waitcnt vmcnt(5) lgkmcnt(1)
	v_fma_f64 v[2:3], v[116:117], v[134:135], 0
	s_waitcnt vmcnt(4)
	s_delay_alu instid0(VALU_DEP_1) | instskip(SKIP_4) | instid1(VALU_DEP_1)
	v_fma_f64 v[2:3], v[118:119], v[136:137], v[2:3]
	scratch_load_b128 v[116:119], off, off offset:320
	s_waitcnt lgkmcnt(0)
	v_fma_f64 v[2:3], v[120:121], v[138:139], v[2:3]
	s_waitcnt vmcnt(4)
	v_fma_f64 v[2:3], v[122:123], v[140:141], v[2:3]
	ds_load_2addr_b64 v[120:123], v1 offset0:87 offset1:88
	ds_load_2addr_b64 v[134:137], v1 offset0:89 offset1:90
	scratch_load_b128 v[138:141], off, off offset:336
	s_waitcnt lgkmcnt(1)
	v_fma_f64 v[2:3], v[124:125], v[120:121], v[2:3]
	s_waitcnt vmcnt(4)
	s_delay_alu instid0(VALU_DEP_1) | instskip(SKIP_4) | instid1(VALU_DEP_1)
	v_fma_f64 v[2:3], v[126:127], v[122:123], v[2:3]
	scratch_load_b128 v[120:123], off, off offset:352
	s_waitcnt lgkmcnt(0)
	v_fma_f64 v[2:3], v[128:129], v[134:135], v[2:3]
	s_waitcnt vmcnt(4)
	v_fma_f64 v[2:3], v[130:131], v[136:137], v[2:3]
	ds_load_2addr_b64 v[124:127], v1 offset0:91 offset1:92
	ds_load_2addr_b64 v[128:131], v1 offset0:93 offset1:94
	s_waitcnt lgkmcnt(1)
	v_fma_f64 v[2:3], v[132:133], v[124:125], v[2:3]
	scratch_load_b128 v[132:135], off, off offset:368
	s_waitcnt vmcnt(4)
	v_fma_f64 v[2:3], v[142:143], v[126:127], v[2:3]
	scratch_load_b128 v[124:127], off, off offset:384
	s_waitcnt lgkmcnt(0)
	v_fma_f64 v[2:3], v[144:145], v[128:129], v[2:3]
	s_waitcnt vmcnt(4)
	s_delay_alu instid0(VALU_DEP_1)
	v_fma_f64 v[2:3], v[116:117], v[130:131], v[2:3]
	ds_load_2addr_b64 v[128:131], v1 offset0:95 offset1:96
	ds_load_2addr_b64 v[142:145], v1 offset0:97 offset1:98
	s_waitcnt lgkmcnt(1)
	v_fma_f64 v[2:3], v[118:119], v[128:129], v[2:3]
	scratch_load_b128 v[116:119], off, off offset:400
	s_waitcnt vmcnt(4)
	v_fma_f64 v[2:3], v[138:139], v[130:131], v[2:3]
	scratch_load_b128 v[128:131], off, off offset:416
	s_waitcnt lgkmcnt(0)
	v_fma_f64 v[2:3], v[140:141], v[142:143], v[2:3]
	ds_load_2addr_b64 v[136:139], v1 offset0:99 offset1:100
	ds_load_2addr_b64 v[140:143], v1 offset0:101 offset1:102
	s_waitcnt vmcnt(4)
	v_fma_f64 v[2:3], v[120:121], v[144:145], v[2:3]
	s_waitcnt lgkmcnt(1)
	s_delay_alu instid0(VALU_DEP_1) | instskip(SKIP_1) | instid1(VALU_DEP_1)
	v_fma_f64 v[2:3], v[122:123], v[136:137], v[2:3]
	s_waitcnt vmcnt(3)
	v_fma_f64 v[2:3], v[132:133], v[138:139], v[2:3]
	s_waitcnt lgkmcnt(0)
	s_delay_alu instid0(VALU_DEP_1)
	v_fma_f64 v[2:3], v[134:135], v[140:141], v[2:3]
	ds_load_2addr_b64 v[120:123], v1 offset0:103 offset1:104
	ds_load_2addr_b64 v[132:135], v1 offset0:105 offset1:106
	s_waitcnt vmcnt(2)
	v_fma_f64 v[2:3], v[124:125], v[142:143], v[2:3]
	s_waitcnt lgkmcnt(1)
	s_delay_alu instid0(VALU_DEP_1) | instskip(SKIP_1) | instid1(VALU_DEP_1)
	v_fma_f64 v[2:3], v[126:127], v[120:121], v[2:3]
	s_waitcnt vmcnt(1)
	v_fma_f64 v[2:3], v[116:117], v[122:123], v[2:3]
	ds_load_b64 v[116:117], v1 offset:856
	s_waitcnt lgkmcnt(1)
	v_fma_f64 v[2:3], v[118:119], v[132:133], v[2:3]
	s_waitcnt vmcnt(0)
	s_delay_alu instid0(VALU_DEP_1) | instskip(SKIP_1) | instid1(VALU_DEP_1)
	v_fma_f64 v[2:3], v[128:129], v[134:135], v[2:3]
	s_waitcnt lgkmcnt(0)
	v_fma_f64 v[2:3], v[130:131], v[116:117], v[2:3]
	s_delay_alu instid0(VALU_DEP_1)
	v_add_f64 v[2:3], v[114:115], -v[2:3]
	scratch_store_b64 off, v[2:3], off offset:224
	v_cmpx_lt_u32_e32 27, v0
	s_cbranch_execz .LBB53_279
; %bb.278:
	scratch_load_b64 v[3:4], off, off offset:216
	v_mov_b32_e32 v2, v1
	scratch_store_b64 off, v[1:2], off offset:216
	s_waitcnt vmcnt(0)
	ds_store_b64 v5, v[3:4]
.LBB53_279:
	s_or_b32 exec_lo, exec_lo, s0
	s_waitcnt lgkmcnt(0)
	s_waitcnt_vscnt null, 0x0
	s_barrier
	buffer_gl0_inv
	s_clause 0x4
	scratch_load_b128 v[114:117], off, off offset:216
	scratch_load_b128 v[118:121], off, off offset:232
	;; [unrolled: 1-line block ×5, first 2 shown]
	ds_load_b128 v[134:137], v1 offset:656
	ds_load_b128 v[138:141], v1 offset:672
	scratch_load_b128 v[142:145], off, off offset:296
	s_mov_b32 s0, exec_lo
	s_waitcnt vmcnt(5) lgkmcnt(1)
	v_fma_f64 v[2:3], v[116:117], v[134:135], 0
	s_waitcnt vmcnt(4)
	s_delay_alu instid0(VALU_DEP_1) | instskip(SKIP_4) | instid1(VALU_DEP_1)
	v_fma_f64 v[2:3], v[118:119], v[136:137], v[2:3]
	scratch_load_b128 v[116:119], off, off offset:312
	s_waitcnt lgkmcnt(0)
	v_fma_f64 v[2:3], v[120:121], v[138:139], v[2:3]
	s_waitcnt vmcnt(4)
	v_fma_f64 v[2:3], v[122:123], v[140:141], v[2:3]
	ds_load_b128 v[120:123], v1 offset:688
	ds_load_b128 v[134:137], v1 offset:704
	scratch_load_b128 v[138:141], off, off offset:328
	s_waitcnt lgkmcnt(1)
	v_fma_f64 v[2:3], v[124:125], v[120:121], v[2:3]
	s_waitcnt vmcnt(4)
	s_delay_alu instid0(VALU_DEP_1) | instskip(SKIP_4) | instid1(VALU_DEP_1)
	v_fma_f64 v[2:3], v[126:127], v[122:123], v[2:3]
	scratch_load_b128 v[120:123], off, off offset:344
	s_waitcnt lgkmcnt(0)
	v_fma_f64 v[2:3], v[128:129], v[134:135], v[2:3]
	s_waitcnt vmcnt(4)
	v_fma_f64 v[2:3], v[130:131], v[136:137], v[2:3]
	ds_load_b128 v[124:127], v1 offset:720
	ds_load_b128 v[128:131], v1 offset:736
	s_waitcnt lgkmcnt(1)
	v_fma_f64 v[2:3], v[132:133], v[124:125], v[2:3]
	scratch_load_b128 v[132:135], off, off offset:360
	s_waitcnt vmcnt(4)
	v_fma_f64 v[2:3], v[142:143], v[126:127], v[2:3]
	scratch_load_b128 v[124:127], off, off offset:376
	s_waitcnt lgkmcnt(0)
	v_fma_f64 v[2:3], v[144:145], v[128:129], v[2:3]
	s_waitcnt vmcnt(4)
	s_delay_alu instid0(VALU_DEP_1)
	v_fma_f64 v[2:3], v[116:117], v[130:131], v[2:3]
	ds_load_b128 v[128:131], v1 offset:752
	ds_load_b128 v[142:145], v1 offset:768
	s_waitcnt lgkmcnt(1)
	v_fma_f64 v[2:3], v[118:119], v[128:129], v[2:3]
	scratch_load_b128 v[116:119], off, off offset:392
	s_waitcnt vmcnt(4)
	v_fma_f64 v[2:3], v[138:139], v[130:131], v[2:3]
	scratch_load_b128 v[128:131], off, off offset:408
	s_waitcnt lgkmcnt(0)
	v_fma_f64 v[2:3], v[140:141], v[142:143], v[2:3]
	ds_load_b128 v[136:139], v1 offset:784
	ds_load_b128 v[140:143], v1 offset:800
	s_waitcnt vmcnt(4)
	v_fma_f64 v[2:3], v[120:121], v[144:145], v[2:3]
	s_waitcnt lgkmcnt(1)
	s_delay_alu instid0(VALU_DEP_1) | instskip(SKIP_4) | instid1(VALU_DEP_1)
	v_fma_f64 v[2:3], v[122:123], v[136:137], v[2:3]
	scratch_load_b64 v[136:137], off, off offset:424
	s_waitcnt vmcnt(4)
	v_fma_f64 v[2:3], v[132:133], v[138:139], v[2:3]
	s_waitcnt lgkmcnt(0)
	v_fma_f64 v[2:3], v[134:135], v[140:141], v[2:3]
	ds_load_b128 v[120:123], v1 offset:816
	ds_load_b128 v[132:135], v1 offset:832
	s_waitcnt vmcnt(3)
	v_fma_f64 v[2:3], v[124:125], v[142:143], v[2:3]
	s_waitcnt lgkmcnt(1)
	s_delay_alu instid0(VALU_DEP_1) | instskip(SKIP_1) | instid1(VALU_DEP_1)
	v_fma_f64 v[2:3], v[126:127], v[120:121], v[2:3]
	s_waitcnt vmcnt(2)
	v_fma_f64 v[2:3], v[116:117], v[122:123], v[2:3]
	s_waitcnt lgkmcnt(0)
	s_delay_alu instid0(VALU_DEP_1) | instskip(SKIP_1) | instid1(VALU_DEP_1)
	v_fma_f64 v[2:3], v[118:119], v[132:133], v[2:3]
	s_waitcnt vmcnt(1)
	v_fma_f64 v[116:117], v[128:129], v[134:135], v[2:3]
	ds_load_b128 v[1:4], v1 offset:848
	s_waitcnt lgkmcnt(0)
	v_fma_f64 v[1:2], v[130:131], v[1:2], v[116:117]
	s_waitcnt vmcnt(0)
	s_delay_alu instid0(VALU_DEP_1) | instskip(NEXT) | instid1(VALU_DEP_1)
	v_fma_f64 v[1:2], v[136:137], v[3:4], v[1:2]
	v_add_f64 v[1:2], v[114:115], -v[1:2]
	scratch_store_b64 off, v[1:2], off offset:216
	v_cmpx_lt_u32_e32 26, v0
	s_cbranch_execz .LBB53_281
; %bb.280:
	scratch_load_b64 v[1:2], off, off offset:208
	v_mov_b32_e32 v3, 0
	s_delay_alu instid0(VALU_DEP_1)
	v_mov_b32_e32 v4, v3
	scratch_store_b64 off, v[3:4], off offset:208
	s_waitcnt vmcnt(0)
	ds_store_b64 v5, v[1:2]
.LBB53_281:
	s_or_b32 exec_lo, exec_lo, s0
	s_waitcnt lgkmcnt(0)
	s_waitcnt_vscnt null, 0x0
	s_barrier
	buffer_gl0_inv
	s_clause 0x4
	scratch_load_b128 v[114:117], off, off offset:208
	scratch_load_b128 v[118:121], off, off offset:224
	;; [unrolled: 1-line block ×5, first 2 shown]
	v_mov_b32_e32 v1, 0
	ds_load_2addr_b64 v[134:137], v1 offset0:81 offset1:82
	ds_load_2addr_b64 v[138:141], v1 offset0:83 offset1:84
	scratch_load_b128 v[142:145], off, off offset:288
	s_mov_b32 s0, exec_lo
	s_waitcnt vmcnt(5) lgkmcnt(1)
	v_fma_f64 v[2:3], v[116:117], v[134:135], 0
	s_waitcnt vmcnt(4)
	s_delay_alu instid0(VALU_DEP_1) | instskip(SKIP_4) | instid1(VALU_DEP_1)
	v_fma_f64 v[2:3], v[118:119], v[136:137], v[2:3]
	scratch_load_b128 v[116:119], off, off offset:304
	s_waitcnt lgkmcnt(0)
	v_fma_f64 v[2:3], v[120:121], v[138:139], v[2:3]
	s_waitcnt vmcnt(4)
	v_fma_f64 v[2:3], v[122:123], v[140:141], v[2:3]
	ds_load_2addr_b64 v[120:123], v1 offset0:85 offset1:86
	ds_load_2addr_b64 v[134:137], v1 offset0:87 offset1:88
	scratch_load_b128 v[138:141], off, off offset:320
	s_waitcnt lgkmcnt(1)
	v_fma_f64 v[2:3], v[124:125], v[120:121], v[2:3]
	s_waitcnt vmcnt(4)
	s_delay_alu instid0(VALU_DEP_1) | instskip(SKIP_4) | instid1(VALU_DEP_1)
	v_fma_f64 v[2:3], v[126:127], v[122:123], v[2:3]
	scratch_load_b128 v[120:123], off, off offset:336
	s_waitcnt lgkmcnt(0)
	v_fma_f64 v[2:3], v[128:129], v[134:135], v[2:3]
	s_waitcnt vmcnt(4)
	v_fma_f64 v[2:3], v[130:131], v[136:137], v[2:3]
	ds_load_2addr_b64 v[124:127], v1 offset0:89 offset1:90
	ds_load_2addr_b64 v[128:131], v1 offset0:91 offset1:92
	s_waitcnt lgkmcnt(1)
	v_fma_f64 v[2:3], v[132:133], v[124:125], v[2:3]
	scratch_load_b128 v[132:135], off, off offset:352
	s_waitcnt vmcnt(4)
	v_fma_f64 v[2:3], v[142:143], v[126:127], v[2:3]
	scratch_load_b128 v[124:127], off, off offset:368
	s_waitcnt lgkmcnt(0)
	v_fma_f64 v[2:3], v[144:145], v[128:129], v[2:3]
	s_waitcnt vmcnt(4)
	s_delay_alu instid0(VALU_DEP_1)
	v_fma_f64 v[2:3], v[116:117], v[130:131], v[2:3]
	ds_load_2addr_b64 v[128:131], v1 offset0:93 offset1:94
	ds_load_2addr_b64 v[142:145], v1 offset0:95 offset1:96
	s_waitcnt lgkmcnt(1)
	v_fma_f64 v[2:3], v[118:119], v[128:129], v[2:3]
	scratch_load_b128 v[116:119], off, off offset:384
	s_waitcnt vmcnt(4)
	v_fma_f64 v[2:3], v[138:139], v[130:131], v[2:3]
	scratch_load_b128 v[128:131], off, off offset:400
	s_waitcnt lgkmcnt(0)
	v_fma_f64 v[2:3], v[140:141], v[142:143], v[2:3]
	ds_load_2addr_b64 v[136:139], v1 offset0:97 offset1:98
	ds_load_2addr_b64 v[140:143], v1 offset0:99 offset1:100
	s_waitcnt vmcnt(4)
	v_fma_f64 v[2:3], v[120:121], v[144:145], v[2:3]
	s_waitcnt lgkmcnt(1)
	s_delay_alu instid0(VALU_DEP_1) | instskip(SKIP_4) | instid1(VALU_DEP_1)
	v_fma_f64 v[2:3], v[122:123], v[136:137], v[2:3]
	scratch_load_b128 v[120:123], off, off offset:416
	s_waitcnt vmcnt(4)
	v_fma_f64 v[2:3], v[132:133], v[138:139], v[2:3]
	s_waitcnt lgkmcnt(0)
	v_fma_f64 v[2:3], v[134:135], v[140:141], v[2:3]
	ds_load_2addr_b64 v[132:135], v1 offset0:101 offset1:102
	ds_load_2addr_b64 v[136:139], v1 offset0:103 offset1:104
	s_waitcnt vmcnt(3)
	v_fma_f64 v[2:3], v[124:125], v[142:143], v[2:3]
	s_waitcnt lgkmcnt(1)
	s_delay_alu instid0(VALU_DEP_1) | instskip(SKIP_1) | instid1(VALU_DEP_1)
	v_fma_f64 v[2:3], v[126:127], v[132:133], v[2:3]
	s_waitcnt vmcnt(2)
	v_fma_f64 v[2:3], v[116:117], v[134:135], v[2:3]
	s_waitcnt lgkmcnt(0)
	s_delay_alu instid0(VALU_DEP_1)
	v_fma_f64 v[2:3], v[118:119], v[136:137], v[2:3]
	ds_load_2addr_b64 v[116:119], v1 offset0:105 offset1:106
	ds_load_b64 v[124:125], v1 offset:856
	s_waitcnt vmcnt(1)
	v_fma_f64 v[2:3], v[128:129], v[138:139], v[2:3]
	s_waitcnt lgkmcnt(1)
	s_delay_alu instid0(VALU_DEP_1) | instskip(SKIP_1) | instid1(VALU_DEP_1)
	v_fma_f64 v[2:3], v[130:131], v[116:117], v[2:3]
	s_waitcnt vmcnt(0)
	v_fma_f64 v[2:3], v[120:121], v[118:119], v[2:3]
	s_waitcnt lgkmcnt(0)
	s_delay_alu instid0(VALU_DEP_1) | instskip(NEXT) | instid1(VALU_DEP_1)
	v_fma_f64 v[2:3], v[122:123], v[124:125], v[2:3]
	v_add_f64 v[2:3], v[114:115], -v[2:3]
	scratch_store_b64 off, v[2:3], off offset:208
	v_cmpx_lt_u32_e32 25, v0
	s_cbranch_execz .LBB53_283
; %bb.282:
	scratch_load_b64 v[3:4], off, off offset:200
	v_mov_b32_e32 v2, v1
	scratch_store_b64 off, v[1:2], off offset:200
	s_waitcnt vmcnt(0)
	ds_store_b64 v5, v[3:4]
.LBB53_283:
	s_or_b32 exec_lo, exec_lo, s0
	s_waitcnt lgkmcnt(0)
	s_waitcnt_vscnt null, 0x0
	s_barrier
	buffer_gl0_inv
	s_clause 0x4
	scratch_load_b128 v[114:117], off, off offset:200
	scratch_load_b128 v[118:121], off, off offset:216
	;; [unrolled: 1-line block ×5, first 2 shown]
	ds_load_b128 v[134:137], v1 offset:640
	ds_load_b128 v[138:141], v1 offset:656
	scratch_load_b128 v[142:145], off, off offset:280
	s_mov_b32 s0, exec_lo
	s_waitcnt vmcnt(5) lgkmcnt(1)
	v_fma_f64 v[2:3], v[116:117], v[134:135], 0
	s_waitcnt vmcnt(4)
	s_delay_alu instid0(VALU_DEP_1) | instskip(SKIP_4) | instid1(VALU_DEP_1)
	v_fma_f64 v[2:3], v[118:119], v[136:137], v[2:3]
	scratch_load_b128 v[116:119], off, off offset:296
	s_waitcnt lgkmcnt(0)
	v_fma_f64 v[2:3], v[120:121], v[138:139], v[2:3]
	s_waitcnt vmcnt(4)
	v_fma_f64 v[2:3], v[122:123], v[140:141], v[2:3]
	ds_load_b128 v[120:123], v1 offset:672
	ds_load_b128 v[134:137], v1 offset:688
	scratch_load_b128 v[138:141], off, off offset:312
	s_waitcnt lgkmcnt(1)
	v_fma_f64 v[2:3], v[124:125], v[120:121], v[2:3]
	s_waitcnt vmcnt(4)
	s_delay_alu instid0(VALU_DEP_1) | instskip(SKIP_4) | instid1(VALU_DEP_1)
	v_fma_f64 v[2:3], v[126:127], v[122:123], v[2:3]
	scratch_load_b128 v[120:123], off, off offset:328
	s_waitcnt lgkmcnt(0)
	v_fma_f64 v[2:3], v[128:129], v[134:135], v[2:3]
	s_waitcnt vmcnt(4)
	v_fma_f64 v[2:3], v[130:131], v[136:137], v[2:3]
	ds_load_b128 v[124:127], v1 offset:704
	ds_load_b128 v[128:131], v1 offset:720
	s_waitcnt lgkmcnt(1)
	v_fma_f64 v[2:3], v[132:133], v[124:125], v[2:3]
	scratch_load_b128 v[132:135], off, off offset:344
	s_waitcnt vmcnt(4)
	v_fma_f64 v[2:3], v[142:143], v[126:127], v[2:3]
	scratch_load_b128 v[124:127], off, off offset:360
	s_waitcnt lgkmcnt(0)
	v_fma_f64 v[2:3], v[144:145], v[128:129], v[2:3]
	s_waitcnt vmcnt(4)
	s_delay_alu instid0(VALU_DEP_1)
	v_fma_f64 v[2:3], v[116:117], v[130:131], v[2:3]
	ds_load_b128 v[128:131], v1 offset:736
	ds_load_b128 v[142:145], v1 offset:752
	s_waitcnt lgkmcnt(1)
	v_fma_f64 v[2:3], v[118:119], v[128:129], v[2:3]
	scratch_load_b128 v[116:119], off, off offset:376
	s_waitcnt vmcnt(4)
	v_fma_f64 v[2:3], v[138:139], v[130:131], v[2:3]
	scratch_load_b128 v[128:131], off, off offset:392
	s_waitcnt lgkmcnt(0)
	v_fma_f64 v[2:3], v[140:141], v[142:143], v[2:3]
	ds_load_b128 v[136:139], v1 offset:768
	ds_load_b128 v[140:143], v1 offset:784
	s_waitcnt vmcnt(4)
	v_fma_f64 v[2:3], v[120:121], v[144:145], v[2:3]
	s_waitcnt lgkmcnt(1)
	s_delay_alu instid0(VALU_DEP_1) | instskip(SKIP_4) | instid1(VALU_DEP_1)
	v_fma_f64 v[2:3], v[122:123], v[136:137], v[2:3]
	scratch_load_b128 v[120:123], off, off offset:408
	s_waitcnt vmcnt(4)
	v_fma_f64 v[2:3], v[132:133], v[138:139], v[2:3]
	s_waitcnt lgkmcnt(0)
	v_fma_f64 v[2:3], v[134:135], v[140:141], v[2:3]
	scratch_load_b64 v[140:141], off, off offset:424
	ds_load_b128 v[132:135], v1 offset:800
	ds_load_b128 v[136:139], v1 offset:816
	s_waitcnt vmcnt(4)
	v_fma_f64 v[2:3], v[124:125], v[142:143], v[2:3]
	s_waitcnt lgkmcnt(1)
	s_delay_alu instid0(VALU_DEP_1) | instskip(SKIP_1) | instid1(VALU_DEP_1)
	v_fma_f64 v[2:3], v[126:127], v[132:133], v[2:3]
	s_waitcnt vmcnt(3)
	v_fma_f64 v[2:3], v[116:117], v[134:135], v[2:3]
	s_waitcnt lgkmcnt(0)
	s_delay_alu instid0(VALU_DEP_1) | instskip(SKIP_1) | instid1(VALU_DEP_1)
	v_fma_f64 v[2:3], v[118:119], v[136:137], v[2:3]
	s_waitcnt vmcnt(2)
	v_fma_f64 v[124:125], v[128:129], v[138:139], v[2:3]
	ds_load_b128 v[116:119], v1 offset:832
	ds_load_b128 v[1:4], v1 offset:848
	s_waitcnt lgkmcnt(1)
	v_fma_f64 v[116:117], v[130:131], v[116:117], v[124:125]
	s_waitcnt vmcnt(1)
	s_delay_alu instid0(VALU_DEP_1) | instskip(SKIP_1) | instid1(VALU_DEP_1)
	v_fma_f64 v[116:117], v[120:121], v[118:119], v[116:117]
	s_waitcnt lgkmcnt(0)
	v_fma_f64 v[1:2], v[122:123], v[1:2], v[116:117]
	s_waitcnt vmcnt(0)
	s_delay_alu instid0(VALU_DEP_1) | instskip(NEXT) | instid1(VALU_DEP_1)
	v_fma_f64 v[1:2], v[140:141], v[3:4], v[1:2]
	v_add_f64 v[1:2], v[114:115], -v[1:2]
	scratch_store_b64 off, v[1:2], off offset:200
	v_cmpx_lt_u32_e32 24, v0
	s_cbranch_execz .LBB53_285
; %bb.284:
	scratch_load_b64 v[1:2], off, off offset:192
	v_mov_b32_e32 v3, 0
	s_delay_alu instid0(VALU_DEP_1)
	v_mov_b32_e32 v4, v3
	scratch_store_b64 off, v[3:4], off offset:192
	s_waitcnt vmcnt(0)
	ds_store_b64 v5, v[1:2]
.LBB53_285:
	s_or_b32 exec_lo, exec_lo, s0
	s_waitcnt lgkmcnt(0)
	s_waitcnt_vscnt null, 0x0
	s_barrier
	buffer_gl0_inv
	s_clause 0x4
	scratch_load_b128 v[114:117], off, off offset:192
	scratch_load_b128 v[118:121], off, off offset:208
	;; [unrolled: 1-line block ×5, first 2 shown]
	v_mov_b32_e32 v1, 0
	ds_load_2addr_b64 v[134:137], v1 offset0:79 offset1:80
	ds_load_2addr_b64 v[138:141], v1 offset0:81 offset1:82
	scratch_load_b128 v[142:145], off, off offset:272
	s_mov_b32 s0, exec_lo
	s_waitcnt vmcnt(5) lgkmcnt(1)
	v_fma_f64 v[2:3], v[116:117], v[134:135], 0
	s_waitcnt vmcnt(4)
	s_delay_alu instid0(VALU_DEP_1) | instskip(SKIP_4) | instid1(VALU_DEP_1)
	v_fma_f64 v[2:3], v[118:119], v[136:137], v[2:3]
	scratch_load_b128 v[116:119], off, off offset:288
	s_waitcnt lgkmcnt(0)
	v_fma_f64 v[2:3], v[120:121], v[138:139], v[2:3]
	s_waitcnt vmcnt(4)
	v_fma_f64 v[2:3], v[122:123], v[140:141], v[2:3]
	ds_load_2addr_b64 v[120:123], v1 offset0:83 offset1:84
	ds_load_2addr_b64 v[134:137], v1 offset0:85 offset1:86
	scratch_load_b128 v[138:141], off, off offset:304
	s_waitcnt lgkmcnt(1)
	v_fma_f64 v[2:3], v[124:125], v[120:121], v[2:3]
	s_waitcnt vmcnt(4)
	s_delay_alu instid0(VALU_DEP_1) | instskip(SKIP_4) | instid1(VALU_DEP_1)
	v_fma_f64 v[2:3], v[126:127], v[122:123], v[2:3]
	scratch_load_b128 v[120:123], off, off offset:320
	s_waitcnt lgkmcnt(0)
	v_fma_f64 v[2:3], v[128:129], v[134:135], v[2:3]
	s_waitcnt vmcnt(4)
	v_fma_f64 v[2:3], v[130:131], v[136:137], v[2:3]
	ds_load_2addr_b64 v[124:127], v1 offset0:87 offset1:88
	ds_load_2addr_b64 v[128:131], v1 offset0:89 offset1:90
	s_waitcnt lgkmcnt(1)
	v_fma_f64 v[2:3], v[132:133], v[124:125], v[2:3]
	scratch_load_b128 v[132:135], off, off offset:336
	s_waitcnt vmcnt(4)
	v_fma_f64 v[2:3], v[142:143], v[126:127], v[2:3]
	scratch_load_b128 v[124:127], off, off offset:352
	s_waitcnt lgkmcnt(0)
	v_fma_f64 v[2:3], v[144:145], v[128:129], v[2:3]
	s_waitcnt vmcnt(4)
	s_delay_alu instid0(VALU_DEP_1)
	v_fma_f64 v[2:3], v[116:117], v[130:131], v[2:3]
	ds_load_2addr_b64 v[128:131], v1 offset0:91 offset1:92
	ds_load_2addr_b64 v[142:145], v1 offset0:93 offset1:94
	s_waitcnt lgkmcnt(1)
	v_fma_f64 v[2:3], v[118:119], v[128:129], v[2:3]
	scratch_load_b128 v[116:119], off, off offset:368
	s_waitcnt vmcnt(4)
	v_fma_f64 v[2:3], v[138:139], v[130:131], v[2:3]
	scratch_load_b128 v[128:131], off, off offset:384
	s_waitcnt lgkmcnt(0)
	v_fma_f64 v[2:3], v[140:141], v[142:143], v[2:3]
	ds_load_2addr_b64 v[136:139], v1 offset0:95 offset1:96
	ds_load_2addr_b64 v[140:143], v1 offset0:97 offset1:98
	s_waitcnt vmcnt(4)
	v_fma_f64 v[2:3], v[120:121], v[144:145], v[2:3]
	s_waitcnt lgkmcnt(1)
	s_delay_alu instid0(VALU_DEP_1) | instskip(SKIP_4) | instid1(VALU_DEP_1)
	v_fma_f64 v[2:3], v[122:123], v[136:137], v[2:3]
	scratch_load_b128 v[120:123], off, off offset:400
	s_waitcnt vmcnt(4)
	v_fma_f64 v[2:3], v[132:133], v[138:139], v[2:3]
	s_waitcnt lgkmcnt(0)
	v_fma_f64 v[2:3], v[134:135], v[140:141], v[2:3]
	scratch_load_b128 v[132:135], off, off offset:416
	s_waitcnt vmcnt(4)
	v_fma_f64 v[2:3], v[124:125], v[142:143], v[2:3]
	ds_load_2addr_b64 v[136:139], v1 offset0:99 offset1:100
	ds_load_2addr_b64 v[140:143], v1 offset0:101 offset1:102
	s_waitcnt lgkmcnt(1)
	v_fma_f64 v[2:3], v[126:127], v[136:137], v[2:3]
	s_waitcnt vmcnt(3)
	s_delay_alu instid0(VALU_DEP_1) | instskip(SKIP_1) | instid1(VALU_DEP_1)
	v_fma_f64 v[2:3], v[116:117], v[138:139], v[2:3]
	s_waitcnt lgkmcnt(0)
	v_fma_f64 v[2:3], v[118:119], v[140:141], v[2:3]
	ds_load_2addr_b64 v[116:119], v1 offset0:103 offset1:104
	ds_load_2addr_b64 v[124:127], v1 offset0:105 offset1:106
	s_waitcnt vmcnt(2)
	v_fma_f64 v[2:3], v[128:129], v[142:143], v[2:3]
	s_waitcnt lgkmcnt(1)
	s_delay_alu instid0(VALU_DEP_1) | instskip(SKIP_4) | instid1(VALU_DEP_1)
	v_fma_f64 v[2:3], v[130:131], v[116:117], v[2:3]
	ds_load_b64 v[116:117], v1 offset:856
	s_waitcnt vmcnt(1)
	v_fma_f64 v[2:3], v[120:121], v[118:119], v[2:3]
	s_waitcnt lgkmcnt(1)
	v_fma_f64 v[2:3], v[122:123], v[124:125], v[2:3]
	s_waitcnt vmcnt(0)
	s_delay_alu instid0(VALU_DEP_1) | instskip(SKIP_1) | instid1(VALU_DEP_1)
	v_fma_f64 v[2:3], v[132:133], v[126:127], v[2:3]
	s_waitcnt lgkmcnt(0)
	v_fma_f64 v[2:3], v[134:135], v[116:117], v[2:3]
	s_delay_alu instid0(VALU_DEP_1)
	v_add_f64 v[2:3], v[114:115], -v[2:3]
	scratch_store_b64 off, v[2:3], off offset:192
	v_cmpx_lt_u32_e32 23, v0
	s_cbranch_execz .LBB53_287
; %bb.286:
	scratch_load_b64 v[3:4], off, off offset:184
	v_mov_b32_e32 v2, v1
	scratch_store_b64 off, v[1:2], off offset:184
	s_waitcnt vmcnt(0)
	ds_store_b64 v5, v[3:4]
.LBB53_287:
	s_or_b32 exec_lo, exec_lo, s0
	s_waitcnt lgkmcnt(0)
	s_waitcnt_vscnt null, 0x0
	s_barrier
	buffer_gl0_inv
	s_clause 0x4
	scratch_load_b128 v[114:117], off, off offset:184
	scratch_load_b128 v[118:121], off, off offset:200
	;; [unrolled: 1-line block ×5, first 2 shown]
	ds_load_b128 v[134:137], v1 offset:624
	ds_load_b128 v[138:141], v1 offset:640
	scratch_load_b128 v[142:145], off, off offset:264
	s_mov_b32 s0, exec_lo
	s_waitcnt vmcnt(5) lgkmcnt(1)
	v_fma_f64 v[2:3], v[116:117], v[134:135], 0
	s_waitcnt vmcnt(4)
	s_delay_alu instid0(VALU_DEP_1) | instskip(SKIP_4) | instid1(VALU_DEP_1)
	v_fma_f64 v[2:3], v[118:119], v[136:137], v[2:3]
	scratch_load_b128 v[116:119], off, off offset:280
	s_waitcnt lgkmcnt(0)
	v_fma_f64 v[2:3], v[120:121], v[138:139], v[2:3]
	s_waitcnt vmcnt(4)
	v_fma_f64 v[2:3], v[122:123], v[140:141], v[2:3]
	ds_load_b128 v[120:123], v1 offset:656
	ds_load_b128 v[134:137], v1 offset:672
	scratch_load_b128 v[138:141], off, off offset:296
	s_waitcnt lgkmcnt(1)
	v_fma_f64 v[2:3], v[124:125], v[120:121], v[2:3]
	s_waitcnt vmcnt(4)
	s_delay_alu instid0(VALU_DEP_1) | instskip(SKIP_4) | instid1(VALU_DEP_1)
	v_fma_f64 v[2:3], v[126:127], v[122:123], v[2:3]
	scratch_load_b128 v[120:123], off, off offset:312
	s_waitcnt lgkmcnt(0)
	v_fma_f64 v[2:3], v[128:129], v[134:135], v[2:3]
	s_waitcnt vmcnt(4)
	v_fma_f64 v[2:3], v[130:131], v[136:137], v[2:3]
	ds_load_b128 v[124:127], v1 offset:688
	ds_load_b128 v[128:131], v1 offset:704
	s_waitcnt lgkmcnt(1)
	v_fma_f64 v[2:3], v[132:133], v[124:125], v[2:3]
	scratch_load_b128 v[132:135], off, off offset:328
	s_waitcnt vmcnt(4)
	v_fma_f64 v[2:3], v[142:143], v[126:127], v[2:3]
	scratch_load_b128 v[124:127], off, off offset:344
	s_waitcnt lgkmcnt(0)
	v_fma_f64 v[2:3], v[144:145], v[128:129], v[2:3]
	s_waitcnt vmcnt(4)
	s_delay_alu instid0(VALU_DEP_1)
	v_fma_f64 v[2:3], v[116:117], v[130:131], v[2:3]
	ds_load_b128 v[128:131], v1 offset:720
	ds_load_b128 v[142:145], v1 offset:736
	s_waitcnt lgkmcnt(1)
	v_fma_f64 v[2:3], v[118:119], v[128:129], v[2:3]
	scratch_load_b128 v[116:119], off, off offset:360
	s_waitcnt vmcnt(4)
	v_fma_f64 v[2:3], v[138:139], v[130:131], v[2:3]
	scratch_load_b128 v[128:131], off, off offset:376
	s_waitcnt lgkmcnt(0)
	v_fma_f64 v[2:3], v[140:141], v[142:143], v[2:3]
	ds_load_b128 v[136:139], v1 offset:752
	ds_load_b128 v[140:143], v1 offset:768
	s_waitcnt vmcnt(4)
	v_fma_f64 v[2:3], v[120:121], v[144:145], v[2:3]
	s_waitcnt lgkmcnt(1)
	s_delay_alu instid0(VALU_DEP_1) | instskip(SKIP_4) | instid1(VALU_DEP_1)
	v_fma_f64 v[2:3], v[122:123], v[136:137], v[2:3]
	scratch_load_b128 v[120:123], off, off offset:392
	s_waitcnt vmcnt(4)
	v_fma_f64 v[2:3], v[132:133], v[138:139], v[2:3]
	s_waitcnt lgkmcnt(0)
	v_fma_f64 v[2:3], v[134:135], v[140:141], v[2:3]
	scratch_load_b128 v[132:135], off, off offset:408
	s_waitcnt vmcnt(4)
	v_fma_f64 v[2:3], v[124:125], v[142:143], v[2:3]
	ds_load_b128 v[136:139], v1 offset:784
	ds_load_b128 v[140:143], v1 offset:800
	s_waitcnt lgkmcnt(1)
	v_fma_f64 v[2:3], v[126:127], v[136:137], v[2:3]
	scratch_load_b64 v[136:137], off, off offset:424
	s_waitcnt vmcnt(4)
	v_fma_f64 v[2:3], v[116:117], v[138:139], v[2:3]
	s_waitcnt lgkmcnt(0)
	s_delay_alu instid0(VALU_DEP_1)
	v_fma_f64 v[2:3], v[118:119], v[140:141], v[2:3]
	ds_load_b128 v[116:119], v1 offset:816
	ds_load_b128 v[124:127], v1 offset:832
	s_waitcnt vmcnt(3)
	v_fma_f64 v[2:3], v[128:129], v[142:143], v[2:3]
	s_waitcnt lgkmcnt(1)
	s_delay_alu instid0(VALU_DEP_1) | instskip(SKIP_1) | instid1(VALU_DEP_1)
	v_fma_f64 v[2:3], v[130:131], v[116:117], v[2:3]
	s_waitcnt vmcnt(2)
	v_fma_f64 v[2:3], v[120:121], v[118:119], v[2:3]
	s_waitcnt lgkmcnt(0)
	s_delay_alu instid0(VALU_DEP_1) | instskip(SKIP_1) | instid1(VALU_DEP_1)
	v_fma_f64 v[2:3], v[122:123], v[124:125], v[2:3]
	s_waitcnt vmcnt(1)
	v_fma_f64 v[116:117], v[132:133], v[126:127], v[2:3]
	ds_load_b128 v[1:4], v1 offset:848
	s_waitcnt lgkmcnt(0)
	v_fma_f64 v[1:2], v[134:135], v[1:2], v[116:117]
	s_waitcnt vmcnt(0)
	s_delay_alu instid0(VALU_DEP_1) | instskip(NEXT) | instid1(VALU_DEP_1)
	v_fma_f64 v[1:2], v[136:137], v[3:4], v[1:2]
	v_add_f64 v[1:2], v[114:115], -v[1:2]
	scratch_store_b64 off, v[1:2], off offset:184
	v_cmpx_lt_u32_e32 22, v0
	s_cbranch_execz .LBB53_289
; %bb.288:
	scratch_load_b64 v[1:2], off, off offset:176
	v_mov_b32_e32 v3, 0
	s_delay_alu instid0(VALU_DEP_1)
	v_mov_b32_e32 v4, v3
	scratch_store_b64 off, v[3:4], off offset:176
	s_waitcnt vmcnt(0)
	ds_store_b64 v5, v[1:2]
.LBB53_289:
	s_or_b32 exec_lo, exec_lo, s0
	s_waitcnt lgkmcnt(0)
	s_waitcnt_vscnt null, 0x0
	s_barrier
	buffer_gl0_inv
	s_clause 0x4
	scratch_load_b128 v[114:117], off, off offset:176
	scratch_load_b128 v[118:121], off, off offset:192
	;; [unrolled: 1-line block ×5, first 2 shown]
	v_mov_b32_e32 v1, 0
	ds_load_2addr_b64 v[134:137], v1 offset0:77 offset1:78
	ds_load_2addr_b64 v[138:141], v1 offset0:79 offset1:80
	scratch_load_b128 v[142:145], off, off offset:256
	s_mov_b32 s0, exec_lo
	s_waitcnt vmcnt(5) lgkmcnt(1)
	v_fma_f64 v[2:3], v[116:117], v[134:135], 0
	s_waitcnt vmcnt(4)
	s_delay_alu instid0(VALU_DEP_1) | instskip(SKIP_4) | instid1(VALU_DEP_1)
	v_fma_f64 v[2:3], v[118:119], v[136:137], v[2:3]
	scratch_load_b128 v[116:119], off, off offset:272
	s_waitcnt lgkmcnt(0)
	v_fma_f64 v[2:3], v[120:121], v[138:139], v[2:3]
	s_waitcnt vmcnt(4)
	v_fma_f64 v[2:3], v[122:123], v[140:141], v[2:3]
	ds_load_2addr_b64 v[120:123], v1 offset0:81 offset1:82
	ds_load_2addr_b64 v[134:137], v1 offset0:83 offset1:84
	scratch_load_b128 v[138:141], off, off offset:288
	s_waitcnt lgkmcnt(1)
	v_fma_f64 v[2:3], v[124:125], v[120:121], v[2:3]
	s_waitcnt vmcnt(4)
	s_delay_alu instid0(VALU_DEP_1) | instskip(SKIP_4) | instid1(VALU_DEP_1)
	v_fma_f64 v[2:3], v[126:127], v[122:123], v[2:3]
	scratch_load_b128 v[120:123], off, off offset:304
	s_waitcnt lgkmcnt(0)
	v_fma_f64 v[2:3], v[128:129], v[134:135], v[2:3]
	s_waitcnt vmcnt(4)
	v_fma_f64 v[2:3], v[130:131], v[136:137], v[2:3]
	ds_load_2addr_b64 v[124:127], v1 offset0:85 offset1:86
	ds_load_2addr_b64 v[128:131], v1 offset0:87 offset1:88
	s_waitcnt lgkmcnt(1)
	v_fma_f64 v[2:3], v[132:133], v[124:125], v[2:3]
	scratch_load_b128 v[132:135], off, off offset:320
	s_waitcnt vmcnt(4)
	v_fma_f64 v[2:3], v[142:143], v[126:127], v[2:3]
	scratch_load_b128 v[124:127], off, off offset:336
	s_waitcnt lgkmcnt(0)
	v_fma_f64 v[2:3], v[144:145], v[128:129], v[2:3]
	s_waitcnt vmcnt(4)
	s_delay_alu instid0(VALU_DEP_1)
	v_fma_f64 v[2:3], v[116:117], v[130:131], v[2:3]
	ds_load_2addr_b64 v[128:131], v1 offset0:89 offset1:90
	ds_load_2addr_b64 v[142:145], v1 offset0:91 offset1:92
	s_waitcnt lgkmcnt(1)
	v_fma_f64 v[2:3], v[118:119], v[128:129], v[2:3]
	scratch_load_b128 v[116:119], off, off offset:352
	s_waitcnt vmcnt(4)
	v_fma_f64 v[2:3], v[138:139], v[130:131], v[2:3]
	scratch_load_b128 v[128:131], off, off offset:368
	s_waitcnt lgkmcnt(0)
	v_fma_f64 v[2:3], v[140:141], v[142:143], v[2:3]
	ds_load_2addr_b64 v[136:139], v1 offset0:93 offset1:94
	ds_load_2addr_b64 v[140:143], v1 offset0:95 offset1:96
	s_waitcnt vmcnt(4)
	v_fma_f64 v[2:3], v[120:121], v[144:145], v[2:3]
	s_waitcnt lgkmcnt(1)
	s_delay_alu instid0(VALU_DEP_1) | instskip(SKIP_4) | instid1(VALU_DEP_1)
	v_fma_f64 v[2:3], v[122:123], v[136:137], v[2:3]
	scratch_load_b128 v[120:123], off, off offset:384
	s_waitcnt vmcnt(4)
	v_fma_f64 v[2:3], v[132:133], v[138:139], v[2:3]
	s_waitcnt lgkmcnt(0)
	v_fma_f64 v[2:3], v[134:135], v[140:141], v[2:3]
	scratch_load_b128 v[132:135], off, off offset:400
	s_waitcnt vmcnt(4)
	v_fma_f64 v[2:3], v[124:125], v[142:143], v[2:3]
	ds_load_2addr_b64 v[136:139], v1 offset0:97 offset1:98
	ds_load_2addr_b64 v[140:143], v1 offset0:99 offset1:100
	s_waitcnt lgkmcnt(1)
	v_fma_f64 v[2:3], v[126:127], v[136:137], v[2:3]
	scratch_load_b128 v[124:127], off, off offset:416
	s_waitcnt vmcnt(4)
	v_fma_f64 v[2:3], v[116:117], v[138:139], v[2:3]
	s_waitcnt lgkmcnt(0)
	s_delay_alu instid0(VALU_DEP_1)
	v_fma_f64 v[2:3], v[118:119], v[140:141], v[2:3]
	ds_load_2addr_b64 v[116:119], v1 offset0:101 offset1:102
	ds_load_2addr_b64 v[136:139], v1 offset0:103 offset1:104
	s_waitcnt vmcnt(3)
	v_fma_f64 v[2:3], v[128:129], v[142:143], v[2:3]
	s_waitcnt lgkmcnt(1)
	s_delay_alu instid0(VALU_DEP_1) | instskip(SKIP_1) | instid1(VALU_DEP_1)
	v_fma_f64 v[2:3], v[130:131], v[116:117], v[2:3]
	s_waitcnt vmcnt(2)
	v_fma_f64 v[2:3], v[120:121], v[118:119], v[2:3]
	ds_load_2addr_b64 v[116:119], v1 offset0:105 offset1:106
	ds_load_b64 v[120:121], v1 offset:856
	s_waitcnt lgkmcnt(2)
	v_fma_f64 v[2:3], v[122:123], v[136:137], v[2:3]
	s_waitcnt vmcnt(1)
	s_delay_alu instid0(VALU_DEP_1) | instskip(SKIP_1) | instid1(VALU_DEP_1)
	v_fma_f64 v[2:3], v[132:133], v[138:139], v[2:3]
	s_waitcnt lgkmcnt(1)
	v_fma_f64 v[2:3], v[134:135], v[116:117], v[2:3]
	s_waitcnt vmcnt(0)
	s_delay_alu instid0(VALU_DEP_1) | instskip(SKIP_1) | instid1(VALU_DEP_1)
	v_fma_f64 v[2:3], v[124:125], v[118:119], v[2:3]
	s_waitcnt lgkmcnt(0)
	v_fma_f64 v[2:3], v[126:127], v[120:121], v[2:3]
	s_delay_alu instid0(VALU_DEP_1)
	v_add_f64 v[2:3], v[114:115], -v[2:3]
	scratch_store_b64 off, v[2:3], off offset:176
	v_cmpx_lt_u32_e32 21, v0
	s_cbranch_execz .LBB53_291
; %bb.290:
	scratch_load_b64 v[3:4], off, off offset:168
	v_mov_b32_e32 v2, v1
	scratch_store_b64 off, v[1:2], off offset:168
	s_waitcnt vmcnt(0)
	ds_store_b64 v5, v[3:4]
.LBB53_291:
	s_or_b32 exec_lo, exec_lo, s0
	s_waitcnt lgkmcnt(0)
	s_waitcnt_vscnt null, 0x0
	s_barrier
	buffer_gl0_inv
	s_clause 0x4
	scratch_load_b128 v[114:117], off, off offset:168
	scratch_load_b128 v[118:121], off, off offset:184
	scratch_load_b128 v[122:125], off, off offset:200
	scratch_load_b128 v[126:129], off, off offset:216
	scratch_load_b128 v[130:133], off, off offset:232
	ds_load_b128 v[134:137], v1 offset:608
	ds_load_b128 v[138:141], v1 offset:624
	scratch_load_b128 v[142:145], off, off offset:248
	s_mov_b32 s0, exec_lo
	s_waitcnt vmcnt(5) lgkmcnt(1)
	v_fma_f64 v[2:3], v[116:117], v[134:135], 0
	s_waitcnt vmcnt(4)
	s_delay_alu instid0(VALU_DEP_1) | instskip(SKIP_4) | instid1(VALU_DEP_1)
	v_fma_f64 v[2:3], v[118:119], v[136:137], v[2:3]
	scratch_load_b128 v[116:119], off, off offset:264
	s_waitcnt lgkmcnt(0)
	v_fma_f64 v[2:3], v[120:121], v[138:139], v[2:3]
	s_waitcnt vmcnt(4)
	v_fma_f64 v[2:3], v[122:123], v[140:141], v[2:3]
	ds_load_b128 v[120:123], v1 offset:640
	ds_load_b128 v[134:137], v1 offset:656
	scratch_load_b128 v[138:141], off, off offset:280
	s_waitcnt lgkmcnt(1)
	v_fma_f64 v[2:3], v[124:125], v[120:121], v[2:3]
	s_waitcnt vmcnt(4)
	s_delay_alu instid0(VALU_DEP_1) | instskip(SKIP_4) | instid1(VALU_DEP_1)
	v_fma_f64 v[2:3], v[126:127], v[122:123], v[2:3]
	scratch_load_b128 v[120:123], off, off offset:296
	s_waitcnt lgkmcnt(0)
	v_fma_f64 v[2:3], v[128:129], v[134:135], v[2:3]
	s_waitcnt vmcnt(4)
	v_fma_f64 v[2:3], v[130:131], v[136:137], v[2:3]
	ds_load_b128 v[124:127], v1 offset:672
	ds_load_b128 v[128:131], v1 offset:688
	s_waitcnt lgkmcnt(1)
	v_fma_f64 v[2:3], v[132:133], v[124:125], v[2:3]
	scratch_load_b128 v[132:135], off, off offset:312
	s_waitcnt vmcnt(4)
	v_fma_f64 v[2:3], v[142:143], v[126:127], v[2:3]
	scratch_load_b128 v[124:127], off, off offset:328
	s_waitcnt lgkmcnt(0)
	v_fma_f64 v[2:3], v[144:145], v[128:129], v[2:3]
	s_waitcnt vmcnt(4)
	s_delay_alu instid0(VALU_DEP_1)
	v_fma_f64 v[2:3], v[116:117], v[130:131], v[2:3]
	ds_load_b128 v[128:131], v1 offset:704
	ds_load_b128 v[142:145], v1 offset:720
	s_waitcnt lgkmcnt(1)
	v_fma_f64 v[2:3], v[118:119], v[128:129], v[2:3]
	scratch_load_b128 v[116:119], off, off offset:344
	s_waitcnt vmcnt(4)
	v_fma_f64 v[2:3], v[138:139], v[130:131], v[2:3]
	scratch_load_b128 v[128:131], off, off offset:360
	s_waitcnt lgkmcnt(0)
	v_fma_f64 v[2:3], v[140:141], v[142:143], v[2:3]
	ds_load_b128 v[136:139], v1 offset:736
	ds_load_b128 v[140:143], v1 offset:752
	s_waitcnt vmcnt(4)
	v_fma_f64 v[2:3], v[120:121], v[144:145], v[2:3]
	s_waitcnt lgkmcnt(1)
	s_delay_alu instid0(VALU_DEP_1) | instskip(SKIP_4) | instid1(VALU_DEP_1)
	v_fma_f64 v[2:3], v[122:123], v[136:137], v[2:3]
	scratch_load_b128 v[120:123], off, off offset:376
	s_waitcnt vmcnt(4)
	v_fma_f64 v[2:3], v[132:133], v[138:139], v[2:3]
	s_waitcnt lgkmcnt(0)
	v_fma_f64 v[2:3], v[134:135], v[140:141], v[2:3]
	scratch_load_b128 v[132:135], off, off offset:392
	s_waitcnt vmcnt(4)
	v_fma_f64 v[2:3], v[124:125], v[142:143], v[2:3]
	ds_load_b128 v[136:139], v1 offset:768
	ds_load_b128 v[140:143], v1 offset:784
	s_waitcnt lgkmcnt(1)
	v_fma_f64 v[2:3], v[126:127], v[136:137], v[2:3]
	scratch_load_b128 v[124:127], off, off offset:408
	s_waitcnt vmcnt(4)
	v_fma_f64 v[2:3], v[116:117], v[138:139], v[2:3]
	s_waitcnt lgkmcnt(0)
	s_delay_alu instid0(VALU_DEP_1)
	v_fma_f64 v[2:3], v[118:119], v[140:141], v[2:3]
	scratch_load_b64 v[140:141], off, off offset:424
	ds_load_b128 v[116:119], v1 offset:800
	ds_load_b128 v[136:139], v1 offset:816
	s_waitcnt vmcnt(4)
	v_fma_f64 v[2:3], v[128:129], v[142:143], v[2:3]
	s_waitcnt lgkmcnt(1)
	s_delay_alu instid0(VALU_DEP_1) | instskip(SKIP_1) | instid1(VALU_DEP_1)
	v_fma_f64 v[2:3], v[130:131], v[116:117], v[2:3]
	s_waitcnt vmcnt(3)
	v_fma_f64 v[2:3], v[120:121], v[118:119], v[2:3]
	s_waitcnt lgkmcnt(0)
	s_delay_alu instid0(VALU_DEP_1) | instskip(SKIP_1) | instid1(VALU_DEP_1)
	v_fma_f64 v[2:3], v[122:123], v[136:137], v[2:3]
	s_waitcnt vmcnt(2)
	v_fma_f64 v[120:121], v[132:133], v[138:139], v[2:3]
	ds_load_b128 v[116:119], v1 offset:832
	ds_load_b128 v[1:4], v1 offset:848
	s_waitcnt lgkmcnt(1)
	v_fma_f64 v[116:117], v[134:135], v[116:117], v[120:121]
	s_waitcnt vmcnt(1)
	s_delay_alu instid0(VALU_DEP_1) | instskip(SKIP_1) | instid1(VALU_DEP_1)
	v_fma_f64 v[116:117], v[124:125], v[118:119], v[116:117]
	s_waitcnt lgkmcnt(0)
	v_fma_f64 v[1:2], v[126:127], v[1:2], v[116:117]
	s_waitcnt vmcnt(0)
	s_delay_alu instid0(VALU_DEP_1) | instskip(NEXT) | instid1(VALU_DEP_1)
	v_fma_f64 v[1:2], v[140:141], v[3:4], v[1:2]
	v_add_f64 v[1:2], v[114:115], -v[1:2]
	scratch_store_b64 off, v[1:2], off offset:168
	v_cmpx_lt_u32_e32 20, v0
	s_cbranch_execz .LBB53_293
; %bb.292:
	scratch_load_b64 v[1:2], off, off offset:160
	v_mov_b32_e32 v3, 0
	s_delay_alu instid0(VALU_DEP_1)
	v_mov_b32_e32 v4, v3
	scratch_store_b64 off, v[3:4], off offset:160
	s_waitcnt vmcnt(0)
	ds_store_b64 v5, v[1:2]
.LBB53_293:
	s_or_b32 exec_lo, exec_lo, s0
	s_waitcnt lgkmcnt(0)
	s_waitcnt_vscnt null, 0x0
	s_barrier
	buffer_gl0_inv
	s_clause 0x4
	scratch_load_b128 v[114:117], off, off offset:160
	scratch_load_b128 v[118:121], off, off offset:176
	;; [unrolled: 1-line block ×5, first 2 shown]
	v_mov_b32_e32 v1, 0
	ds_load_2addr_b64 v[134:137], v1 offset0:75 offset1:76
	ds_load_2addr_b64 v[138:141], v1 offset0:77 offset1:78
	scratch_load_b128 v[142:145], off, off offset:240
	s_mov_b32 s0, exec_lo
	s_waitcnt vmcnt(5) lgkmcnt(1)
	v_fma_f64 v[2:3], v[116:117], v[134:135], 0
	s_waitcnt vmcnt(4)
	s_delay_alu instid0(VALU_DEP_1) | instskip(SKIP_4) | instid1(VALU_DEP_1)
	v_fma_f64 v[2:3], v[118:119], v[136:137], v[2:3]
	scratch_load_b128 v[116:119], off, off offset:256
	s_waitcnt lgkmcnt(0)
	v_fma_f64 v[2:3], v[120:121], v[138:139], v[2:3]
	s_waitcnt vmcnt(4)
	v_fma_f64 v[2:3], v[122:123], v[140:141], v[2:3]
	ds_load_2addr_b64 v[120:123], v1 offset0:79 offset1:80
	ds_load_2addr_b64 v[134:137], v1 offset0:81 offset1:82
	scratch_load_b128 v[138:141], off, off offset:272
	s_waitcnt lgkmcnt(1)
	v_fma_f64 v[2:3], v[124:125], v[120:121], v[2:3]
	s_waitcnt vmcnt(4)
	s_delay_alu instid0(VALU_DEP_1) | instskip(SKIP_4) | instid1(VALU_DEP_1)
	v_fma_f64 v[2:3], v[126:127], v[122:123], v[2:3]
	scratch_load_b128 v[120:123], off, off offset:288
	s_waitcnt lgkmcnt(0)
	v_fma_f64 v[2:3], v[128:129], v[134:135], v[2:3]
	s_waitcnt vmcnt(4)
	v_fma_f64 v[2:3], v[130:131], v[136:137], v[2:3]
	ds_load_2addr_b64 v[124:127], v1 offset0:83 offset1:84
	ds_load_2addr_b64 v[128:131], v1 offset0:85 offset1:86
	s_waitcnt lgkmcnt(1)
	v_fma_f64 v[2:3], v[132:133], v[124:125], v[2:3]
	scratch_load_b128 v[132:135], off, off offset:304
	s_waitcnt vmcnt(4)
	v_fma_f64 v[2:3], v[142:143], v[126:127], v[2:3]
	scratch_load_b128 v[124:127], off, off offset:320
	s_waitcnt lgkmcnt(0)
	v_fma_f64 v[2:3], v[144:145], v[128:129], v[2:3]
	s_waitcnt vmcnt(4)
	s_delay_alu instid0(VALU_DEP_1)
	v_fma_f64 v[2:3], v[116:117], v[130:131], v[2:3]
	ds_load_2addr_b64 v[128:131], v1 offset0:87 offset1:88
	ds_load_2addr_b64 v[142:145], v1 offset0:89 offset1:90
	s_waitcnt lgkmcnt(1)
	v_fma_f64 v[2:3], v[118:119], v[128:129], v[2:3]
	scratch_load_b128 v[116:119], off, off offset:336
	s_waitcnt vmcnt(4)
	v_fma_f64 v[2:3], v[138:139], v[130:131], v[2:3]
	scratch_load_b128 v[128:131], off, off offset:352
	s_waitcnt lgkmcnt(0)
	v_fma_f64 v[2:3], v[140:141], v[142:143], v[2:3]
	ds_load_2addr_b64 v[136:139], v1 offset0:91 offset1:92
	ds_load_2addr_b64 v[140:143], v1 offset0:93 offset1:94
	s_waitcnt vmcnt(4)
	v_fma_f64 v[2:3], v[120:121], v[144:145], v[2:3]
	s_waitcnt lgkmcnt(1)
	s_delay_alu instid0(VALU_DEP_1) | instskip(SKIP_4) | instid1(VALU_DEP_1)
	v_fma_f64 v[2:3], v[122:123], v[136:137], v[2:3]
	scratch_load_b128 v[120:123], off, off offset:368
	s_waitcnt vmcnt(4)
	v_fma_f64 v[2:3], v[132:133], v[138:139], v[2:3]
	s_waitcnt lgkmcnt(0)
	v_fma_f64 v[2:3], v[134:135], v[140:141], v[2:3]
	scratch_load_b128 v[132:135], off, off offset:384
	s_waitcnt vmcnt(4)
	v_fma_f64 v[2:3], v[124:125], v[142:143], v[2:3]
	ds_load_2addr_b64 v[136:139], v1 offset0:95 offset1:96
	ds_load_2addr_b64 v[140:143], v1 offset0:97 offset1:98
	s_waitcnt lgkmcnt(1)
	v_fma_f64 v[2:3], v[126:127], v[136:137], v[2:3]
	scratch_load_b128 v[124:127], off, off offset:400
	s_waitcnt vmcnt(4)
	v_fma_f64 v[2:3], v[116:117], v[138:139], v[2:3]
	s_waitcnt lgkmcnt(0)
	s_delay_alu instid0(VALU_DEP_1)
	v_fma_f64 v[2:3], v[118:119], v[140:141], v[2:3]
	scratch_load_b128 v[116:119], off, off offset:416
	s_waitcnt vmcnt(4)
	v_fma_f64 v[2:3], v[128:129], v[142:143], v[2:3]
	ds_load_2addr_b64 v[136:139], v1 offset0:99 offset1:100
	ds_load_2addr_b64 v[140:143], v1 offset0:101 offset1:102
	s_waitcnt lgkmcnt(1)
	v_fma_f64 v[2:3], v[130:131], v[136:137], v[2:3]
	s_waitcnt vmcnt(3)
	s_delay_alu instid0(VALU_DEP_1) | instskip(SKIP_1) | instid1(VALU_DEP_1)
	v_fma_f64 v[2:3], v[120:121], v[138:139], v[2:3]
	s_waitcnt lgkmcnt(0)
	v_fma_f64 v[2:3], v[122:123], v[140:141], v[2:3]
	ds_load_2addr_b64 v[120:123], v1 offset0:103 offset1:104
	ds_load_2addr_b64 v[128:131], v1 offset0:105 offset1:106
	s_waitcnt vmcnt(2)
	v_fma_f64 v[2:3], v[132:133], v[142:143], v[2:3]
	s_waitcnt lgkmcnt(1)
	s_delay_alu instid0(VALU_DEP_1) | instskip(SKIP_1) | instid1(VALU_DEP_1)
	v_fma_f64 v[2:3], v[134:135], v[120:121], v[2:3]
	s_waitcnt vmcnt(1)
	v_fma_f64 v[2:3], v[124:125], v[122:123], v[2:3]
	s_waitcnt lgkmcnt(0)
	s_delay_alu instid0(VALU_DEP_1) | instskip(SKIP_1) | instid1(VALU_DEP_1)
	v_fma_f64 v[2:3], v[126:127], v[128:129], v[2:3]
	s_waitcnt vmcnt(0)
	v_fma_f64 v[2:3], v[116:117], v[130:131], v[2:3]
	ds_load_b64 v[116:117], v1 offset:856
	s_waitcnt lgkmcnt(0)
	v_fma_f64 v[2:3], v[118:119], v[116:117], v[2:3]
	s_delay_alu instid0(VALU_DEP_1)
	v_add_f64 v[2:3], v[114:115], -v[2:3]
	scratch_store_b64 off, v[2:3], off offset:160
	v_cmpx_lt_u32_e32 19, v0
	s_cbranch_execz .LBB53_295
; %bb.294:
	scratch_load_b64 v[3:4], off, off offset:152
	v_mov_b32_e32 v2, v1
	scratch_store_b64 off, v[1:2], off offset:152
	s_waitcnt vmcnt(0)
	ds_store_b64 v5, v[3:4]
.LBB53_295:
	s_or_b32 exec_lo, exec_lo, s0
	s_waitcnt lgkmcnt(0)
	s_waitcnt_vscnt null, 0x0
	s_barrier
	buffer_gl0_inv
	s_clause 0x4
	scratch_load_b128 v[114:117], off, off offset:152
	scratch_load_b128 v[118:121], off, off offset:168
	;; [unrolled: 1-line block ×5, first 2 shown]
	ds_load_b128 v[134:137], v1 offset:592
	ds_load_b128 v[138:141], v1 offset:608
	scratch_load_b128 v[142:145], off, off offset:232
	s_mov_b32 s0, exec_lo
	s_waitcnt vmcnt(5) lgkmcnt(1)
	v_fma_f64 v[2:3], v[116:117], v[134:135], 0
	s_waitcnt vmcnt(4)
	s_delay_alu instid0(VALU_DEP_1) | instskip(SKIP_4) | instid1(VALU_DEP_1)
	v_fma_f64 v[2:3], v[118:119], v[136:137], v[2:3]
	scratch_load_b128 v[116:119], off, off offset:248
	s_waitcnt lgkmcnt(0)
	v_fma_f64 v[2:3], v[120:121], v[138:139], v[2:3]
	s_waitcnt vmcnt(4)
	v_fma_f64 v[2:3], v[122:123], v[140:141], v[2:3]
	ds_load_b128 v[120:123], v1 offset:624
	ds_load_b128 v[134:137], v1 offset:640
	scratch_load_b128 v[138:141], off, off offset:264
	s_waitcnt lgkmcnt(1)
	v_fma_f64 v[2:3], v[124:125], v[120:121], v[2:3]
	s_waitcnt vmcnt(4)
	s_delay_alu instid0(VALU_DEP_1) | instskip(SKIP_4) | instid1(VALU_DEP_1)
	v_fma_f64 v[2:3], v[126:127], v[122:123], v[2:3]
	scratch_load_b128 v[120:123], off, off offset:280
	s_waitcnt lgkmcnt(0)
	v_fma_f64 v[2:3], v[128:129], v[134:135], v[2:3]
	s_waitcnt vmcnt(4)
	v_fma_f64 v[2:3], v[130:131], v[136:137], v[2:3]
	ds_load_b128 v[124:127], v1 offset:656
	ds_load_b128 v[128:131], v1 offset:672
	s_waitcnt lgkmcnt(1)
	v_fma_f64 v[2:3], v[132:133], v[124:125], v[2:3]
	scratch_load_b128 v[132:135], off, off offset:296
	s_waitcnt vmcnt(4)
	v_fma_f64 v[2:3], v[142:143], v[126:127], v[2:3]
	scratch_load_b128 v[124:127], off, off offset:312
	s_waitcnt lgkmcnt(0)
	v_fma_f64 v[2:3], v[144:145], v[128:129], v[2:3]
	s_waitcnt vmcnt(4)
	s_delay_alu instid0(VALU_DEP_1)
	v_fma_f64 v[2:3], v[116:117], v[130:131], v[2:3]
	ds_load_b128 v[128:131], v1 offset:688
	ds_load_b128 v[142:145], v1 offset:704
	s_waitcnt lgkmcnt(1)
	v_fma_f64 v[2:3], v[118:119], v[128:129], v[2:3]
	scratch_load_b128 v[116:119], off, off offset:328
	s_waitcnt vmcnt(4)
	v_fma_f64 v[2:3], v[138:139], v[130:131], v[2:3]
	scratch_load_b128 v[128:131], off, off offset:344
	s_waitcnt lgkmcnt(0)
	v_fma_f64 v[2:3], v[140:141], v[142:143], v[2:3]
	ds_load_b128 v[136:139], v1 offset:720
	ds_load_b128 v[140:143], v1 offset:736
	s_waitcnt vmcnt(4)
	v_fma_f64 v[2:3], v[120:121], v[144:145], v[2:3]
	s_waitcnt lgkmcnt(1)
	s_delay_alu instid0(VALU_DEP_1) | instskip(SKIP_4) | instid1(VALU_DEP_1)
	v_fma_f64 v[2:3], v[122:123], v[136:137], v[2:3]
	scratch_load_b128 v[120:123], off, off offset:360
	s_waitcnt vmcnt(4)
	v_fma_f64 v[2:3], v[132:133], v[138:139], v[2:3]
	s_waitcnt lgkmcnt(0)
	v_fma_f64 v[2:3], v[134:135], v[140:141], v[2:3]
	scratch_load_b128 v[132:135], off, off offset:376
	s_waitcnt vmcnt(4)
	v_fma_f64 v[2:3], v[124:125], v[142:143], v[2:3]
	ds_load_b128 v[136:139], v1 offset:752
	ds_load_b128 v[140:143], v1 offset:768
	s_waitcnt lgkmcnt(1)
	v_fma_f64 v[2:3], v[126:127], v[136:137], v[2:3]
	scratch_load_b128 v[124:127], off, off offset:392
	s_waitcnt vmcnt(4)
	v_fma_f64 v[2:3], v[116:117], v[138:139], v[2:3]
	s_waitcnt lgkmcnt(0)
	s_delay_alu instid0(VALU_DEP_1)
	v_fma_f64 v[2:3], v[118:119], v[140:141], v[2:3]
	scratch_load_b128 v[116:119], off, off offset:408
	s_waitcnt vmcnt(4)
	v_fma_f64 v[2:3], v[128:129], v[142:143], v[2:3]
	ds_load_b128 v[136:139], v1 offset:784
	ds_load_b128 v[140:143], v1 offset:800
	s_waitcnt lgkmcnt(1)
	v_fma_f64 v[2:3], v[130:131], v[136:137], v[2:3]
	scratch_load_b64 v[136:137], off, off offset:424
	s_waitcnt vmcnt(4)
	v_fma_f64 v[2:3], v[120:121], v[138:139], v[2:3]
	s_waitcnt lgkmcnt(0)
	s_delay_alu instid0(VALU_DEP_1)
	v_fma_f64 v[2:3], v[122:123], v[140:141], v[2:3]
	ds_load_b128 v[120:123], v1 offset:816
	ds_load_b128 v[128:131], v1 offset:832
	s_waitcnt vmcnt(3)
	v_fma_f64 v[2:3], v[132:133], v[142:143], v[2:3]
	s_waitcnt lgkmcnt(1)
	s_delay_alu instid0(VALU_DEP_1) | instskip(SKIP_1) | instid1(VALU_DEP_1)
	v_fma_f64 v[2:3], v[134:135], v[120:121], v[2:3]
	s_waitcnt vmcnt(2)
	v_fma_f64 v[2:3], v[124:125], v[122:123], v[2:3]
	s_waitcnt lgkmcnt(0)
	s_delay_alu instid0(VALU_DEP_1) | instskip(SKIP_1) | instid1(VALU_DEP_1)
	v_fma_f64 v[2:3], v[126:127], v[128:129], v[2:3]
	s_waitcnt vmcnt(1)
	v_fma_f64 v[116:117], v[116:117], v[130:131], v[2:3]
	ds_load_b128 v[1:4], v1 offset:848
	s_waitcnt lgkmcnt(0)
	v_fma_f64 v[1:2], v[118:119], v[1:2], v[116:117]
	s_waitcnt vmcnt(0)
	s_delay_alu instid0(VALU_DEP_1) | instskip(NEXT) | instid1(VALU_DEP_1)
	v_fma_f64 v[1:2], v[136:137], v[3:4], v[1:2]
	v_add_f64 v[1:2], v[114:115], -v[1:2]
	scratch_store_b64 off, v[1:2], off offset:152
	v_cmpx_lt_u32_e32 18, v0
	s_cbranch_execz .LBB53_297
; %bb.296:
	scratch_load_b64 v[1:2], off, off offset:144
	v_mov_b32_e32 v3, 0
	s_delay_alu instid0(VALU_DEP_1)
	v_mov_b32_e32 v4, v3
	scratch_store_b64 off, v[3:4], off offset:144
	s_waitcnt vmcnt(0)
	ds_store_b64 v5, v[1:2]
.LBB53_297:
	s_or_b32 exec_lo, exec_lo, s0
	s_waitcnt lgkmcnt(0)
	s_waitcnt_vscnt null, 0x0
	s_barrier
	buffer_gl0_inv
	s_clause 0x4
	scratch_load_b128 v[114:117], off, off offset:144
	scratch_load_b128 v[118:121], off, off offset:160
	;; [unrolled: 1-line block ×5, first 2 shown]
	v_mov_b32_e32 v1, 0
	ds_load_2addr_b64 v[134:137], v1 offset0:73 offset1:74
	ds_load_2addr_b64 v[138:141], v1 offset0:75 offset1:76
	scratch_load_b128 v[142:145], off, off offset:224
	s_mov_b32 s0, exec_lo
	s_waitcnt vmcnt(5) lgkmcnt(1)
	v_fma_f64 v[2:3], v[116:117], v[134:135], 0
	s_waitcnt vmcnt(4)
	s_delay_alu instid0(VALU_DEP_1) | instskip(SKIP_4) | instid1(VALU_DEP_1)
	v_fma_f64 v[2:3], v[118:119], v[136:137], v[2:3]
	scratch_load_b128 v[116:119], off, off offset:240
	s_waitcnt lgkmcnt(0)
	v_fma_f64 v[2:3], v[120:121], v[138:139], v[2:3]
	s_waitcnt vmcnt(4)
	v_fma_f64 v[2:3], v[122:123], v[140:141], v[2:3]
	ds_load_2addr_b64 v[120:123], v1 offset0:77 offset1:78
	ds_load_2addr_b64 v[134:137], v1 offset0:79 offset1:80
	scratch_load_b128 v[138:141], off, off offset:256
	s_waitcnt lgkmcnt(1)
	v_fma_f64 v[2:3], v[124:125], v[120:121], v[2:3]
	s_waitcnt vmcnt(4)
	s_delay_alu instid0(VALU_DEP_1) | instskip(SKIP_4) | instid1(VALU_DEP_1)
	v_fma_f64 v[2:3], v[126:127], v[122:123], v[2:3]
	scratch_load_b128 v[120:123], off, off offset:272
	s_waitcnt lgkmcnt(0)
	v_fma_f64 v[2:3], v[128:129], v[134:135], v[2:3]
	s_waitcnt vmcnt(4)
	v_fma_f64 v[2:3], v[130:131], v[136:137], v[2:3]
	ds_load_2addr_b64 v[124:127], v1 offset0:81 offset1:82
	ds_load_2addr_b64 v[128:131], v1 offset0:83 offset1:84
	s_waitcnt lgkmcnt(1)
	v_fma_f64 v[2:3], v[132:133], v[124:125], v[2:3]
	scratch_load_b128 v[132:135], off, off offset:288
	s_waitcnt vmcnt(4)
	v_fma_f64 v[2:3], v[142:143], v[126:127], v[2:3]
	scratch_load_b128 v[124:127], off, off offset:304
	s_waitcnt lgkmcnt(0)
	v_fma_f64 v[2:3], v[144:145], v[128:129], v[2:3]
	s_waitcnt vmcnt(4)
	s_delay_alu instid0(VALU_DEP_1)
	v_fma_f64 v[2:3], v[116:117], v[130:131], v[2:3]
	ds_load_2addr_b64 v[128:131], v1 offset0:85 offset1:86
	ds_load_2addr_b64 v[142:145], v1 offset0:87 offset1:88
	s_waitcnt lgkmcnt(1)
	v_fma_f64 v[2:3], v[118:119], v[128:129], v[2:3]
	scratch_load_b128 v[116:119], off, off offset:320
	s_waitcnt vmcnt(4)
	v_fma_f64 v[2:3], v[138:139], v[130:131], v[2:3]
	scratch_load_b128 v[128:131], off, off offset:336
	s_waitcnt lgkmcnt(0)
	v_fma_f64 v[2:3], v[140:141], v[142:143], v[2:3]
	ds_load_2addr_b64 v[136:139], v1 offset0:89 offset1:90
	ds_load_2addr_b64 v[140:143], v1 offset0:91 offset1:92
	s_waitcnt vmcnt(4)
	v_fma_f64 v[2:3], v[120:121], v[144:145], v[2:3]
	s_waitcnt lgkmcnt(1)
	s_delay_alu instid0(VALU_DEP_1) | instskip(SKIP_4) | instid1(VALU_DEP_1)
	v_fma_f64 v[2:3], v[122:123], v[136:137], v[2:3]
	scratch_load_b128 v[120:123], off, off offset:352
	s_waitcnt vmcnt(4)
	v_fma_f64 v[2:3], v[132:133], v[138:139], v[2:3]
	s_waitcnt lgkmcnt(0)
	v_fma_f64 v[2:3], v[134:135], v[140:141], v[2:3]
	scratch_load_b128 v[132:135], off, off offset:368
	s_waitcnt vmcnt(4)
	v_fma_f64 v[2:3], v[124:125], v[142:143], v[2:3]
	ds_load_2addr_b64 v[136:139], v1 offset0:93 offset1:94
	ds_load_2addr_b64 v[140:143], v1 offset0:95 offset1:96
	s_waitcnt lgkmcnt(1)
	v_fma_f64 v[2:3], v[126:127], v[136:137], v[2:3]
	scratch_load_b128 v[124:127], off, off offset:384
	s_waitcnt vmcnt(4)
	v_fma_f64 v[2:3], v[116:117], v[138:139], v[2:3]
	s_waitcnt lgkmcnt(0)
	s_delay_alu instid0(VALU_DEP_1)
	v_fma_f64 v[2:3], v[118:119], v[140:141], v[2:3]
	scratch_load_b128 v[116:119], off, off offset:400
	s_waitcnt vmcnt(4)
	v_fma_f64 v[2:3], v[128:129], v[142:143], v[2:3]
	ds_load_2addr_b64 v[136:139], v1 offset0:97 offset1:98
	ds_load_2addr_b64 v[140:143], v1 offset0:99 offset1:100
	s_waitcnt lgkmcnt(1)
	v_fma_f64 v[2:3], v[130:131], v[136:137], v[2:3]
	scratch_load_b128 v[128:131], off, off offset:416
	s_waitcnt vmcnt(4)
	v_fma_f64 v[2:3], v[120:121], v[138:139], v[2:3]
	s_waitcnt lgkmcnt(0)
	s_delay_alu instid0(VALU_DEP_1)
	v_fma_f64 v[2:3], v[122:123], v[140:141], v[2:3]
	ds_load_2addr_b64 v[120:123], v1 offset0:101 offset1:102
	ds_load_2addr_b64 v[136:139], v1 offset0:103 offset1:104
	s_waitcnt vmcnt(3)
	v_fma_f64 v[2:3], v[132:133], v[142:143], v[2:3]
	s_waitcnt lgkmcnt(1)
	s_delay_alu instid0(VALU_DEP_1) | instskip(SKIP_1) | instid1(VALU_DEP_1)
	v_fma_f64 v[2:3], v[134:135], v[120:121], v[2:3]
	s_waitcnt vmcnt(2)
	v_fma_f64 v[2:3], v[124:125], v[122:123], v[2:3]
	s_waitcnt lgkmcnt(0)
	s_delay_alu instid0(VALU_DEP_1) | instskip(SKIP_1) | instid1(VALU_DEP_1)
	v_fma_f64 v[2:3], v[126:127], v[136:137], v[2:3]
	s_waitcnt vmcnt(1)
	v_fma_f64 v[2:3], v[116:117], v[138:139], v[2:3]
	ds_load_2addr_b64 v[120:123], v1 offset0:105 offset1:106
	ds_load_b64 v[116:117], v1 offset:856
	s_waitcnt lgkmcnt(1)
	v_fma_f64 v[2:3], v[118:119], v[120:121], v[2:3]
	s_waitcnt vmcnt(0)
	s_delay_alu instid0(VALU_DEP_1) | instskip(SKIP_1) | instid1(VALU_DEP_1)
	v_fma_f64 v[2:3], v[128:129], v[122:123], v[2:3]
	s_waitcnt lgkmcnt(0)
	v_fma_f64 v[2:3], v[130:131], v[116:117], v[2:3]
	s_delay_alu instid0(VALU_DEP_1)
	v_add_f64 v[2:3], v[114:115], -v[2:3]
	scratch_store_b64 off, v[2:3], off offset:144
	v_cmpx_lt_u32_e32 17, v0
	s_cbranch_execz .LBB53_299
; %bb.298:
	scratch_load_b64 v[3:4], off, off offset:136
	v_mov_b32_e32 v2, v1
	scratch_store_b64 off, v[1:2], off offset:136
	s_waitcnt vmcnt(0)
	ds_store_b64 v5, v[3:4]
.LBB53_299:
	s_or_b32 exec_lo, exec_lo, s0
	s_waitcnt lgkmcnt(0)
	s_waitcnt_vscnt null, 0x0
	s_barrier
	buffer_gl0_inv
	s_clause 0x4
	scratch_load_b128 v[114:117], off, off offset:136
	scratch_load_b128 v[118:121], off, off offset:152
	;; [unrolled: 1-line block ×5, first 2 shown]
	ds_load_b128 v[134:137], v1 offset:576
	ds_load_b128 v[138:141], v1 offset:592
	scratch_load_b128 v[142:145], off, off offset:216
	s_mov_b32 s0, exec_lo
	s_waitcnt vmcnt(5) lgkmcnt(1)
	v_fma_f64 v[2:3], v[116:117], v[134:135], 0
	s_waitcnt vmcnt(4)
	s_delay_alu instid0(VALU_DEP_1) | instskip(SKIP_4) | instid1(VALU_DEP_1)
	v_fma_f64 v[2:3], v[118:119], v[136:137], v[2:3]
	scratch_load_b128 v[116:119], off, off offset:232
	s_waitcnt lgkmcnt(0)
	v_fma_f64 v[2:3], v[120:121], v[138:139], v[2:3]
	s_waitcnt vmcnt(4)
	v_fma_f64 v[2:3], v[122:123], v[140:141], v[2:3]
	ds_load_b128 v[120:123], v1 offset:608
	ds_load_b128 v[134:137], v1 offset:624
	scratch_load_b128 v[138:141], off, off offset:248
	s_waitcnt lgkmcnt(1)
	v_fma_f64 v[2:3], v[124:125], v[120:121], v[2:3]
	s_waitcnt vmcnt(4)
	s_delay_alu instid0(VALU_DEP_1) | instskip(SKIP_4) | instid1(VALU_DEP_1)
	v_fma_f64 v[2:3], v[126:127], v[122:123], v[2:3]
	scratch_load_b128 v[120:123], off, off offset:264
	s_waitcnt lgkmcnt(0)
	v_fma_f64 v[2:3], v[128:129], v[134:135], v[2:3]
	s_waitcnt vmcnt(4)
	v_fma_f64 v[2:3], v[130:131], v[136:137], v[2:3]
	ds_load_b128 v[124:127], v1 offset:640
	ds_load_b128 v[128:131], v1 offset:656
	s_waitcnt lgkmcnt(1)
	v_fma_f64 v[2:3], v[132:133], v[124:125], v[2:3]
	scratch_load_b128 v[132:135], off, off offset:280
	s_waitcnt vmcnt(4)
	v_fma_f64 v[2:3], v[142:143], v[126:127], v[2:3]
	scratch_load_b128 v[124:127], off, off offset:296
	s_waitcnt lgkmcnt(0)
	v_fma_f64 v[2:3], v[144:145], v[128:129], v[2:3]
	s_waitcnt vmcnt(4)
	s_delay_alu instid0(VALU_DEP_1)
	v_fma_f64 v[2:3], v[116:117], v[130:131], v[2:3]
	ds_load_b128 v[128:131], v1 offset:672
	ds_load_b128 v[142:145], v1 offset:688
	s_waitcnt lgkmcnt(1)
	v_fma_f64 v[2:3], v[118:119], v[128:129], v[2:3]
	scratch_load_b128 v[116:119], off, off offset:312
	s_waitcnt vmcnt(4)
	v_fma_f64 v[2:3], v[138:139], v[130:131], v[2:3]
	scratch_load_b128 v[128:131], off, off offset:328
	s_waitcnt lgkmcnt(0)
	v_fma_f64 v[2:3], v[140:141], v[142:143], v[2:3]
	ds_load_b128 v[136:139], v1 offset:704
	ds_load_b128 v[140:143], v1 offset:720
	s_waitcnt vmcnt(4)
	v_fma_f64 v[2:3], v[120:121], v[144:145], v[2:3]
	s_waitcnt lgkmcnt(1)
	s_delay_alu instid0(VALU_DEP_1) | instskip(SKIP_4) | instid1(VALU_DEP_1)
	v_fma_f64 v[2:3], v[122:123], v[136:137], v[2:3]
	scratch_load_b128 v[120:123], off, off offset:344
	s_waitcnt vmcnt(4)
	v_fma_f64 v[2:3], v[132:133], v[138:139], v[2:3]
	s_waitcnt lgkmcnt(0)
	v_fma_f64 v[2:3], v[134:135], v[140:141], v[2:3]
	scratch_load_b128 v[132:135], off, off offset:360
	s_waitcnt vmcnt(4)
	v_fma_f64 v[2:3], v[124:125], v[142:143], v[2:3]
	ds_load_b128 v[136:139], v1 offset:736
	ds_load_b128 v[140:143], v1 offset:752
	s_waitcnt lgkmcnt(1)
	v_fma_f64 v[2:3], v[126:127], v[136:137], v[2:3]
	scratch_load_b128 v[124:127], off, off offset:376
	s_waitcnt vmcnt(4)
	v_fma_f64 v[2:3], v[116:117], v[138:139], v[2:3]
	s_waitcnt lgkmcnt(0)
	s_delay_alu instid0(VALU_DEP_1)
	v_fma_f64 v[2:3], v[118:119], v[140:141], v[2:3]
	scratch_load_b128 v[116:119], off, off offset:392
	s_waitcnt vmcnt(4)
	v_fma_f64 v[2:3], v[128:129], v[142:143], v[2:3]
	ds_load_b128 v[136:139], v1 offset:768
	ds_load_b128 v[140:143], v1 offset:784
	s_waitcnt lgkmcnt(1)
	v_fma_f64 v[2:3], v[130:131], v[136:137], v[2:3]
	scratch_load_b128 v[128:131], off, off offset:408
	s_waitcnt vmcnt(4)
	v_fma_f64 v[2:3], v[120:121], v[138:139], v[2:3]
	s_waitcnt lgkmcnt(0)
	s_delay_alu instid0(VALU_DEP_1)
	v_fma_f64 v[2:3], v[122:123], v[140:141], v[2:3]
	scratch_load_b64 v[140:141], off, off offset:424
	ds_load_b128 v[120:123], v1 offset:800
	ds_load_b128 v[136:139], v1 offset:816
	s_waitcnt vmcnt(4)
	v_fma_f64 v[2:3], v[132:133], v[142:143], v[2:3]
	s_waitcnt lgkmcnt(1)
	s_delay_alu instid0(VALU_DEP_1) | instskip(SKIP_1) | instid1(VALU_DEP_1)
	v_fma_f64 v[2:3], v[134:135], v[120:121], v[2:3]
	s_waitcnt vmcnt(3)
	v_fma_f64 v[2:3], v[124:125], v[122:123], v[2:3]
	s_waitcnt lgkmcnt(0)
	s_delay_alu instid0(VALU_DEP_1) | instskip(SKIP_1) | instid1(VALU_DEP_1)
	v_fma_f64 v[2:3], v[126:127], v[136:137], v[2:3]
	s_waitcnt vmcnt(2)
	v_fma_f64 v[116:117], v[116:117], v[138:139], v[2:3]
	ds_load_b128 v[120:123], v1 offset:832
	ds_load_b128 v[1:4], v1 offset:848
	s_waitcnt lgkmcnt(1)
	v_fma_f64 v[116:117], v[118:119], v[120:121], v[116:117]
	s_waitcnt vmcnt(1)
	s_delay_alu instid0(VALU_DEP_1) | instskip(SKIP_1) | instid1(VALU_DEP_1)
	v_fma_f64 v[116:117], v[128:129], v[122:123], v[116:117]
	s_waitcnt lgkmcnt(0)
	v_fma_f64 v[1:2], v[130:131], v[1:2], v[116:117]
	s_waitcnt vmcnt(0)
	s_delay_alu instid0(VALU_DEP_1) | instskip(NEXT) | instid1(VALU_DEP_1)
	v_fma_f64 v[1:2], v[140:141], v[3:4], v[1:2]
	v_add_f64 v[1:2], v[114:115], -v[1:2]
	scratch_store_b64 off, v[1:2], off offset:136
	v_cmpx_lt_u32_e32 16, v0
	s_cbranch_execz .LBB53_301
; %bb.300:
	scratch_load_b64 v[1:2], off, off offset:128
	v_mov_b32_e32 v3, 0
	s_delay_alu instid0(VALU_DEP_1)
	v_mov_b32_e32 v4, v3
	scratch_store_b64 off, v[3:4], off offset:128
	s_waitcnt vmcnt(0)
	ds_store_b64 v5, v[1:2]
.LBB53_301:
	s_or_b32 exec_lo, exec_lo, s0
	s_waitcnt lgkmcnt(0)
	s_waitcnt_vscnt null, 0x0
	s_barrier
	buffer_gl0_inv
	s_clause 0x4
	scratch_load_b128 v[114:117], off, off offset:128
	scratch_load_b128 v[118:121], off, off offset:144
	;; [unrolled: 1-line block ×5, first 2 shown]
	v_mov_b32_e32 v1, 0
	ds_load_2addr_b64 v[134:137], v1 offset0:71 offset1:72
	ds_load_2addr_b64 v[138:141], v1 offset0:73 offset1:74
	scratch_load_b128 v[142:145], off, off offset:208
	s_mov_b32 s0, exec_lo
	s_waitcnt vmcnt(5) lgkmcnt(1)
	v_fma_f64 v[2:3], v[116:117], v[134:135], 0
	s_waitcnt vmcnt(4)
	s_delay_alu instid0(VALU_DEP_1) | instskip(SKIP_4) | instid1(VALU_DEP_1)
	v_fma_f64 v[2:3], v[118:119], v[136:137], v[2:3]
	scratch_load_b128 v[116:119], off, off offset:224
	s_waitcnt lgkmcnt(0)
	v_fma_f64 v[2:3], v[120:121], v[138:139], v[2:3]
	s_waitcnt vmcnt(4)
	v_fma_f64 v[2:3], v[122:123], v[140:141], v[2:3]
	ds_load_2addr_b64 v[120:123], v1 offset0:75 offset1:76
	ds_load_2addr_b64 v[134:137], v1 offset0:77 offset1:78
	scratch_load_b128 v[138:141], off, off offset:240
	s_waitcnt lgkmcnt(1)
	v_fma_f64 v[2:3], v[124:125], v[120:121], v[2:3]
	s_waitcnt vmcnt(4)
	s_delay_alu instid0(VALU_DEP_1) | instskip(SKIP_4) | instid1(VALU_DEP_1)
	v_fma_f64 v[2:3], v[126:127], v[122:123], v[2:3]
	scratch_load_b128 v[120:123], off, off offset:256
	s_waitcnt lgkmcnt(0)
	v_fma_f64 v[2:3], v[128:129], v[134:135], v[2:3]
	s_waitcnt vmcnt(4)
	v_fma_f64 v[2:3], v[130:131], v[136:137], v[2:3]
	ds_load_2addr_b64 v[124:127], v1 offset0:79 offset1:80
	ds_load_2addr_b64 v[128:131], v1 offset0:81 offset1:82
	s_waitcnt lgkmcnt(1)
	v_fma_f64 v[2:3], v[132:133], v[124:125], v[2:3]
	scratch_load_b128 v[132:135], off, off offset:272
	s_waitcnt vmcnt(4)
	v_fma_f64 v[2:3], v[142:143], v[126:127], v[2:3]
	scratch_load_b128 v[124:127], off, off offset:288
	s_waitcnt lgkmcnt(0)
	v_fma_f64 v[2:3], v[144:145], v[128:129], v[2:3]
	s_waitcnt vmcnt(4)
	s_delay_alu instid0(VALU_DEP_1)
	v_fma_f64 v[2:3], v[116:117], v[130:131], v[2:3]
	ds_load_2addr_b64 v[128:131], v1 offset0:83 offset1:84
	ds_load_2addr_b64 v[142:145], v1 offset0:85 offset1:86
	s_waitcnt lgkmcnt(1)
	v_fma_f64 v[2:3], v[118:119], v[128:129], v[2:3]
	scratch_load_b128 v[116:119], off, off offset:304
	s_waitcnt vmcnt(4)
	v_fma_f64 v[2:3], v[138:139], v[130:131], v[2:3]
	scratch_load_b128 v[128:131], off, off offset:320
	s_waitcnt lgkmcnt(0)
	v_fma_f64 v[2:3], v[140:141], v[142:143], v[2:3]
	ds_load_2addr_b64 v[136:139], v1 offset0:87 offset1:88
	ds_load_2addr_b64 v[140:143], v1 offset0:89 offset1:90
	s_waitcnt vmcnt(4)
	v_fma_f64 v[2:3], v[120:121], v[144:145], v[2:3]
	s_waitcnt lgkmcnt(1)
	s_delay_alu instid0(VALU_DEP_1) | instskip(SKIP_4) | instid1(VALU_DEP_1)
	v_fma_f64 v[2:3], v[122:123], v[136:137], v[2:3]
	scratch_load_b128 v[120:123], off, off offset:336
	s_waitcnt vmcnt(4)
	v_fma_f64 v[2:3], v[132:133], v[138:139], v[2:3]
	s_waitcnt lgkmcnt(0)
	v_fma_f64 v[2:3], v[134:135], v[140:141], v[2:3]
	scratch_load_b128 v[132:135], off, off offset:352
	s_waitcnt vmcnt(4)
	v_fma_f64 v[2:3], v[124:125], v[142:143], v[2:3]
	ds_load_2addr_b64 v[136:139], v1 offset0:91 offset1:92
	ds_load_2addr_b64 v[140:143], v1 offset0:93 offset1:94
	s_waitcnt lgkmcnt(1)
	v_fma_f64 v[2:3], v[126:127], v[136:137], v[2:3]
	scratch_load_b128 v[124:127], off, off offset:368
	s_waitcnt vmcnt(4)
	v_fma_f64 v[2:3], v[116:117], v[138:139], v[2:3]
	s_waitcnt lgkmcnt(0)
	s_delay_alu instid0(VALU_DEP_1)
	v_fma_f64 v[2:3], v[118:119], v[140:141], v[2:3]
	scratch_load_b128 v[116:119], off, off offset:384
	s_waitcnt vmcnt(4)
	v_fma_f64 v[2:3], v[128:129], v[142:143], v[2:3]
	ds_load_2addr_b64 v[136:139], v1 offset0:95 offset1:96
	ds_load_2addr_b64 v[140:143], v1 offset0:97 offset1:98
	s_waitcnt lgkmcnt(1)
	v_fma_f64 v[2:3], v[130:131], v[136:137], v[2:3]
	scratch_load_b128 v[128:131], off, off offset:400
	s_waitcnt vmcnt(4)
	v_fma_f64 v[2:3], v[120:121], v[138:139], v[2:3]
	s_waitcnt lgkmcnt(0)
	s_delay_alu instid0(VALU_DEP_1)
	v_fma_f64 v[2:3], v[122:123], v[140:141], v[2:3]
	scratch_load_b128 v[120:123], off, off offset:416
	s_waitcnt vmcnt(4)
	v_fma_f64 v[2:3], v[132:133], v[142:143], v[2:3]
	ds_load_2addr_b64 v[136:139], v1 offset0:99 offset1:100
	ds_load_2addr_b64 v[140:143], v1 offset0:101 offset1:102
	s_waitcnt lgkmcnt(1)
	v_fma_f64 v[2:3], v[134:135], v[136:137], v[2:3]
	s_waitcnt vmcnt(3)
	s_delay_alu instid0(VALU_DEP_1) | instskip(SKIP_1) | instid1(VALU_DEP_1)
	v_fma_f64 v[2:3], v[124:125], v[138:139], v[2:3]
	s_waitcnt lgkmcnt(0)
	v_fma_f64 v[2:3], v[126:127], v[140:141], v[2:3]
	ds_load_2addr_b64 v[124:127], v1 offset0:103 offset1:104
	ds_load_2addr_b64 v[132:135], v1 offset0:105 offset1:106
	s_waitcnt vmcnt(2)
	v_fma_f64 v[2:3], v[116:117], v[142:143], v[2:3]
	ds_load_b64 v[116:117], v1 offset:856
	s_waitcnt lgkmcnt(2)
	v_fma_f64 v[2:3], v[118:119], v[124:125], v[2:3]
	s_waitcnt vmcnt(1)
	s_delay_alu instid0(VALU_DEP_1) | instskip(SKIP_1) | instid1(VALU_DEP_1)
	v_fma_f64 v[2:3], v[128:129], v[126:127], v[2:3]
	s_waitcnt lgkmcnt(1)
	v_fma_f64 v[2:3], v[130:131], v[132:133], v[2:3]
	s_waitcnt vmcnt(0)
	s_delay_alu instid0(VALU_DEP_1) | instskip(SKIP_1) | instid1(VALU_DEP_1)
	v_fma_f64 v[2:3], v[120:121], v[134:135], v[2:3]
	s_waitcnt lgkmcnt(0)
	v_fma_f64 v[2:3], v[122:123], v[116:117], v[2:3]
	s_delay_alu instid0(VALU_DEP_1)
	v_add_f64 v[2:3], v[114:115], -v[2:3]
	scratch_store_b64 off, v[2:3], off offset:128
	v_cmpx_lt_u32_e32 15, v0
	s_cbranch_execz .LBB53_303
; %bb.302:
	scratch_load_b64 v[3:4], off, off offset:120
	v_mov_b32_e32 v2, v1
	scratch_store_b64 off, v[1:2], off offset:120
	s_waitcnt vmcnt(0)
	ds_store_b64 v5, v[3:4]
.LBB53_303:
	s_or_b32 exec_lo, exec_lo, s0
	s_waitcnt lgkmcnt(0)
	s_waitcnt_vscnt null, 0x0
	s_barrier
	buffer_gl0_inv
	s_clause 0x4
	scratch_load_b128 v[114:117], off, off offset:120
	scratch_load_b128 v[118:121], off, off offset:136
	;; [unrolled: 1-line block ×5, first 2 shown]
	ds_load_b128 v[134:137], v1 offset:560
	ds_load_b128 v[138:141], v1 offset:576
	scratch_load_b128 v[142:145], off, off offset:200
	s_mov_b32 s0, exec_lo
	s_waitcnt vmcnt(5) lgkmcnt(1)
	v_fma_f64 v[2:3], v[116:117], v[134:135], 0
	s_waitcnt vmcnt(4)
	s_delay_alu instid0(VALU_DEP_1) | instskip(SKIP_4) | instid1(VALU_DEP_1)
	v_fma_f64 v[2:3], v[118:119], v[136:137], v[2:3]
	scratch_load_b128 v[116:119], off, off offset:216
	s_waitcnt lgkmcnt(0)
	v_fma_f64 v[2:3], v[120:121], v[138:139], v[2:3]
	s_waitcnt vmcnt(4)
	v_fma_f64 v[2:3], v[122:123], v[140:141], v[2:3]
	ds_load_b128 v[120:123], v1 offset:592
	ds_load_b128 v[134:137], v1 offset:608
	scratch_load_b128 v[138:141], off, off offset:232
	s_waitcnt lgkmcnt(1)
	v_fma_f64 v[2:3], v[124:125], v[120:121], v[2:3]
	s_waitcnt vmcnt(4)
	s_delay_alu instid0(VALU_DEP_1) | instskip(SKIP_4) | instid1(VALU_DEP_1)
	v_fma_f64 v[2:3], v[126:127], v[122:123], v[2:3]
	scratch_load_b128 v[120:123], off, off offset:248
	s_waitcnt lgkmcnt(0)
	v_fma_f64 v[2:3], v[128:129], v[134:135], v[2:3]
	s_waitcnt vmcnt(4)
	v_fma_f64 v[2:3], v[130:131], v[136:137], v[2:3]
	ds_load_b128 v[124:127], v1 offset:624
	ds_load_b128 v[128:131], v1 offset:640
	s_waitcnt lgkmcnt(1)
	v_fma_f64 v[2:3], v[132:133], v[124:125], v[2:3]
	scratch_load_b128 v[132:135], off, off offset:264
	s_waitcnt vmcnt(4)
	v_fma_f64 v[2:3], v[142:143], v[126:127], v[2:3]
	scratch_load_b128 v[124:127], off, off offset:280
	s_waitcnt lgkmcnt(0)
	v_fma_f64 v[2:3], v[144:145], v[128:129], v[2:3]
	s_waitcnt vmcnt(4)
	s_delay_alu instid0(VALU_DEP_1)
	v_fma_f64 v[2:3], v[116:117], v[130:131], v[2:3]
	ds_load_b128 v[128:131], v1 offset:656
	ds_load_b128 v[142:145], v1 offset:672
	s_waitcnt lgkmcnt(1)
	v_fma_f64 v[2:3], v[118:119], v[128:129], v[2:3]
	scratch_load_b128 v[116:119], off, off offset:296
	s_waitcnt vmcnt(4)
	v_fma_f64 v[2:3], v[138:139], v[130:131], v[2:3]
	scratch_load_b128 v[128:131], off, off offset:312
	s_waitcnt lgkmcnt(0)
	v_fma_f64 v[2:3], v[140:141], v[142:143], v[2:3]
	ds_load_b128 v[136:139], v1 offset:688
	ds_load_b128 v[140:143], v1 offset:704
	s_waitcnt vmcnt(4)
	v_fma_f64 v[2:3], v[120:121], v[144:145], v[2:3]
	s_waitcnt lgkmcnt(1)
	s_delay_alu instid0(VALU_DEP_1) | instskip(SKIP_4) | instid1(VALU_DEP_1)
	v_fma_f64 v[2:3], v[122:123], v[136:137], v[2:3]
	scratch_load_b128 v[120:123], off, off offset:328
	s_waitcnt vmcnt(4)
	v_fma_f64 v[2:3], v[132:133], v[138:139], v[2:3]
	s_waitcnt lgkmcnt(0)
	v_fma_f64 v[2:3], v[134:135], v[140:141], v[2:3]
	scratch_load_b128 v[132:135], off, off offset:344
	s_waitcnt vmcnt(4)
	v_fma_f64 v[2:3], v[124:125], v[142:143], v[2:3]
	ds_load_b128 v[136:139], v1 offset:720
	ds_load_b128 v[140:143], v1 offset:736
	s_waitcnt lgkmcnt(1)
	v_fma_f64 v[2:3], v[126:127], v[136:137], v[2:3]
	scratch_load_b128 v[124:127], off, off offset:360
	s_waitcnt vmcnt(4)
	v_fma_f64 v[2:3], v[116:117], v[138:139], v[2:3]
	s_waitcnt lgkmcnt(0)
	s_delay_alu instid0(VALU_DEP_1)
	v_fma_f64 v[2:3], v[118:119], v[140:141], v[2:3]
	scratch_load_b128 v[116:119], off, off offset:376
	s_waitcnt vmcnt(4)
	v_fma_f64 v[2:3], v[128:129], v[142:143], v[2:3]
	ds_load_b128 v[136:139], v1 offset:752
	ds_load_b128 v[140:143], v1 offset:768
	s_waitcnt lgkmcnt(1)
	v_fma_f64 v[2:3], v[130:131], v[136:137], v[2:3]
	scratch_load_b128 v[128:131], off, off offset:392
	s_waitcnt vmcnt(4)
	v_fma_f64 v[2:3], v[120:121], v[138:139], v[2:3]
	s_waitcnt lgkmcnt(0)
	s_delay_alu instid0(VALU_DEP_1)
	v_fma_f64 v[2:3], v[122:123], v[140:141], v[2:3]
	scratch_load_b128 v[120:123], off, off offset:408
	s_waitcnt vmcnt(4)
	v_fma_f64 v[2:3], v[132:133], v[142:143], v[2:3]
	ds_load_b128 v[136:139], v1 offset:784
	ds_load_b128 v[140:143], v1 offset:800
	s_waitcnt lgkmcnt(1)
	v_fma_f64 v[2:3], v[134:135], v[136:137], v[2:3]
	scratch_load_b64 v[136:137], off, off offset:424
	s_waitcnt vmcnt(4)
	v_fma_f64 v[2:3], v[124:125], v[138:139], v[2:3]
	s_waitcnt lgkmcnt(0)
	s_delay_alu instid0(VALU_DEP_1)
	v_fma_f64 v[2:3], v[126:127], v[140:141], v[2:3]
	ds_load_b128 v[124:127], v1 offset:816
	ds_load_b128 v[132:135], v1 offset:832
	s_waitcnt vmcnt(3)
	v_fma_f64 v[2:3], v[116:117], v[142:143], v[2:3]
	s_waitcnt lgkmcnt(1)
	s_delay_alu instid0(VALU_DEP_1) | instskip(SKIP_1) | instid1(VALU_DEP_1)
	v_fma_f64 v[2:3], v[118:119], v[124:125], v[2:3]
	s_waitcnt vmcnt(2)
	v_fma_f64 v[2:3], v[128:129], v[126:127], v[2:3]
	s_waitcnt lgkmcnt(0)
	s_delay_alu instid0(VALU_DEP_1) | instskip(SKIP_1) | instid1(VALU_DEP_1)
	v_fma_f64 v[2:3], v[130:131], v[132:133], v[2:3]
	s_waitcnt vmcnt(1)
	v_fma_f64 v[116:117], v[120:121], v[134:135], v[2:3]
	ds_load_b128 v[1:4], v1 offset:848
	s_waitcnt lgkmcnt(0)
	v_fma_f64 v[1:2], v[122:123], v[1:2], v[116:117]
	s_waitcnt vmcnt(0)
	s_delay_alu instid0(VALU_DEP_1) | instskip(NEXT) | instid1(VALU_DEP_1)
	v_fma_f64 v[1:2], v[136:137], v[3:4], v[1:2]
	v_add_f64 v[1:2], v[114:115], -v[1:2]
	scratch_store_b64 off, v[1:2], off offset:120
	v_cmpx_lt_u32_e32 14, v0
	s_cbranch_execz .LBB53_305
; %bb.304:
	scratch_load_b64 v[1:2], off, off offset:112
	v_mov_b32_e32 v3, 0
	s_delay_alu instid0(VALU_DEP_1)
	v_mov_b32_e32 v4, v3
	scratch_store_b64 off, v[3:4], off offset:112
	s_waitcnt vmcnt(0)
	ds_store_b64 v5, v[1:2]
.LBB53_305:
	s_or_b32 exec_lo, exec_lo, s0
	s_waitcnt lgkmcnt(0)
	s_waitcnt_vscnt null, 0x0
	s_barrier
	buffer_gl0_inv
	s_clause 0x4
	scratch_load_b128 v[114:117], off, off offset:112
	scratch_load_b128 v[118:121], off, off offset:128
	;; [unrolled: 1-line block ×5, first 2 shown]
	v_mov_b32_e32 v1, 0
	ds_load_2addr_b64 v[134:137], v1 offset0:69 offset1:70
	ds_load_2addr_b64 v[138:141], v1 offset0:71 offset1:72
	scratch_load_b128 v[142:145], off, off offset:192
	s_mov_b32 s0, exec_lo
	s_waitcnt vmcnt(5) lgkmcnt(1)
	v_fma_f64 v[2:3], v[116:117], v[134:135], 0
	s_waitcnt vmcnt(4)
	s_delay_alu instid0(VALU_DEP_1) | instskip(SKIP_4) | instid1(VALU_DEP_1)
	v_fma_f64 v[2:3], v[118:119], v[136:137], v[2:3]
	scratch_load_b128 v[116:119], off, off offset:208
	s_waitcnt lgkmcnt(0)
	v_fma_f64 v[2:3], v[120:121], v[138:139], v[2:3]
	s_waitcnt vmcnt(4)
	v_fma_f64 v[2:3], v[122:123], v[140:141], v[2:3]
	ds_load_2addr_b64 v[120:123], v1 offset0:73 offset1:74
	ds_load_2addr_b64 v[134:137], v1 offset0:75 offset1:76
	scratch_load_b128 v[138:141], off, off offset:224
	s_waitcnt lgkmcnt(1)
	v_fma_f64 v[2:3], v[124:125], v[120:121], v[2:3]
	s_waitcnt vmcnt(4)
	s_delay_alu instid0(VALU_DEP_1) | instskip(SKIP_4) | instid1(VALU_DEP_1)
	v_fma_f64 v[2:3], v[126:127], v[122:123], v[2:3]
	scratch_load_b128 v[120:123], off, off offset:240
	s_waitcnt lgkmcnt(0)
	v_fma_f64 v[2:3], v[128:129], v[134:135], v[2:3]
	s_waitcnt vmcnt(4)
	v_fma_f64 v[2:3], v[130:131], v[136:137], v[2:3]
	ds_load_2addr_b64 v[124:127], v1 offset0:77 offset1:78
	ds_load_2addr_b64 v[128:131], v1 offset0:79 offset1:80
	s_waitcnt lgkmcnt(1)
	v_fma_f64 v[2:3], v[132:133], v[124:125], v[2:3]
	scratch_load_b128 v[132:135], off, off offset:256
	s_waitcnt vmcnt(4)
	v_fma_f64 v[2:3], v[142:143], v[126:127], v[2:3]
	scratch_load_b128 v[124:127], off, off offset:272
	s_waitcnt lgkmcnt(0)
	v_fma_f64 v[2:3], v[144:145], v[128:129], v[2:3]
	s_waitcnt vmcnt(4)
	s_delay_alu instid0(VALU_DEP_1)
	v_fma_f64 v[2:3], v[116:117], v[130:131], v[2:3]
	ds_load_2addr_b64 v[128:131], v1 offset0:81 offset1:82
	ds_load_2addr_b64 v[142:145], v1 offset0:83 offset1:84
	s_waitcnt lgkmcnt(1)
	v_fma_f64 v[2:3], v[118:119], v[128:129], v[2:3]
	scratch_load_b128 v[116:119], off, off offset:288
	s_waitcnt vmcnt(4)
	v_fma_f64 v[2:3], v[138:139], v[130:131], v[2:3]
	scratch_load_b128 v[128:131], off, off offset:304
	s_waitcnt lgkmcnt(0)
	v_fma_f64 v[2:3], v[140:141], v[142:143], v[2:3]
	ds_load_2addr_b64 v[136:139], v1 offset0:85 offset1:86
	ds_load_2addr_b64 v[140:143], v1 offset0:87 offset1:88
	s_waitcnt vmcnt(4)
	v_fma_f64 v[2:3], v[120:121], v[144:145], v[2:3]
	s_waitcnt lgkmcnt(1)
	s_delay_alu instid0(VALU_DEP_1) | instskip(SKIP_4) | instid1(VALU_DEP_1)
	v_fma_f64 v[2:3], v[122:123], v[136:137], v[2:3]
	scratch_load_b128 v[120:123], off, off offset:320
	s_waitcnt vmcnt(4)
	v_fma_f64 v[2:3], v[132:133], v[138:139], v[2:3]
	s_waitcnt lgkmcnt(0)
	v_fma_f64 v[2:3], v[134:135], v[140:141], v[2:3]
	scratch_load_b128 v[132:135], off, off offset:336
	s_waitcnt vmcnt(4)
	v_fma_f64 v[2:3], v[124:125], v[142:143], v[2:3]
	ds_load_2addr_b64 v[136:139], v1 offset0:89 offset1:90
	ds_load_2addr_b64 v[140:143], v1 offset0:91 offset1:92
	s_waitcnt lgkmcnt(1)
	v_fma_f64 v[2:3], v[126:127], v[136:137], v[2:3]
	scratch_load_b128 v[124:127], off, off offset:352
	s_waitcnt vmcnt(4)
	v_fma_f64 v[2:3], v[116:117], v[138:139], v[2:3]
	s_waitcnt lgkmcnt(0)
	s_delay_alu instid0(VALU_DEP_1)
	v_fma_f64 v[2:3], v[118:119], v[140:141], v[2:3]
	scratch_load_b128 v[116:119], off, off offset:368
	s_waitcnt vmcnt(4)
	v_fma_f64 v[2:3], v[128:129], v[142:143], v[2:3]
	ds_load_2addr_b64 v[136:139], v1 offset0:93 offset1:94
	ds_load_2addr_b64 v[140:143], v1 offset0:95 offset1:96
	s_waitcnt lgkmcnt(1)
	v_fma_f64 v[2:3], v[130:131], v[136:137], v[2:3]
	scratch_load_b128 v[128:131], off, off offset:384
	s_waitcnt vmcnt(4)
	v_fma_f64 v[2:3], v[120:121], v[138:139], v[2:3]
	s_waitcnt lgkmcnt(0)
	s_delay_alu instid0(VALU_DEP_1)
	v_fma_f64 v[2:3], v[122:123], v[140:141], v[2:3]
	scratch_load_b128 v[120:123], off, off offset:400
	s_waitcnt vmcnt(4)
	v_fma_f64 v[2:3], v[132:133], v[142:143], v[2:3]
	ds_load_2addr_b64 v[136:139], v1 offset0:97 offset1:98
	ds_load_2addr_b64 v[140:143], v1 offset0:99 offset1:100
	s_waitcnt lgkmcnt(1)
	v_fma_f64 v[2:3], v[134:135], v[136:137], v[2:3]
	scratch_load_b128 v[132:135], off, off offset:416
	s_waitcnt vmcnt(4)
	v_fma_f64 v[2:3], v[124:125], v[138:139], v[2:3]
	s_waitcnt lgkmcnt(0)
	s_delay_alu instid0(VALU_DEP_1)
	v_fma_f64 v[2:3], v[126:127], v[140:141], v[2:3]
	ds_load_2addr_b64 v[124:127], v1 offset0:101 offset1:102
	ds_load_2addr_b64 v[136:139], v1 offset0:103 offset1:104
	s_waitcnt vmcnt(3)
	v_fma_f64 v[2:3], v[116:117], v[142:143], v[2:3]
	s_waitcnt lgkmcnt(1)
	s_delay_alu instid0(VALU_DEP_1) | instskip(SKIP_1) | instid1(VALU_DEP_1)
	v_fma_f64 v[2:3], v[118:119], v[124:125], v[2:3]
	s_waitcnt vmcnt(2)
	v_fma_f64 v[2:3], v[128:129], v[126:127], v[2:3]
	s_waitcnt lgkmcnt(0)
	s_delay_alu instid0(VALU_DEP_1) | instskip(SKIP_1) | instid1(VALU_DEP_1)
	v_fma_f64 v[2:3], v[130:131], v[136:137], v[2:3]
	s_waitcnt vmcnt(1)
	v_fma_f64 v[2:3], v[120:121], v[138:139], v[2:3]
	ds_load_2addr_b64 v[116:119], v1 offset0:105 offset1:106
	ds_load_b64 v[120:121], v1 offset:856
	s_waitcnt lgkmcnt(1)
	v_fma_f64 v[2:3], v[122:123], v[116:117], v[2:3]
	s_waitcnt vmcnt(0)
	s_delay_alu instid0(VALU_DEP_1) | instskip(SKIP_1) | instid1(VALU_DEP_1)
	v_fma_f64 v[2:3], v[132:133], v[118:119], v[2:3]
	s_waitcnt lgkmcnt(0)
	v_fma_f64 v[2:3], v[134:135], v[120:121], v[2:3]
	s_delay_alu instid0(VALU_DEP_1)
	v_add_f64 v[2:3], v[114:115], -v[2:3]
	scratch_store_b64 off, v[2:3], off offset:112
	v_cmpx_lt_u32_e32 13, v0
	s_cbranch_execz .LBB53_307
; %bb.306:
	scratch_load_b64 v[3:4], off, off offset:104
	v_mov_b32_e32 v2, v1
	scratch_store_b64 off, v[1:2], off offset:104
	s_waitcnt vmcnt(0)
	ds_store_b64 v5, v[3:4]
.LBB53_307:
	s_or_b32 exec_lo, exec_lo, s0
	s_waitcnt lgkmcnt(0)
	s_waitcnt_vscnt null, 0x0
	s_barrier
	buffer_gl0_inv
	s_clause 0x4
	scratch_load_b128 v[114:117], off, off offset:104
	scratch_load_b128 v[118:121], off, off offset:120
	;; [unrolled: 1-line block ×5, first 2 shown]
	ds_load_b128 v[134:137], v1 offset:544
	ds_load_b128 v[138:141], v1 offset:560
	scratch_load_b128 v[142:145], off, off offset:184
	s_mov_b32 s0, exec_lo
	s_waitcnt vmcnt(5) lgkmcnt(1)
	v_fma_f64 v[2:3], v[116:117], v[134:135], 0
	s_waitcnt vmcnt(4)
	s_delay_alu instid0(VALU_DEP_1) | instskip(SKIP_4) | instid1(VALU_DEP_1)
	v_fma_f64 v[2:3], v[118:119], v[136:137], v[2:3]
	scratch_load_b128 v[116:119], off, off offset:200
	s_waitcnt lgkmcnt(0)
	v_fma_f64 v[2:3], v[120:121], v[138:139], v[2:3]
	s_waitcnt vmcnt(4)
	v_fma_f64 v[2:3], v[122:123], v[140:141], v[2:3]
	ds_load_b128 v[120:123], v1 offset:576
	ds_load_b128 v[134:137], v1 offset:592
	scratch_load_b128 v[138:141], off, off offset:216
	s_waitcnt lgkmcnt(1)
	v_fma_f64 v[2:3], v[124:125], v[120:121], v[2:3]
	s_waitcnt vmcnt(4)
	s_delay_alu instid0(VALU_DEP_1) | instskip(SKIP_4) | instid1(VALU_DEP_1)
	v_fma_f64 v[2:3], v[126:127], v[122:123], v[2:3]
	scratch_load_b128 v[120:123], off, off offset:232
	s_waitcnt lgkmcnt(0)
	v_fma_f64 v[2:3], v[128:129], v[134:135], v[2:3]
	s_waitcnt vmcnt(4)
	v_fma_f64 v[2:3], v[130:131], v[136:137], v[2:3]
	ds_load_b128 v[124:127], v1 offset:608
	ds_load_b128 v[128:131], v1 offset:624
	s_waitcnt lgkmcnt(1)
	v_fma_f64 v[2:3], v[132:133], v[124:125], v[2:3]
	scratch_load_b128 v[132:135], off, off offset:248
	s_waitcnt vmcnt(4)
	v_fma_f64 v[2:3], v[142:143], v[126:127], v[2:3]
	scratch_load_b128 v[124:127], off, off offset:264
	s_waitcnt lgkmcnt(0)
	v_fma_f64 v[2:3], v[144:145], v[128:129], v[2:3]
	s_waitcnt vmcnt(4)
	s_delay_alu instid0(VALU_DEP_1)
	v_fma_f64 v[2:3], v[116:117], v[130:131], v[2:3]
	ds_load_b128 v[128:131], v1 offset:640
	ds_load_b128 v[142:145], v1 offset:656
	s_waitcnt lgkmcnt(1)
	v_fma_f64 v[2:3], v[118:119], v[128:129], v[2:3]
	scratch_load_b128 v[116:119], off, off offset:280
	s_waitcnt vmcnt(4)
	v_fma_f64 v[2:3], v[138:139], v[130:131], v[2:3]
	scratch_load_b128 v[128:131], off, off offset:296
	s_waitcnt lgkmcnt(0)
	v_fma_f64 v[2:3], v[140:141], v[142:143], v[2:3]
	ds_load_b128 v[136:139], v1 offset:672
	ds_load_b128 v[140:143], v1 offset:688
	s_waitcnt vmcnt(4)
	v_fma_f64 v[2:3], v[120:121], v[144:145], v[2:3]
	s_waitcnt lgkmcnt(1)
	s_delay_alu instid0(VALU_DEP_1) | instskip(SKIP_4) | instid1(VALU_DEP_1)
	v_fma_f64 v[2:3], v[122:123], v[136:137], v[2:3]
	scratch_load_b128 v[120:123], off, off offset:312
	s_waitcnt vmcnt(4)
	v_fma_f64 v[2:3], v[132:133], v[138:139], v[2:3]
	s_waitcnt lgkmcnt(0)
	v_fma_f64 v[2:3], v[134:135], v[140:141], v[2:3]
	scratch_load_b128 v[132:135], off, off offset:328
	s_waitcnt vmcnt(4)
	v_fma_f64 v[2:3], v[124:125], v[142:143], v[2:3]
	ds_load_b128 v[136:139], v1 offset:704
	ds_load_b128 v[140:143], v1 offset:720
	s_waitcnt lgkmcnt(1)
	v_fma_f64 v[2:3], v[126:127], v[136:137], v[2:3]
	scratch_load_b128 v[124:127], off, off offset:344
	s_waitcnt vmcnt(4)
	v_fma_f64 v[2:3], v[116:117], v[138:139], v[2:3]
	s_waitcnt lgkmcnt(0)
	s_delay_alu instid0(VALU_DEP_1)
	v_fma_f64 v[2:3], v[118:119], v[140:141], v[2:3]
	scratch_load_b128 v[116:119], off, off offset:360
	s_waitcnt vmcnt(4)
	v_fma_f64 v[2:3], v[128:129], v[142:143], v[2:3]
	ds_load_b128 v[136:139], v1 offset:736
	ds_load_b128 v[140:143], v1 offset:752
	s_waitcnt lgkmcnt(1)
	v_fma_f64 v[2:3], v[130:131], v[136:137], v[2:3]
	scratch_load_b128 v[128:131], off, off offset:376
	s_waitcnt vmcnt(4)
	v_fma_f64 v[2:3], v[120:121], v[138:139], v[2:3]
	s_waitcnt lgkmcnt(0)
	s_delay_alu instid0(VALU_DEP_1)
	;; [unrolled: 13-line block ×3, first 2 shown]
	v_fma_f64 v[2:3], v[126:127], v[140:141], v[2:3]
	scratch_load_b64 v[140:141], off, off offset:424
	ds_load_b128 v[124:127], v1 offset:800
	ds_load_b128 v[136:139], v1 offset:816
	s_waitcnt vmcnt(4)
	v_fma_f64 v[2:3], v[116:117], v[142:143], v[2:3]
	s_waitcnt lgkmcnt(1)
	s_delay_alu instid0(VALU_DEP_1) | instskip(SKIP_1) | instid1(VALU_DEP_1)
	v_fma_f64 v[2:3], v[118:119], v[124:125], v[2:3]
	s_waitcnt vmcnt(3)
	v_fma_f64 v[2:3], v[128:129], v[126:127], v[2:3]
	s_waitcnt lgkmcnt(0)
	s_delay_alu instid0(VALU_DEP_1) | instskip(SKIP_1) | instid1(VALU_DEP_1)
	v_fma_f64 v[2:3], v[130:131], v[136:137], v[2:3]
	s_waitcnt vmcnt(2)
	v_fma_f64 v[120:121], v[120:121], v[138:139], v[2:3]
	ds_load_b128 v[116:119], v1 offset:832
	ds_load_b128 v[1:4], v1 offset:848
	s_waitcnt lgkmcnt(1)
	v_fma_f64 v[116:117], v[122:123], v[116:117], v[120:121]
	s_waitcnt vmcnt(1)
	s_delay_alu instid0(VALU_DEP_1) | instskip(SKIP_1) | instid1(VALU_DEP_1)
	v_fma_f64 v[116:117], v[132:133], v[118:119], v[116:117]
	s_waitcnt lgkmcnt(0)
	v_fma_f64 v[1:2], v[134:135], v[1:2], v[116:117]
	s_waitcnt vmcnt(0)
	s_delay_alu instid0(VALU_DEP_1) | instskip(NEXT) | instid1(VALU_DEP_1)
	v_fma_f64 v[1:2], v[140:141], v[3:4], v[1:2]
	v_add_f64 v[1:2], v[114:115], -v[1:2]
	scratch_store_b64 off, v[1:2], off offset:104
	v_cmpx_lt_u32_e32 12, v0
	s_cbranch_execz .LBB53_309
; %bb.308:
	scratch_load_b64 v[1:2], off, off offset:96
	v_mov_b32_e32 v3, 0
	s_delay_alu instid0(VALU_DEP_1)
	v_mov_b32_e32 v4, v3
	scratch_store_b64 off, v[3:4], off offset:96
	s_waitcnt vmcnt(0)
	ds_store_b64 v5, v[1:2]
.LBB53_309:
	s_or_b32 exec_lo, exec_lo, s0
	s_waitcnt lgkmcnt(0)
	s_waitcnt_vscnt null, 0x0
	s_barrier
	buffer_gl0_inv
	s_clause 0x4
	scratch_load_b128 v[114:117], off, off offset:96
	scratch_load_b128 v[118:121], off, off offset:112
	;; [unrolled: 1-line block ×5, first 2 shown]
	v_mov_b32_e32 v1, 0
	ds_load_2addr_b64 v[134:137], v1 offset0:67 offset1:68
	ds_load_2addr_b64 v[138:141], v1 offset0:69 offset1:70
	scratch_load_b128 v[142:145], off, off offset:176
	s_mov_b32 s0, exec_lo
	s_waitcnt vmcnt(5) lgkmcnt(1)
	v_fma_f64 v[2:3], v[116:117], v[134:135], 0
	s_waitcnt vmcnt(4)
	s_delay_alu instid0(VALU_DEP_1) | instskip(SKIP_4) | instid1(VALU_DEP_1)
	v_fma_f64 v[2:3], v[118:119], v[136:137], v[2:3]
	scratch_load_b128 v[116:119], off, off offset:192
	s_waitcnt lgkmcnt(0)
	v_fma_f64 v[2:3], v[120:121], v[138:139], v[2:3]
	s_waitcnt vmcnt(4)
	v_fma_f64 v[2:3], v[122:123], v[140:141], v[2:3]
	ds_load_2addr_b64 v[120:123], v1 offset0:71 offset1:72
	ds_load_2addr_b64 v[134:137], v1 offset0:73 offset1:74
	scratch_load_b128 v[138:141], off, off offset:208
	s_waitcnt lgkmcnt(1)
	v_fma_f64 v[2:3], v[124:125], v[120:121], v[2:3]
	s_waitcnt vmcnt(4)
	s_delay_alu instid0(VALU_DEP_1) | instskip(SKIP_4) | instid1(VALU_DEP_1)
	v_fma_f64 v[2:3], v[126:127], v[122:123], v[2:3]
	scratch_load_b128 v[120:123], off, off offset:224
	s_waitcnt lgkmcnt(0)
	v_fma_f64 v[2:3], v[128:129], v[134:135], v[2:3]
	s_waitcnt vmcnt(4)
	v_fma_f64 v[2:3], v[130:131], v[136:137], v[2:3]
	ds_load_2addr_b64 v[124:127], v1 offset0:75 offset1:76
	ds_load_2addr_b64 v[128:131], v1 offset0:77 offset1:78
	s_waitcnt lgkmcnt(1)
	v_fma_f64 v[2:3], v[132:133], v[124:125], v[2:3]
	scratch_load_b128 v[132:135], off, off offset:240
	s_waitcnt vmcnt(4)
	v_fma_f64 v[2:3], v[142:143], v[126:127], v[2:3]
	scratch_load_b128 v[124:127], off, off offset:256
	s_waitcnt lgkmcnt(0)
	v_fma_f64 v[2:3], v[144:145], v[128:129], v[2:3]
	s_waitcnt vmcnt(4)
	s_delay_alu instid0(VALU_DEP_1)
	v_fma_f64 v[2:3], v[116:117], v[130:131], v[2:3]
	ds_load_2addr_b64 v[128:131], v1 offset0:79 offset1:80
	ds_load_2addr_b64 v[142:145], v1 offset0:81 offset1:82
	s_waitcnt lgkmcnt(1)
	v_fma_f64 v[2:3], v[118:119], v[128:129], v[2:3]
	scratch_load_b128 v[116:119], off, off offset:272
	s_waitcnt vmcnt(4)
	v_fma_f64 v[2:3], v[138:139], v[130:131], v[2:3]
	scratch_load_b128 v[128:131], off, off offset:288
	s_waitcnt lgkmcnt(0)
	v_fma_f64 v[2:3], v[140:141], v[142:143], v[2:3]
	ds_load_2addr_b64 v[136:139], v1 offset0:83 offset1:84
	ds_load_2addr_b64 v[140:143], v1 offset0:85 offset1:86
	s_waitcnt vmcnt(4)
	v_fma_f64 v[2:3], v[120:121], v[144:145], v[2:3]
	s_waitcnt lgkmcnt(1)
	s_delay_alu instid0(VALU_DEP_1) | instskip(SKIP_4) | instid1(VALU_DEP_1)
	v_fma_f64 v[2:3], v[122:123], v[136:137], v[2:3]
	scratch_load_b128 v[120:123], off, off offset:304
	s_waitcnt vmcnt(4)
	v_fma_f64 v[2:3], v[132:133], v[138:139], v[2:3]
	s_waitcnt lgkmcnt(0)
	v_fma_f64 v[2:3], v[134:135], v[140:141], v[2:3]
	scratch_load_b128 v[132:135], off, off offset:320
	s_waitcnt vmcnt(4)
	v_fma_f64 v[2:3], v[124:125], v[142:143], v[2:3]
	ds_load_2addr_b64 v[136:139], v1 offset0:87 offset1:88
	ds_load_2addr_b64 v[140:143], v1 offset0:89 offset1:90
	s_waitcnt lgkmcnt(1)
	v_fma_f64 v[2:3], v[126:127], v[136:137], v[2:3]
	scratch_load_b128 v[124:127], off, off offset:336
	s_waitcnt vmcnt(4)
	v_fma_f64 v[2:3], v[116:117], v[138:139], v[2:3]
	s_waitcnt lgkmcnt(0)
	s_delay_alu instid0(VALU_DEP_1)
	v_fma_f64 v[2:3], v[118:119], v[140:141], v[2:3]
	scratch_load_b128 v[116:119], off, off offset:352
	s_waitcnt vmcnt(4)
	v_fma_f64 v[2:3], v[128:129], v[142:143], v[2:3]
	ds_load_2addr_b64 v[136:139], v1 offset0:91 offset1:92
	ds_load_2addr_b64 v[140:143], v1 offset0:93 offset1:94
	s_waitcnt lgkmcnt(1)
	v_fma_f64 v[2:3], v[130:131], v[136:137], v[2:3]
	scratch_load_b128 v[128:131], off, off offset:368
	s_waitcnt vmcnt(4)
	v_fma_f64 v[2:3], v[120:121], v[138:139], v[2:3]
	s_waitcnt lgkmcnt(0)
	s_delay_alu instid0(VALU_DEP_1)
	;; [unrolled: 13-line block ×3, first 2 shown]
	v_fma_f64 v[2:3], v[126:127], v[140:141], v[2:3]
	scratch_load_b128 v[124:127], off, off offset:416
	s_waitcnt vmcnt(4)
	v_fma_f64 v[2:3], v[116:117], v[142:143], v[2:3]
	ds_load_2addr_b64 v[136:139], v1 offset0:99 offset1:100
	ds_load_2addr_b64 v[140:143], v1 offset0:101 offset1:102
	s_waitcnt lgkmcnt(1)
	v_fma_f64 v[2:3], v[118:119], v[136:137], v[2:3]
	s_waitcnt vmcnt(3)
	s_delay_alu instid0(VALU_DEP_1) | instskip(SKIP_1) | instid1(VALU_DEP_1)
	v_fma_f64 v[2:3], v[128:129], v[138:139], v[2:3]
	s_waitcnt lgkmcnt(0)
	v_fma_f64 v[2:3], v[130:131], v[140:141], v[2:3]
	ds_load_2addr_b64 v[116:119], v1 offset0:103 offset1:104
	ds_load_2addr_b64 v[128:131], v1 offset0:105 offset1:106
	s_waitcnt vmcnt(2)
	v_fma_f64 v[2:3], v[120:121], v[142:143], v[2:3]
	s_waitcnt lgkmcnt(1)
	s_delay_alu instid0(VALU_DEP_1) | instskip(SKIP_4) | instid1(VALU_DEP_1)
	v_fma_f64 v[2:3], v[122:123], v[116:117], v[2:3]
	ds_load_b64 v[116:117], v1 offset:856
	s_waitcnt vmcnt(1)
	v_fma_f64 v[2:3], v[132:133], v[118:119], v[2:3]
	s_waitcnt lgkmcnt(1)
	v_fma_f64 v[2:3], v[134:135], v[128:129], v[2:3]
	s_waitcnt vmcnt(0)
	s_delay_alu instid0(VALU_DEP_1) | instskip(SKIP_1) | instid1(VALU_DEP_1)
	v_fma_f64 v[2:3], v[124:125], v[130:131], v[2:3]
	s_waitcnt lgkmcnt(0)
	v_fma_f64 v[2:3], v[126:127], v[116:117], v[2:3]
	s_delay_alu instid0(VALU_DEP_1)
	v_add_f64 v[2:3], v[114:115], -v[2:3]
	scratch_store_b64 off, v[2:3], off offset:96
	v_cmpx_lt_u32_e32 11, v0
	s_cbranch_execz .LBB53_311
; %bb.310:
	scratch_load_b64 v[3:4], off, off offset:88
	v_mov_b32_e32 v2, v1
	scratch_store_b64 off, v[1:2], off offset:88
	s_waitcnt vmcnt(0)
	ds_store_b64 v5, v[3:4]
.LBB53_311:
	s_or_b32 exec_lo, exec_lo, s0
	s_waitcnt lgkmcnt(0)
	s_waitcnt_vscnt null, 0x0
	s_barrier
	buffer_gl0_inv
	s_clause 0x4
	scratch_load_b128 v[114:117], off, off offset:88
	scratch_load_b128 v[118:121], off, off offset:104
	;; [unrolled: 1-line block ×5, first 2 shown]
	ds_load_b128 v[134:137], v1 offset:528
	ds_load_b128 v[138:141], v1 offset:544
	scratch_load_b128 v[142:145], off, off offset:168
	s_mov_b32 s0, exec_lo
	s_waitcnt vmcnt(5) lgkmcnt(1)
	v_fma_f64 v[2:3], v[116:117], v[134:135], 0
	s_waitcnt vmcnt(4)
	s_delay_alu instid0(VALU_DEP_1) | instskip(SKIP_4) | instid1(VALU_DEP_1)
	v_fma_f64 v[2:3], v[118:119], v[136:137], v[2:3]
	scratch_load_b128 v[116:119], off, off offset:184
	s_waitcnt lgkmcnt(0)
	v_fma_f64 v[2:3], v[120:121], v[138:139], v[2:3]
	s_waitcnt vmcnt(4)
	v_fma_f64 v[2:3], v[122:123], v[140:141], v[2:3]
	ds_load_b128 v[120:123], v1 offset:560
	ds_load_b128 v[134:137], v1 offset:576
	scratch_load_b128 v[138:141], off, off offset:200
	s_waitcnt lgkmcnt(1)
	v_fma_f64 v[2:3], v[124:125], v[120:121], v[2:3]
	s_waitcnt vmcnt(4)
	s_delay_alu instid0(VALU_DEP_1) | instskip(SKIP_4) | instid1(VALU_DEP_1)
	v_fma_f64 v[2:3], v[126:127], v[122:123], v[2:3]
	scratch_load_b128 v[120:123], off, off offset:216
	s_waitcnt lgkmcnt(0)
	v_fma_f64 v[2:3], v[128:129], v[134:135], v[2:3]
	s_waitcnt vmcnt(4)
	v_fma_f64 v[2:3], v[130:131], v[136:137], v[2:3]
	ds_load_b128 v[124:127], v1 offset:592
	ds_load_b128 v[128:131], v1 offset:608
	s_waitcnt lgkmcnt(1)
	v_fma_f64 v[2:3], v[132:133], v[124:125], v[2:3]
	scratch_load_b128 v[132:135], off, off offset:232
	s_waitcnt vmcnt(4)
	v_fma_f64 v[2:3], v[142:143], v[126:127], v[2:3]
	scratch_load_b128 v[124:127], off, off offset:248
	s_waitcnt lgkmcnt(0)
	v_fma_f64 v[2:3], v[144:145], v[128:129], v[2:3]
	s_waitcnt vmcnt(4)
	s_delay_alu instid0(VALU_DEP_1)
	v_fma_f64 v[2:3], v[116:117], v[130:131], v[2:3]
	ds_load_b128 v[128:131], v1 offset:624
	ds_load_b128 v[142:145], v1 offset:640
	s_waitcnt lgkmcnt(1)
	v_fma_f64 v[2:3], v[118:119], v[128:129], v[2:3]
	scratch_load_b128 v[116:119], off, off offset:264
	s_waitcnt vmcnt(4)
	v_fma_f64 v[2:3], v[138:139], v[130:131], v[2:3]
	scratch_load_b128 v[128:131], off, off offset:280
	s_waitcnt lgkmcnt(0)
	v_fma_f64 v[2:3], v[140:141], v[142:143], v[2:3]
	ds_load_b128 v[136:139], v1 offset:656
	ds_load_b128 v[140:143], v1 offset:672
	s_waitcnt vmcnt(4)
	v_fma_f64 v[2:3], v[120:121], v[144:145], v[2:3]
	s_waitcnt lgkmcnt(1)
	s_delay_alu instid0(VALU_DEP_1) | instskip(SKIP_4) | instid1(VALU_DEP_1)
	v_fma_f64 v[2:3], v[122:123], v[136:137], v[2:3]
	scratch_load_b128 v[120:123], off, off offset:296
	s_waitcnt vmcnt(4)
	v_fma_f64 v[2:3], v[132:133], v[138:139], v[2:3]
	s_waitcnt lgkmcnt(0)
	v_fma_f64 v[2:3], v[134:135], v[140:141], v[2:3]
	scratch_load_b128 v[132:135], off, off offset:312
	s_waitcnt vmcnt(4)
	v_fma_f64 v[2:3], v[124:125], v[142:143], v[2:3]
	ds_load_b128 v[136:139], v1 offset:688
	ds_load_b128 v[140:143], v1 offset:704
	s_waitcnt lgkmcnt(1)
	v_fma_f64 v[2:3], v[126:127], v[136:137], v[2:3]
	scratch_load_b128 v[124:127], off, off offset:328
	s_waitcnt vmcnt(4)
	v_fma_f64 v[2:3], v[116:117], v[138:139], v[2:3]
	s_waitcnt lgkmcnt(0)
	s_delay_alu instid0(VALU_DEP_1)
	v_fma_f64 v[2:3], v[118:119], v[140:141], v[2:3]
	scratch_load_b128 v[116:119], off, off offset:344
	s_waitcnt vmcnt(4)
	v_fma_f64 v[2:3], v[128:129], v[142:143], v[2:3]
	ds_load_b128 v[136:139], v1 offset:720
	ds_load_b128 v[140:143], v1 offset:736
	s_waitcnt lgkmcnt(1)
	v_fma_f64 v[2:3], v[130:131], v[136:137], v[2:3]
	scratch_load_b128 v[128:131], off, off offset:360
	s_waitcnt vmcnt(4)
	v_fma_f64 v[2:3], v[120:121], v[138:139], v[2:3]
	s_waitcnt lgkmcnt(0)
	s_delay_alu instid0(VALU_DEP_1)
	;; [unrolled: 13-line block ×3, first 2 shown]
	v_fma_f64 v[2:3], v[126:127], v[140:141], v[2:3]
	scratch_load_b128 v[124:127], off, off offset:408
	s_waitcnt vmcnt(4)
	v_fma_f64 v[2:3], v[116:117], v[142:143], v[2:3]
	ds_load_b128 v[136:139], v1 offset:784
	ds_load_b128 v[140:143], v1 offset:800
	s_waitcnt lgkmcnt(1)
	v_fma_f64 v[2:3], v[118:119], v[136:137], v[2:3]
	scratch_load_b64 v[136:137], off, off offset:424
	s_waitcnt vmcnt(4)
	v_fma_f64 v[2:3], v[128:129], v[138:139], v[2:3]
	s_waitcnt lgkmcnt(0)
	s_delay_alu instid0(VALU_DEP_1)
	v_fma_f64 v[2:3], v[130:131], v[140:141], v[2:3]
	ds_load_b128 v[116:119], v1 offset:816
	ds_load_b128 v[128:131], v1 offset:832
	s_waitcnt vmcnt(3)
	v_fma_f64 v[2:3], v[120:121], v[142:143], v[2:3]
	s_waitcnt lgkmcnt(1)
	s_delay_alu instid0(VALU_DEP_1) | instskip(SKIP_1) | instid1(VALU_DEP_1)
	v_fma_f64 v[2:3], v[122:123], v[116:117], v[2:3]
	s_waitcnt vmcnt(2)
	v_fma_f64 v[2:3], v[132:133], v[118:119], v[2:3]
	s_waitcnt lgkmcnt(0)
	s_delay_alu instid0(VALU_DEP_1) | instskip(SKIP_1) | instid1(VALU_DEP_1)
	v_fma_f64 v[2:3], v[134:135], v[128:129], v[2:3]
	s_waitcnt vmcnt(1)
	v_fma_f64 v[116:117], v[124:125], v[130:131], v[2:3]
	ds_load_b128 v[1:4], v1 offset:848
	s_waitcnt lgkmcnt(0)
	v_fma_f64 v[1:2], v[126:127], v[1:2], v[116:117]
	s_waitcnt vmcnt(0)
	s_delay_alu instid0(VALU_DEP_1) | instskip(NEXT) | instid1(VALU_DEP_1)
	v_fma_f64 v[1:2], v[136:137], v[3:4], v[1:2]
	v_add_f64 v[1:2], v[114:115], -v[1:2]
	scratch_store_b64 off, v[1:2], off offset:88
	v_cmpx_lt_u32_e32 10, v0
	s_cbranch_execz .LBB53_313
; %bb.312:
	scratch_load_b64 v[1:2], off, off offset:80
	v_mov_b32_e32 v3, 0
	s_delay_alu instid0(VALU_DEP_1)
	v_mov_b32_e32 v4, v3
	scratch_store_b64 off, v[3:4], off offset:80
	s_waitcnt vmcnt(0)
	ds_store_b64 v5, v[1:2]
.LBB53_313:
	s_or_b32 exec_lo, exec_lo, s0
	s_waitcnt lgkmcnt(0)
	s_waitcnt_vscnt null, 0x0
	s_barrier
	buffer_gl0_inv
	s_clause 0x4
	scratch_load_b128 v[114:117], off, off offset:80
	scratch_load_b128 v[118:121], off, off offset:96
	;; [unrolled: 1-line block ×5, first 2 shown]
	v_mov_b32_e32 v1, 0
	ds_load_2addr_b64 v[134:137], v1 offset0:65 offset1:66
	ds_load_2addr_b64 v[138:141], v1 offset0:67 offset1:68
	scratch_load_b128 v[142:145], off, off offset:160
	s_mov_b32 s0, exec_lo
	s_waitcnt vmcnt(5) lgkmcnt(1)
	v_fma_f64 v[2:3], v[116:117], v[134:135], 0
	s_waitcnt vmcnt(4)
	s_delay_alu instid0(VALU_DEP_1) | instskip(SKIP_4) | instid1(VALU_DEP_1)
	v_fma_f64 v[2:3], v[118:119], v[136:137], v[2:3]
	scratch_load_b128 v[116:119], off, off offset:176
	s_waitcnt lgkmcnt(0)
	v_fma_f64 v[2:3], v[120:121], v[138:139], v[2:3]
	s_waitcnt vmcnt(4)
	v_fma_f64 v[2:3], v[122:123], v[140:141], v[2:3]
	ds_load_2addr_b64 v[120:123], v1 offset0:69 offset1:70
	ds_load_2addr_b64 v[134:137], v1 offset0:71 offset1:72
	scratch_load_b128 v[138:141], off, off offset:192
	s_waitcnt lgkmcnt(1)
	v_fma_f64 v[2:3], v[124:125], v[120:121], v[2:3]
	s_waitcnt vmcnt(4)
	s_delay_alu instid0(VALU_DEP_1) | instskip(SKIP_4) | instid1(VALU_DEP_1)
	v_fma_f64 v[2:3], v[126:127], v[122:123], v[2:3]
	scratch_load_b128 v[120:123], off, off offset:208
	s_waitcnt lgkmcnt(0)
	v_fma_f64 v[2:3], v[128:129], v[134:135], v[2:3]
	s_waitcnt vmcnt(4)
	v_fma_f64 v[2:3], v[130:131], v[136:137], v[2:3]
	ds_load_2addr_b64 v[124:127], v1 offset0:73 offset1:74
	ds_load_2addr_b64 v[128:131], v1 offset0:75 offset1:76
	s_waitcnt lgkmcnt(1)
	v_fma_f64 v[2:3], v[132:133], v[124:125], v[2:3]
	scratch_load_b128 v[132:135], off, off offset:224
	s_waitcnt vmcnt(4)
	v_fma_f64 v[2:3], v[142:143], v[126:127], v[2:3]
	scratch_load_b128 v[124:127], off, off offset:240
	s_waitcnt lgkmcnt(0)
	v_fma_f64 v[2:3], v[144:145], v[128:129], v[2:3]
	s_waitcnt vmcnt(4)
	s_delay_alu instid0(VALU_DEP_1)
	v_fma_f64 v[2:3], v[116:117], v[130:131], v[2:3]
	ds_load_2addr_b64 v[128:131], v1 offset0:77 offset1:78
	ds_load_2addr_b64 v[142:145], v1 offset0:79 offset1:80
	s_waitcnt lgkmcnt(1)
	v_fma_f64 v[2:3], v[118:119], v[128:129], v[2:3]
	scratch_load_b128 v[116:119], off, off offset:256
	s_waitcnt vmcnt(4)
	v_fma_f64 v[2:3], v[138:139], v[130:131], v[2:3]
	scratch_load_b128 v[128:131], off, off offset:272
	s_waitcnt lgkmcnt(0)
	v_fma_f64 v[2:3], v[140:141], v[142:143], v[2:3]
	ds_load_2addr_b64 v[136:139], v1 offset0:81 offset1:82
	ds_load_2addr_b64 v[140:143], v1 offset0:83 offset1:84
	s_waitcnt vmcnt(4)
	v_fma_f64 v[2:3], v[120:121], v[144:145], v[2:3]
	s_waitcnt lgkmcnt(1)
	s_delay_alu instid0(VALU_DEP_1) | instskip(SKIP_4) | instid1(VALU_DEP_1)
	v_fma_f64 v[2:3], v[122:123], v[136:137], v[2:3]
	scratch_load_b128 v[120:123], off, off offset:288
	s_waitcnt vmcnt(4)
	v_fma_f64 v[2:3], v[132:133], v[138:139], v[2:3]
	s_waitcnt lgkmcnt(0)
	v_fma_f64 v[2:3], v[134:135], v[140:141], v[2:3]
	scratch_load_b128 v[132:135], off, off offset:304
	s_waitcnt vmcnt(4)
	v_fma_f64 v[2:3], v[124:125], v[142:143], v[2:3]
	ds_load_2addr_b64 v[136:139], v1 offset0:85 offset1:86
	ds_load_2addr_b64 v[140:143], v1 offset0:87 offset1:88
	s_waitcnt lgkmcnt(1)
	v_fma_f64 v[2:3], v[126:127], v[136:137], v[2:3]
	scratch_load_b128 v[124:127], off, off offset:320
	s_waitcnt vmcnt(4)
	v_fma_f64 v[2:3], v[116:117], v[138:139], v[2:3]
	s_waitcnt lgkmcnt(0)
	s_delay_alu instid0(VALU_DEP_1)
	v_fma_f64 v[2:3], v[118:119], v[140:141], v[2:3]
	scratch_load_b128 v[116:119], off, off offset:336
	s_waitcnt vmcnt(4)
	v_fma_f64 v[2:3], v[128:129], v[142:143], v[2:3]
	ds_load_2addr_b64 v[136:139], v1 offset0:89 offset1:90
	ds_load_2addr_b64 v[140:143], v1 offset0:91 offset1:92
	s_waitcnt lgkmcnt(1)
	v_fma_f64 v[2:3], v[130:131], v[136:137], v[2:3]
	scratch_load_b128 v[128:131], off, off offset:352
	s_waitcnt vmcnt(4)
	v_fma_f64 v[2:3], v[120:121], v[138:139], v[2:3]
	s_waitcnt lgkmcnt(0)
	s_delay_alu instid0(VALU_DEP_1)
	;; [unrolled: 13-line block ×4, first 2 shown]
	v_fma_f64 v[2:3], v[130:131], v[140:141], v[2:3]
	ds_load_2addr_b64 v[128:131], v1 offset0:101 offset1:102
	ds_load_2addr_b64 v[136:139], v1 offset0:103 offset1:104
	s_waitcnt vmcnt(3)
	v_fma_f64 v[2:3], v[120:121], v[142:143], v[2:3]
	s_waitcnt lgkmcnt(1)
	s_delay_alu instid0(VALU_DEP_1) | instskip(SKIP_1) | instid1(VALU_DEP_1)
	v_fma_f64 v[2:3], v[122:123], v[128:129], v[2:3]
	s_waitcnt vmcnt(2)
	v_fma_f64 v[2:3], v[132:133], v[130:131], v[2:3]
	s_waitcnt lgkmcnt(0)
	s_delay_alu instid0(VALU_DEP_1) | instskip(SKIP_1) | instid1(VALU_DEP_1)
	v_fma_f64 v[2:3], v[134:135], v[136:137], v[2:3]
	s_waitcnt vmcnt(1)
	v_fma_f64 v[2:3], v[124:125], v[138:139], v[2:3]
	ds_load_2addr_b64 v[120:123], v1 offset0:105 offset1:106
	ds_load_b64 v[124:125], v1 offset:856
	s_waitcnt lgkmcnt(1)
	v_fma_f64 v[2:3], v[126:127], v[120:121], v[2:3]
	s_waitcnt vmcnt(0)
	s_delay_alu instid0(VALU_DEP_1) | instskip(SKIP_1) | instid1(VALU_DEP_1)
	v_fma_f64 v[2:3], v[116:117], v[122:123], v[2:3]
	s_waitcnt lgkmcnt(0)
	v_fma_f64 v[2:3], v[118:119], v[124:125], v[2:3]
	s_delay_alu instid0(VALU_DEP_1)
	v_add_f64 v[2:3], v[114:115], -v[2:3]
	scratch_store_b64 off, v[2:3], off offset:80
	v_cmpx_lt_u32_e32 9, v0
	s_cbranch_execz .LBB53_315
; %bb.314:
	scratch_load_b64 v[3:4], off, off offset:72
	v_mov_b32_e32 v2, v1
	scratch_store_b64 off, v[1:2], off offset:72
	s_waitcnt vmcnt(0)
	ds_store_b64 v5, v[3:4]
.LBB53_315:
	s_or_b32 exec_lo, exec_lo, s0
	s_waitcnt lgkmcnt(0)
	s_waitcnt_vscnt null, 0x0
	s_barrier
	buffer_gl0_inv
	s_clause 0x4
	scratch_load_b128 v[114:117], off, off offset:72
	scratch_load_b128 v[118:121], off, off offset:88
	;; [unrolled: 1-line block ×5, first 2 shown]
	ds_load_b128 v[134:137], v1 offset:512
	ds_load_b128 v[138:141], v1 offset:528
	scratch_load_b128 v[142:145], off, off offset:152
	s_mov_b32 s0, exec_lo
	s_waitcnt vmcnt(5) lgkmcnt(1)
	v_fma_f64 v[2:3], v[116:117], v[134:135], 0
	s_waitcnt vmcnt(4)
	s_delay_alu instid0(VALU_DEP_1) | instskip(SKIP_4) | instid1(VALU_DEP_1)
	v_fma_f64 v[2:3], v[118:119], v[136:137], v[2:3]
	scratch_load_b128 v[116:119], off, off offset:168
	s_waitcnt lgkmcnt(0)
	v_fma_f64 v[2:3], v[120:121], v[138:139], v[2:3]
	s_waitcnt vmcnt(4)
	v_fma_f64 v[2:3], v[122:123], v[140:141], v[2:3]
	ds_load_b128 v[120:123], v1 offset:544
	ds_load_b128 v[134:137], v1 offset:560
	scratch_load_b128 v[138:141], off, off offset:184
	s_waitcnt lgkmcnt(1)
	v_fma_f64 v[2:3], v[124:125], v[120:121], v[2:3]
	s_waitcnt vmcnt(4)
	s_delay_alu instid0(VALU_DEP_1) | instskip(SKIP_4) | instid1(VALU_DEP_1)
	v_fma_f64 v[2:3], v[126:127], v[122:123], v[2:3]
	scratch_load_b128 v[120:123], off, off offset:200
	s_waitcnt lgkmcnt(0)
	v_fma_f64 v[2:3], v[128:129], v[134:135], v[2:3]
	s_waitcnt vmcnt(4)
	v_fma_f64 v[2:3], v[130:131], v[136:137], v[2:3]
	ds_load_b128 v[124:127], v1 offset:576
	ds_load_b128 v[128:131], v1 offset:592
	s_waitcnt lgkmcnt(1)
	v_fma_f64 v[2:3], v[132:133], v[124:125], v[2:3]
	scratch_load_b128 v[132:135], off, off offset:216
	s_waitcnt vmcnt(4)
	v_fma_f64 v[2:3], v[142:143], v[126:127], v[2:3]
	scratch_load_b128 v[124:127], off, off offset:232
	s_waitcnt lgkmcnt(0)
	v_fma_f64 v[2:3], v[144:145], v[128:129], v[2:3]
	s_waitcnt vmcnt(4)
	s_delay_alu instid0(VALU_DEP_1)
	v_fma_f64 v[2:3], v[116:117], v[130:131], v[2:3]
	ds_load_b128 v[128:131], v1 offset:608
	ds_load_b128 v[142:145], v1 offset:624
	s_waitcnt lgkmcnt(1)
	v_fma_f64 v[2:3], v[118:119], v[128:129], v[2:3]
	scratch_load_b128 v[116:119], off, off offset:248
	s_waitcnt vmcnt(4)
	v_fma_f64 v[2:3], v[138:139], v[130:131], v[2:3]
	scratch_load_b128 v[128:131], off, off offset:264
	s_waitcnt lgkmcnt(0)
	v_fma_f64 v[2:3], v[140:141], v[142:143], v[2:3]
	ds_load_b128 v[136:139], v1 offset:640
	ds_load_b128 v[140:143], v1 offset:656
	s_waitcnt vmcnt(4)
	v_fma_f64 v[2:3], v[120:121], v[144:145], v[2:3]
	s_waitcnt lgkmcnt(1)
	s_delay_alu instid0(VALU_DEP_1) | instskip(SKIP_4) | instid1(VALU_DEP_1)
	v_fma_f64 v[2:3], v[122:123], v[136:137], v[2:3]
	scratch_load_b128 v[120:123], off, off offset:280
	s_waitcnt vmcnt(4)
	v_fma_f64 v[2:3], v[132:133], v[138:139], v[2:3]
	s_waitcnt lgkmcnt(0)
	v_fma_f64 v[2:3], v[134:135], v[140:141], v[2:3]
	scratch_load_b128 v[132:135], off, off offset:296
	s_waitcnt vmcnt(4)
	v_fma_f64 v[2:3], v[124:125], v[142:143], v[2:3]
	ds_load_b128 v[136:139], v1 offset:672
	ds_load_b128 v[140:143], v1 offset:688
	s_waitcnt lgkmcnt(1)
	v_fma_f64 v[2:3], v[126:127], v[136:137], v[2:3]
	scratch_load_b128 v[124:127], off, off offset:312
	s_waitcnt vmcnt(4)
	v_fma_f64 v[2:3], v[116:117], v[138:139], v[2:3]
	s_waitcnt lgkmcnt(0)
	s_delay_alu instid0(VALU_DEP_1)
	v_fma_f64 v[2:3], v[118:119], v[140:141], v[2:3]
	scratch_load_b128 v[116:119], off, off offset:328
	s_waitcnt vmcnt(4)
	v_fma_f64 v[2:3], v[128:129], v[142:143], v[2:3]
	ds_load_b128 v[136:139], v1 offset:704
	ds_load_b128 v[140:143], v1 offset:720
	s_waitcnt lgkmcnt(1)
	v_fma_f64 v[2:3], v[130:131], v[136:137], v[2:3]
	scratch_load_b128 v[128:131], off, off offset:344
	s_waitcnt vmcnt(4)
	v_fma_f64 v[2:3], v[120:121], v[138:139], v[2:3]
	s_waitcnt lgkmcnt(0)
	s_delay_alu instid0(VALU_DEP_1)
	;; [unrolled: 13-line block ×4, first 2 shown]
	v_fma_f64 v[2:3], v[130:131], v[140:141], v[2:3]
	scratch_load_b64 v[140:141], off, off offset:424
	ds_load_b128 v[128:131], v1 offset:800
	ds_load_b128 v[136:139], v1 offset:816
	s_waitcnt vmcnt(4)
	v_fma_f64 v[2:3], v[120:121], v[142:143], v[2:3]
	s_waitcnt lgkmcnt(1)
	s_delay_alu instid0(VALU_DEP_1) | instskip(SKIP_1) | instid1(VALU_DEP_1)
	v_fma_f64 v[2:3], v[122:123], v[128:129], v[2:3]
	s_waitcnt vmcnt(3)
	v_fma_f64 v[2:3], v[132:133], v[130:131], v[2:3]
	s_waitcnt lgkmcnt(0)
	s_delay_alu instid0(VALU_DEP_1) | instskip(SKIP_1) | instid1(VALU_DEP_1)
	v_fma_f64 v[2:3], v[134:135], v[136:137], v[2:3]
	s_waitcnt vmcnt(2)
	v_fma_f64 v[124:125], v[124:125], v[138:139], v[2:3]
	ds_load_b128 v[120:123], v1 offset:832
	ds_load_b128 v[1:4], v1 offset:848
	s_waitcnt lgkmcnt(1)
	v_fma_f64 v[120:121], v[126:127], v[120:121], v[124:125]
	s_waitcnt vmcnt(1)
	s_delay_alu instid0(VALU_DEP_1) | instskip(SKIP_1) | instid1(VALU_DEP_1)
	v_fma_f64 v[116:117], v[116:117], v[122:123], v[120:121]
	s_waitcnt lgkmcnt(0)
	v_fma_f64 v[1:2], v[118:119], v[1:2], v[116:117]
	s_waitcnt vmcnt(0)
	s_delay_alu instid0(VALU_DEP_1) | instskip(NEXT) | instid1(VALU_DEP_1)
	v_fma_f64 v[1:2], v[140:141], v[3:4], v[1:2]
	v_add_f64 v[1:2], v[114:115], -v[1:2]
	scratch_store_b64 off, v[1:2], off offset:72
	v_cmpx_lt_u32_e32 8, v0
	s_cbranch_execz .LBB53_317
; %bb.316:
	scratch_load_b64 v[1:2], off, off offset:64
	v_mov_b32_e32 v3, 0
	s_delay_alu instid0(VALU_DEP_1)
	v_mov_b32_e32 v4, v3
	scratch_store_b64 off, v[3:4], off offset:64
	s_waitcnt vmcnt(0)
	ds_store_b64 v5, v[1:2]
.LBB53_317:
	s_or_b32 exec_lo, exec_lo, s0
	s_waitcnt lgkmcnt(0)
	s_waitcnt_vscnt null, 0x0
	s_barrier
	buffer_gl0_inv
	s_clause 0x4
	scratch_load_b128 v[1:4], off, off offset:64
	scratch_load_b128 v[115:118], off, off offset:80
	;; [unrolled: 1-line block ×5, first 2 shown]
	v_mov_b32_e32 v114, 0
	ds_load_2addr_b64 v[131:134], v114 offset0:63 offset1:64
	ds_load_2addr_b64 v[135:138], v114 offset0:65 offset1:66
	scratch_load_b128 v[139:142], off, off offset:144
	s_mov_b32 s0, exec_lo
	s_waitcnt vmcnt(5) lgkmcnt(1)
	v_fma_f64 v[3:4], v[3:4], v[131:132], 0
	s_waitcnt vmcnt(4)
	s_delay_alu instid0(VALU_DEP_1) | instskip(SKIP_1) | instid1(VALU_DEP_1)
	v_fma_f64 v[3:4], v[115:116], v[133:134], v[3:4]
	s_waitcnt lgkmcnt(0)
	v_fma_f64 v[3:4], v[117:118], v[135:136], v[3:4]
	scratch_load_b128 v[115:118], off, off offset:160
	s_waitcnt vmcnt(4)
	v_fma_f64 v[3:4], v[119:120], v[137:138], v[3:4]
	ds_load_2addr_b64 v[131:134], v114 offset0:67 offset1:68
	ds_load_2addr_b64 v[135:138], v114 offset0:69 offset1:70
	s_waitcnt lgkmcnt(1)
	v_fma_f64 v[3:4], v[121:122], v[131:132], v[3:4]
	scratch_load_b128 v[119:122], off, off offset:176
	s_waitcnt vmcnt(4)
	v_fma_f64 v[3:4], v[123:124], v[133:134], v[3:4]
	s_waitcnt lgkmcnt(0)
	s_delay_alu instid0(VALU_DEP_1)
	v_fma_f64 v[3:4], v[125:126], v[135:136], v[3:4]
	scratch_load_b128 v[123:126], off, off offset:192
	s_waitcnt vmcnt(4)
	v_fma_f64 v[3:4], v[127:128], v[137:138], v[3:4]
	ds_load_2addr_b64 v[131:134], v114 offset0:71 offset1:72
	ds_load_2addr_b64 v[135:138], v114 offset0:73 offset1:74
	s_waitcnt lgkmcnt(1)
	v_fma_f64 v[3:4], v[129:130], v[131:132], v[3:4]
	scratch_load_b128 v[127:130], off, off offset:208
	s_waitcnt vmcnt(4)
	v_fma_f64 v[3:4], v[139:140], v[133:134], v[3:4]
	scratch_load_b128 v[131:134], off, off offset:224
	s_waitcnt lgkmcnt(0)
	v_fma_f64 v[3:4], v[141:142], v[135:136], v[3:4]
	s_waitcnt vmcnt(4)
	s_delay_alu instid0(VALU_DEP_1)
	v_fma_f64 v[3:4], v[115:116], v[137:138], v[3:4]
	ds_load_2addr_b64 v[135:138], v114 offset0:75 offset1:76
	ds_load_2addr_b64 v[139:142], v114 offset0:77 offset1:78
	s_waitcnt lgkmcnt(1)
	v_fma_f64 v[3:4], v[117:118], v[135:136], v[3:4]
	scratch_load_b128 v[115:118], off, off offset:240
	s_waitcnt vmcnt(4)
	v_fma_f64 v[3:4], v[119:120], v[137:138], v[3:4]
	s_waitcnt lgkmcnt(0)
	s_delay_alu instid0(VALU_DEP_1)
	v_fma_f64 v[3:4], v[121:122], v[139:140], v[3:4]
	scratch_load_b128 v[119:122], off, off offset:256
	s_waitcnt vmcnt(4)
	v_fma_f64 v[3:4], v[123:124], v[141:142], v[3:4]
	ds_load_2addr_b64 v[135:138], v114 offset0:79 offset1:80
	ds_load_2addr_b64 v[139:142], v114 offset0:81 offset1:82
	s_waitcnt lgkmcnt(1)
	v_fma_f64 v[3:4], v[125:126], v[135:136], v[3:4]
	scratch_load_b128 v[123:126], off, off offset:272
	s_waitcnt vmcnt(4)
	v_fma_f64 v[3:4], v[127:128], v[137:138], v[3:4]
	s_waitcnt lgkmcnt(0)
	s_delay_alu instid0(VALU_DEP_1)
	v_fma_f64 v[3:4], v[129:130], v[139:140], v[3:4]
	scratch_load_b128 v[127:130], off, off offset:288
	s_waitcnt vmcnt(4)
	v_fma_f64 v[3:4], v[131:132], v[141:142], v[3:4]
	ds_load_2addr_b64 v[135:138], v114 offset0:83 offset1:84
	ds_load_2addr_b64 v[139:142], v114 offset0:85 offset1:86
	s_waitcnt lgkmcnt(1)
	v_fma_f64 v[3:4], v[133:134], v[135:136], v[3:4]
	scratch_load_b128 v[131:134], off, off offset:304
	s_waitcnt vmcnt(4)
	v_fma_f64 v[3:4], v[115:116], v[137:138], v[3:4]
	s_waitcnt lgkmcnt(0)
	s_delay_alu instid0(VALU_DEP_1)
	v_fma_f64 v[3:4], v[117:118], v[139:140], v[3:4]
	scratch_load_b128 v[115:118], off, off offset:320
	s_waitcnt vmcnt(4)
	v_fma_f64 v[3:4], v[119:120], v[141:142], v[3:4]
	ds_load_2addr_b64 v[135:138], v114 offset0:87 offset1:88
	ds_load_2addr_b64 v[139:142], v114 offset0:89 offset1:90
	s_waitcnt lgkmcnt(1)
	v_fma_f64 v[3:4], v[121:122], v[135:136], v[3:4]
	scratch_load_b128 v[119:122], off, off offset:336
	s_waitcnt vmcnt(4)
	v_fma_f64 v[3:4], v[123:124], v[137:138], v[3:4]
	s_waitcnt lgkmcnt(0)
	s_delay_alu instid0(VALU_DEP_1)
	v_fma_f64 v[3:4], v[125:126], v[139:140], v[3:4]
	scratch_load_b128 v[123:126], off, off offset:352
	s_waitcnt vmcnt(4)
	v_fma_f64 v[3:4], v[127:128], v[141:142], v[3:4]
	ds_load_2addr_b64 v[135:138], v114 offset0:91 offset1:92
	ds_load_2addr_b64 v[139:142], v114 offset0:93 offset1:94
	s_waitcnt lgkmcnt(1)
	v_fma_f64 v[3:4], v[129:130], v[135:136], v[3:4]
	scratch_load_b128 v[127:130], off, off offset:368
	s_waitcnt vmcnt(4)
	v_fma_f64 v[3:4], v[131:132], v[137:138], v[3:4]
	s_waitcnt lgkmcnt(0)
	s_delay_alu instid0(VALU_DEP_1)
	v_fma_f64 v[3:4], v[133:134], v[139:140], v[3:4]
	scratch_load_b128 v[131:134], off, off offset:384
	s_waitcnt vmcnt(4)
	v_fma_f64 v[3:4], v[115:116], v[141:142], v[3:4]
	ds_load_2addr_b64 v[135:138], v114 offset0:95 offset1:96
	ds_load_2addr_b64 v[139:142], v114 offset0:97 offset1:98
	s_waitcnt lgkmcnt(1)
	v_fma_f64 v[3:4], v[117:118], v[135:136], v[3:4]
	scratch_load_b128 v[115:118], off, off offset:400
	s_waitcnt vmcnt(4)
	v_fma_f64 v[3:4], v[119:120], v[137:138], v[3:4]
	s_waitcnt lgkmcnt(0)
	s_delay_alu instid0(VALU_DEP_1)
	v_fma_f64 v[3:4], v[121:122], v[139:140], v[3:4]
	scratch_load_b128 v[119:122], off, off offset:416
	s_waitcnt vmcnt(4)
	v_fma_f64 v[3:4], v[123:124], v[141:142], v[3:4]
	ds_load_2addr_b64 v[135:138], v114 offset0:99 offset1:100
	ds_load_2addr_b64 v[139:142], v114 offset0:101 offset1:102
	s_waitcnt lgkmcnt(1)
	v_fma_f64 v[3:4], v[125:126], v[135:136], v[3:4]
	s_waitcnt vmcnt(3)
	s_delay_alu instid0(VALU_DEP_1) | instskip(SKIP_1) | instid1(VALU_DEP_1)
	v_fma_f64 v[3:4], v[127:128], v[137:138], v[3:4]
	s_waitcnt lgkmcnt(0)
	v_fma_f64 v[3:4], v[129:130], v[139:140], v[3:4]
	ds_load_2addr_b64 v[123:126], v114 offset0:103 offset1:104
	ds_load_2addr_b64 v[127:130], v114 offset0:105 offset1:106
	s_waitcnt vmcnt(2)
	v_fma_f64 v[3:4], v[131:132], v[141:142], v[3:4]
	s_waitcnt lgkmcnt(1)
	s_delay_alu instid0(VALU_DEP_1) | instskip(SKIP_1) | instid1(VALU_DEP_1)
	v_fma_f64 v[3:4], v[133:134], v[123:124], v[3:4]
	s_waitcnt vmcnt(1)
	v_fma_f64 v[3:4], v[115:116], v[125:126], v[3:4]
	ds_load_b64 v[115:116], v114 offset:856
	s_waitcnt lgkmcnt(1)
	v_fma_f64 v[3:4], v[117:118], v[127:128], v[3:4]
	s_waitcnt vmcnt(0)
	s_delay_alu instid0(VALU_DEP_1) | instskip(SKIP_1) | instid1(VALU_DEP_1)
	v_fma_f64 v[3:4], v[119:120], v[129:130], v[3:4]
	s_waitcnt lgkmcnt(0)
	v_fma_f64 v[3:4], v[121:122], v[115:116], v[3:4]
	s_delay_alu instid0(VALU_DEP_1)
	v_add_f64 v[1:2], v[1:2], -v[3:4]
	scratch_store_b64 off, v[1:2], off offset:64
	v_cmpx_lt_u32_e32 7, v0
	s_cbranch_execz .LBB53_319
; %bb.318:
	scratch_load_b64 v[1:2], off, off offset:56
	v_mov_b32_e32 v115, v114
	scratch_store_b64 off, v[114:115], off offset:56
	s_waitcnt vmcnt(0)
	ds_store_b64 v5, v[1:2]
.LBB53_319:
	s_or_b32 exec_lo, exec_lo, s0
	s_waitcnt lgkmcnt(0)
	s_waitcnt_vscnt null, 0x0
	s_barrier
	buffer_gl0_inv
	s_clause 0x4
	scratch_load_b128 v[1:4], off, off offset:56
	scratch_load_b128 v[115:118], off, off offset:72
	scratch_load_b128 v[119:122], off, off offset:88
	scratch_load_b128 v[123:126], off, off offset:104
	scratch_load_b128 v[127:130], off, off offset:120
	ds_load_b128 v[131:134], v114 offset:496
	ds_load_b128 v[135:138], v114 offset:512
	scratch_load_b128 v[139:142], off, off offset:136
	s_mov_b32 s0, exec_lo
	s_waitcnt vmcnt(5) lgkmcnt(1)
	v_fma_f64 v[3:4], v[3:4], v[131:132], 0
	s_waitcnt vmcnt(4)
	s_delay_alu instid0(VALU_DEP_1) | instskip(SKIP_1) | instid1(VALU_DEP_1)
	v_fma_f64 v[3:4], v[115:116], v[133:134], v[3:4]
	s_waitcnt lgkmcnt(0)
	v_fma_f64 v[3:4], v[117:118], v[135:136], v[3:4]
	scratch_load_b128 v[115:118], off, off offset:152
	s_waitcnt vmcnt(4)
	v_fma_f64 v[3:4], v[119:120], v[137:138], v[3:4]
	ds_load_b128 v[131:134], v114 offset:528
	ds_load_b128 v[135:138], v114 offset:544
	s_waitcnt lgkmcnt(1)
	v_fma_f64 v[3:4], v[121:122], v[131:132], v[3:4]
	scratch_load_b128 v[119:122], off, off offset:168
	s_waitcnt vmcnt(4)
	v_fma_f64 v[3:4], v[123:124], v[133:134], v[3:4]
	s_waitcnt lgkmcnt(0)
	s_delay_alu instid0(VALU_DEP_1)
	v_fma_f64 v[3:4], v[125:126], v[135:136], v[3:4]
	scratch_load_b128 v[123:126], off, off offset:184
	s_waitcnt vmcnt(4)
	v_fma_f64 v[3:4], v[127:128], v[137:138], v[3:4]
	ds_load_b128 v[131:134], v114 offset:560
	ds_load_b128 v[135:138], v114 offset:576
	s_waitcnt lgkmcnt(1)
	v_fma_f64 v[3:4], v[129:130], v[131:132], v[3:4]
	scratch_load_b128 v[127:130], off, off offset:200
	s_waitcnt vmcnt(4)
	v_fma_f64 v[3:4], v[139:140], v[133:134], v[3:4]
	scratch_load_b128 v[131:134], off, off offset:216
	s_waitcnt lgkmcnt(0)
	v_fma_f64 v[3:4], v[141:142], v[135:136], v[3:4]
	s_waitcnt vmcnt(4)
	s_delay_alu instid0(VALU_DEP_1)
	v_fma_f64 v[3:4], v[115:116], v[137:138], v[3:4]
	ds_load_b128 v[135:138], v114 offset:592
	ds_load_b128 v[139:142], v114 offset:608
	s_waitcnt lgkmcnt(1)
	v_fma_f64 v[3:4], v[117:118], v[135:136], v[3:4]
	scratch_load_b128 v[115:118], off, off offset:232
	s_waitcnt vmcnt(4)
	v_fma_f64 v[3:4], v[119:120], v[137:138], v[3:4]
	s_waitcnt lgkmcnt(0)
	s_delay_alu instid0(VALU_DEP_1)
	v_fma_f64 v[3:4], v[121:122], v[139:140], v[3:4]
	scratch_load_b128 v[119:122], off, off offset:248
	s_waitcnt vmcnt(4)
	v_fma_f64 v[3:4], v[123:124], v[141:142], v[3:4]
	ds_load_b128 v[135:138], v114 offset:624
	ds_load_b128 v[139:142], v114 offset:640
	s_waitcnt lgkmcnt(1)
	v_fma_f64 v[3:4], v[125:126], v[135:136], v[3:4]
	scratch_load_b128 v[123:126], off, off offset:264
	s_waitcnt vmcnt(4)
	v_fma_f64 v[3:4], v[127:128], v[137:138], v[3:4]
	s_waitcnt lgkmcnt(0)
	s_delay_alu instid0(VALU_DEP_1)
	v_fma_f64 v[3:4], v[129:130], v[139:140], v[3:4]
	scratch_load_b128 v[127:130], off, off offset:280
	s_waitcnt vmcnt(4)
	;; [unrolled: 13-line block ×6, first 2 shown]
	v_fma_f64 v[3:4], v[123:124], v[141:142], v[3:4]
	ds_load_b128 v[135:138], v114 offset:784
	ds_load_b128 v[139:142], v114 offset:800
	s_waitcnt lgkmcnt(1)
	v_fma_f64 v[3:4], v[125:126], v[135:136], v[3:4]
	scratch_load_b64 v[135:136], off, off offset:424
	s_waitcnt vmcnt(4)
	v_fma_f64 v[3:4], v[127:128], v[137:138], v[3:4]
	s_waitcnt lgkmcnt(0)
	s_delay_alu instid0(VALU_DEP_1)
	v_fma_f64 v[3:4], v[129:130], v[139:140], v[3:4]
	ds_load_b128 v[123:126], v114 offset:816
	ds_load_b128 v[127:130], v114 offset:832
	s_waitcnt vmcnt(3)
	v_fma_f64 v[3:4], v[131:132], v[141:142], v[3:4]
	s_waitcnt lgkmcnt(1)
	s_delay_alu instid0(VALU_DEP_1) | instskip(SKIP_1) | instid1(VALU_DEP_1)
	v_fma_f64 v[3:4], v[133:134], v[123:124], v[3:4]
	s_waitcnt vmcnt(2)
	v_fma_f64 v[3:4], v[115:116], v[125:126], v[3:4]
	s_waitcnt lgkmcnt(0)
	s_delay_alu instid0(VALU_DEP_1) | instskip(SKIP_4) | instid1(VALU_DEP_1)
	v_fma_f64 v[3:4], v[117:118], v[127:128], v[3:4]
	ds_load_b128 v[114:117], v114 offset:848
	s_waitcnt vmcnt(1)
	v_fma_f64 v[3:4], v[119:120], v[129:130], v[3:4]
	s_waitcnt lgkmcnt(0)
	v_fma_f64 v[3:4], v[121:122], v[114:115], v[3:4]
	s_waitcnt vmcnt(0)
	s_delay_alu instid0(VALU_DEP_1) | instskip(NEXT) | instid1(VALU_DEP_1)
	v_fma_f64 v[3:4], v[135:136], v[116:117], v[3:4]
	v_add_f64 v[1:2], v[1:2], -v[3:4]
	scratch_store_b64 off, v[1:2], off offset:56
	v_cmpx_lt_u32_e32 6, v0
	s_cbranch_execz .LBB53_321
; %bb.320:
	scratch_load_b64 v[1:2], off, off offset:48
	v_mov_b32_e32 v3, 0
	s_delay_alu instid0(VALU_DEP_1)
	v_mov_b32_e32 v4, v3
	scratch_store_b64 off, v[3:4], off offset:48
	s_waitcnt vmcnt(0)
	ds_store_b64 v5, v[1:2]
.LBB53_321:
	s_or_b32 exec_lo, exec_lo, s0
	s_waitcnt lgkmcnt(0)
	s_waitcnt_vscnt null, 0x0
	s_barrier
	buffer_gl0_inv
	s_clause 0x4
	scratch_load_b128 v[1:4], off, off offset:48
	scratch_load_b128 v[115:118], off, off offset:64
	;; [unrolled: 1-line block ×5, first 2 shown]
	v_mov_b32_e32 v114, 0
	ds_load_2addr_b64 v[131:134], v114 offset0:61 offset1:62
	ds_load_2addr_b64 v[135:138], v114 offset0:63 offset1:64
	scratch_load_b128 v[139:142], off, off offset:128
	s_mov_b32 s0, exec_lo
	s_waitcnt vmcnt(5) lgkmcnt(1)
	v_fma_f64 v[3:4], v[3:4], v[131:132], 0
	s_waitcnt vmcnt(4)
	s_delay_alu instid0(VALU_DEP_1) | instskip(SKIP_1) | instid1(VALU_DEP_1)
	v_fma_f64 v[3:4], v[115:116], v[133:134], v[3:4]
	s_waitcnt lgkmcnt(0)
	v_fma_f64 v[3:4], v[117:118], v[135:136], v[3:4]
	scratch_load_b128 v[115:118], off, off offset:144
	s_waitcnt vmcnt(4)
	v_fma_f64 v[3:4], v[119:120], v[137:138], v[3:4]
	ds_load_2addr_b64 v[131:134], v114 offset0:65 offset1:66
	ds_load_2addr_b64 v[135:138], v114 offset0:67 offset1:68
	s_waitcnt lgkmcnt(1)
	v_fma_f64 v[3:4], v[121:122], v[131:132], v[3:4]
	scratch_load_b128 v[119:122], off, off offset:160
	s_waitcnt vmcnt(4)
	v_fma_f64 v[3:4], v[123:124], v[133:134], v[3:4]
	s_waitcnt lgkmcnt(0)
	s_delay_alu instid0(VALU_DEP_1)
	v_fma_f64 v[3:4], v[125:126], v[135:136], v[3:4]
	scratch_load_b128 v[123:126], off, off offset:176
	s_waitcnt vmcnt(4)
	v_fma_f64 v[3:4], v[127:128], v[137:138], v[3:4]
	ds_load_2addr_b64 v[131:134], v114 offset0:69 offset1:70
	ds_load_2addr_b64 v[135:138], v114 offset0:71 offset1:72
	s_waitcnt lgkmcnt(1)
	v_fma_f64 v[3:4], v[129:130], v[131:132], v[3:4]
	scratch_load_b128 v[127:130], off, off offset:192
	s_waitcnt vmcnt(4)
	v_fma_f64 v[3:4], v[139:140], v[133:134], v[3:4]
	scratch_load_b128 v[131:134], off, off offset:208
	s_waitcnt lgkmcnt(0)
	v_fma_f64 v[3:4], v[141:142], v[135:136], v[3:4]
	s_waitcnt vmcnt(4)
	s_delay_alu instid0(VALU_DEP_1)
	v_fma_f64 v[3:4], v[115:116], v[137:138], v[3:4]
	ds_load_2addr_b64 v[135:138], v114 offset0:73 offset1:74
	ds_load_2addr_b64 v[139:142], v114 offset0:75 offset1:76
	s_waitcnt lgkmcnt(1)
	v_fma_f64 v[3:4], v[117:118], v[135:136], v[3:4]
	scratch_load_b128 v[115:118], off, off offset:224
	s_waitcnt vmcnt(4)
	v_fma_f64 v[3:4], v[119:120], v[137:138], v[3:4]
	s_waitcnt lgkmcnt(0)
	s_delay_alu instid0(VALU_DEP_1)
	v_fma_f64 v[3:4], v[121:122], v[139:140], v[3:4]
	scratch_load_b128 v[119:122], off, off offset:240
	s_waitcnt vmcnt(4)
	v_fma_f64 v[3:4], v[123:124], v[141:142], v[3:4]
	ds_load_2addr_b64 v[135:138], v114 offset0:77 offset1:78
	ds_load_2addr_b64 v[139:142], v114 offset0:79 offset1:80
	s_waitcnt lgkmcnt(1)
	v_fma_f64 v[3:4], v[125:126], v[135:136], v[3:4]
	scratch_load_b128 v[123:126], off, off offset:256
	s_waitcnt vmcnt(4)
	v_fma_f64 v[3:4], v[127:128], v[137:138], v[3:4]
	s_waitcnt lgkmcnt(0)
	s_delay_alu instid0(VALU_DEP_1)
	v_fma_f64 v[3:4], v[129:130], v[139:140], v[3:4]
	scratch_load_b128 v[127:130], off, off offset:272
	s_waitcnt vmcnt(4)
	;; [unrolled: 13-line block ×6, first 2 shown]
	v_fma_f64 v[3:4], v[123:124], v[141:142], v[3:4]
	ds_load_2addr_b64 v[135:138], v114 offset0:97 offset1:98
	ds_load_2addr_b64 v[139:142], v114 offset0:99 offset1:100
	s_waitcnt lgkmcnt(1)
	v_fma_f64 v[3:4], v[125:126], v[135:136], v[3:4]
	scratch_load_b128 v[123:126], off, off offset:416
	s_waitcnt vmcnt(4)
	v_fma_f64 v[3:4], v[127:128], v[137:138], v[3:4]
	s_waitcnt lgkmcnt(0)
	s_delay_alu instid0(VALU_DEP_1)
	v_fma_f64 v[3:4], v[129:130], v[139:140], v[3:4]
	ds_load_2addr_b64 v[127:130], v114 offset0:101 offset1:102
	ds_load_2addr_b64 v[135:138], v114 offset0:103 offset1:104
	s_waitcnt vmcnt(3)
	v_fma_f64 v[3:4], v[131:132], v[141:142], v[3:4]
	s_waitcnt lgkmcnt(1)
	s_delay_alu instid0(VALU_DEP_1) | instskip(SKIP_1) | instid1(VALU_DEP_1)
	v_fma_f64 v[3:4], v[133:134], v[127:128], v[3:4]
	s_waitcnt vmcnt(2)
	v_fma_f64 v[3:4], v[115:116], v[129:130], v[3:4]
	s_waitcnt lgkmcnt(0)
	s_delay_alu instid0(VALU_DEP_1) | instskip(SKIP_1) | instid1(VALU_DEP_1)
	v_fma_f64 v[3:4], v[117:118], v[135:136], v[3:4]
	s_waitcnt vmcnt(1)
	v_fma_f64 v[3:4], v[119:120], v[137:138], v[3:4]
	ds_load_2addr_b64 v[115:118], v114 offset0:105 offset1:106
	ds_load_b64 v[119:120], v114 offset:856
	s_waitcnt lgkmcnt(1)
	v_fma_f64 v[3:4], v[121:122], v[115:116], v[3:4]
	s_waitcnt vmcnt(0)
	s_delay_alu instid0(VALU_DEP_1) | instskip(SKIP_1) | instid1(VALU_DEP_1)
	v_fma_f64 v[3:4], v[123:124], v[117:118], v[3:4]
	s_waitcnt lgkmcnt(0)
	v_fma_f64 v[3:4], v[125:126], v[119:120], v[3:4]
	s_delay_alu instid0(VALU_DEP_1)
	v_add_f64 v[1:2], v[1:2], -v[3:4]
	scratch_store_b64 off, v[1:2], off offset:48
	v_cmpx_lt_u32_e32 5, v0
	s_cbranch_execz .LBB53_323
; %bb.322:
	scratch_load_b64 v[1:2], off, off offset:40
	v_mov_b32_e32 v115, v114
	scratch_store_b64 off, v[114:115], off offset:40
	s_waitcnt vmcnt(0)
	ds_store_b64 v5, v[1:2]
.LBB53_323:
	s_or_b32 exec_lo, exec_lo, s0
	s_waitcnt lgkmcnt(0)
	s_waitcnt_vscnt null, 0x0
	s_barrier
	buffer_gl0_inv
	s_clause 0x4
	scratch_load_b128 v[1:4], off, off offset:40
	scratch_load_b128 v[115:118], off, off offset:56
	;; [unrolled: 1-line block ×5, first 2 shown]
	ds_load_b128 v[131:134], v114 offset:480
	ds_load_b128 v[135:138], v114 offset:496
	scratch_load_b128 v[139:142], off, off offset:120
	s_mov_b32 s0, exec_lo
	s_waitcnt vmcnt(5) lgkmcnt(1)
	v_fma_f64 v[3:4], v[3:4], v[131:132], 0
	s_waitcnt vmcnt(4)
	s_delay_alu instid0(VALU_DEP_1) | instskip(SKIP_1) | instid1(VALU_DEP_1)
	v_fma_f64 v[3:4], v[115:116], v[133:134], v[3:4]
	s_waitcnt lgkmcnt(0)
	v_fma_f64 v[3:4], v[117:118], v[135:136], v[3:4]
	scratch_load_b128 v[115:118], off, off offset:136
	s_waitcnt vmcnt(4)
	v_fma_f64 v[3:4], v[119:120], v[137:138], v[3:4]
	ds_load_b128 v[131:134], v114 offset:512
	ds_load_b128 v[135:138], v114 offset:528
	s_waitcnt lgkmcnt(1)
	v_fma_f64 v[3:4], v[121:122], v[131:132], v[3:4]
	scratch_load_b128 v[119:122], off, off offset:152
	s_waitcnt vmcnt(4)
	v_fma_f64 v[3:4], v[123:124], v[133:134], v[3:4]
	s_waitcnt lgkmcnt(0)
	s_delay_alu instid0(VALU_DEP_1)
	v_fma_f64 v[3:4], v[125:126], v[135:136], v[3:4]
	scratch_load_b128 v[123:126], off, off offset:168
	s_waitcnt vmcnt(4)
	v_fma_f64 v[3:4], v[127:128], v[137:138], v[3:4]
	ds_load_b128 v[131:134], v114 offset:544
	ds_load_b128 v[135:138], v114 offset:560
	s_waitcnt lgkmcnt(1)
	v_fma_f64 v[3:4], v[129:130], v[131:132], v[3:4]
	scratch_load_b128 v[127:130], off, off offset:184
	s_waitcnt vmcnt(4)
	v_fma_f64 v[3:4], v[139:140], v[133:134], v[3:4]
	scratch_load_b128 v[131:134], off, off offset:200
	s_waitcnt lgkmcnt(0)
	v_fma_f64 v[3:4], v[141:142], v[135:136], v[3:4]
	s_waitcnt vmcnt(4)
	s_delay_alu instid0(VALU_DEP_1)
	v_fma_f64 v[3:4], v[115:116], v[137:138], v[3:4]
	ds_load_b128 v[135:138], v114 offset:576
	ds_load_b128 v[139:142], v114 offset:592
	s_waitcnt lgkmcnt(1)
	v_fma_f64 v[3:4], v[117:118], v[135:136], v[3:4]
	scratch_load_b128 v[115:118], off, off offset:216
	s_waitcnt vmcnt(4)
	v_fma_f64 v[3:4], v[119:120], v[137:138], v[3:4]
	s_waitcnt lgkmcnt(0)
	s_delay_alu instid0(VALU_DEP_1)
	v_fma_f64 v[3:4], v[121:122], v[139:140], v[3:4]
	scratch_load_b128 v[119:122], off, off offset:232
	s_waitcnt vmcnt(4)
	v_fma_f64 v[3:4], v[123:124], v[141:142], v[3:4]
	ds_load_b128 v[135:138], v114 offset:608
	ds_load_b128 v[139:142], v114 offset:624
	s_waitcnt lgkmcnt(1)
	v_fma_f64 v[3:4], v[125:126], v[135:136], v[3:4]
	scratch_load_b128 v[123:126], off, off offset:248
	s_waitcnt vmcnt(4)
	v_fma_f64 v[3:4], v[127:128], v[137:138], v[3:4]
	s_waitcnt lgkmcnt(0)
	s_delay_alu instid0(VALU_DEP_1)
	v_fma_f64 v[3:4], v[129:130], v[139:140], v[3:4]
	scratch_load_b128 v[127:130], off, off offset:264
	s_waitcnt vmcnt(4)
	;; [unrolled: 13-line block ×6, first 2 shown]
	v_fma_f64 v[3:4], v[123:124], v[141:142], v[3:4]
	ds_load_b128 v[135:138], v114 offset:768
	ds_load_b128 v[139:142], v114 offset:784
	s_waitcnt lgkmcnt(1)
	v_fma_f64 v[3:4], v[125:126], v[135:136], v[3:4]
	scratch_load_b128 v[123:126], off, off offset:408
	s_waitcnt vmcnt(4)
	v_fma_f64 v[3:4], v[127:128], v[137:138], v[3:4]
	s_waitcnt lgkmcnt(0)
	s_delay_alu instid0(VALU_DEP_1)
	v_fma_f64 v[3:4], v[129:130], v[139:140], v[3:4]
	scratch_load_b64 v[139:140], off, off offset:424
	ds_load_b128 v[127:130], v114 offset:800
	ds_load_b128 v[135:138], v114 offset:816
	s_waitcnt vmcnt(4)
	v_fma_f64 v[3:4], v[131:132], v[141:142], v[3:4]
	s_waitcnt lgkmcnt(1)
	s_delay_alu instid0(VALU_DEP_1) | instskip(SKIP_1) | instid1(VALU_DEP_1)
	v_fma_f64 v[3:4], v[133:134], v[127:128], v[3:4]
	s_waitcnt vmcnt(3)
	v_fma_f64 v[3:4], v[115:116], v[129:130], v[3:4]
	s_waitcnt lgkmcnt(0)
	s_delay_alu instid0(VALU_DEP_1)
	v_fma_f64 v[3:4], v[117:118], v[135:136], v[3:4]
	ds_load_b128 v[115:118], v114 offset:832
	ds_load_b128 v[127:130], v114 offset:848
	s_waitcnt vmcnt(2)
	v_fma_f64 v[3:4], v[119:120], v[137:138], v[3:4]
	s_waitcnt lgkmcnt(1)
	s_delay_alu instid0(VALU_DEP_1) | instskip(SKIP_1) | instid1(VALU_DEP_1)
	v_fma_f64 v[3:4], v[121:122], v[115:116], v[3:4]
	s_waitcnt vmcnt(1)
	v_fma_f64 v[3:4], v[123:124], v[117:118], v[3:4]
	s_waitcnt lgkmcnt(0)
	s_delay_alu instid0(VALU_DEP_1) | instskip(SKIP_1) | instid1(VALU_DEP_1)
	v_fma_f64 v[3:4], v[125:126], v[127:128], v[3:4]
	s_waitcnt vmcnt(0)
	v_fma_f64 v[3:4], v[139:140], v[129:130], v[3:4]
	s_delay_alu instid0(VALU_DEP_1)
	v_add_f64 v[1:2], v[1:2], -v[3:4]
	scratch_store_b64 off, v[1:2], off offset:40
	v_cmpx_lt_u32_e32 4, v0
	s_cbranch_execz .LBB53_325
; %bb.324:
	scratch_load_b64 v[1:2], off, off offset:32
	v_mov_b32_e32 v3, 0
	s_delay_alu instid0(VALU_DEP_1)
	v_mov_b32_e32 v4, v3
	scratch_store_b64 off, v[3:4], off offset:32
	s_waitcnt vmcnt(0)
	ds_store_b64 v5, v[1:2]
.LBB53_325:
	s_or_b32 exec_lo, exec_lo, s0
	s_waitcnt lgkmcnt(0)
	s_waitcnt_vscnt null, 0x0
	s_barrier
	buffer_gl0_inv
	s_clause 0x4
	scratch_load_b128 v[1:4], off, off offset:32
	scratch_load_b128 v[115:118], off, off offset:48
	;; [unrolled: 1-line block ×5, first 2 shown]
	v_mov_b32_e32 v114, 0
	ds_load_2addr_b64 v[131:134], v114 offset0:59 offset1:60
	ds_load_2addr_b64 v[135:138], v114 offset0:61 offset1:62
	scratch_load_b128 v[139:142], off, off offset:112
	s_mov_b32 s0, exec_lo
	s_waitcnt vmcnt(5) lgkmcnt(1)
	v_fma_f64 v[3:4], v[3:4], v[131:132], 0
	s_waitcnt vmcnt(4)
	s_delay_alu instid0(VALU_DEP_1) | instskip(SKIP_1) | instid1(VALU_DEP_1)
	v_fma_f64 v[3:4], v[115:116], v[133:134], v[3:4]
	s_waitcnt lgkmcnt(0)
	v_fma_f64 v[3:4], v[117:118], v[135:136], v[3:4]
	scratch_load_b128 v[115:118], off, off offset:128
	s_waitcnt vmcnt(4)
	v_fma_f64 v[3:4], v[119:120], v[137:138], v[3:4]
	ds_load_2addr_b64 v[131:134], v114 offset0:63 offset1:64
	ds_load_2addr_b64 v[135:138], v114 offset0:65 offset1:66
	s_waitcnt lgkmcnt(1)
	v_fma_f64 v[3:4], v[121:122], v[131:132], v[3:4]
	scratch_load_b128 v[119:122], off, off offset:144
	s_waitcnt vmcnt(4)
	v_fma_f64 v[3:4], v[123:124], v[133:134], v[3:4]
	s_waitcnt lgkmcnt(0)
	s_delay_alu instid0(VALU_DEP_1)
	v_fma_f64 v[3:4], v[125:126], v[135:136], v[3:4]
	scratch_load_b128 v[123:126], off, off offset:160
	s_waitcnt vmcnt(4)
	v_fma_f64 v[3:4], v[127:128], v[137:138], v[3:4]
	ds_load_2addr_b64 v[131:134], v114 offset0:67 offset1:68
	ds_load_2addr_b64 v[135:138], v114 offset0:69 offset1:70
	s_waitcnt lgkmcnt(1)
	v_fma_f64 v[3:4], v[129:130], v[131:132], v[3:4]
	scratch_load_b128 v[127:130], off, off offset:176
	s_waitcnt vmcnt(4)
	v_fma_f64 v[3:4], v[139:140], v[133:134], v[3:4]
	scratch_load_b128 v[131:134], off, off offset:192
	s_waitcnt lgkmcnt(0)
	v_fma_f64 v[3:4], v[141:142], v[135:136], v[3:4]
	s_waitcnt vmcnt(4)
	s_delay_alu instid0(VALU_DEP_1)
	v_fma_f64 v[3:4], v[115:116], v[137:138], v[3:4]
	ds_load_2addr_b64 v[135:138], v114 offset0:71 offset1:72
	ds_load_2addr_b64 v[139:142], v114 offset0:73 offset1:74
	s_waitcnt lgkmcnt(1)
	v_fma_f64 v[3:4], v[117:118], v[135:136], v[3:4]
	scratch_load_b128 v[115:118], off, off offset:208
	s_waitcnt vmcnt(4)
	v_fma_f64 v[3:4], v[119:120], v[137:138], v[3:4]
	s_waitcnt lgkmcnt(0)
	s_delay_alu instid0(VALU_DEP_1)
	v_fma_f64 v[3:4], v[121:122], v[139:140], v[3:4]
	scratch_load_b128 v[119:122], off, off offset:224
	s_waitcnt vmcnt(4)
	v_fma_f64 v[3:4], v[123:124], v[141:142], v[3:4]
	ds_load_2addr_b64 v[135:138], v114 offset0:75 offset1:76
	ds_load_2addr_b64 v[139:142], v114 offset0:77 offset1:78
	s_waitcnt lgkmcnt(1)
	v_fma_f64 v[3:4], v[125:126], v[135:136], v[3:4]
	scratch_load_b128 v[123:126], off, off offset:240
	s_waitcnt vmcnt(4)
	v_fma_f64 v[3:4], v[127:128], v[137:138], v[3:4]
	s_waitcnt lgkmcnt(0)
	s_delay_alu instid0(VALU_DEP_1)
	v_fma_f64 v[3:4], v[129:130], v[139:140], v[3:4]
	scratch_load_b128 v[127:130], off, off offset:256
	s_waitcnt vmcnt(4)
	v_fma_f64 v[3:4], v[131:132], v[141:142], v[3:4]
	ds_load_2addr_b64 v[135:138], v114 offset0:79 offset1:80
	ds_load_2addr_b64 v[139:142], v114 offset0:81 offset1:82
	s_waitcnt lgkmcnt(1)
	v_fma_f64 v[3:4], v[133:134], v[135:136], v[3:4]
	scratch_load_b128 v[131:134], off, off offset:272
	s_waitcnt vmcnt(4)
	v_fma_f64 v[3:4], v[115:116], v[137:138], v[3:4]
	s_waitcnt lgkmcnt(0)
	s_delay_alu instid0(VALU_DEP_1)
	v_fma_f64 v[3:4], v[117:118], v[139:140], v[3:4]
	scratch_load_b128 v[115:118], off, off offset:288
	s_waitcnt vmcnt(4)
	v_fma_f64 v[3:4], v[119:120], v[141:142], v[3:4]
	ds_load_2addr_b64 v[135:138], v114 offset0:83 offset1:84
	ds_load_2addr_b64 v[139:142], v114 offset0:85 offset1:86
	s_waitcnt lgkmcnt(1)
	v_fma_f64 v[3:4], v[121:122], v[135:136], v[3:4]
	scratch_load_b128 v[119:122], off, off offset:304
	s_waitcnt vmcnt(4)
	v_fma_f64 v[3:4], v[123:124], v[137:138], v[3:4]
	s_waitcnt lgkmcnt(0)
	s_delay_alu instid0(VALU_DEP_1)
	v_fma_f64 v[3:4], v[125:126], v[139:140], v[3:4]
	scratch_load_b128 v[123:126], off, off offset:320
	s_waitcnt vmcnt(4)
	v_fma_f64 v[3:4], v[127:128], v[141:142], v[3:4]
	ds_load_2addr_b64 v[135:138], v114 offset0:87 offset1:88
	ds_load_2addr_b64 v[139:142], v114 offset0:89 offset1:90
	s_waitcnt lgkmcnt(1)
	v_fma_f64 v[3:4], v[129:130], v[135:136], v[3:4]
	scratch_load_b128 v[127:130], off, off offset:336
	s_waitcnt vmcnt(4)
	v_fma_f64 v[3:4], v[131:132], v[137:138], v[3:4]
	s_waitcnt lgkmcnt(0)
	s_delay_alu instid0(VALU_DEP_1)
	v_fma_f64 v[3:4], v[133:134], v[139:140], v[3:4]
	scratch_load_b128 v[131:134], off, off offset:352
	s_waitcnt vmcnt(4)
	v_fma_f64 v[3:4], v[115:116], v[141:142], v[3:4]
	ds_load_2addr_b64 v[135:138], v114 offset0:91 offset1:92
	ds_load_2addr_b64 v[139:142], v114 offset0:93 offset1:94
	s_waitcnt lgkmcnt(1)
	v_fma_f64 v[3:4], v[117:118], v[135:136], v[3:4]
	scratch_load_b128 v[115:118], off, off offset:368
	s_waitcnt vmcnt(4)
	v_fma_f64 v[3:4], v[119:120], v[137:138], v[3:4]
	s_waitcnt lgkmcnt(0)
	s_delay_alu instid0(VALU_DEP_1)
	v_fma_f64 v[3:4], v[121:122], v[139:140], v[3:4]
	scratch_load_b128 v[119:122], off, off offset:384
	s_waitcnt vmcnt(4)
	v_fma_f64 v[3:4], v[123:124], v[141:142], v[3:4]
	ds_load_2addr_b64 v[135:138], v114 offset0:95 offset1:96
	ds_load_2addr_b64 v[139:142], v114 offset0:97 offset1:98
	s_waitcnt lgkmcnt(1)
	v_fma_f64 v[3:4], v[125:126], v[135:136], v[3:4]
	scratch_load_b128 v[123:126], off, off offset:400
	s_waitcnt vmcnt(4)
	v_fma_f64 v[3:4], v[127:128], v[137:138], v[3:4]
	s_waitcnt lgkmcnt(0)
	s_delay_alu instid0(VALU_DEP_1)
	v_fma_f64 v[3:4], v[129:130], v[139:140], v[3:4]
	scratch_load_b128 v[127:130], off, off offset:416
	s_waitcnt vmcnt(4)
	v_fma_f64 v[3:4], v[131:132], v[141:142], v[3:4]
	ds_load_2addr_b64 v[135:138], v114 offset0:99 offset1:100
	ds_load_2addr_b64 v[139:142], v114 offset0:101 offset1:102
	s_waitcnt lgkmcnt(1)
	v_fma_f64 v[3:4], v[133:134], v[135:136], v[3:4]
	s_waitcnt vmcnt(3)
	s_delay_alu instid0(VALU_DEP_1) | instskip(SKIP_1) | instid1(VALU_DEP_1)
	v_fma_f64 v[3:4], v[115:116], v[137:138], v[3:4]
	s_waitcnt lgkmcnt(0)
	v_fma_f64 v[3:4], v[117:118], v[139:140], v[3:4]
	ds_load_2addr_b64 v[115:118], v114 offset0:103 offset1:104
	ds_load_2addr_b64 v[131:134], v114 offset0:105 offset1:106
	s_waitcnt vmcnt(2)
	v_fma_f64 v[3:4], v[119:120], v[141:142], v[3:4]
	s_waitcnt lgkmcnt(1)
	s_delay_alu instid0(VALU_DEP_1) | instskip(SKIP_4) | instid1(VALU_DEP_1)
	v_fma_f64 v[3:4], v[121:122], v[115:116], v[3:4]
	ds_load_b64 v[115:116], v114 offset:856
	s_waitcnt vmcnt(1)
	v_fma_f64 v[3:4], v[123:124], v[117:118], v[3:4]
	s_waitcnt lgkmcnt(1)
	v_fma_f64 v[3:4], v[125:126], v[131:132], v[3:4]
	s_waitcnt vmcnt(0)
	s_delay_alu instid0(VALU_DEP_1) | instskip(SKIP_1) | instid1(VALU_DEP_1)
	v_fma_f64 v[3:4], v[127:128], v[133:134], v[3:4]
	s_waitcnt lgkmcnt(0)
	v_fma_f64 v[3:4], v[129:130], v[115:116], v[3:4]
	s_delay_alu instid0(VALU_DEP_1)
	v_add_f64 v[1:2], v[1:2], -v[3:4]
	scratch_store_b64 off, v[1:2], off offset:32
	v_cmpx_lt_u32_e32 3, v0
	s_cbranch_execz .LBB53_327
; %bb.326:
	scratch_load_b64 v[1:2], off, off offset:24
	v_mov_b32_e32 v115, v114
	scratch_store_b64 off, v[114:115], off offset:24
	s_waitcnt vmcnt(0)
	ds_store_b64 v5, v[1:2]
.LBB53_327:
	s_or_b32 exec_lo, exec_lo, s0
	s_waitcnt lgkmcnt(0)
	s_waitcnt_vscnt null, 0x0
	s_barrier
	buffer_gl0_inv
	s_clause 0x4
	scratch_load_b128 v[1:4], off, off offset:24
	scratch_load_b128 v[115:118], off, off offset:40
	;; [unrolled: 1-line block ×5, first 2 shown]
	ds_load_b128 v[131:134], v114 offset:464
	ds_load_b128 v[135:138], v114 offset:480
	scratch_load_b128 v[139:142], off, off offset:104
	s_mov_b32 s0, exec_lo
	s_waitcnt vmcnt(5) lgkmcnt(1)
	v_fma_f64 v[3:4], v[3:4], v[131:132], 0
	s_waitcnt vmcnt(4)
	s_delay_alu instid0(VALU_DEP_1) | instskip(SKIP_1) | instid1(VALU_DEP_1)
	v_fma_f64 v[3:4], v[115:116], v[133:134], v[3:4]
	s_waitcnt lgkmcnt(0)
	v_fma_f64 v[3:4], v[117:118], v[135:136], v[3:4]
	scratch_load_b128 v[115:118], off, off offset:120
	s_waitcnt vmcnt(4)
	v_fma_f64 v[3:4], v[119:120], v[137:138], v[3:4]
	ds_load_b128 v[131:134], v114 offset:496
	ds_load_b128 v[135:138], v114 offset:512
	s_waitcnt lgkmcnt(1)
	v_fma_f64 v[3:4], v[121:122], v[131:132], v[3:4]
	scratch_load_b128 v[119:122], off, off offset:136
	s_waitcnt vmcnt(4)
	v_fma_f64 v[3:4], v[123:124], v[133:134], v[3:4]
	s_waitcnt lgkmcnt(0)
	s_delay_alu instid0(VALU_DEP_1)
	v_fma_f64 v[3:4], v[125:126], v[135:136], v[3:4]
	scratch_load_b128 v[123:126], off, off offset:152
	s_waitcnt vmcnt(4)
	v_fma_f64 v[3:4], v[127:128], v[137:138], v[3:4]
	ds_load_b128 v[131:134], v114 offset:528
	ds_load_b128 v[135:138], v114 offset:544
	s_waitcnt lgkmcnt(1)
	v_fma_f64 v[3:4], v[129:130], v[131:132], v[3:4]
	scratch_load_b128 v[127:130], off, off offset:168
	s_waitcnt vmcnt(4)
	v_fma_f64 v[3:4], v[139:140], v[133:134], v[3:4]
	scratch_load_b128 v[131:134], off, off offset:184
	s_waitcnt lgkmcnt(0)
	v_fma_f64 v[3:4], v[141:142], v[135:136], v[3:4]
	s_waitcnt vmcnt(4)
	s_delay_alu instid0(VALU_DEP_1)
	v_fma_f64 v[3:4], v[115:116], v[137:138], v[3:4]
	ds_load_b128 v[135:138], v114 offset:560
	ds_load_b128 v[139:142], v114 offset:576
	s_waitcnt lgkmcnt(1)
	v_fma_f64 v[3:4], v[117:118], v[135:136], v[3:4]
	scratch_load_b128 v[115:118], off, off offset:200
	s_waitcnt vmcnt(4)
	v_fma_f64 v[3:4], v[119:120], v[137:138], v[3:4]
	s_waitcnt lgkmcnt(0)
	s_delay_alu instid0(VALU_DEP_1)
	v_fma_f64 v[3:4], v[121:122], v[139:140], v[3:4]
	scratch_load_b128 v[119:122], off, off offset:216
	s_waitcnt vmcnt(4)
	v_fma_f64 v[3:4], v[123:124], v[141:142], v[3:4]
	ds_load_b128 v[135:138], v114 offset:592
	ds_load_b128 v[139:142], v114 offset:608
	s_waitcnt lgkmcnt(1)
	v_fma_f64 v[3:4], v[125:126], v[135:136], v[3:4]
	scratch_load_b128 v[123:126], off, off offset:232
	s_waitcnt vmcnt(4)
	v_fma_f64 v[3:4], v[127:128], v[137:138], v[3:4]
	s_waitcnt lgkmcnt(0)
	s_delay_alu instid0(VALU_DEP_1)
	v_fma_f64 v[3:4], v[129:130], v[139:140], v[3:4]
	scratch_load_b128 v[127:130], off, off offset:248
	s_waitcnt vmcnt(4)
	;; [unrolled: 13-line block ×7, first 2 shown]
	v_fma_f64 v[3:4], v[131:132], v[141:142], v[3:4]
	ds_load_b128 v[135:138], v114 offset:784
	ds_load_b128 v[139:142], v114 offset:800
	s_waitcnt lgkmcnt(1)
	v_fma_f64 v[3:4], v[133:134], v[135:136], v[3:4]
	scratch_load_b64 v[135:136], off, off offset:424
	s_waitcnt vmcnt(4)
	v_fma_f64 v[3:4], v[115:116], v[137:138], v[3:4]
	s_waitcnt lgkmcnt(0)
	s_delay_alu instid0(VALU_DEP_1)
	v_fma_f64 v[3:4], v[117:118], v[139:140], v[3:4]
	ds_load_b128 v[115:118], v114 offset:816
	ds_load_b128 v[131:134], v114 offset:832
	s_waitcnt vmcnt(3)
	v_fma_f64 v[3:4], v[119:120], v[141:142], v[3:4]
	s_waitcnt lgkmcnt(1)
	s_delay_alu instid0(VALU_DEP_1) | instskip(SKIP_1) | instid1(VALU_DEP_1)
	v_fma_f64 v[3:4], v[121:122], v[115:116], v[3:4]
	s_waitcnt vmcnt(2)
	v_fma_f64 v[3:4], v[123:124], v[117:118], v[3:4]
	ds_load_b128 v[114:117], v114 offset:848
	s_waitcnt lgkmcnt(1)
	v_fma_f64 v[3:4], v[125:126], v[131:132], v[3:4]
	s_waitcnt vmcnt(1)
	s_delay_alu instid0(VALU_DEP_1) | instskip(SKIP_1) | instid1(VALU_DEP_1)
	v_fma_f64 v[3:4], v[127:128], v[133:134], v[3:4]
	s_waitcnt lgkmcnt(0)
	v_fma_f64 v[3:4], v[129:130], v[114:115], v[3:4]
	s_waitcnt vmcnt(0)
	s_delay_alu instid0(VALU_DEP_1) | instskip(NEXT) | instid1(VALU_DEP_1)
	v_fma_f64 v[3:4], v[135:136], v[116:117], v[3:4]
	v_add_f64 v[1:2], v[1:2], -v[3:4]
	scratch_store_b64 off, v[1:2], off offset:24
	v_cmpx_lt_u32_e32 2, v0
	s_cbranch_execz .LBB53_329
; %bb.328:
	scratch_load_b64 v[1:2], off, off offset:16
	v_mov_b32_e32 v3, 0
	s_delay_alu instid0(VALU_DEP_1)
	v_mov_b32_e32 v4, v3
	scratch_store_b64 off, v[3:4], off offset:16
	s_waitcnt vmcnt(0)
	ds_store_b64 v5, v[1:2]
.LBB53_329:
	s_or_b32 exec_lo, exec_lo, s0
	s_waitcnt lgkmcnt(0)
	s_waitcnt_vscnt null, 0x0
	s_barrier
	buffer_gl0_inv
	s_clause 0x4
	scratch_load_b128 v[1:4], off, off offset:16
	scratch_load_b128 v[115:118], off, off offset:32
	scratch_load_b128 v[119:122], off, off offset:48
	scratch_load_b128 v[123:126], off, off offset:64
	scratch_load_b128 v[127:130], off, off offset:80
	v_mov_b32_e32 v114, 0
	ds_load_2addr_b64 v[131:134], v114 offset0:57 offset1:58
	ds_load_2addr_b64 v[135:138], v114 offset0:59 offset1:60
	scratch_load_b128 v[139:142], off, off offset:96
	s_mov_b32 s0, exec_lo
	s_waitcnt vmcnt(5) lgkmcnt(1)
	v_fma_f64 v[3:4], v[3:4], v[131:132], 0
	s_waitcnt vmcnt(4)
	s_delay_alu instid0(VALU_DEP_1) | instskip(SKIP_1) | instid1(VALU_DEP_1)
	v_fma_f64 v[3:4], v[115:116], v[133:134], v[3:4]
	s_waitcnt lgkmcnt(0)
	v_fma_f64 v[3:4], v[117:118], v[135:136], v[3:4]
	scratch_load_b128 v[115:118], off, off offset:112
	s_waitcnt vmcnt(4)
	v_fma_f64 v[3:4], v[119:120], v[137:138], v[3:4]
	ds_load_2addr_b64 v[131:134], v114 offset0:61 offset1:62
	ds_load_2addr_b64 v[135:138], v114 offset0:63 offset1:64
	s_waitcnt lgkmcnt(1)
	v_fma_f64 v[3:4], v[121:122], v[131:132], v[3:4]
	scratch_load_b128 v[119:122], off, off offset:128
	s_waitcnt vmcnt(4)
	v_fma_f64 v[3:4], v[123:124], v[133:134], v[3:4]
	s_waitcnt lgkmcnt(0)
	s_delay_alu instid0(VALU_DEP_1)
	v_fma_f64 v[3:4], v[125:126], v[135:136], v[3:4]
	scratch_load_b128 v[123:126], off, off offset:144
	s_waitcnt vmcnt(4)
	v_fma_f64 v[3:4], v[127:128], v[137:138], v[3:4]
	ds_load_2addr_b64 v[131:134], v114 offset0:65 offset1:66
	ds_load_2addr_b64 v[135:138], v114 offset0:67 offset1:68
	s_waitcnt lgkmcnt(1)
	v_fma_f64 v[3:4], v[129:130], v[131:132], v[3:4]
	scratch_load_b128 v[127:130], off, off offset:160
	s_waitcnt vmcnt(4)
	v_fma_f64 v[3:4], v[139:140], v[133:134], v[3:4]
	scratch_load_b128 v[131:134], off, off offset:176
	s_waitcnt lgkmcnt(0)
	v_fma_f64 v[3:4], v[141:142], v[135:136], v[3:4]
	s_waitcnt vmcnt(4)
	s_delay_alu instid0(VALU_DEP_1)
	v_fma_f64 v[3:4], v[115:116], v[137:138], v[3:4]
	ds_load_2addr_b64 v[135:138], v114 offset0:69 offset1:70
	ds_load_2addr_b64 v[139:142], v114 offset0:71 offset1:72
	s_waitcnt lgkmcnt(1)
	v_fma_f64 v[3:4], v[117:118], v[135:136], v[3:4]
	scratch_load_b128 v[115:118], off, off offset:192
	s_waitcnt vmcnt(4)
	v_fma_f64 v[3:4], v[119:120], v[137:138], v[3:4]
	s_waitcnt lgkmcnt(0)
	s_delay_alu instid0(VALU_DEP_1)
	v_fma_f64 v[3:4], v[121:122], v[139:140], v[3:4]
	scratch_load_b128 v[119:122], off, off offset:208
	s_waitcnt vmcnt(4)
	v_fma_f64 v[3:4], v[123:124], v[141:142], v[3:4]
	ds_load_2addr_b64 v[135:138], v114 offset0:73 offset1:74
	ds_load_2addr_b64 v[139:142], v114 offset0:75 offset1:76
	s_waitcnt lgkmcnt(1)
	v_fma_f64 v[3:4], v[125:126], v[135:136], v[3:4]
	scratch_load_b128 v[123:126], off, off offset:224
	s_waitcnt vmcnt(4)
	v_fma_f64 v[3:4], v[127:128], v[137:138], v[3:4]
	s_waitcnt lgkmcnt(0)
	s_delay_alu instid0(VALU_DEP_1)
	v_fma_f64 v[3:4], v[129:130], v[139:140], v[3:4]
	scratch_load_b128 v[127:130], off, off offset:240
	s_waitcnt vmcnt(4)
	;; [unrolled: 13-line block ×7, first 2 shown]
	v_fma_f64 v[3:4], v[131:132], v[141:142], v[3:4]
	ds_load_2addr_b64 v[135:138], v114 offset0:97 offset1:98
	ds_load_2addr_b64 v[139:142], v114 offset0:99 offset1:100
	s_waitcnt lgkmcnt(1)
	v_fma_f64 v[3:4], v[133:134], v[135:136], v[3:4]
	scratch_load_b128 v[131:134], off, off offset:416
	s_waitcnt vmcnt(4)
	v_fma_f64 v[3:4], v[115:116], v[137:138], v[3:4]
	s_waitcnt lgkmcnt(0)
	s_delay_alu instid0(VALU_DEP_1)
	v_fma_f64 v[3:4], v[117:118], v[139:140], v[3:4]
	ds_load_2addr_b64 v[115:118], v114 offset0:101 offset1:102
	ds_load_2addr_b64 v[135:138], v114 offset0:103 offset1:104
	s_waitcnt vmcnt(3)
	v_fma_f64 v[3:4], v[119:120], v[141:142], v[3:4]
	s_waitcnt lgkmcnt(1)
	s_delay_alu instid0(VALU_DEP_1) | instskip(SKIP_1) | instid1(VALU_DEP_1)
	v_fma_f64 v[3:4], v[121:122], v[115:116], v[3:4]
	s_waitcnt vmcnt(2)
	v_fma_f64 v[3:4], v[123:124], v[117:118], v[3:4]
	ds_load_2addr_b64 v[115:118], v114 offset0:105 offset1:106
	ds_load_b64 v[119:120], v114 offset:856
	s_waitcnt lgkmcnt(2)
	v_fma_f64 v[3:4], v[125:126], v[135:136], v[3:4]
	s_waitcnt vmcnt(1)
	s_delay_alu instid0(VALU_DEP_1) | instskip(SKIP_1) | instid1(VALU_DEP_1)
	v_fma_f64 v[3:4], v[127:128], v[137:138], v[3:4]
	s_waitcnt lgkmcnt(1)
	v_fma_f64 v[3:4], v[129:130], v[115:116], v[3:4]
	s_waitcnt vmcnt(0)
	s_delay_alu instid0(VALU_DEP_1) | instskip(SKIP_1) | instid1(VALU_DEP_1)
	v_fma_f64 v[3:4], v[131:132], v[117:118], v[3:4]
	s_waitcnt lgkmcnt(0)
	v_fma_f64 v[3:4], v[133:134], v[119:120], v[3:4]
	s_delay_alu instid0(VALU_DEP_1)
	v_add_f64 v[1:2], v[1:2], -v[3:4]
	scratch_store_b64 off, v[1:2], off offset:16
	v_cmpx_lt_u32_e32 1, v0
	s_cbranch_execz .LBB53_331
; %bb.330:
	scratch_load_b64 v[1:2], off, off offset:8
	v_mov_b32_e32 v115, v114
	scratch_store_b64 off, v[114:115], off offset:8
	s_waitcnt vmcnt(0)
	ds_store_b64 v5, v[1:2]
.LBB53_331:
	s_or_b32 exec_lo, exec_lo, s0
	s_waitcnt lgkmcnt(0)
	s_waitcnt_vscnt null, 0x0
	s_barrier
	buffer_gl0_inv
	s_clause 0x4
	scratch_load_b128 v[1:4], off, off offset:8
	scratch_load_b128 v[115:118], off, off offset:24
	;; [unrolled: 1-line block ×5, first 2 shown]
	ds_load_b128 v[131:134], v114 offset:448
	ds_load_b128 v[135:138], v114 offset:464
	scratch_load_b128 v[139:142], off, off offset:88
	s_mov_b32 s0, exec_lo
	s_waitcnt vmcnt(5) lgkmcnt(1)
	v_fma_f64 v[3:4], v[3:4], v[131:132], 0
	s_waitcnt vmcnt(4)
	s_delay_alu instid0(VALU_DEP_1) | instskip(SKIP_1) | instid1(VALU_DEP_1)
	v_fma_f64 v[3:4], v[115:116], v[133:134], v[3:4]
	s_waitcnt lgkmcnt(0)
	v_fma_f64 v[3:4], v[117:118], v[135:136], v[3:4]
	scratch_load_b128 v[115:118], off, off offset:104
	s_waitcnt vmcnt(4)
	v_fma_f64 v[3:4], v[119:120], v[137:138], v[3:4]
	ds_load_b128 v[131:134], v114 offset:480
	ds_load_b128 v[135:138], v114 offset:496
	s_waitcnt lgkmcnt(1)
	v_fma_f64 v[3:4], v[121:122], v[131:132], v[3:4]
	scratch_load_b128 v[119:122], off, off offset:120
	s_waitcnt vmcnt(4)
	v_fma_f64 v[3:4], v[123:124], v[133:134], v[3:4]
	s_waitcnt lgkmcnt(0)
	s_delay_alu instid0(VALU_DEP_1)
	v_fma_f64 v[3:4], v[125:126], v[135:136], v[3:4]
	scratch_load_b128 v[123:126], off, off offset:136
	s_waitcnt vmcnt(4)
	v_fma_f64 v[3:4], v[127:128], v[137:138], v[3:4]
	ds_load_b128 v[131:134], v114 offset:512
	ds_load_b128 v[135:138], v114 offset:528
	s_waitcnt lgkmcnt(1)
	v_fma_f64 v[3:4], v[129:130], v[131:132], v[3:4]
	scratch_load_b128 v[127:130], off, off offset:152
	s_waitcnt vmcnt(4)
	v_fma_f64 v[3:4], v[139:140], v[133:134], v[3:4]
	scratch_load_b128 v[131:134], off, off offset:168
	s_waitcnt lgkmcnt(0)
	v_fma_f64 v[3:4], v[141:142], v[135:136], v[3:4]
	s_waitcnt vmcnt(4)
	s_delay_alu instid0(VALU_DEP_1)
	v_fma_f64 v[3:4], v[115:116], v[137:138], v[3:4]
	ds_load_b128 v[135:138], v114 offset:544
	ds_load_b128 v[139:142], v114 offset:560
	s_waitcnt lgkmcnt(1)
	v_fma_f64 v[3:4], v[117:118], v[135:136], v[3:4]
	scratch_load_b128 v[115:118], off, off offset:184
	s_waitcnt vmcnt(4)
	v_fma_f64 v[3:4], v[119:120], v[137:138], v[3:4]
	s_waitcnt lgkmcnt(0)
	s_delay_alu instid0(VALU_DEP_1)
	v_fma_f64 v[3:4], v[121:122], v[139:140], v[3:4]
	scratch_load_b128 v[119:122], off, off offset:200
	s_waitcnt vmcnt(4)
	v_fma_f64 v[3:4], v[123:124], v[141:142], v[3:4]
	ds_load_b128 v[135:138], v114 offset:576
	ds_load_b128 v[139:142], v114 offset:592
	s_waitcnt lgkmcnt(1)
	v_fma_f64 v[3:4], v[125:126], v[135:136], v[3:4]
	scratch_load_b128 v[123:126], off, off offset:216
	s_waitcnt vmcnt(4)
	v_fma_f64 v[3:4], v[127:128], v[137:138], v[3:4]
	s_waitcnt lgkmcnt(0)
	s_delay_alu instid0(VALU_DEP_1)
	v_fma_f64 v[3:4], v[129:130], v[139:140], v[3:4]
	scratch_load_b128 v[127:130], off, off offset:232
	s_waitcnt vmcnt(4)
	;; [unrolled: 13-line block ×7, first 2 shown]
	v_fma_f64 v[3:4], v[131:132], v[141:142], v[3:4]
	ds_load_b128 v[135:138], v114 offset:768
	ds_load_b128 v[139:142], v114 offset:784
	s_waitcnt lgkmcnt(1)
	v_fma_f64 v[3:4], v[133:134], v[135:136], v[3:4]
	scratch_load_b128 v[131:134], off, off offset:408
	s_waitcnt vmcnt(4)
	v_fma_f64 v[3:4], v[115:116], v[137:138], v[3:4]
	s_waitcnt lgkmcnt(0)
	s_delay_alu instid0(VALU_DEP_1)
	v_fma_f64 v[3:4], v[117:118], v[139:140], v[3:4]
	scratch_load_b64 v[139:140], off, off offset:424
	ds_load_b128 v[115:118], v114 offset:800
	ds_load_b128 v[135:138], v114 offset:816
	s_waitcnt vmcnt(4)
	v_fma_f64 v[3:4], v[119:120], v[141:142], v[3:4]
	s_waitcnt lgkmcnt(1)
	s_delay_alu instid0(VALU_DEP_1) | instskip(SKIP_1) | instid1(VALU_DEP_1)
	v_fma_f64 v[3:4], v[121:122], v[115:116], v[3:4]
	s_waitcnt vmcnt(3)
	v_fma_f64 v[3:4], v[123:124], v[117:118], v[3:4]
	ds_load_b128 v[115:118], v114 offset:832
	ds_load_b128 v[119:122], v114 offset:848
	s_waitcnt lgkmcnt(2)
	v_fma_f64 v[3:4], v[125:126], v[135:136], v[3:4]
	s_waitcnt vmcnt(2)
	s_delay_alu instid0(VALU_DEP_1) | instskip(SKIP_1) | instid1(VALU_DEP_1)
	v_fma_f64 v[3:4], v[127:128], v[137:138], v[3:4]
	s_waitcnt lgkmcnt(1)
	v_fma_f64 v[3:4], v[129:130], v[115:116], v[3:4]
	s_waitcnt vmcnt(1)
	s_delay_alu instid0(VALU_DEP_1) | instskip(SKIP_1) | instid1(VALU_DEP_1)
	v_fma_f64 v[3:4], v[131:132], v[117:118], v[3:4]
	s_waitcnt lgkmcnt(0)
	v_fma_f64 v[3:4], v[133:134], v[119:120], v[3:4]
	s_waitcnt vmcnt(0)
	s_delay_alu instid0(VALU_DEP_1) | instskip(NEXT) | instid1(VALU_DEP_1)
	v_fma_f64 v[3:4], v[139:140], v[121:122], v[3:4]
	v_add_f64 v[1:2], v[1:2], -v[3:4]
	scratch_store_b64 off, v[1:2], off offset:8
	v_cmpx_ne_u32_e32 0, v0
	s_cbranch_execz .LBB53_333
; %bb.332:
	scratch_load_b64 v[0:1], off, off
	v_mov_b32_e32 v2, 0
	s_delay_alu instid0(VALU_DEP_1)
	v_mov_b32_e32 v3, v2
	scratch_store_b64 off, v[2:3], off
	s_waitcnt vmcnt(0)
	ds_store_b64 v5, v[0:1]
.LBB53_333:
	s_or_b32 exec_lo, exec_lo, s0
	s_waitcnt lgkmcnt(0)
	s_waitcnt_vscnt null, 0x0
	s_barrier
	buffer_gl0_inv
	s_clause 0x4
	scratch_load_b128 v[0:3], off, off
	scratch_load_b128 v[115:118], off, off offset:16
	scratch_load_b128 v[119:122], off, off offset:32
	;; [unrolled: 1-line block ×4, first 2 shown]
	v_mov_b32_e32 v114, 0
	ds_load_2addr_b64 v[131:134], v114 offset0:55 offset1:56
	ds_load_2addr_b64 v[135:138], v114 offset0:57 offset1:58
	s_and_b32 vcc_lo, exec_lo, s16
	s_waitcnt vmcnt(4) lgkmcnt(1)
	v_fma_f64 v[131:132], v[2:3], v[131:132], 0
	scratch_load_b128 v[2:5], off, off offset:80
	s_waitcnt vmcnt(4)
	v_fma_f64 v[115:116], v[115:116], v[133:134], v[131:132]
	s_waitcnt lgkmcnt(0)
	s_delay_alu instid0(VALU_DEP_1)
	v_fma_f64 v[131:132], v[117:118], v[135:136], v[115:116]
	scratch_load_b128 v[115:118], off, off offset:96
	s_waitcnt vmcnt(4)
	v_fma_f64 v[119:120], v[119:120], v[137:138], v[131:132]
	ds_load_2addr_b64 v[131:134], v114 offset0:59 offset1:60
	ds_load_2addr_b64 v[135:138], v114 offset0:61 offset1:62
	s_waitcnt lgkmcnt(1)
	v_fma_f64 v[131:132], v[121:122], v[131:132], v[119:120]
	scratch_load_b128 v[119:122], off, off offset:112
	s_waitcnt vmcnt(4)
	v_fma_f64 v[123:124], v[123:124], v[133:134], v[131:132]
	s_waitcnt lgkmcnt(0)
	s_delay_alu instid0(VALU_DEP_1)
	v_fma_f64 v[131:132], v[125:126], v[135:136], v[123:124]
	scratch_load_b128 v[123:126], off, off offset:128
	s_waitcnt vmcnt(4)
	v_fma_f64 v[127:128], v[127:128], v[137:138], v[131:132]
	ds_load_2addr_b64 v[131:134], v114 offset0:63 offset1:64
	ds_load_2addr_b64 v[135:138], v114 offset0:65 offset1:66
	s_waitcnt lgkmcnt(1)
	v_fma_f64 v[131:132], v[129:130], v[131:132], v[127:128]
	scratch_load_b128 v[127:130], off, off offset:144
	s_waitcnt vmcnt(4)
	v_fma_f64 v[2:3], v[2:3], v[133:134], v[131:132]
	s_waitcnt lgkmcnt(0)
	s_delay_alu instid0(VALU_DEP_1)
	v_fma_f64 v[131:132], v[4:5], v[135:136], v[2:3]
	scratch_load_b128 v[2:5], off, off offset:160
	s_waitcnt vmcnt(4)
	v_fma_f64 v[115:116], v[115:116], v[137:138], v[131:132]
	ds_load_2addr_b64 v[131:134], v114 offset0:67 offset1:68
	ds_load_2addr_b64 v[135:138], v114 offset0:69 offset1:70
	s_waitcnt lgkmcnt(1)
	v_fma_f64 v[131:132], v[117:118], v[131:132], v[115:116]
	scratch_load_b128 v[115:118], off, off offset:176
	s_waitcnt vmcnt(4)
	v_fma_f64 v[119:120], v[119:120], v[133:134], v[131:132]
	s_waitcnt lgkmcnt(0)
	s_delay_alu instid0(VALU_DEP_1)
	v_fma_f64 v[131:132], v[121:122], v[135:136], v[119:120]
	scratch_load_b128 v[119:122], off, off offset:192
	s_waitcnt vmcnt(4)
	v_fma_f64 v[123:124], v[123:124], v[137:138], v[131:132]
	ds_load_2addr_b64 v[131:134], v114 offset0:71 offset1:72
	ds_load_2addr_b64 v[135:138], v114 offset0:73 offset1:74
	s_waitcnt lgkmcnt(1)
	v_fma_f64 v[131:132], v[125:126], v[131:132], v[123:124]
	scratch_load_b128 v[123:126], off, off offset:208
	s_waitcnt vmcnt(4)
	v_fma_f64 v[127:128], v[127:128], v[133:134], v[131:132]
	s_waitcnt lgkmcnt(0)
	s_delay_alu instid0(VALU_DEP_1)
	v_fma_f64 v[131:132], v[129:130], v[135:136], v[127:128]
	scratch_load_b128 v[127:130], off, off offset:224
	s_waitcnt vmcnt(4)
	v_fma_f64 v[2:3], v[2:3], v[137:138], v[131:132]
	ds_load_2addr_b64 v[131:134], v114 offset0:75 offset1:76
	ds_load_2addr_b64 v[135:138], v114 offset0:77 offset1:78
	s_waitcnt lgkmcnt(1)
	v_fma_f64 v[131:132], v[4:5], v[131:132], v[2:3]
	scratch_load_b128 v[2:5], off, off offset:240
	s_waitcnt vmcnt(4)
	v_fma_f64 v[115:116], v[115:116], v[133:134], v[131:132]
	s_waitcnt lgkmcnt(0)
	s_delay_alu instid0(VALU_DEP_1)
	v_fma_f64 v[131:132], v[117:118], v[135:136], v[115:116]
	scratch_load_b128 v[115:118], off, off offset:256
	s_waitcnt vmcnt(4)
	v_fma_f64 v[119:120], v[119:120], v[137:138], v[131:132]
	ds_load_2addr_b64 v[131:134], v114 offset0:79 offset1:80
	ds_load_2addr_b64 v[135:138], v114 offset0:81 offset1:82
	s_waitcnt lgkmcnt(1)
	v_fma_f64 v[131:132], v[121:122], v[131:132], v[119:120]
	scratch_load_b128 v[119:122], off, off offset:272
	s_waitcnt vmcnt(4)
	v_fma_f64 v[123:124], v[123:124], v[133:134], v[131:132]
	s_waitcnt lgkmcnt(0)
	s_delay_alu instid0(VALU_DEP_1)
	v_fma_f64 v[131:132], v[125:126], v[135:136], v[123:124]
	scratch_load_b128 v[123:126], off, off offset:288
	s_waitcnt vmcnt(4)
	v_fma_f64 v[127:128], v[127:128], v[137:138], v[131:132]
	ds_load_2addr_b64 v[131:134], v114 offset0:83 offset1:84
	ds_load_2addr_b64 v[135:138], v114 offset0:85 offset1:86
	s_waitcnt lgkmcnt(1)
	v_fma_f64 v[131:132], v[129:130], v[131:132], v[127:128]
	scratch_load_b128 v[127:130], off, off offset:304
	s_waitcnt vmcnt(4)
	v_fma_f64 v[2:3], v[2:3], v[133:134], v[131:132]
	s_waitcnt lgkmcnt(0)
	s_delay_alu instid0(VALU_DEP_1)
	v_fma_f64 v[131:132], v[4:5], v[135:136], v[2:3]
	scratch_load_b128 v[2:5], off, off offset:320
	s_waitcnt vmcnt(4)
	v_fma_f64 v[115:116], v[115:116], v[137:138], v[131:132]
	ds_load_2addr_b64 v[131:134], v114 offset0:87 offset1:88
	ds_load_2addr_b64 v[135:138], v114 offset0:89 offset1:90
	s_waitcnt lgkmcnt(1)
	v_fma_f64 v[131:132], v[117:118], v[131:132], v[115:116]
	scratch_load_b128 v[115:118], off, off offset:336
	s_waitcnt vmcnt(4)
	v_fma_f64 v[119:120], v[119:120], v[133:134], v[131:132]
	s_waitcnt lgkmcnt(0)
	s_delay_alu instid0(VALU_DEP_1)
	v_fma_f64 v[131:132], v[121:122], v[135:136], v[119:120]
	scratch_load_b128 v[119:122], off, off offset:352
	s_waitcnt vmcnt(4)
	v_fma_f64 v[123:124], v[123:124], v[137:138], v[131:132]
	ds_load_2addr_b64 v[131:134], v114 offset0:91 offset1:92
	ds_load_2addr_b64 v[135:138], v114 offset0:93 offset1:94
	s_waitcnt lgkmcnt(1)
	v_fma_f64 v[131:132], v[125:126], v[131:132], v[123:124]
	scratch_load_b128 v[123:126], off, off offset:368
	s_waitcnt vmcnt(4)
	v_fma_f64 v[127:128], v[127:128], v[133:134], v[131:132]
	s_waitcnt lgkmcnt(0)
	s_delay_alu instid0(VALU_DEP_1)
	v_fma_f64 v[131:132], v[129:130], v[135:136], v[127:128]
	scratch_load_b128 v[127:130], off, off offset:384
	s_waitcnt vmcnt(4)
	v_fma_f64 v[2:3], v[2:3], v[137:138], v[131:132]
	ds_load_2addr_b64 v[131:134], v114 offset0:95 offset1:96
	ds_load_2addr_b64 v[135:138], v114 offset0:97 offset1:98
	scratch_load_b128 v[139:142], off, off offset:400
	s_waitcnt lgkmcnt(1)
	v_fma_f64 v[2:3], v[4:5], v[131:132], v[2:3]
	s_waitcnt vmcnt(4)
	s_delay_alu instid0(VALU_DEP_1) | instskip(SKIP_1) | instid1(VALU_DEP_1)
	v_fma_f64 v[2:3], v[115:116], v[133:134], v[2:3]
	s_waitcnt lgkmcnt(0)
	v_fma_f64 v[115:116], v[117:118], v[135:136], v[2:3]
	scratch_load_b128 v[2:5], off, off offset:416
	s_waitcnt vmcnt(4)
	v_fma_f64 v[119:120], v[119:120], v[137:138], v[115:116]
	ds_load_2addr_b64 v[115:118], v114 offset0:99 offset1:100
	ds_load_2addr_b64 v[131:134], v114 offset0:101 offset1:102
	s_waitcnt lgkmcnt(1)
	v_fma_f64 v[115:116], v[121:122], v[115:116], v[119:120]
	s_waitcnt vmcnt(3)
	s_delay_alu instid0(VALU_DEP_1) | instskip(SKIP_1) | instid1(VALU_DEP_1)
	v_fma_f64 v[115:116], v[123:124], v[117:118], v[115:116]
	s_waitcnt lgkmcnt(0)
	v_fma_f64 v[115:116], v[125:126], v[131:132], v[115:116]
	s_waitcnt vmcnt(2)
	s_delay_alu instid0(VALU_DEP_1)
	v_fma_f64 v[123:124], v[127:128], v[133:134], v[115:116]
	ds_load_2addr_b64 v[115:118], v114 offset0:103 offset1:104
	ds_load_2addr_b64 v[119:122], v114 offset0:105 offset1:106
	s_waitcnt lgkmcnt(1)
	v_fma_f64 v[115:116], v[129:130], v[115:116], v[123:124]
	s_waitcnt vmcnt(1)
	s_delay_alu instid0(VALU_DEP_1) | instskip(SKIP_4) | instid1(VALU_DEP_1)
	v_fma_f64 v[115:116], v[139:140], v[117:118], v[115:116]
	ds_load_b64 v[117:118], v114 offset:856
	s_waitcnt lgkmcnt(1)
	v_fma_f64 v[115:116], v[141:142], v[119:120], v[115:116]
	s_waitcnt vmcnt(0)
	v_fma_f64 v[115:116], v[2:3], v[121:122], v[115:116]
	s_waitcnt lgkmcnt(0)
	s_delay_alu instid0(VALU_DEP_1) | instskip(NEXT) | instid1(VALU_DEP_1)
	v_fma_f64 v[4:5], v[4:5], v[117:118], v[115:116]
	v_add_f64 v[0:1], v[0:1], -v[4:5]
	scratch_store_b64 off, v[0:1], off
	s_cbranch_vccz .LBB53_441
; %bb.334:
	v_dual_mov_b32 v0, s12 :: v_dual_mov_b32 v1, s13
	s_mov_b32 s0, exec_lo
	flat_load_b32 v0, v[0:1] offset:208
	s_waitcnt vmcnt(0) lgkmcnt(0)
	v_cmpx_ne_u32_e32 53, v0
	s_cbranch_execz .LBB53_336
; %bb.335:
	v_lshl_add_u32 v4, v0, 3, 0
	scratch_load_b64 v[0:1], v4, off offset:-8
	s_waitcnt vmcnt(0)
	scratch_store_b64 off, v[0:1], off offset:416
	scratch_store_b64 v4, v[2:3], off offset:-8
.LBB53_336:
	s_or_b32 exec_lo, exec_lo, s0
	v_dual_mov_b32 v0, s12 :: v_dual_mov_b32 v1, s13
	s_mov_b32 s0, exec_lo
	flat_load_b32 v0, v[0:1] offset:204
	s_waitcnt vmcnt(0) lgkmcnt(0)
	v_cmpx_ne_u32_e32 52, v0
	s_cbranch_execz .LBB53_338
; %bb.337:
	v_lshl_add_u32 v4, v0, 3, 0
	scratch_load_b64 v[0:1], v4, off offset:-8
	scratch_load_b64 v[2:3], off, off offset:408
	s_waitcnt vmcnt(1)
	scratch_store_b64 off, v[0:1], off offset:408
	s_waitcnt vmcnt(0)
	scratch_store_b64 v4, v[2:3], off offset:-8
.LBB53_338:
	s_or_b32 exec_lo, exec_lo, s0
	v_dual_mov_b32 v0, s12 :: v_dual_mov_b32 v1, s13
	s_mov_b32 s0, exec_lo
	flat_load_b32 v0, v[0:1] offset:200
	s_waitcnt vmcnt(0) lgkmcnt(0)
	v_cmpx_ne_u32_e32 51, v0
	s_cbranch_execz .LBB53_340
; %bb.339:
	v_lshl_add_u32 v4, v0, 3, 0
	scratch_load_b64 v[0:1], v4, off offset:-8
	scratch_load_b64 v[2:3], off, off offset:400
	s_waitcnt vmcnt(1)
	scratch_store_b64 off, v[0:1], off offset:400
	s_waitcnt vmcnt(0)
	scratch_store_b64 v4, v[2:3], off offset:-8
.LBB53_340:
	;; [unrolled: 16-line block ×51, first 2 shown]
	s_or_b32 exec_lo, exec_lo, s0
	v_dual_mov_b32 v0, s12 :: v_dual_mov_b32 v1, s13
	s_mov_b32 s0, exec_lo
	flat_load_b32 v2, v[0:1]
	scratch_load_b64 v[0:1], off, off
	s_waitcnt vmcnt(1) lgkmcnt(0)
	v_cmpx_ne_u32_e32 1, v2
	s_cbranch_execz .LBB53_440
; %bb.439:
	v_lshl_add_u32 v4, v2, 3, 0
	scratch_load_b64 v[2:3], v4, off offset:-8
	s_waitcnt vmcnt(0)
	scratch_store_b64 off, v[2:3], off
	scratch_store_b64 v4, v[0:1], off offset:-8
	scratch_load_b64 v[0:1], off, off
.LBB53_440:
	s_or_b32 exec_lo, exec_lo, s0
.LBB53_441:
	s_clause 0x6
	scratch_load_b128 v[2:5], off, off offset:8
	scratch_load_b128 v[114:117], off, off offset:24
	;; [unrolled: 1-line block ×7, first 2 shown]
	s_waitcnt vmcnt(7)
	global_store_b64 v[8:9], v[0:1], off
	s_clause 0x4
	scratch_load_b128 v[138:141], off, off offset:120
	scratch_load_b128 v[142:145], off, off offset:200
	;; [unrolled: 1-line block ×5, first 2 shown]
	s_waitcnt vmcnt(11)
	global_store_b64 v[6:7], v[2:3], off
	scratch_load_b128 v[0:3], off, off offset:136
	global_store_b64 v[10:11], v[4:5], off
	s_waitcnt vmcnt(11)
	s_clause 0x1
	global_store_b64 v[12:13], v[114:115], off
	global_store_b64 v[24:25], v[116:117], off
	s_waitcnt vmcnt(10)
	s_clause 0x1
	global_store_b64 v[20:21], v[118:119], off
	;; [unrolled: 4-line block ×7, first 2 shown]
	global_store_b64 v[42:43], v[140:141], off
	s_clause 0xa
	scratch_load_b128 v[4:7], off, off offset:152
	scratch_load_b128 v[8:11], off, off offset:168
	;; [unrolled: 1-line block ×11, first 2 shown]
	s_waitcnt vmcnt(11)
	global_store_b64 v[40:41], v[0:1], off
	scratch_load_b128 v[40:43], off, off offset:392
	global_store_b64 v[34:35], v[2:3], off
	s_clause 0x1
	scratch_load_b128 v[0:3], off, off offset:408
	scratch_load_b64 v[12:13], off, off offset:424
	s_waitcnt vmcnt(13)
	s_clause 0x1
	global_store_b64 v[22:23], v[4:5], off
	global_store_b64 v[26:27], v[6:7], off
	s_waitcnt vmcnt(12)
	s_clause 0x1
	global_store_b64 v[28:29], v[8:9], off
	global_store_b64 v[30:31], v[10:11], off
	;; [unrolled: 4-line block ×3, first 2 shown]
	global_store_b64 v[38:39], v[142:143], off
	global_store_b64 v[44:45], v[144:145], off
	s_waitcnt vmcnt(10)
	s_clause 0x1
	global_store_b64 v[46:47], v[18:19], off
	global_store_b64 v[50:51], v[20:21], off
	s_waitcnt vmcnt(9)
	s_clause 0x1
	;; [unrolled: 4-line block ×3, first 2 shown]
	global_store_b64 v[64:65], v[122:123], off
	global_store_b64 v[68:69], v[124:125], off
	global_store_b64 v[72:73], v[146:147], off
	global_store_b64 v[76:77], v[148:149], off
	s_waitcnt vmcnt(7)
	s_clause 0x3
	global_store_b64 v[78:79], v[126:127], off
	global_store_b64 v[80:81], v[128:129], off
	global_store_b64 v[82:83], v[150:151], off
	global_store_b64 v[84:85], v[152:153], off
	s_waitcnt vmcnt(6)
	s_clause 0x3
	global_store_b64 v[86:87], v[130:131], off
	global_store_b64 v[88:89], v[132:133], off
	global_store_b64 v[90:91], v[154:155], off
	global_store_b64 v[92:93], v[156:157], off
	s_waitcnt vmcnt(5)
	s_clause 0x1
	global_store_b64 v[94:95], v[52:53], off
	global_store_b64 v[96:97], v[54:55], off
	s_waitcnt vmcnt(4)
	s_clause 0x1
	global_store_b64 v[98:99], v[134:135], off
	global_store_b64 v[100:101], v[136:137], off
	s_waitcnt vmcnt(3)
	s_clause 0x1
	;; [unrolled: 4-line block ×4, first 2 shown]
	global_store_b64 v[110:111], v[0:1], off
	global_store_b64 v[112:113], v[2:3], off
	s_waitcnt vmcnt(0)
	global_store_b64 v[14:15], v[12:13], off
	s_endpgm
	.section	.rodata,"a",@progbits
	.p2align	6, 0x0
	.amdhsa_kernel _ZN9rocsolver6v33100L18getri_kernel_smallILi54EdPdEEvT1_iilPiilS4_bb
		.amdhsa_group_segment_fixed_size 872
		.amdhsa_private_segment_fixed_size 448
		.amdhsa_kernarg_size 60
		.amdhsa_user_sgpr_count 15
		.amdhsa_user_sgpr_dispatch_ptr 0
		.amdhsa_user_sgpr_queue_ptr 0
		.amdhsa_user_sgpr_kernarg_segment_ptr 1
		.amdhsa_user_sgpr_dispatch_id 0
		.amdhsa_user_sgpr_private_segment_size 0
		.amdhsa_wavefront_size32 1
		.amdhsa_uses_dynamic_stack 0
		.amdhsa_enable_private_segment 1
		.amdhsa_system_sgpr_workgroup_id_x 1
		.amdhsa_system_sgpr_workgroup_id_y 0
		.amdhsa_system_sgpr_workgroup_id_z 0
		.amdhsa_system_sgpr_workgroup_info 0
		.amdhsa_system_vgpr_workitem_id 0
		.amdhsa_next_free_vgpr 158
		.amdhsa_next_free_sgpr 18
		.amdhsa_reserve_vcc 1
		.amdhsa_float_round_mode_32 0
		.amdhsa_float_round_mode_16_64 0
		.amdhsa_float_denorm_mode_32 3
		.amdhsa_float_denorm_mode_16_64 3
		.amdhsa_dx10_clamp 1
		.amdhsa_ieee_mode 1
		.amdhsa_fp16_overflow 0
		.amdhsa_workgroup_processor_mode 1
		.amdhsa_memory_ordered 1
		.amdhsa_forward_progress 0
		.amdhsa_shared_vgpr_count 0
		.amdhsa_exception_fp_ieee_invalid_op 0
		.amdhsa_exception_fp_denorm_src 0
		.amdhsa_exception_fp_ieee_div_zero 0
		.amdhsa_exception_fp_ieee_overflow 0
		.amdhsa_exception_fp_ieee_underflow 0
		.amdhsa_exception_fp_ieee_inexact 0
		.amdhsa_exception_int_div_zero 0
	.end_amdhsa_kernel
	.section	.text._ZN9rocsolver6v33100L18getri_kernel_smallILi54EdPdEEvT1_iilPiilS4_bb,"axG",@progbits,_ZN9rocsolver6v33100L18getri_kernel_smallILi54EdPdEEvT1_iilPiilS4_bb,comdat
.Lfunc_end53:
	.size	_ZN9rocsolver6v33100L18getri_kernel_smallILi54EdPdEEvT1_iilPiilS4_bb, .Lfunc_end53-_ZN9rocsolver6v33100L18getri_kernel_smallILi54EdPdEEvT1_iilPiilS4_bb
                                        ; -- End function
	.section	.AMDGPU.csdata,"",@progbits
; Kernel info:
; codeLenInByte = 54320
; NumSgprs: 20
; NumVgprs: 158
; ScratchSize: 448
; MemoryBound: 0
; FloatMode: 240
; IeeeMode: 1
; LDSByteSize: 872 bytes/workgroup (compile time only)
; SGPRBlocks: 2
; VGPRBlocks: 19
; NumSGPRsForWavesPerEU: 20
; NumVGPRsForWavesPerEU: 158
; Occupancy: 9
; WaveLimiterHint : 1
; COMPUTE_PGM_RSRC2:SCRATCH_EN: 1
; COMPUTE_PGM_RSRC2:USER_SGPR: 15
; COMPUTE_PGM_RSRC2:TRAP_HANDLER: 0
; COMPUTE_PGM_RSRC2:TGID_X_EN: 1
; COMPUTE_PGM_RSRC2:TGID_Y_EN: 0
; COMPUTE_PGM_RSRC2:TGID_Z_EN: 0
; COMPUTE_PGM_RSRC2:TIDIG_COMP_CNT: 0
	.section	.text._ZN9rocsolver6v33100L18getri_kernel_smallILi55EdPdEEvT1_iilPiilS4_bb,"axG",@progbits,_ZN9rocsolver6v33100L18getri_kernel_smallILi55EdPdEEvT1_iilPiilS4_bb,comdat
	.globl	_ZN9rocsolver6v33100L18getri_kernel_smallILi55EdPdEEvT1_iilPiilS4_bb ; -- Begin function _ZN9rocsolver6v33100L18getri_kernel_smallILi55EdPdEEvT1_iilPiilS4_bb
	.p2align	8
	.type	_ZN9rocsolver6v33100L18getri_kernel_smallILi55EdPdEEvT1_iilPiilS4_bb,@function
_ZN9rocsolver6v33100L18getri_kernel_smallILi55EdPdEEvT1_iilPiilS4_bb: ; @_ZN9rocsolver6v33100L18getri_kernel_smallILi55EdPdEEvT1_iilPiilS4_bb
; %bb.0:
	s_mov_b32 s2, exec_lo
	v_cmpx_gt_u32_e32 55, v0
	s_cbranch_execz .LBB54_230
; %bb.1:
	s_clause 0x2
	s_load_b32 s17, s[0:1], 0x38
	s_load_b128 s[8:11], s[0:1], 0x10
	s_load_b128 s[4:7], s[0:1], 0x28
	s_mov_b32 s14, s15
                                        ; implicit-def: $sgpr12_sgpr13
	s_waitcnt lgkmcnt(0)
	s_bitcmp1_b32 s17, 8
	s_cselect_b32 s16, -1, 0
	s_bfe_u32 s2, s17, 0x10008
	s_ashr_i32 s15, s15, 31
	s_cmp_eq_u32 s2, 0
	s_cbranch_scc1 .LBB54_3
; %bb.2:
	s_load_b32 s2, s[0:1], 0x20
	s_mul_i32 s3, s14, s5
	s_mul_hi_u32 s5, s14, s4
	s_mul_i32 s12, s15, s4
	s_add_i32 s3, s5, s3
	s_mul_i32 s4, s14, s4
	s_add_i32 s5, s3, s12
	s_delay_alu instid0(SALU_CYCLE_1)
	s_lshl_b64 s[4:5], s[4:5], 2
	s_waitcnt lgkmcnt(0)
	s_ashr_i32 s3, s2, 31
	s_add_u32 s4, s10, s4
	s_addc_u32 s5, s11, s5
	s_lshl_b64 s[2:3], s[2:3], 2
	s_delay_alu instid0(SALU_CYCLE_1)
	s_add_u32 s12, s4, s2
	s_addc_u32 s13, s5, s3
.LBB54_3:
	s_load_b128 s[0:3], s[0:1], 0x0
	s_mul_i32 s4, s14, s9
	s_mul_hi_u32 s5, s14, s8
	s_mul_i32 s9, s15, s8
	s_add_i32 s5, s5, s4
	s_mul_i32 s4, s14, s8
	s_add_i32 s5, s5, s9
	v_lshlrev_b32_e32 v3, 3, v0
	s_lshl_b64 s[4:5], s[4:5], 3
	s_waitcnt lgkmcnt(0)
	v_add3_u32 v1, s3, s3, v0
	s_ashr_i32 s9, s2, 31
	s_mov_b32 s8, s2
	s_add_u32 s2, s0, s4
	s_addc_u32 s5, s1, s5
	s_lshl_b64 s[0:1], s[8:9], 3
	v_add_nc_u32_e32 v4, s3, v1
	s_add_u32 s0, s2, s0
	s_addc_u32 s1, s5, s1
	v_add_co_u32 v16, s2, s0, v3
	s_mov_b32 s4, s3
	s_ashr_i32 s5, s3, 31
	v_add_co_ci_u32_e64 v17, null, s1, 0, s2
	s_lshl_b64 s[4:5], s[4:5], 3
	v_ashrrev_i32_e32 v2, 31, v1
	v_add_nc_u32_e32 v6, s3, v4
	v_add_co_u32 v18, vcc_lo, v16, s4
	v_ashrrev_i32_e32 v5, 31, v4
	v_add_co_ci_u32_e32 v19, vcc_lo, s5, v17, vcc_lo
	v_lshlrev_b64 v[1:2], 3, v[1:2]
	v_add_nc_u32_e32 v10, s3, v6
	s_delay_alu instid0(VALU_DEP_4)
	v_lshlrev_b64 v[4:5], 3, v[4:5]
	v_ashrrev_i32_e32 v7, 31, v6
	s_clause 0x1
	global_load_b64 v[20:21], v3, s[0:1]
	global_load_b64 v[22:23], v[18:19], off
	v_add_co_u32 v30, vcc_lo, s0, v1
	v_ashrrev_i32_e32 v11, 31, v10
	v_add_co_ci_u32_e32 v31, vcc_lo, s1, v2, vcc_lo
	v_lshlrev_b64 v[1:2], 3, v[6:7]
	v_add_co_u32 v12, vcc_lo, s0, v4
	v_add_co_ci_u32_e32 v13, vcc_lo, s1, v5, vcc_lo
	v_lshlrev_b64 v[4:5], 3, v[10:11]
	s_delay_alu instid0(VALU_DEP_4) | instskip(SKIP_2) | instid1(VALU_DEP_4)
	v_add_co_u32 v14, vcc_lo, s0, v1
	v_add_co_ci_u32_e32 v15, vcc_lo, s1, v2, vcc_lo
	v_add_nc_u32_e32 v1, s3, v10
	v_add_co_u32 v8, vcc_lo, s0, v4
	v_add_co_ci_u32_e32 v9, vcc_lo, s1, v5, vcc_lo
	s_clause 0x3
	global_load_b64 v[44:45], v[30:31], off
	global_load_b64 v[46:47], v[12:13], off
	;; [unrolled: 1-line block ×4, first 2 shown]
	v_add_nc_u32_e32 v4, s3, v1
	v_ashrrev_i32_e32 v2, 31, v1
	s_bitcmp0_b32 s17, 0
	s_delay_alu instid0(VALU_DEP_2) | instskip(SKIP_1) | instid1(VALU_DEP_3)
	v_add_nc_u32_e32 v6, s3, v4
	v_ashrrev_i32_e32 v5, 31, v4
	v_lshlrev_b64 v[1:2], 3, v[1:2]
	s_delay_alu instid0(VALU_DEP_3) | instskip(SKIP_1) | instid1(VALU_DEP_4)
	v_add_nc_u32_e32 v10, s3, v6
	v_ashrrev_i32_e32 v7, 31, v6
	v_lshlrev_b64 v[4:5], 3, v[4:5]
	s_delay_alu instid0(VALU_DEP_4) | instskip(NEXT) | instid1(VALU_DEP_4)
	v_add_co_u32 v50, vcc_lo, s0, v1
	v_add_nc_u32_e32 v24, s3, v10
	v_add_co_ci_u32_e32 v51, vcc_lo, s1, v2, vcc_lo
	v_lshlrev_b64 v[1:2], 3, v[6:7]
	v_ashrrev_i32_e32 v11, 31, v10
	s_delay_alu instid0(VALU_DEP_4) | instskip(SKIP_3) | instid1(VALU_DEP_4)
	v_add_nc_u32_e32 v26, s3, v24
	v_add_co_u32 v38, vcc_lo, s0, v4
	v_ashrrev_i32_e32 v25, 31, v24
	v_add_co_ci_u32_e32 v39, vcc_lo, s1, v5, vcc_lo
	v_add_nc_u32_e32 v28, s3, v26
	v_lshlrev_b64 v[4:5], 3, v[10:11]
	v_add_co_u32 v42, vcc_lo, s0, v1
	v_add_co_ci_u32_e32 v43, vcc_lo, s1, v2, vcc_lo
	s_delay_alu instid0(VALU_DEP_4) | instskip(SKIP_3) | instid1(VALU_DEP_4)
	v_add_nc_u32_e32 v32, s3, v28
	v_lshlrev_b64 v[1:2], 3, v[24:25]
	v_ashrrev_i32_e32 v27, 31, v26
	v_add_co_u32 v34, vcc_lo, s0, v4
	v_add_nc_u32_e32 v40, s3, v32
	v_ashrrev_i32_e32 v29, 31, v28
	v_add_co_ci_u32_e32 v35, vcc_lo, s1, v5, vcc_lo
	v_lshlrev_b64 v[4:5], 3, v[26:27]
	s_delay_alu instid0(VALU_DEP_4) | instskip(SKIP_2) | instid1(VALU_DEP_3)
	v_add_nc_u32_e32 v48, s3, v40
	v_add_co_u32 v36, vcc_lo, s0, v1
	v_add_co_ci_u32_e32 v37, vcc_lo, s1, v2, vcc_lo
	v_add_nc_u32_e32 v72, s3, v48
	v_lshlrev_b64 v[1:2], 3, v[28:29]
	v_ashrrev_i32_e32 v33, 31, v32
	v_add_co_u32 v26, vcc_lo, s0, v4
	s_delay_alu instid0(VALU_DEP_4) | instskip(SKIP_1) | instid1(VALU_DEP_4)
	v_add_nc_u32_e32 v74, s3, v72
	v_add_co_ci_u32_e32 v27, vcc_lo, s1, v5, vcc_lo
	v_lshlrev_b64 v[4:5], 3, v[32:33]
	v_add_co_u32 v32, vcc_lo, s0, v1
	s_delay_alu instid0(VALU_DEP_4)
	v_add_nc_u32_e32 v80, s3, v74
	v_add_co_ci_u32_e32 v33, vcc_lo, s1, v2, vcc_lo
	v_ashrrev_i32_e32 v41, 31, v40
	s_clause 0x2
	global_load_b64 v[56:57], v[50:51], off
	global_load_b64 v[58:59], v[38:39], off
	;; [unrolled: 1-line block ×3, first 2 shown]
	v_add_nc_u32_e32 v82, s3, v80
	v_ashrrev_i32_e32 v49, 31, v48
	global_load_b64 v[62:63], v[34:35], off
	v_ashrrev_i32_e32 v73, 31, v72
	v_ashrrev_i32_e32 v75, 31, v74
	v_add_nc_u32_e32 v84, s3, v82
	v_ashrrev_i32_e32 v81, 31, v80
	v_ashrrev_i32_e32 v83, 31, v82
	s_delay_alu instid0(VALU_DEP_3) | instskip(SKIP_1) | instid1(VALU_DEP_2)
	v_add_nc_u32_e32 v86, s3, v84
	v_ashrrev_i32_e32 v85, 31, v84
	v_add_nc_u32_e32 v88, s3, v86
	v_ashrrev_i32_e32 v87, 31, v86
	s_delay_alu instid0(VALU_DEP_2) | instskip(SKIP_1) | instid1(VALU_DEP_2)
	v_add_nc_u32_e32 v90, s3, v88
	v_ashrrev_i32_e32 v89, 31, v88
	v_add_nc_u32_e32 v92, s3, v90
	v_ashrrev_i32_e32 v91, 31, v90
	s_delay_alu instid0(VALU_DEP_2) | instskip(SKIP_1) | instid1(VALU_DEP_2)
	;; [unrolled: 5-line block ×16, first 2 shown]
	v_add_nc_u32_e32 v150, s3, v148
	v_ashrrev_i32_e32 v149, 31, v148
	v_add_nc_u32_e32 v6, s3, v150
	v_ashrrev_i32_e32 v151, 31, v150
	s_delay_alu instid0(VALU_DEP_2) | instskip(NEXT) | instid1(VALU_DEP_1)
	v_ashrrev_i32_e32 v7, 31, v6
	v_lshlrev_b64 v[6:7], 3, v[6:7]
	s_delay_alu instid0(VALU_DEP_1) | instskip(NEXT) | instid1(VALU_DEP_2)
	v_add_co_u32 v6, vcc_lo, s0, v6
	v_add_co_ci_u32_e32 v7, vcc_lo, s1, v7, vcc_lo
	v_add_co_u32 v10, vcc_lo, s0, v4
	v_add_co_ci_u32_e32 v11, vcc_lo, s1, v5, vcc_lo
	global_load_b64 v[1:2], v[6:7], off
	v_lshlrev_b64 v[4:5], 3, v[40:41]
	s_delay_alu instid0(VALU_DEP_1) | instskip(NEXT) | instid1(VALU_DEP_2)
	v_add_co_u32 v28, vcc_lo, s0, v4
	v_add_co_ci_u32_e32 v29, vcc_lo, s1, v5, vcc_lo
	v_lshlrev_b64 v[4:5], 3, v[72:73]
	s_waitcnt vmcnt(9)
	scratch_store_b128 off, v[20:23], off
	v_lshlrev_b64 v[20:21], 3, v[48:49]
	s_clause 0x3
	global_load_b64 v[64:65], v[36:37], off
	global_load_b64 v[66:67], v[26:27], off
	;; [unrolled: 1-line block ×4, first 2 shown]
	v_lshlrev_b64 v[48:49], 3, v[86:87]
	s_waitcnt vmcnt(11)
	scratch_store_b128 off, v[44:47], off offset:16
	s_waitcnt vmcnt(9)
	scratch_store_b128 off, v[52:55], off offset:32
	v_add_co_u32 v22, vcc_lo, s0, v20
	v_add_co_ci_u32_e32 v23, vcc_lo, s1, v21, vcc_lo
	v_lshlrev_b64 v[20:21], 3, v[74:75]
	v_add_co_u32 v24, vcc_lo, s0, v4
	v_add_co_ci_u32_e32 v25, vcc_lo, s1, v5, vcc_lo
	v_lshlrev_b64 v[4:5], 3, v[80:81]
	s_delay_alu instid0(VALU_DEP_4)
	v_add_co_u32 v20, vcc_lo, s0, v20
	v_add_co_ci_u32_e32 v21, vcc_lo, s1, v21, vcc_lo
	s_clause 0x3
	global_load_b64 v[72:73], v[28:29], off
	global_load_b64 v[74:75], v[22:23], off
	;; [unrolled: 1-line block ×4, first 2 shown]
	v_lshlrev_b64 v[44:45], 3, v[82:83]
	v_add_co_u32 v40, vcc_lo, s0, v4
	v_add_co_ci_u32_e32 v41, vcc_lo, s1, v5, vcc_lo
	v_lshlrev_b64 v[4:5], 3, v[84:85]
	s_delay_alu instid0(VALU_DEP_4) | instskip(SKIP_2) | instid1(VALU_DEP_4)
	v_add_co_u32 v44, vcc_lo, s0, v44
	v_add_co_ci_u32_e32 v45, vcc_lo, s1, v45, vcc_lo
	v_lshlrev_b64 v[54:55], 3, v[90:91]
	v_add_co_u32 v46, vcc_lo, s0, v4
	v_add_co_ci_u32_e32 v47, vcc_lo, s1, v5, vcc_lo
	v_lshlrev_b64 v[4:5], 3, v[88:89]
	v_add_co_u32 v48, vcc_lo, s0, v48
	v_add_co_ci_u32_e32 v49, vcc_lo, s1, v49, vcc_lo
	s_waitcnt vmcnt(11)
	scratch_store_b128 off, v[56:59], off offset:48
	s_waitcnt vmcnt(9)
	scratch_store_b128 off, v[60:63], off offset:64
	v_add_co_u32 v52, vcc_lo, s0, v4
	v_add_co_ci_u32_e32 v53, vcc_lo, s1, v5, vcc_lo
	v_lshlrev_b64 v[4:5], 3, v[92:93]
	v_add_co_u32 v54, vcc_lo, s0, v54
	v_add_co_ci_u32_e32 v55, vcc_lo, s1, v55, vcc_lo
	v_lshlrev_b64 v[58:59], 3, v[94:95]
	s_clause 0x3
	global_load_b64 v[80:81], v[40:41], off
	global_load_b64 v[82:83], v[44:45], off
	;; [unrolled: 1-line block ×4, first 2 shown]
	v_add_co_u32 v56, vcc_lo, s0, v4
	v_add_co_ci_u32_e32 v57, vcc_lo, s1, v5, vcc_lo
	v_lshlrev_b64 v[4:5], 3, v[96:97]
	v_add_co_u32 v58, vcc_lo, s0, v58
	v_add_co_ci_u32_e32 v59, vcc_lo, s1, v59, vcc_lo
	v_lshlrev_b64 v[62:63], 3, v[98:99]
	s_delay_alu instid0(VALU_DEP_4) | instskip(SKIP_2) | instid1(VALU_DEP_4)
	v_add_co_u32 v60, vcc_lo, s0, v4
	v_add_co_ci_u32_e32 v61, vcc_lo, s1, v5, vcc_lo
	v_lshlrev_b64 v[4:5], 3, v[100:101]
	v_add_co_u32 v62, vcc_lo, s0, v62
	v_add_co_ci_u32_e32 v63, vcc_lo, s1, v63, vcc_lo
	s_waitcnt vmcnt(10)
	scratch_store_b128 off, v[64:67], off offset:80
	s_waitcnt vmcnt(8)
	scratch_store_b128 off, v[68:71], off offset:96
	s_clause 0x3
	global_load_b64 v[88:89], v[52:53], off
	global_load_b64 v[90:91], v[54:55], off
	;; [unrolled: 1-line block ×4, first 2 shown]
	v_lshlrev_b64 v[66:67], 3, v[102:103]
	v_add_co_u32 v64, vcc_lo, s0, v4
	v_add_co_ci_u32_e32 v65, vcc_lo, s1, v5, vcc_lo
	s_waitcnt vmcnt(10)
	scratch_store_b128 off, v[72:75], off offset:112
	s_waitcnt vmcnt(8)
	scratch_store_b128 off, v[76:79], off offset:128
	v_add_co_u32 v66, vcc_lo, s0, v66
	v_add_co_ci_u32_e32 v67, vcc_lo, s1, v67, vcc_lo
	s_clause 0x3
	global_load_b64 v[96:97], v[60:61], off
	global_load_b64 v[98:99], v[62:63], off
	;; [unrolled: 1-line block ×4, first 2 shown]
	v_lshlrev_b64 v[4:5], 3, v[104:105]
	v_lshlrev_b64 v[70:71], 3, v[106:107]
	v_lshlrev_b64 v[74:75], 3, v[110:111]
	v_lshlrev_b64 v[78:79], 3, v[114:115]
	s_waitcnt vmcnt(10)
	scratch_store_b128 off, v[80:83], off offset:144
	s_waitcnt vmcnt(8)
	scratch_store_b128 off, v[84:87], off offset:160
	v_add_co_u32 v68, vcc_lo, s0, v4
	v_add_co_ci_u32_e32 v69, vcc_lo, s1, v5, vcc_lo
	v_lshlrev_b64 v[4:5], 3, v[108:109]
	v_add_co_u32 v70, vcc_lo, s0, v70
	v_add_co_ci_u32_e32 v71, vcc_lo, s1, v71, vcc_lo
	v_lshlrev_b64 v[82:83], 3, v[118:119]
	s_delay_alu instid0(VALU_DEP_4)
	v_add_co_u32 v72, vcc_lo, s0, v4
	v_add_co_ci_u32_e32 v73, vcc_lo, s1, v5, vcc_lo
	v_lshlrev_b64 v[4:5], 3, v[112:113]
	v_add_co_u32 v74, vcc_lo, s0, v74
	v_add_co_ci_u32_e32 v75, vcc_lo, s1, v75, vcc_lo
	s_clause 0x3
	global_load_b64 v[104:105], v[68:69], off
	global_load_b64 v[106:107], v[70:71], off
	;; [unrolled: 1-line block ×4, first 2 shown]
	v_add_co_u32 v76, vcc_lo, s0, v4
	v_add_co_ci_u32_e32 v77, vcc_lo, s1, v5, vcc_lo
	v_lshlrev_b64 v[4:5], 3, v[116:117]
	v_add_co_u32 v78, vcc_lo, s0, v78
	v_add_co_ci_u32_e32 v79, vcc_lo, s1, v79, vcc_lo
	v_lshlrev_b64 v[86:87], 3, v[122:123]
	s_delay_alu instid0(VALU_DEP_4)
	v_add_co_u32 v80, vcc_lo, s0, v4
	v_add_co_ci_u32_e32 v81, vcc_lo, s1, v5, vcc_lo
	v_lshlrev_b64 v[4:5], 3, v[120:121]
	v_add_co_u32 v82, vcc_lo, s0, v82
	v_add_co_ci_u32_e32 v83, vcc_lo, s1, v83, vcc_lo
	s_waitcnt vmcnt(10)
	scratch_store_b128 off, v[88:91], off offset:176
	s_waitcnt vmcnt(8)
	scratch_store_b128 off, v[92:95], off offset:192
	v_add_co_u32 v84, vcc_lo, s0, v4
	v_add_co_ci_u32_e32 v85, vcc_lo, s1, v5, vcc_lo
	v_lshlrev_b64 v[4:5], 3, v[124:125]
	s_clause 0x3
	global_load_b64 v[112:113], v[76:77], off
	global_load_b64 v[114:115], v[78:79], off
	;; [unrolled: 1-line block ×4, first 2 shown]
	v_add_co_u32 v86, vcc_lo, s0, v86
	v_lshlrev_b64 v[90:91], 3, v[126:127]
	v_add_co_ci_u32_e32 v87, vcc_lo, s1, v87, vcc_lo
	v_add_co_u32 v88, vcc_lo, s0, v4
	v_add_co_ci_u32_e32 v89, vcc_lo, s1, v5, vcc_lo
	s_delay_alu instid0(VALU_DEP_4)
	v_add_co_u32 v90, vcc_lo, s0, v90
	v_add_co_ci_u32_e32 v91, vcc_lo, s1, v91, vcc_lo
	s_waitcnt vmcnt(10)
	scratch_store_b128 off, v[96:99], off offset:208
	s_waitcnt vmcnt(8)
	scratch_store_b128 off, v[100:103], off offset:224
	s_clause 0x3
	global_load_b64 v[120:121], v[84:85], off
	global_load_b64 v[122:123], v[86:87], off
	;; [unrolled: 1-line block ×4, first 2 shown]
	v_lshlrev_b64 v[4:5], 3, v[128:129]
	v_lshlrev_b64 v[94:95], 3, v[130:131]
	;; [unrolled: 1-line block ×4, first 2 shown]
	s_waitcnt vmcnt(10)
	scratch_store_b128 off, v[104:107], off offset:240
	s_waitcnt vmcnt(8)
	scratch_store_b128 off, v[108:111], off offset:256
	v_add_co_u32 v92, vcc_lo, s0, v4
	v_add_co_ci_u32_e32 v93, vcc_lo, s1, v5, vcc_lo
	v_lshlrev_b64 v[4:5], 3, v[132:133]
	v_add_co_u32 v94, vcc_lo, s0, v94
	v_add_co_ci_u32_e32 v95, vcc_lo, s1, v95, vcc_lo
	v_lshlrev_b64 v[106:107], 3, v[142:143]
	s_delay_alu instid0(VALU_DEP_4)
	v_add_co_u32 v96, vcc_lo, s0, v4
	v_add_co_ci_u32_e32 v97, vcc_lo, s1, v5, vcc_lo
	v_lshlrev_b64 v[4:5], 3, v[136:137]
	v_add_co_u32 v98, vcc_lo, s0, v98
	v_add_co_ci_u32_e32 v99, vcc_lo, s1, v99, vcc_lo
	v_lshlrev_b64 v[110:111], 3, v[146:147]
	s_delay_alu instid0(VALU_DEP_4)
	v_add_co_u32 v100, vcc_lo, s0, v4
	v_add_co_ci_u32_e32 v101, vcc_lo, s1, v5, vcc_lo
	v_lshlrev_b64 v[4:5], 3, v[140:141]
	v_add_co_u32 v102, vcc_lo, s0, v102
	v_add_co_ci_u32_e32 v103, vcc_lo, s1, v103, vcc_lo
	s_clause 0x2
	global_load_b64 v[128:129], v[92:93], off
	global_load_b64 v[130:131], v[94:95], off
	;; [unrolled: 1-line block ×3, first 2 shown]
	v_add_co_u32 v104, vcc_lo, s0, v4
	v_add_co_ci_u32_e32 v105, vcc_lo, s1, v5, vcc_lo
	v_lshlrev_b64 v[4:5], 3, v[144:145]
	v_add_co_u32 v106, vcc_lo, s0, v106
	v_add_co_ci_u32_e32 v107, vcc_lo, s1, v107, vcc_lo
	s_waitcnt vmcnt(9)
	scratch_store_b128 off, v[112:115], off offset:272
	s_waitcnt vmcnt(7)
	scratch_store_b128 off, v[116:119], off offset:288
	v_add_co_u32 v108, vcc_lo, s0, v4
	v_add_co_ci_u32_e32 v109, vcc_lo, s1, v5, vcc_lo
	v_lshlrev_b64 v[4:5], 3, v[148:149]
	v_add_co_u32 v112, vcc_lo, s0, v110
	v_add_co_ci_u32_e32 v113, vcc_lo, s1, v111, vcc_lo
	v_lshlrev_b64 v[110:111], 3, v[150:151]
	s_delay_alu instid0(VALU_DEP_4)
	v_add_co_u32 v114, vcc_lo, s0, v4
	v_add_co_ci_u32_e32 v115, vcc_lo, s1, v5, vcc_lo
	s_clause 0x3
	global_load_b64 v[134:135], v[98:99], off
	global_load_b64 v[116:117], v[100:101], off
	;; [unrolled: 1-line block ×4, first 2 shown]
	v_add_co_u32 v110, vcc_lo, s0, v110
	v_add_co_ci_u32_e32 v111, vcc_lo, s1, v111, vcc_lo
	s_waitcnt vmcnt(9)
	scratch_store_b128 off, v[120:123], off offset:304
	s_waitcnt vmcnt(7)
	scratch_store_b128 off, v[124:127], off offset:320
	s_clause 0x4
	global_load_b64 v[138:139], v[106:107], off
	global_load_b64 v[120:121], v[108:109], off
	;; [unrolled: 1-line block ×5, first 2 shown]
	s_mov_b32 s1, -1
	s_waitcnt vmcnt(10)
	scratch_store_b128 off, v[128:131], off offset:336
	s_waitcnt vmcnt(8)
	scratch_store_b128 off, v[132:135], off offset:352
	;; [unrolled: 2-line block ×5, first 2 shown]
	s_waitcnt vmcnt(0)
	s_clause 0x1
	scratch_store_b128 off, v[124:127], off offset:416
	scratch_store_b64 off, v[1:2], off offset:432
	s_cbranch_scc1 .LBB54_228
; %bb.4:
	v_cmp_eq_u32_e64 s0, 0, v0
	s_delay_alu instid0(VALU_DEP_1)
	s_and_saveexec_b32 s1, s0
	s_cbranch_execz .LBB54_6
; %bb.5:
	v_mov_b32_e32 v1, 0
	ds_store_b32 v1, v1 offset:440
.LBB54_6:
	s_or_b32 exec_lo, exec_lo, s1
	s_waitcnt lgkmcnt(0)
	s_waitcnt_vscnt null, 0x0
	s_barrier
	buffer_gl0_inv
	scratch_load_b64 v[1:2], v3, off
	s_mov_b32 s2, exec_lo
	s_waitcnt vmcnt(0)
	v_cmpx_eq_f64_e32 0, v[1:2]
	s_cbranch_execz .LBB54_10
; %bb.7:
	v_mov_b32_e32 v1, 0
	s_mov_b32 s3, 0
	ds_load_b32 v2, v1 offset:440
	s_waitcnt lgkmcnt(0)
	v_readfirstlane_b32 s1, v2
	v_add_nc_u32_e32 v2, 1, v0
	s_delay_alu instid0(VALU_DEP_2) | instskip(NEXT) | instid1(VALU_DEP_1)
	s_cmp_eq_u32 s1, 0
	v_cmp_gt_i32_e32 vcc_lo, s1, v2
	s_cselect_b32 s4, -1, 0
	s_delay_alu instid0(SALU_CYCLE_1) | instskip(NEXT) | instid1(SALU_CYCLE_1)
	s_or_b32 s4, s4, vcc_lo
	s_and_b32 exec_lo, exec_lo, s4
	s_cbranch_execz .LBB54_10
; %bb.8:
	v_mov_b32_e32 v4, s1
.LBB54_9:                               ; =>This Inner Loop Header: Depth=1
	ds_cmpstore_rtn_b32 v4, v1, v2, v4 offset:440
	s_waitcnt lgkmcnt(0)
	v_cmp_ne_u32_e32 vcc_lo, 0, v4
	v_cmp_le_i32_e64 s1, v4, v2
	s_delay_alu instid0(VALU_DEP_1) | instskip(NEXT) | instid1(SALU_CYCLE_1)
	s_and_b32 s1, vcc_lo, s1
	s_and_b32 s1, exec_lo, s1
	s_delay_alu instid0(SALU_CYCLE_1) | instskip(NEXT) | instid1(SALU_CYCLE_1)
	s_or_b32 s3, s1, s3
	s_and_not1_b32 exec_lo, exec_lo, s3
	s_cbranch_execnz .LBB54_9
.LBB54_10:
	s_or_b32 exec_lo, exec_lo, s2
	v_mov_b32_e32 v1, 0
	s_barrier
	buffer_gl0_inv
	ds_load_b32 v2, v1 offset:440
	s_and_saveexec_b32 s1, s0
	s_cbranch_execz .LBB54_12
; %bb.11:
	s_lshl_b64 s[2:3], s[14:15], 2
	s_delay_alu instid0(SALU_CYCLE_1)
	s_add_u32 s2, s6, s2
	s_addc_u32 s3, s7, s3
	s_waitcnt lgkmcnt(0)
	global_store_b32 v1, v2, s[2:3]
.LBB54_12:
	s_or_b32 exec_lo, exec_lo, s1
	s_waitcnt lgkmcnt(0)
	v_cmp_ne_u32_e32 vcc_lo, 0, v2
	s_mov_b32 s1, 0
	s_cbranch_vccnz .LBB54_228
; %bb.13:
	v_add_nc_u32_e32 v4, 0, v3
	v_add_nc_u32_e32 v5, 0x1c0, v3
	scratch_load_b64 v[1:2], v4, off
	s_waitcnt vmcnt(0)
	v_div_scale_f64 v[116:117], null, v[1:2], v[1:2], 1.0
	v_div_scale_f64 v[122:123], vcc_lo, 1.0, v[1:2], 1.0
	s_delay_alu instid0(VALU_DEP_2) | instskip(SKIP_2) | instid1(VALU_DEP_1)
	v_rcp_f64_e32 v[118:119], v[116:117]
	s_waitcnt_depctr 0xfff
	v_fma_f64 v[120:121], -v[116:117], v[118:119], 1.0
	v_fma_f64 v[118:119], v[118:119], v[120:121], v[118:119]
	s_delay_alu instid0(VALU_DEP_1) | instskip(NEXT) | instid1(VALU_DEP_1)
	v_fma_f64 v[120:121], -v[116:117], v[118:119], 1.0
	v_fma_f64 v[118:119], v[118:119], v[120:121], v[118:119]
	s_delay_alu instid0(VALU_DEP_1) | instskip(NEXT) | instid1(VALU_DEP_1)
	v_mul_f64 v[120:121], v[122:123], v[118:119]
	v_fma_f64 v[116:117], -v[116:117], v[120:121], v[122:123]
	s_delay_alu instid0(VALU_DEP_1) | instskip(NEXT) | instid1(VALU_DEP_1)
	v_div_fmas_f64 v[116:117], v[116:117], v[118:119], v[120:121]
	v_div_fixup_f64 v[1:2], v[116:117], v[1:2], 1.0
	scratch_store_b64 v4, v[1:2], off
	scratch_load_b64 v[116:117], off, off offset:8
	v_xor_b32_e32 v2, 0x80000000, v2
	s_waitcnt vmcnt(0)
	ds_store_2addr_b64 v3, v[1:2], v[116:117] offset1:56
	s_waitcnt lgkmcnt(0)
	s_waitcnt_vscnt null, 0x0
	s_barrier
	buffer_gl0_inv
	s_and_saveexec_b32 s1, s0
	s_cbranch_execz .LBB54_15
; %bb.14:
	scratch_load_b64 v[1:2], v4, off
	ds_load_b64 v[116:117], v5
	s_waitcnt vmcnt(0) lgkmcnt(0)
	v_fma_f64 v[1:2], v[1:2], v[116:117], 0
	v_mov_b32_e32 v116, 0
	ds_load_b64 v[116:117], v116 offset:8
	s_waitcnt lgkmcnt(0)
	v_mul_f64 v[1:2], v[1:2], v[116:117]
	scratch_store_b64 off, v[1:2], off offset:8
.LBB54_15:
	s_or_b32 exec_lo, exec_lo, s1
	s_waitcnt_vscnt null, 0x0
	s_barrier
	buffer_gl0_inv
	scratch_load_b64 v[1:2], off, off offset:16
	s_mov_b32 s1, exec_lo
	s_waitcnt vmcnt(0)
	ds_store_b64 v5, v[1:2]
	s_waitcnt lgkmcnt(0)
	s_barrier
	buffer_gl0_inv
	v_cmpx_gt_u32_e32 2, v0
	s_cbranch_execz .LBB54_19
; %bb.16:
	scratch_load_b64 v[1:2], v4, off
	ds_load_b64 v[116:117], v5
	s_waitcnt vmcnt(0) lgkmcnt(0)
	v_fma_f64 v[1:2], v[1:2], v[116:117], 0
	s_and_saveexec_b32 s2, s0
	s_cbranch_execz .LBB54_18
; %bb.17:
	scratch_load_b64 v[116:117], off, off offset:8
	v_mov_b32_e32 v118, 0
	ds_load_b64 v[118:119], v118 offset:456
	s_waitcnt vmcnt(0) lgkmcnt(0)
	v_fma_f64 v[1:2], v[116:117], v[118:119], v[1:2]
.LBB54_18:
	s_or_b32 exec_lo, exec_lo, s2
	v_mov_b32_e32 v116, 0
	ds_load_b64 v[116:117], v116 offset:16
	s_waitcnt lgkmcnt(0)
	v_mul_f64 v[1:2], v[1:2], v[116:117]
	scratch_store_b64 off, v[1:2], off offset:16
.LBB54_19:
	s_or_b32 exec_lo, exec_lo, s1
	s_waitcnt_vscnt null, 0x0
	s_barrier
	buffer_gl0_inv
	scratch_load_b64 v[1:2], off, off offset:24
	v_add_nc_u32_e32 v116, -1, v0
	s_mov_b32 s0, exec_lo
	s_waitcnt vmcnt(0)
	ds_store_b64 v5, v[1:2]
	s_waitcnt lgkmcnt(0)
	s_barrier
	buffer_gl0_inv
	v_cmpx_gt_u32_e32 3, v0
	s_cbranch_execz .LBB54_23
; %bb.20:
	v_dual_mov_b32 v1, 0 :: v_dual_add_nc_u32 v118, 0x1c0, v3
	v_dual_mov_b32 v2, 0 :: v_dual_add_nc_u32 v117, -1, v0
	v_add_nc_u32_e32 v119, 0, v3
	s_mov_b32 s1, 0
.LBB54_21:                              ; =>This Inner Loop Header: Depth=1
	scratch_load_b64 v[120:121], v119, off
	ds_load_b64 v[122:123], v118
	v_add_nc_u32_e32 v117, 1, v117
	v_add_nc_u32_e32 v118, 8, v118
	v_add_nc_u32_e32 v119, 8, v119
	s_delay_alu instid0(VALU_DEP_3)
	v_cmp_lt_u32_e32 vcc_lo, 1, v117
	s_or_b32 s1, vcc_lo, s1
	s_waitcnt vmcnt(0) lgkmcnt(0)
	v_fma_f64 v[1:2], v[120:121], v[122:123], v[1:2]
	s_and_not1_b32 exec_lo, exec_lo, s1
	s_cbranch_execnz .LBB54_21
; %bb.22:
	s_or_b32 exec_lo, exec_lo, s1
	v_mov_b32_e32 v117, 0
	ds_load_b64 v[117:118], v117 offset:24
	s_waitcnt lgkmcnt(0)
	v_mul_f64 v[1:2], v[1:2], v[117:118]
	scratch_store_b64 off, v[1:2], off offset:24
.LBB54_23:
	s_or_b32 exec_lo, exec_lo, s0
	s_waitcnt_vscnt null, 0x0
	s_barrier
	buffer_gl0_inv
	scratch_load_b64 v[1:2], off, off offset:32
	s_mov_b32 s0, exec_lo
	s_waitcnt vmcnt(0)
	ds_store_b64 v5, v[1:2]
	s_waitcnt lgkmcnt(0)
	s_barrier
	buffer_gl0_inv
	v_cmpx_gt_u32_e32 4, v0
	s_cbranch_execz .LBB54_27
; %bb.24:
	v_dual_mov_b32 v1, 0 :: v_dual_add_nc_u32 v118, 0x1c0, v3
	v_dual_mov_b32 v2, 0 :: v_dual_add_nc_u32 v117, -1, v0
	v_add_nc_u32_e32 v119, 0, v3
	s_mov_b32 s1, 0
.LBB54_25:                              ; =>This Inner Loop Header: Depth=1
	scratch_load_b64 v[120:121], v119, off
	ds_load_b64 v[122:123], v118
	v_add_nc_u32_e32 v117, 1, v117
	v_add_nc_u32_e32 v118, 8, v118
	v_add_nc_u32_e32 v119, 8, v119
	s_delay_alu instid0(VALU_DEP_3)
	v_cmp_lt_u32_e32 vcc_lo, 2, v117
	s_or_b32 s1, vcc_lo, s1
	s_waitcnt vmcnt(0) lgkmcnt(0)
	v_fma_f64 v[1:2], v[120:121], v[122:123], v[1:2]
	s_and_not1_b32 exec_lo, exec_lo, s1
	s_cbranch_execnz .LBB54_25
; %bb.26:
	s_or_b32 exec_lo, exec_lo, s1
	v_mov_b32_e32 v117, 0
	ds_load_b64 v[117:118], v117 offset:32
	s_waitcnt lgkmcnt(0)
	v_mul_f64 v[1:2], v[1:2], v[117:118]
	scratch_store_b64 off, v[1:2], off offset:32
.LBB54_27:
	s_or_b32 exec_lo, exec_lo, s0
	s_waitcnt_vscnt null, 0x0
	s_barrier
	buffer_gl0_inv
	scratch_load_b64 v[1:2], off, off offset:40
	s_mov_b32 s0, exec_lo
	s_waitcnt vmcnt(0)
	ds_store_b64 v5, v[1:2]
	s_waitcnt lgkmcnt(0)
	s_barrier
	buffer_gl0_inv
	v_cmpx_gt_u32_e32 5, v0
	s_cbranch_execz .LBB54_31
; %bb.28:
	v_dual_mov_b32 v1, 0 :: v_dual_add_nc_u32 v118, 0x1c0, v3
	v_dual_mov_b32 v2, 0 :: v_dual_add_nc_u32 v117, -1, v0
	v_add_nc_u32_e32 v119, 0, v3
	s_mov_b32 s1, 0
.LBB54_29:                              ; =>This Inner Loop Header: Depth=1
	scratch_load_b64 v[120:121], v119, off
	ds_load_b64 v[122:123], v118
	v_add_nc_u32_e32 v117, 1, v117
	v_add_nc_u32_e32 v118, 8, v118
	v_add_nc_u32_e32 v119, 8, v119
	s_delay_alu instid0(VALU_DEP_3)
	v_cmp_lt_u32_e32 vcc_lo, 3, v117
	s_or_b32 s1, vcc_lo, s1
	s_waitcnt vmcnt(0) lgkmcnt(0)
	v_fma_f64 v[1:2], v[120:121], v[122:123], v[1:2]
	s_and_not1_b32 exec_lo, exec_lo, s1
	s_cbranch_execnz .LBB54_29
; %bb.30:
	s_or_b32 exec_lo, exec_lo, s1
	v_mov_b32_e32 v117, 0
	ds_load_b64 v[117:118], v117 offset:40
	s_waitcnt lgkmcnt(0)
	v_mul_f64 v[1:2], v[1:2], v[117:118]
	scratch_store_b64 off, v[1:2], off offset:40
.LBB54_31:
	s_or_b32 exec_lo, exec_lo, s0
	s_waitcnt_vscnt null, 0x0
	s_barrier
	buffer_gl0_inv
	scratch_load_b64 v[1:2], off, off offset:48
	s_mov_b32 s0, exec_lo
	s_waitcnt vmcnt(0)
	ds_store_b64 v5, v[1:2]
	s_waitcnt lgkmcnt(0)
	s_barrier
	buffer_gl0_inv
	v_cmpx_gt_u32_e32 6, v0
	s_cbranch_execz .LBB54_35
; %bb.32:
	v_dual_mov_b32 v1, 0 :: v_dual_add_nc_u32 v118, 0x1c0, v3
	v_dual_mov_b32 v2, 0 :: v_dual_add_nc_u32 v117, -1, v0
	v_add_nc_u32_e32 v119, 0, v3
	s_mov_b32 s1, 0
.LBB54_33:                              ; =>This Inner Loop Header: Depth=1
	scratch_load_b64 v[120:121], v119, off
	ds_load_b64 v[122:123], v118
	v_add_nc_u32_e32 v117, 1, v117
	v_add_nc_u32_e32 v118, 8, v118
	v_add_nc_u32_e32 v119, 8, v119
	s_delay_alu instid0(VALU_DEP_3)
	v_cmp_lt_u32_e32 vcc_lo, 4, v117
	s_or_b32 s1, vcc_lo, s1
	s_waitcnt vmcnt(0) lgkmcnt(0)
	v_fma_f64 v[1:2], v[120:121], v[122:123], v[1:2]
	s_and_not1_b32 exec_lo, exec_lo, s1
	s_cbranch_execnz .LBB54_33
; %bb.34:
	s_or_b32 exec_lo, exec_lo, s1
	v_mov_b32_e32 v117, 0
	ds_load_b64 v[117:118], v117 offset:48
	s_waitcnt lgkmcnt(0)
	v_mul_f64 v[1:2], v[1:2], v[117:118]
	scratch_store_b64 off, v[1:2], off offset:48
.LBB54_35:
	s_or_b32 exec_lo, exec_lo, s0
	s_waitcnt_vscnt null, 0x0
	s_barrier
	buffer_gl0_inv
	scratch_load_b64 v[1:2], off, off offset:56
	s_mov_b32 s0, exec_lo
	s_waitcnt vmcnt(0)
	ds_store_b64 v5, v[1:2]
	s_waitcnt lgkmcnt(0)
	s_barrier
	buffer_gl0_inv
	v_cmpx_gt_u32_e32 7, v0
	s_cbranch_execz .LBB54_39
; %bb.36:
	v_dual_mov_b32 v1, 0 :: v_dual_add_nc_u32 v118, 0x1c0, v3
	v_dual_mov_b32 v2, 0 :: v_dual_add_nc_u32 v117, -1, v0
	v_add_nc_u32_e32 v119, 0, v3
	s_mov_b32 s1, 0
.LBB54_37:                              ; =>This Inner Loop Header: Depth=1
	scratch_load_b64 v[120:121], v119, off
	ds_load_b64 v[122:123], v118
	v_add_nc_u32_e32 v117, 1, v117
	v_add_nc_u32_e32 v118, 8, v118
	v_add_nc_u32_e32 v119, 8, v119
	s_delay_alu instid0(VALU_DEP_3)
	v_cmp_lt_u32_e32 vcc_lo, 5, v117
	s_or_b32 s1, vcc_lo, s1
	s_waitcnt vmcnt(0) lgkmcnt(0)
	v_fma_f64 v[1:2], v[120:121], v[122:123], v[1:2]
	s_and_not1_b32 exec_lo, exec_lo, s1
	s_cbranch_execnz .LBB54_37
; %bb.38:
	s_or_b32 exec_lo, exec_lo, s1
	v_mov_b32_e32 v117, 0
	ds_load_b64 v[117:118], v117 offset:56
	s_waitcnt lgkmcnt(0)
	v_mul_f64 v[1:2], v[1:2], v[117:118]
	scratch_store_b64 off, v[1:2], off offset:56
.LBB54_39:
	s_or_b32 exec_lo, exec_lo, s0
	s_waitcnt_vscnt null, 0x0
	s_barrier
	buffer_gl0_inv
	scratch_load_b64 v[1:2], off, off offset:64
	s_mov_b32 s0, exec_lo
	s_waitcnt vmcnt(0)
	ds_store_b64 v5, v[1:2]
	s_waitcnt lgkmcnt(0)
	s_barrier
	buffer_gl0_inv
	v_cmpx_gt_u32_e32 8, v0
	s_cbranch_execz .LBB54_43
; %bb.40:
	v_dual_mov_b32 v1, 0 :: v_dual_add_nc_u32 v118, 0x1c0, v3
	v_dual_mov_b32 v2, 0 :: v_dual_add_nc_u32 v117, -1, v0
	v_add_nc_u32_e32 v119, 0, v3
	s_mov_b32 s1, 0
.LBB54_41:                              ; =>This Inner Loop Header: Depth=1
	scratch_load_b64 v[120:121], v119, off
	ds_load_b64 v[122:123], v118
	v_add_nc_u32_e32 v117, 1, v117
	v_add_nc_u32_e32 v118, 8, v118
	v_add_nc_u32_e32 v119, 8, v119
	s_delay_alu instid0(VALU_DEP_3)
	v_cmp_lt_u32_e32 vcc_lo, 6, v117
	s_or_b32 s1, vcc_lo, s1
	s_waitcnt vmcnt(0) lgkmcnt(0)
	v_fma_f64 v[1:2], v[120:121], v[122:123], v[1:2]
	s_and_not1_b32 exec_lo, exec_lo, s1
	s_cbranch_execnz .LBB54_41
; %bb.42:
	s_or_b32 exec_lo, exec_lo, s1
	v_mov_b32_e32 v117, 0
	ds_load_b64 v[117:118], v117 offset:64
	s_waitcnt lgkmcnt(0)
	v_mul_f64 v[1:2], v[1:2], v[117:118]
	scratch_store_b64 off, v[1:2], off offset:64
.LBB54_43:
	s_or_b32 exec_lo, exec_lo, s0
	s_waitcnt_vscnt null, 0x0
	s_barrier
	buffer_gl0_inv
	scratch_load_b64 v[1:2], off, off offset:72
	s_mov_b32 s0, exec_lo
	s_waitcnt vmcnt(0)
	ds_store_b64 v5, v[1:2]
	s_waitcnt lgkmcnt(0)
	s_barrier
	buffer_gl0_inv
	v_cmpx_gt_u32_e32 9, v0
	s_cbranch_execz .LBB54_47
; %bb.44:
	v_dual_mov_b32 v1, 0 :: v_dual_add_nc_u32 v118, 0x1c0, v3
	v_dual_mov_b32 v2, 0 :: v_dual_add_nc_u32 v117, -1, v0
	v_add_nc_u32_e32 v119, 0, v3
	s_mov_b32 s1, 0
.LBB54_45:                              ; =>This Inner Loop Header: Depth=1
	scratch_load_b64 v[120:121], v119, off
	ds_load_b64 v[122:123], v118
	v_add_nc_u32_e32 v117, 1, v117
	v_add_nc_u32_e32 v118, 8, v118
	v_add_nc_u32_e32 v119, 8, v119
	s_delay_alu instid0(VALU_DEP_3)
	v_cmp_lt_u32_e32 vcc_lo, 7, v117
	s_or_b32 s1, vcc_lo, s1
	s_waitcnt vmcnt(0) lgkmcnt(0)
	v_fma_f64 v[1:2], v[120:121], v[122:123], v[1:2]
	s_and_not1_b32 exec_lo, exec_lo, s1
	s_cbranch_execnz .LBB54_45
; %bb.46:
	s_or_b32 exec_lo, exec_lo, s1
	v_mov_b32_e32 v117, 0
	ds_load_b64 v[117:118], v117 offset:72
	s_waitcnt lgkmcnt(0)
	v_mul_f64 v[1:2], v[1:2], v[117:118]
	scratch_store_b64 off, v[1:2], off offset:72
.LBB54_47:
	s_or_b32 exec_lo, exec_lo, s0
	s_waitcnt_vscnt null, 0x0
	s_barrier
	buffer_gl0_inv
	scratch_load_b64 v[1:2], off, off offset:80
	s_mov_b32 s0, exec_lo
	s_waitcnt vmcnt(0)
	ds_store_b64 v5, v[1:2]
	s_waitcnt lgkmcnt(0)
	s_barrier
	buffer_gl0_inv
	v_cmpx_gt_u32_e32 10, v0
	s_cbranch_execz .LBB54_51
; %bb.48:
	v_dual_mov_b32 v1, 0 :: v_dual_add_nc_u32 v118, 0x1c0, v3
	v_dual_mov_b32 v2, 0 :: v_dual_add_nc_u32 v117, -1, v0
	v_add_nc_u32_e32 v119, 0, v3
	s_mov_b32 s1, 0
.LBB54_49:                              ; =>This Inner Loop Header: Depth=1
	scratch_load_b64 v[120:121], v119, off
	ds_load_b64 v[122:123], v118
	v_add_nc_u32_e32 v117, 1, v117
	v_add_nc_u32_e32 v118, 8, v118
	v_add_nc_u32_e32 v119, 8, v119
	s_delay_alu instid0(VALU_DEP_3)
	v_cmp_lt_u32_e32 vcc_lo, 8, v117
	s_or_b32 s1, vcc_lo, s1
	s_waitcnt vmcnt(0) lgkmcnt(0)
	v_fma_f64 v[1:2], v[120:121], v[122:123], v[1:2]
	s_and_not1_b32 exec_lo, exec_lo, s1
	s_cbranch_execnz .LBB54_49
; %bb.50:
	s_or_b32 exec_lo, exec_lo, s1
	v_mov_b32_e32 v117, 0
	ds_load_b64 v[117:118], v117 offset:80
	s_waitcnt lgkmcnt(0)
	v_mul_f64 v[1:2], v[1:2], v[117:118]
	scratch_store_b64 off, v[1:2], off offset:80
.LBB54_51:
	s_or_b32 exec_lo, exec_lo, s0
	s_waitcnt_vscnt null, 0x0
	s_barrier
	buffer_gl0_inv
	scratch_load_b64 v[1:2], off, off offset:88
	s_mov_b32 s0, exec_lo
	s_waitcnt vmcnt(0)
	ds_store_b64 v5, v[1:2]
	s_waitcnt lgkmcnt(0)
	s_barrier
	buffer_gl0_inv
	v_cmpx_gt_u32_e32 11, v0
	s_cbranch_execz .LBB54_55
; %bb.52:
	v_dual_mov_b32 v1, 0 :: v_dual_add_nc_u32 v118, 0x1c0, v3
	v_dual_mov_b32 v2, 0 :: v_dual_add_nc_u32 v117, -1, v0
	v_add_nc_u32_e32 v119, 0, v3
	s_mov_b32 s1, 0
.LBB54_53:                              ; =>This Inner Loop Header: Depth=1
	scratch_load_b64 v[120:121], v119, off
	ds_load_b64 v[122:123], v118
	v_add_nc_u32_e32 v117, 1, v117
	v_add_nc_u32_e32 v118, 8, v118
	v_add_nc_u32_e32 v119, 8, v119
	s_delay_alu instid0(VALU_DEP_3)
	v_cmp_lt_u32_e32 vcc_lo, 9, v117
	s_or_b32 s1, vcc_lo, s1
	s_waitcnt vmcnt(0) lgkmcnt(0)
	v_fma_f64 v[1:2], v[120:121], v[122:123], v[1:2]
	s_and_not1_b32 exec_lo, exec_lo, s1
	s_cbranch_execnz .LBB54_53
; %bb.54:
	s_or_b32 exec_lo, exec_lo, s1
	v_mov_b32_e32 v117, 0
	ds_load_b64 v[117:118], v117 offset:88
	s_waitcnt lgkmcnt(0)
	v_mul_f64 v[1:2], v[1:2], v[117:118]
	scratch_store_b64 off, v[1:2], off offset:88
.LBB54_55:
	s_or_b32 exec_lo, exec_lo, s0
	s_waitcnt_vscnt null, 0x0
	s_barrier
	buffer_gl0_inv
	scratch_load_b64 v[1:2], off, off offset:96
	s_mov_b32 s0, exec_lo
	s_waitcnt vmcnt(0)
	ds_store_b64 v5, v[1:2]
	s_waitcnt lgkmcnt(0)
	s_barrier
	buffer_gl0_inv
	v_cmpx_gt_u32_e32 12, v0
	s_cbranch_execz .LBB54_59
; %bb.56:
	v_dual_mov_b32 v1, 0 :: v_dual_add_nc_u32 v118, 0x1c0, v3
	v_dual_mov_b32 v2, 0 :: v_dual_add_nc_u32 v117, -1, v0
	v_add_nc_u32_e32 v119, 0, v3
	s_mov_b32 s1, 0
.LBB54_57:                              ; =>This Inner Loop Header: Depth=1
	scratch_load_b64 v[120:121], v119, off
	ds_load_b64 v[122:123], v118
	v_add_nc_u32_e32 v117, 1, v117
	v_add_nc_u32_e32 v118, 8, v118
	v_add_nc_u32_e32 v119, 8, v119
	s_delay_alu instid0(VALU_DEP_3)
	v_cmp_lt_u32_e32 vcc_lo, 10, v117
	s_or_b32 s1, vcc_lo, s1
	s_waitcnt vmcnt(0) lgkmcnt(0)
	v_fma_f64 v[1:2], v[120:121], v[122:123], v[1:2]
	s_and_not1_b32 exec_lo, exec_lo, s1
	s_cbranch_execnz .LBB54_57
; %bb.58:
	s_or_b32 exec_lo, exec_lo, s1
	v_mov_b32_e32 v117, 0
	ds_load_b64 v[117:118], v117 offset:96
	s_waitcnt lgkmcnt(0)
	v_mul_f64 v[1:2], v[1:2], v[117:118]
	scratch_store_b64 off, v[1:2], off offset:96
.LBB54_59:
	s_or_b32 exec_lo, exec_lo, s0
	s_waitcnt_vscnt null, 0x0
	s_barrier
	buffer_gl0_inv
	scratch_load_b64 v[1:2], off, off offset:104
	s_mov_b32 s0, exec_lo
	s_waitcnt vmcnt(0)
	ds_store_b64 v5, v[1:2]
	s_waitcnt lgkmcnt(0)
	s_barrier
	buffer_gl0_inv
	v_cmpx_gt_u32_e32 13, v0
	s_cbranch_execz .LBB54_63
; %bb.60:
	v_dual_mov_b32 v1, 0 :: v_dual_add_nc_u32 v118, 0x1c0, v3
	v_dual_mov_b32 v2, 0 :: v_dual_add_nc_u32 v117, -1, v0
	v_add_nc_u32_e32 v119, 0, v3
	s_mov_b32 s1, 0
.LBB54_61:                              ; =>This Inner Loop Header: Depth=1
	scratch_load_b64 v[120:121], v119, off
	ds_load_b64 v[122:123], v118
	v_add_nc_u32_e32 v117, 1, v117
	v_add_nc_u32_e32 v118, 8, v118
	v_add_nc_u32_e32 v119, 8, v119
	s_delay_alu instid0(VALU_DEP_3)
	v_cmp_lt_u32_e32 vcc_lo, 11, v117
	s_or_b32 s1, vcc_lo, s1
	s_waitcnt vmcnt(0) lgkmcnt(0)
	v_fma_f64 v[1:2], v[120:121], v[122:123], v[1:2]
	s_and_not1_b32 exec_lo, exec_lo, s1
	s_cbranch_execnz .LBB54_61
; %bb.62:
	s_or_b32 exec_lo, exec_lo, s1
	v_mov_b32_e32 v117, 0
	ds_load_b64 v[117:118], v117 offset:104
	s_waitcnt lgkmcnt(0)
	v_mul_f64 v[1:2], v[1:2], v[117:118]
	scratch_store_b64 off, v[1:2], off offset:104
.LBB54_63:
	s_or_b32 exec_lo, exec_lo, s0
	s_waitcnt_vscnt null, 0x0
	s_barrier
	buffer_gl0_inv
	scratch_load_b64 v[1:2], off, off offset:112
	s_mov_b32 s0, exec_lo
	s_waitcnt vmcnt(0)
	ds_store_b64 v5, v[1:2]
	s_waitcnt lgkmcnt(0)
	s_barrier
	buffer_gl0_inv
	v_cmpx_gt_u32_e32 14, v0
	s_cbranch_execz .LBB54_67
; %bb.64:
	v_dual_mov_b32 v1, 0 :: v_dual_add_nc_u32 v118, 0x1c0, v3
	v_dual_mov_b32 v2, 0 :: v_dual_add_nc_u32 v117, -1, v0
	v_add_nc_u32_e32 v119, 0, v3
	s_mov_b32 s1, 0
.LBB54_65:                              ; =>This Inner Loop Header: Depth=1
	scratch_load_b64 v[120:121], v119, off
	ds_load_b64 v[122:123], v118
	v_add_nc_u32_e32 v117, 1, v117
	v_add_nc_u32_e32 v118, 8, v118
	v_add_nc_u32_e32 v119, 8, v119
	s_delay_alu instid0(VALU_DEP_3)
	v_cmp_lt_u32_e32 vcc_lo, 12, v117
	s_or_b32 s1, vcc_lo, s1
	s_waitcnt vmcnt(0) lgkmcnt(0)
	v_fma_f64 v[1:2], v[120:121], v[122:123], v[1:2]
	s_and_not1_b32 exec_lo, exec_lo, s1
	s_cbranch_execnz .LBB54_65
; %bb.66:
	s_or_b32 exec_lo, exec_lo, s1
	v_mov_b32_e32 v117, 0
	ds_load_b64 v[117:118], v117 offset:112
	s_waitcnt lgkmcnt(0)
	v_mul_f64 v[1:2], v[1:2], v[117:118]
	scratch_store_b64 off, v[1:2], off offset:112
.LBB54_67:
	s_or_b32 exec_lo, exec_lo, s0
	s_waitcnt_vscnt null, 0x0
	s_barrier
	buffer_gl0_inv
	scratch_load_b64 v[1:2], off, off offset:120
	s_mov_b32 s0, exec_lo
	s_waitcnt vmcnt(0)
	ds_store_b64 v5, v[1:2]
	s_waitcnt lgkmcnt(0)
	s_barrier
	buffer_gl0_inv
	v_cmpx_gt_u32_e32 15, v0
	s_cbranch_execz .LBB54_71
; %bb.68:
	v_dual_mov_b32 v1, 0 :: v_dual_add_nc_u32 v118, 0x1c0, v3
	v_dual_mov_b32 v2, 0 :: v_dual_add_nc_u32 v117, -1, v0
	v_add_nc_u32_e32 v119, 0, v3
	s_mov_b32 s1, 0
.LBB54_69:                              ; =>This Inner Loop Header: Depth=1
	scratch_load_b64 v[120:121], v119, off
	ds_load_b64 v[122:123], v118
	v_add_nc_u32_e32 v117, 1, v117
	v_add_nc_u32_e32 v118, 8, v118
	v_add_nc_u32_e32 v119, 8, v119
	s_delay_alu instid0(VALU_DEP_3)
	v_cmp_lt_u32_e32 vcc_lo, 13, v117
	s_or_b32 s1, vcc_lo, s1
	s_waitcnt vmcnt(0) lgkmcnt(0)
	v_fma_f64 v[1:2], v[120:121], v[122:123], v[1:2]
	s_and_not1_b32 exec_lo, exec_lo, s1
	s_cbranch_execnz .LBB54_69
; %bb.70:
	s_or_b32 exec_lo, exec_lo, s1
	v_mov_b32_e32 v117, 0
	ds_load_b64 v[117:118], v117 offset:120
	s_waitcnt lgkmcnt(0)
	v_mul_f64 v[1:2], v[1:2], v[117:118]
	scratch_store_b64 off, v[1:2], off offset:120
.LBB54_71:
	s_or_b32 exec_lo, exec_lo, s0
	s_waitcnt_vscnt null, 0x0
	s_barrier
	buffer_gl0_inv
	scratch_load_b64 v[1:2], off, off offset:128
	s_mov_b32 s0, exec_lo
	s_waitcnt vmcnt(0)
	ds_store_b64 v5, v[1:2]
	s_waitcnt lgkmcnt(0)
	s_barrier
	buffer_gl0_inv
	v_cmpx_gt_u32_e32 16, v0
	s_cbranch_execz .LBB54_75
; %bb.72:
	v_dual_mov_b32 v1, 0 :: v_dual_add_nc_u32 v118, 0x1c0, v3
	v_dual_mov_b32 v2, 0 :: v_dual_add_nc_u32 v117, -1, v0
	v_add_nc_u32_e32 v119, 0, v3
	s_mov_b32 s1, 0
.LBB54_73:                              ; =>This Inner Loop Header: Depth=1
	scratch_load_b64 v[120:121], v119, off
	ds_load_b64 v[122:123], v118
	v_add_nc_u32_e32 v117, 1, v117
	v_add_nc_u32_e32 v118, 8, v118
	v_add_nc_u32_e32 v119, 8, v119
	s_delay_alu instid0(VALU_DEP_3)
	v_cmp_lt_u32_e32 vcc_lo, 14, v117
	s_or_b32 s1, vcc_lo, s1
	s_waitcnt vmcnt(0) lgkmcnt(0)
	v_fma_f64 v[1:2], v[120:121], v[122:123], v[1:2]
	s_and_not1_b32 exec_lo, exec_lo, s1
	s_cbranch_execnz .LBB54_73
; %bb.74:
	s_or_b32 exec_lo, exec_lo, s1
	v_mov_b32_e32 v117, 0
	ds_load_b64 v[117:118], v117 offset:128
	s_waitcnt lgkmcnt(0)
	v_mul_f64 v[1:2], v[1:2], v[117:118]
	scratch_store_b64 off, v[1:2], off offset:128
.LBB54_75:
	s_or_b32 exec_lo, exec_lo, s0
	s_waitcnt_vscnt null, 0x0
	s_barrier
	buffer_gl0_inv
	scratch_load_b64 v[1:2], off, off offset:136
	s_mov_b32 s0, exec_lo
	s_waitcnt vmcnt(0)
	ds_store_b64 v5, v[1:2]
	s_waitcnt lgkmcnt(0)
	s_barrier
	buffer_gl0_inv
	v_cmpx_gt_u32_e32 17, v0
	s_cbranch_execz .LBB54_79
; %bb.76:
	v_dual_mov_b32 v1, 0 :: v_dual_add_nc_u32 v118, 0x1c0, v3
	v_dual_mov_b32 v2, 0 :: v_dual_add_nc_u32 v117, -1, v0
	v_add_nc_u32_e32 v119, 0, v3
	s_mov_b32 s1, 0
.LBB54_77:                              ; =>This Inner Loop Header: Depth=1
	scratch_load_b64 v[120:121], v119, off
	ds_load_b64 v[122:123], v118
	v_add_nc_u32_e32 v117, 1, v117
	v_add_nc_u32_e32 v118, 8, v118
	v_add_nc_u32_e32 v119, 8, v119
	s_delay_alu instid0(VALU_DEP_3)
	v_cmp_lt_u32_e32 vcc_lo, 15, v117
	s_or_b32 s1, vcc_lo, s1
	s_waitcnt vmcnt(0) lgkmcnt(0)
	v_fma_f64 v[1:2], v[120:121], v[122:123], v[1:2]
	s_and_not1_b32 exec_lo, exec_lo, s1
	s_cbranch_execnz .LBB54_77
; %bb.78:
	s_or_b32 exec_lo, exec_lo, s1
	v_mov_b32_e32 v117, 0
	ds_load_b64 v[117:118], v117 offset:136
	s_waitcnt lgkmcnt(0)
	v_mul_f64 v[1:2], v[1:2], v[117:118]
	scratch_store_b64 off, v[1:2], off offset:136
.LBB54_79:
	s_or_b32 exec_lo, exec_lo, s0
	s_waitcnt_vscnt null, 0x0
	s_barrier
	buffer_gl0_inv
	scratch_load_b64 v[1:2], off, off offset:144
	s_mov_b32 s0, exec_lo
	s_waitcnt vmcnt(0)
	ds_store_b64 v5, v[1:2]
	s_waitcnt lgkmcnt(0)
	s_barrier
	buffer_gl0_inv
	v_cmpx_gt_u32_e32 18, v0
	s_cbranch_execz .LBB54_83
; %bb.80:
	v_dual_mov_b32 v1, 0 :: v_dual_add_nc_u32 v118, 0x1c0, v3
	v_dual_mov_b32 v2, 0 :: v_dual_add_nc_u32 v117, -1, v0
	v_add_nc_u32_e32 v119, 0, v3
	s_mov_b32 s1, 0
.LBB54_81:                              ; =>This Inner Loop Header: Depth=1
	scratch_load_b64 v[120:121], v119, off
	ds_load_b64 v[122:123], v118
	v_add_nc_u32_e32 v117, 1, v117
	v_add_nc_u32_e32 v118, 8, v118
	v_add_nc_u32_e32 v119, 8, v119
	s_delay_alu instid0(VALU_DEP_3)
	v_cmp_lt_u32_e32 vcc_lo, 16, v117
	s_or_b32 s1, vcc_lo, s1
	s_waitcnt vmcnt(0) lgkmcnt(0)
	v_fma_f64 v[1:2], v[120:121], v[122:123], v[1:2]
	s_and_not1_b32 exec_lo, exec_lo, s1
	s_cbranch_execnz .LBB54_81
; %bb.82:
	s_or_b32 exec_lo, exec_lo, s1
	v_mov_b32_e32 v117, 0
	ds_load_b64 v[117:118], v117 offset:144
	s_waitcnt lgkmcnt(0)
	v_mul_f64 v[1:2], v[1:2], v[117:118]
	scratch_store_b64 off, v[1:2], off offset:144
.LBB54_83:
	s_or_b32 exec_lo, exec_lo, s0
	s_waitcnt_vscnt null, 0x0
	s_barrier
	buffer_gl0_inv
	scratch_load_b64 v[1:2], off, off offset:152
	s_mov_b32 s0, exec_lo
	s_waitcnt vmcnt(0)
	ds_store_b64 v5, v[1:2]
	s_waitcnt lgkmcnt(0)
	s_barrier
	buffer_gl0_inv
	v_cmpx_gt_u32_e32 19, v0
	s_cbranch_execz .LBB54_87
; %bb.84:
	v_dual_mov_b32 v1, 0 :: v_dual_add_nc_u32 v118, 0x1c0, v3
	v_dual_mov_b32 v2, 0 :: v_dual_add_nc_u32 v117, -1, v0
	v_add_nc_u32_e32 v119, 0, v3
	s_mov_b32 s1, 0
.LBB54_85:                              ; =>This Inner Loop Header: Depth=1
	scratch_load_b64 v[120:121], v119, off
	ds_load_b64 v[122:123], v118
	v_add_nc_u32_e32 v117, 1, v117
	v_add_nc_u32_e32 v118, 8, v118
	v_add_nc_u32_e32 v119, 8, v119
	s_delay_alu instid0(VALU_DEP_3)
	v_cmp_lt_u32_e32 vcc_lo, 17, v117
	s_or_b32 s1, vcc_lo, s1
	s_waitcnt vmcnt(0) lgkmcnt(0)
	v_fma_f64 v[1:2], v[120:121], v[122:123], v[1:2]
	s_and_not1_b32 exec_lo, exec_lo, s1
	s_cbranch_execnz .LBB54_85
; %bb.86:
	s_or_b32 exec_lo, exec_lo, s1
	v_mov_b32_e32 v117, 0
	ds_load_b64 v[117:118], v117 offset:152
	s_waitcnt lgkmcnt(0)
	v_mul_f64 v[1:2], v[1:2], v[117:118]
	scratch_store_b64 off, v[1:2], off offset:152
.LBB54_87:
	s_or_b32 exec_lo, exec_lo, s0
	s_waitcnt_vscnt null, 0x0
	s_barrier
	buffer_gl0_inv
	scratch_load_b64 v[1:2], off, off offset:160
	s_mov_b32 s0, exec_lo
	s_waitcnt vmcnt(0)
	ds_store_b64 v5, v[1:2]
	s_waitcnt lgkmcnt(0)
	s_barrier
	buffer_gl0_inv
	v_cmpx_gt_u32_e32 20, v0
	s_cbranch_execz .LBB54_91
; %bb.88:
	v_dual_mov_b32 v1, 0 :: v_dual_add_nc_u32 v118, 0x1c0, v3
	v_dual_mov_b32 v2, 0 :: v_dual_add_nc_u32 v117, -1, v0
	v_add_nc_u32_e32 v119, 0, v3
	s_mov_b32 s1, 0
.LBB54_89:                              ; =>This Inner Loop Header: Depth=1
	scratch_load_b64 v[120:121], v119, off
	ds_load_b64 v[122:123], v118
	v_add_nc_u32_e32 v117, 1, v117
	v_add_nc_u32_e32 v118, 8, v118
	v_add_nc_u32_e32 v119, 8, v119
	s_delay_alu instid0(VALU_DEP_3)
	v_cmp_lt_u32_e32 vcc_lo, 18, v117
	s_or_b32 s1, vcc_lo, s1
	s_waitcnt vmcnt(0) lgkmcnt(0)
	v_fma_f64 v[1:2], v[120:121], v[122:123], v[1:2]
	s_and_not1_b32 exec_lo, exec_lo, s1
	s_cbranch_execnz .LBB54_89
; %bb.90:
	s_or_b32 exec_lo, exec_lo, s1
	v_mov_b32_e32 v117, 0
	ds_load_b64 v[117:118], v117 offset:160
	s_waitcnt lgkmcnt(0)
	v_mul_f64 v[1:2], v[1:2], v[117:118]
	scratch_store_b64 off, v[1:2], off offset:160
.LBB54_91:
	s_or_b32 exec_lo, exec_lo, s0
	s_waitcnt_vscnt null, 0x0
	s_barrier
	buffer_gl0_inv
	scratch_load_b64 v[1:2], off, off offset:168
	s_mov_b32 s0, exec_lo
	s_waitcnt vmcnt(0)
	ds_store_b64 v5, v[1:2]
	s_waitcnt lgkmcnt(0)
	s_barrier
	buffer_gl0_inv
	v_cmpx_gt_u32_e32 21, v0
	s_cbranch_execz .LBB54_95
; %bb.92:
	v_dual_mov_b32 v1, 0 :: v_dual_add_nc_u32 v118, 0x1c0, v3
	v_dual_mov_b32 v2, 0 :: v_dual_add_nc_u32 v117, -1, v0
	v_add_nc_u32_e32 v119, 0, v3
	s_mov_b32 s1, 0
.LBB54_93:                              ; =>This Inner Loop Header: Depth=1
	scratch_load_b64 v[120:121], v119, off
	ds_load_b64 v[122:123], v118
	v_add_nc_u32_e32 v117, 1, v117
	v_add_nc_u32_e32 v118, 8, v118
	v_add_nc_u32_e32 v119, 8, v119
	s_delay_alu instid0(VALU_DEP_3)
	v_cmp_lt_u32_e32 vcc_lo, 19, v117
	s_or_b32 s1, vcc_lo, s1
	s_waitcnt vmcnt(0) lgkmcnt(0)
	v_fma_f64 v[1:2], v[120:121], v[122:123], v[1:2]
	s_and_not1_b32 exec_lo, exec_lo, s1
	s_cbranch_execnz .LBB54_93
; %bb.94:
	s_or_b32 exec_lo, exec_lo, s1
	v_mov_b32_e32 v117, 0
	ds_load_b64 v[117:118], v117 offset:168
	s_waitcnt lgkmcnt(0)
	v_mul_f64 v[1:2], v[1:2], v[117:118]
	scratch_store_b64 off, v[1:2], off offset:168
.LBB54_95:
	s_or_b32 exec_lo, exec_lo, s0
	s_waitcnt_vscnt null, 0x0
	s_barrier
	buffer_gl0_inv
	scratch_load_b64 v[1:2], off, off offset:176
	s_mov_b32 s0, exec_lo
	s_waitcnt vmcnt(0)
	ds_store_b64 v5, v[1:2]
	s_waitcnt lgkmcnt(0)
	s_barrier
	buffer_gl0_inv
	v_cmpx_gt_u32_e32 22, v0
	s_cbranch_execz .LBB54_99
; %bb.96:
	v_dual_mov_b32 v1, 0 :: v_dual_add_nc_u32 v118, 0x1c0, v3
	v_dual_mov_b32 v2, 0 :: v_dual_add_nc_u32 v117, -1, v0
	v_add_nc_u32_e32 v119, 0, v3
	s_mov_b32 s1, 0
.LBB54_97:                              ; =>This Inner Loop Header: Depth=1
	scratch_load_b64 v[120:121], v119, off
	ds_load_b64 v[122:123], v118
	v_add_nc_u32_e32 v117, 1, v117
	v_add_nc_u32_e32 v118, 8, v118
	v_add_nc_u32_e32 v119, 8, v119
	s_delay_alu instid0(VALU_DEP_3)
	v_cmp_lt_u32_e32 vcc_lo, 20, v117
	s_or_b32 s1, vcc_lo, s1
	s_waitcnt vmcnt(0) lgkmcnt(0)
	v_fma_f64 v[1:2], v[120:121], v[122:123], v[1:2]
	s_and_not1_b32 exec_lo, exec_lo, s1
	s_cbranch_execnz .LBB54_97
; %bb.98:
	s_or_b32 exec_lo, exec_lo, s1
	v_mov_b32_e32 v117, 0
	ds_load_b64 v[117:118], v117 offset:176
	s_waitcnt lgkmcnt(0)
	v_mul_f64 v[1:2], v[1:2], v[117:118]
	scratch_store_b64 off, v[1:2], off offset:176
.LBB54_99:
	s_or_b32 exec_lo, exec_lo, s0
	s_waitcnt_vscnt null, 0x0
	s_barrier
	buffer_gl0_inv
	scratch_load_b64 v[1:2], off, off offset:184
	s_mov_b32 s0, exec_lo
	s_waitcnt vmcnt(0)
	ds_store_b64 v5, v[1:2]
	s_waitcnt lgkmcnt(0)
	s_barrier
	buffer_gl0_inv
	v_cmpx_gt_u32_e32 23, v0
	s_cbranch_execz .LBB54_103
; %bb.100:
	v_dual_mov_b32 v1, 0 :: v_dual_add_nc_u32 v118, 0x1c0, v3
	v_dual_mov_b32 v2, 0 :: v_dual_add_nc_u32 v117, -1, v0
	v_add_nc_u32_e32 v119, 0, v3
	s_mov_b32 s1, 0
.LBB54_101:                             ; =>This Inner Loop Header: Depth=1
	scratch_load_b64 v[120:121], v119, off
	ds_load_b64 v[122:123], v118
	v_add_nc_u32_e32 v117, 1, v117
	v_add_nc_u32_e32 v118, 8, v118
	v_add_nc_u32_e32 v119, 8, v119
	s_delay_alu instid0(VALU_DEP_3)
	v_cmp_lt_u32_e32 vcc_lo, 21, v117
	s_or_b32 s1, vcc_lo, s1
	s_waitcnt vmcnt(0) lgkmcnt(0)
	v_fma_f64 v[1:2], v[120:121], v[122:123], v[1:2]
	s_and_not1_b32 exec_lo, exec_lo, s1
	s_cbranch_execnz .LBB54_101
; %bb.102:
	s_or_b32 exec_lo, exec_lo, s1
	v_mov_b32_e32 v117, 0
	ds_load_b64 v[117:118], v117 offset:184
	s_waitcnt lgkmcnt(0)
	v_mul_f64 v[1:2], v[1:2], v[117:118]
	scratch_store_b64 off, v[1:2], off offset:184
.LBB54_103:
	s_or_b32 exec_lo, exec_lo, s0
	s_waitcnt_vscnt null, 0x0
	s_barrier
	buffer_gl0_inv
	scratch_load_b64 v[1:2], off, off offset:192
	s_mov_b32 s0, exec_lo
	s_waitcnt vmcnt(0)
	ds_store_b64 v5, v[1:2]
	s_waitcnt lgkmcnt(0)
	s_barrier
	buffer_gl0_inv
	v_cmpx_gt_u32_e32 24, v0
	s_cbranch_execz .LBB54_107
; %bb.104:
	v_dual_mov_b32 v1, 0 :: v_dual_add_nc_u32 v118, 0x1c0, v3
	v_dual_mov_b32 v2, 0 :: v_dual_add_nc_u32 v117, -1, v0
	v_add_nc_u32_e32 v119, 0, v3
	s_mov_b32 s1, 0
.LBB54_105:                             ; =>This Inner Loop Header: Depth=1
	scratch_load_b64 v[120:121], v119, off
	ds_load_b64 v[122:123], v118
	v_add_nc_u32_e32 v117, 1, v117
	v_add_nc_u32_e32 v118, 8, v118
	v_add_nc_u32_e32 v119, 8, v119
	s_delay_alu instid0(VALU_DEP_3)
	v_cmp_lt_u32_e32 vcc_lo, 22, v117
	s_or_b32 s1, vcc_lo, s1
	s_waitcnt vmcnt(0) lgkmcnt(0)
	v_fma_f64 v[1:2], v[120:121], v[122:123], v[1:2]
	s_and_not1_b32 exec_lo, exec_lo, s1
	s_cbranch_execnz .LBB54_105
; %bb.106:
	s_or_b32 exec_lo, exec_lo, s1
	v_mov_b32_e32 v117, 0
	ds_load_b64 v[117:118], v117 offset:192
	s_waitcnt lgkmcnt(0)
	v_mul_f64 v[1:2], v[1:2], v[117:118]
	scratch_store_b64 off, v[1:2], off offset:192
.LBB54_107:
	s_or_b32 exec_lo, exec_lo, s0
	s_waitcnt_vscnt null, 0x0
	s_barrier
	buffer_gl0_inv
	scratch_load_b64 v[1:2], off, off offset:200
	;; [unrolled: 39-line block ×31, first 2 shown]
	s_mov_b32 s0, exec_lo
	s_waitcnt vmcnt(0)
	ds_store_b64 v5, v[1:2]
	s_waitcnt lgkmcnt(0)
	s_barrier
	buffer_gl0_inv
	v_cmpx_ne_u32_e32 54, v0
	s_cbranch_execz .LBB54_227
; %bb.224:
	v_mov_b32_e32 v1, 0
	v_mov_b32_e32 v2, 0
	s_mov_b32 s1, 0
.LBB54_225:                             ; =>This Inner Loop Header: Depth=1
	scratch_load_b64 v[117:118], v4, off
	ds_load_b64 v[119:120], v5
	v_add_nc_u32_e32 v116, 1, v116
	v_add_nc_u32_e32 v5, 8, v5
	;; [unrolled: 1-line block ×3, first 2 shown]
	s_delay_alu instid0(VALU_DEP_3)
	v_cmp_lt_u32_e32 vcc_lo, 52, v116
	s_or_b32 s1, vcc_lo, s1
	s_waitcnt vmcnt(0) lgkmcnt(0)
	v_fma_f64 v[1:2], v[117:118], v[119:120], v[1:2]
	s_and_not1_b32 exec_lo, exec_lo, s1
	s_cbranch_execnz .LBB54_225
; %bb.226:
	s_or_b32 exec_lo, exec_lo, s1
	v_mov_b32_e32 v3, 0
	ds_load_b64 v[3:4], v3 offset:432
	s_waitcnt lgkmcnt(0)
	v_mul_f64 v[1:2], v[1:2], v[3:4]
	scratch_store_b64 off, v[1:2], off offset:432
.LBB54_227:
	s_or_b32 exec_lo, exec_lo, s0
	s_mov_b32 s1, -1
	s_waitcnt_vscnt null, 0x0
	s_barrier
	buffer_gl0_inv
.LBB54_228:
	s_and_b32 vcc_lo, exec_lo, s1
	s_cbranch_vccz .LBB54_230
; %bb.229:
	s_lshl_b64 s[0:1], s[14:15], 2
	v_mov_b32_e32 v1, 0
	s_add_u32 s0, s6, s0
	s_addc_u32 s1, s7, s1
	global_load_b32 v1, v1, s[0:1]
	s_waitcnt vmcnt(0)
	v_cmp_ne_u32_e32 vcc_lo, 0, v1
	s_cbranch_vccz .LBB54_231
.LBB54_230:
	s_endpgm
.LBB54_231:
	v_lshl_add_u32 v5, v0, 3, 0x1c0
	s_mov_b32 s0, exec_lo
	v_cmpx_eq_u32_e32 54, v0
	s_cbranch_execz .LBB54_233
; %bb.232:
	scratch_load_b64 v[1:2], off, off offset:424
	v_mov_b32_e32 v3, 0
	s_delay_alu instid0(VALU_DEP_1)
	v_mov_b32_e32 v4, v3
	scratch_store_b64 off, v[3:4], off offset:424
	s_waitcnt vmcnt(0)
	ds_store_b64 v5, v[1:2]
.LBB54_233:
	s_or_b32 exec_lo, exec_lo, s0
	s_waitcnt lgkmcnt(0)
	s_waitcnt_vscnt null, 0x0
	s_barrier
	buffer_gl0_inv
	scratch_load_b128 v[116:119], off, off offset:424
	v_mov_b32_e32 v1, 0
	s_mov_b32 s0, exec_lo
	ds_load_b64 v[2:3], v1 offset:880
	s_waitcnt vmcnt(0) lgkmcnt(0)
	v_fma_f64 v[2:3], v[118:119], v[2:3], 0
	s_delay_alu instid0(VALU_DEP_1)
	v_add_f64 v[2:3], v[116:117], -v[2:3]
	scratch_store_b64 off, v[2:3], off offset:424
	v_cmpx_lt_u32_e32 52, v0
	s_cbranch_execz .LBB54_235
; %bb.234:
	scratch_load_b64 v[3:4], off, off offset:416
	v_mov_b32_e32 v2, v1
	scratch_store_b64 off, v[1:2], off offset:416
	s_waitcnt vmcnt(0)
	ds_store_b64 v5, v[3:4]
.LBB54_235:
	s_or_b32 exec_lo, exec_lo, s0
	s_waitcnt lgkmcnt(0)
	s_waitcnt_vscnt null, 0x0
	s_barrier
	buffer_gl0_inv
	s_clause 0x1
	scratch_load_b128 v[116:119], off, off offset:416
	scratch_load_b64 v[120:121], off, off offset:432
	ds_load_2addr_b64 v[1:4], v1 offset0:109 offset1:110
	s_mov_b32 s0, exec_lo
	s_waitcnt vmcnt(1) lgkmcnt(0)
	v_fma_f64 v[1:2], v[118:119], v[1:2], 0
	s_waitcnt vmcnt(0)
	s_delay_alu instid0(VALU_DEP_1) | instskip(NEXT) | instid1(VALU_DEP_1)
	v_fma_f64 v[1:2], v[120:121], v[3:4], v[1:2]
	v_add_f64 v[1:2], v[116:117], -v[1:2]
	scratch_store_b64 off, v[1:2], off offset:416
	v_cmpx_lt_u32_e32 51, v0
	s_cbranch_execz .LBB54_237
; %bb.236:
	scratch_load_b64 v[1:2], off, off offset:408
	v_mov_b32_e32 v3, 0
	s_delay_alu instid0(VALU_DEP_1)
	v_mov_b32_e32 v4, v3
	scratch_store_b64 off, v[3:4], off offset:408
	s_waitcnt vmcnt(0)
	ds_store_b64 v5, v[1:2]
.LBB54_237:
	s_or_b32 exec_lo, exec_lo, s0
	s_waitcnt lgkmcnt(0)
	s_waitcnt_vscnt null, 0x0
	s_barrier
	buffer_gl0_inv
	s_clause 0x1
	scratch_load_b128 v[116:119], off, off offset:408
	scratch_load_b128 v[120:123], off, off offset:424
	v_mov_b32_e32 v1, 0
	ds_load_b128 v[124:127], v1 offset:864
	ds_load_b64 v[2:3], v1 offset:880
	s_mov_b32 s0, exec_lo
	s_waitcnt vmcnt(1) lgkmcnt(1)
	v_fma_f64 v[118:119], v[118:119], v[124:125], 0
	s_waitcnt vmcnt(0)
	s_delay_alu instid0(VALU_DEP_1) | instskip(SKIP_1) | instid1(VALU_DEP_1)
	v_fma_f64 v[118:119], v[120:121], v[126:127], v[118:119]
	s_waitcnt lgkmcnt(0)
	v_fma_f64 v[2:3], v[122:123], v[2:3], v[118:119]
	s_delay_alu instid0(VALU_DEP_1)
	v_add_f64 v[2:3], v[116:117], -v[2:3]
	scratch_store_b64 off, v[2:3], off offset:408
	v_cmpx_lt_u32_e32 50, v0
	s_cbranch_execz .LBB54_239
; %bb.238:
	scratch_load_b64 v[3:4], off, off offset:400
	v_mov_b32_e32 v2, v1
	scratch_store_b64 off, v[1:2], off offset:400
	s_waitcnt vmcnt(0)
	ds_store_b64 v5, v[3:4]
.LBB54_239:
	s_or_b32 exec_lo, exec_lo, s0
	s_waitcnt lgkmcnt(0)
	s_waitcnt_vscnt null, 0x0
	s_barrier
	buffer_gl0_inv
	s_clause 0x2
	scratch_load_b128 v[116:119], off, off offset:400
	scratch_load_b128 v[120:123], off, off offset:416
	scratch_load_b64 v[128:129], off, off offset:432
	ds_load_2addr_b64 v[124:127], v1 offset0:107 offset1:108
	ds_load_2addr_b64 v[1:4], v1 offset0:109 offset1:110
	s_mov_b32 s0, exec_lo
	s_waitcnt vmcnt(2) lgkmcnt(1)
	v_fma_f64 v[118:119], v[118:119], v[124:125], 0
	s_waitcnt vmcnt(1)
	s_delay_alu instid0(VALU_DEP_1) | instskip(SKIP_1) | instid1(VALU_DEP_1)
	v_fma_f64 v[118:119], v[120:121], v[126:127], v[118:119]
	s_waitcnt lgkmcnt(0)
	v_fma_f64 v[1:2], v[122:123], v[1:2], v[118:119]
	s_waitcnt vmcnt(0)
	s_delay_alu instid0(VALU_DEP_1) | instskip(NEXT) | instid1(VALU_DEP_1)
	v_fma_f64 v[1:2], v[128:129], v[3:4], v[1:2]
	v_add_f64 v[1:2], v[116:117], -v[1:2]
	scratch_store_b64 off, v[1:2], off offset:400
	v_cmpx_lt_u32_e32 49, v0
	s_cbranch_execz .LBB54_241
; %bb.240:
	scratch_load_b64 v[1:2], off, off offset:392
	v_mov_b32_e32 v3, 0
	s_delay_alu instid0(VALU_DEP_1)
	v_mov_b32_e32 v4, v3
	scratch_store_b64 off, v[3:4], off offset:392
	s_waitcnt vmcnt(0)
	ds_store_b64 v5, v[1:2]
.LBB54_241:
	s_or_b32 exec_lo, exec_lo, s0
	s_waitcnt lgkmcnt(0)
	s_waitcnt_vscnt null, 0x0
	s_barrier
	buffer_gl0_inv
	s_clause 0x2
	scratch_load_b128 v[116:119], off, off offset:392
	scratch_load_b128 v[120:123], off, off offset:408
	;; [unrolled: 1-line block ×3, first 2 shown]
	v_mov_b32_e32 v1, 0
	ds_load_b128 v[128:131], v1 offset:848
	ds_load_b128 v[132:135], v1 offset:864
	s_mov_b32 s0, exec_lo
	s_waitcnt vmcnt(2) lgkmcnt(1)
	v_fma_f64 v[2:3], v[118:119], v[128:129], 0
	ds_load_b64 v[118:119], v1 offset:880
	s_waitcnt vmcnt(1)
	v_fma_f64 v[2:3], v[120:121], v[130:131], v[2:3]
	s_waitcnt lgkmcnt(1)
	s_delay_alu instid0(VALU_DEP_1) | instskip(SKIP_1) | instid1(VALU_DEP_1)
	v_fma_f64 v[2:3], v[122:123], v[132:133], v[2:3]
	s_waitcnt vmcnt(0)
	v_fma_f64 v[2:3], v[124:125], v[134:135], v[2:3]
	s_waitcnt lgkmcnt(0)
	s_delay_alu instid0(VALU_DEP_1) | instskip(NEXT) | instid1(VALU_DEP_1)
	v_fma_f64 v[2:3], v[126:127], v[118:119], v[2:3]
	v_add_f64 v[2:3], v[116:117], -v[2:3]
	scratch_store_b64 off, v[2:3], off offset:392
	v_cmpx_lt_u32_e32 48, v0
	s_cbranch_execz .LBB54_243
; %bb.242:
	scratch_load_b64 v[3:4], off, off offset:384
	v_mov_b32_e32 v2, v1
	scratch_store_b64 off, v[1:2], off offset:384
	s_waitcnt vmcnt(0)
	ds_store_b64 v5, v[3:4]
.LBB54_243:
	s_or_b32 exec_lo, exec_lo, s0
	s_waitcnt lgkmcnt(0)
	s_waitcnt_vscnt null, 0x0
	s_barrier
	buffer_gl0_inv
	s_clause 0x3
	scratch_load_b128 v[116:119], off, off offset:384
	scratch_load_b128 v[120:123], off, off offset:400
	;; [unrolled: 1-line block ×3, first 2 shown]
	scratch_load_b64 v[136:137], off, off offset:432
	ds_load_2addr_b64 v[128:131], v1 offset0:105 offset1:106
	ds_load_2addr_b64 v[132:135], v1 offset0:107 offset1:108
	s_mov_b32 s0, exec_lo
	s_waitcnt vmcnt(3) lgkmcnt(1)
	v_fma_f64 v[2:3], v[118:119], v[128:129], 0
	s_waitcnt vmcnt(2)
	s_delay_alu instid0(VALU_DEP_1) | instskip(SKIP_1) | instid1(VALU_DEP_1)
	v_fma_f64 v[2:3], v[120:121], v[130:131], v[2:3]
	s_waitcnt lgkmcnt(0)
	v_fma_f64 v[2:3], v[122:123], v[132:133], v[2:3]
	s_waitcnt vmcnt(1)
	s_delay_alu instid0(VALU_DEP_1) | instskip(SKIP_4) | instid1(VALU_DEP_1)
	v_fma_f64 v[118:119], v[124:125], v[134:135], v[2:3]
	ds_load_2addr_b64 v[1:4], v1 offset0:109 offset1:110
	s_waitcnt lgkmcnt(0)
	v_fma_f64 v[1:2], v[126:127], v[1:2], v[118:119]
	s_waitcnt vmcnt(0)
	v_fma_f64 v[1:2], v[136:137], v[3:4], v[1:2]
	s_delay_alu instid0(VALU_DEP_1)
	v_add_f64 v[1:2], v[116:117], -v[1:2]
	scratch_store_b64 off, v[1:2], off offset:384
	v_cmpx_lt_u32_e32 47, v0
	s_cbranch_execz .LBB54_245
; %bb.244:
	scratch_load_b64 v[1:2], off, off offset:376
	v_mov_b32_e32 v3, 0
	s_delay_alu instid0(VALU_DEP_1)
	v_mov_b32_e32 v4, v3
	scratch_store_b64 off, v[3:4], off offset:376
	s_waitcnt vmcnt(0)
	ds_store_b64 v5, v[1:2]
.LBB54_245:
	s_or_b32 exec_lo, exec_lo, s0
	s_waitcnt lgkmcnt(0)
	s_waitcnt_vscnt null, 0x0
	s_barrier
	buffer_gl0_inv
	s_clause 0x3
	scratch_load_b128 v[116:119], off, off offset:376
	scratch_load_b128 v[120:123], off, off offset:392
	;; [unrolled: 1-line block ×4, first 2 shown]
	v_mov_b32_e32 v1, 0
	ds_load_b128 v[132:135], v1 offset:832
	ds_load_b128 v[136:139], v1 offset:848
	s_mov_b32 s0, exec_lo
	s_waitcnt vmcnt(3) lgkmcnt(1)
	v_fma_f64 v[2:3], v[118:119], v[132:133], 0
	s_waitcnt vmcnt(2)
	s_delay_alu instid0(VALU_DEP_1) | instskip(SKIP_1) | instid1(VALU_DEP_1)
	v_fma_f64 v[2:3], v[120:121], v[134:135], v[2:3]
	s_waitcnt lgkmcnt(0)
	v_fma_f64 v[2:3], v[122:123], v[136:137], v[2:3]
	ds_load_b128 v[118:121], v1 offset:864
	ds_load_b64 v[122:123], v1 offset:880
	s_waitcnt vmcnt(1)
	v_fma_f64 v[2:3], v[124:125], v[138:139], v[2:3]
	s_waitcnt lgkmcnt(1)
	s_delay_alu instid0(VALU_DEP_1) | instskip(SKIP_1) | instid1(VALU_DEP_1)
	v_fma_f64 v[2:3], v[126:127], v[118:119], v[2:3]
	s_waitcnt vmcnt(0)
	v_fma_f64 v[2:3], v[128:129], v[120:121], v[2:3]
	s_waitcnt lgkmcnt(0)
	s_delay_alu instid0(VALU_DEP_1) | instskip(NEXT) | instid1(VALU_DEP_1)
	v_fma_f64 v[2:3], v[130:131], v[122:123], v[2:3]
	v_add_f64 v[2:3], v[116:117], -v[2:3]
	scratch_store_b64 off, v[2:3], off offset:376
	v_cmpx_lt_u32_e32 46, v0
	s_cbranch_execz .LBB54_247
; %bb.246:
	scratch_load_b64 v[3:4], off, off offset:368
	v_mov_b32_e32 v2, v1
	scratch_store_b64 off, v[1:2], off offset:368
	s_waitcnt vmcnt(0)
	ds_store_b64 v5, v[3:4]
.LBB54_247:
	s_or_b32 exec_lo, exec_lo, s0
	s_waitcnt lgkmcnt(0)
	s_waitcnt_vscnt null, 0x0
	s_barrier
	buffer_gl0_inv
	s_clause 0x4
	scratch_load_b128 v[116:119], off, off offset:368
	scratch_load_b128 v[120:123], off, off offset:384
	;; [unrolled: 1-line block ×4, first 2 shown]
	scratch_load_b64 v[140:141], off, off offset:432
	ds_load_2addr_b64 v[132:135], v1 offset0:103 offset1:104
	ds_load_2addr_b64 v[136:139], v1 offset0:105 offset1:106
	s_mov_b32 s0, exec_lo
	s_waitcnt vmcnt(4) lgkmcnt(1)
	v_fma_f64 v[2:3], v[118:119], v[132:133], 0
	s_waitcnt vmcnt(3)
	s_delay_alu instid0(VALU_DEP_1) | instskip(SKIP_1) | instid1(VALU_DEP_1)
	v_fma_f64 v[2:3], v[120:121], v[134:135], v[2:3]
	s_waitcnt lgkmcnt(0)
	v_fma_f64 v[2:3], v[122:123], v[136:137], v[2:3]
	s_waitcnt vmcnt(2)
	s_delay_alu instid0(VALU_DEP_1)
	v_fma_f64 v[122:123], v[124:125], v[138:139], v[2:3]
	ds_load_2addr_b64 v[118:121], v1 offset0:107 offset1:108
	ds_load_2addr_b64 v[1:4], v1 offset0:109 offset1:110
	s_waitcnt lgkmcnt(1)
	v_fma_f64 v[118:119], v[126:127], v[118:119], v[122:123]
	s_waitcnt vmcnt(1)
	s_delay_alu instid0(VALU_DEP_1) | instskip(SKIP_1) | instid1(VALU_DEP_1)
	v_fma_f64 v[118:119], v[128:129], v[120:121], v[118:119]
	s_waitcnt lgkmcnt(0)
	v_fma_f64 v[1:2], v[130:131], v[1:2], v[118:119]
	s_waitcnt vmcnt(0)
	s_delay_alu instid0(VALU_DEP_1) | instskip(NEXT) | instid1(VALU_DEP_1)
	v_fma_f64 v[1:2], v[140:141], v[3:4], v[1:2]
	v_add_f64 v[1:2], v[116:117], -v[1:2]
	scratch_store_b64 off, v[1:2], off offset:368
	v_cmpx_lt_u32_e32 45, v0
	s_cbranch_execz .LBB54_249
; %bb.248:
	scratch_load_b64 v[1:2], off, off offset:360
	v_mov_b32_e32 v3, 0
	s_delay_alu instid0(VALU_DEP_1)
	v_mov_b32_e32 v4, v3
	scratch_store_b64 off, v[3:4], off offset:360
	s_waitcnt vmcnt(0)
	ds_store_b64 v5, v[1:2]
.LBB54_249:
	s_or_b32 exec_lo, exec_lo, s0
	s_waitcnt lgkmcnt(0)
	s_waitcnt_vscnt null, 0x0
	s_barrier
	buffer_gl0_inv
	s_clause 0x4
	scratch_load_b128 v[116:119], off, off offset:360
	scratch_load_b128 v[120:123], off, off offset:376
	;; [unrolled: 1-line block ×5, first 2 shown]
	v_mov_b32_e32 v1, 0
	ds_load_b128 v[136:139], v1 offset:816
	ds_load_b128 v[140:143], v1 offset:832
	s_mov_b32 s0, exec_lo
	s_waitcnt vmcnt(4) lgkmcnt(1)
	v_fma_f64 v[2:3], v[118:119], v[136:137], 0
	s_waitcnt vmcnt(3)
	s_delay_alu instid0(VALU_DEP_1) | instskip(SKIP_1) | instid1(VALU_DEP_1)
	v_fma_f64 v[2:3], v[120:121], v[138:139], v[2:3]
	s_waitcnt lgkmcnt(0)
	v_fma_f64 v[2:3], v[122:123], v[140:141], v[2:3]
	s_waitcnt vmcnt(2)
	s_delay_alu instid0(VALU_DEP_1)
	v_fma_f64 v[2:3], v[124:125], v[142:143], v[2:3]
	ds_load_b128 v[118:121], v1 offset:848
	ds_load_b128 v[122:125], v1 offset:864
	s_waitcnt lgkmcnt(1)
	v_fma_f64 v[2:3], v[126:127], v[118:119], v[2:3]
	ds_load_b64 v[118:119], v1 offset:880
	s_waitcnt vmcnt(1)
	v_fma_f64 v[2:3], v[128:129], v[120:121], v[2:3]
	s_waitcnt lgkmcnt(1)
	s_delay_alu instid0(VALU_DEP_1) | instskip(SKIP_1) | instid1(VALU_DEP_1)
	v_fma_f64 v[2:3], v[130:131], v[122:123], v[2:3]
	s_waitcnt vmcnt(0)
	v_fma_f64 v[2:3], v[132:133], v[124:125], v[2:3]
	s_waitcnt lgkmcnt(0)
	s_delay_alu instid0(VALU_DEP_1) | instskip(NEXT) | instid1(VALU_DEP_1)
	v_fma_f64 v[2:3], v[134:135], v[118:119], v[2:3]
	v_add_f64 v[2:3], v[116:117], -v[2:3]
	scratch_store_b64 off, v[2:3], off offset:360
	v_cmpx_lt_u32_e32 44, v0
	s_cbranch_execz .LBB54_251
; %bb.250:
	scratch_load_b64 v[3:4], off, off offset:352
	v_mov_b32_e32 v2, v1
	scratch_store_b64 off, v[1:2], off offset:352
	s_waitcnt vmcnt(0)
	ds_store_b64 v5, v[3:4]
.LBB54_251:
	s_or_b32 exec_lo, exec_lo, s0
	s_waitcnt lgkmcnt(0)
	s_waitcnt_vscnt null, 0x0
	s_barrier
	buffer_gl0_inv
	s_clause 0x4
	scratch_load_b128 v[116:119], off, off offset:352
	scratch_load_b128 v[120:123], off, off offset:368
	;; [unrolled: 1-line block ×5, first 2 shown]
	ds_load_2addr_b64 v[136:139], v1 offset0:101 offset1:102
	ds_load_2addr_b64 v[140:143], v1 offset0:103 offset1:104
	s_mov_b32 s0, exec_lo
	s_waitcnt vmcnt(4) lgkmcnt(1)
	v_fma_f64 v[2:3], v[118:119], v[136:137], 0
	scratch_load_b64 v[136:137], off, off offset:432
	s_waitcnt vmcnt(4)
	v_fma_f64 v[2:3], v[120:121], v[138:139], v[2:3]
	s_waitcnt lgkmcnt(0)
	s_delay_alu instid0(VALU_DEP_1) | instskip(SKIP_1) | instid1(VALU_DEP_1)
	v_fma_f64 v[2:3], v[122:123], v[140:141], v[2:3]
	s_waitcnt vmcnt(3)
	v_fma_f64 v[2:3], v[124:125], v[142:143], v[2:3]
	ds_load_2addr_b64 v[118:121], v1 offset0:105 offset1:106
	ds_load_2addr_b64 v[122:125], v1 offset0:107 offset1:108
	s_waitcnt lgkmcnt(1)
	v_fma_f64 v[2:3], v[126:127], v[118:119], v[2:3]
	s_waitcnt vmcnt(2)
	s_delay_alu instid0(VALU_DEP_1) | instskip(SKIP_1) | instid1(VALU_DEP_1)
	v_fma_f64 v[2:3], v[128:129], v[120:121], v[2:3]
	s_waitcnt lgkmcnt(0)
	v_fma_f64 v[2:3], v[130:131], v[122:123], v[2:3]
	s_waitcnt vmcnt(1)
	s_delay_alu instid0(VALU_DEP_1) | instskip(SKIP_4) | instid1(VALU_DEP_1)
	v_fma_f64 v[118:119], v[132:133], v[124:125], v[2:3]
	ds_load_2addr_b64 v[1:4], v1 offset0:109 offset1:110
	s_waitcnt lgkmcnt(0)
	v_fma_f64 v[1:2], v[134:135], v[1:2], v[118:119]
	s_waitcnt vmcnt(0)
	v_fma_f64 v[1:2], v[136:137], v[3:4], v[1:2]
	s_delay_alu instid0(VALU_DEP_1)
	v_add_f64 v[1:2], v[116:117], -v[1:2]
	scratch_store_b64 off, v[1:2], off offset:352
	v_cmpx_lt_u32_e32 43, v0
	s_cbranch_execz .LBB54_253
; %bb.252:
	scratch_load_b64 v[1:2], off, off offset:344
	v_mov_b32_e32 v3, 0
	s_delay_alu instid0(VALU_DEP_1)
	v_mov_b32_e32 v4, v3
	scratch_store_b64 off, v[3:4], off offset:344
	s_waitcnt vmcnt(0)
	ds_store_b64 v5, v[1:2]
.LBB54_253:
	s_or_b32 exec_lo, exec_lo, s0
	s_waitcnt lgkmcnt(0)
	s_waitcnt_vscnt null, 0x0
	s_barrier
	buffer_gl0_inv
	s_clause 0x4
	scratch_load_b128 v[116:119], off, off offset:344
	scratch_load_b128 v[120:123], off, off offset:360
	;; [unrolled: 1-line block ×5, first 2 shown]
	v_mov_b32_e32 v1, 0
	scratch_load_b128 v[140:143], off, off offset:424
	s_mov_b32 s0, exec_lo
	ds_load_b128 v[136:139], v1 offset:800
	s_waitcnt vmcnt(5) lgkmcnt(0)
	v_fma_f64 v[2:3], v[118:119], v[136:137], 0
	s_waitcnt vmcnt(4)
	s_delay_alu instid0(VALU_DEP_1) | instskip(SKIP_4) | instid1(VALU_DEP_1)
	v_fma_f64 v[2:3], v[120:121], v[138:139], v[2:3]
	ds_load_b128 v[118:121], v1 offset:816
	s_waitcnt lgkmcnt(0)
	v_fma_f64 v[2:3], v[122:123], v[118:119], v[2:3]
	s_waitcnt vmcnt(3)
	v_fma_f64 v[2:3], v[124:125], v[120:121], v[2:3]
	ds_load_b128 v[118:121], v1 offset:832
	s_waitcnt lgkmcnt(0)
	v_fma_f64 v[2:3], v[126:127], v[118:119], v[2:3]
	s_waitcnt vmcnt(2)
	s_delay_alu instid0(VALU_DEP_1) | instskip(SKIP_4) | instid1(VALU_DEP_1)
	v_fma_f64 v[2:3], v[128:129], v[120:121], v[2:3]
	ds_load_b128 v[118:121], v1 offset:848
	s_waitcnt lgkmcnt(0)
	v_fma_f64 v[2:3], v[130:131], v[118:119], v[2:3]
	s_waitcnt vmcnt(1)
	v_fma_f64 v[2:3], v[132:133], v[120:121], v[2:3]
	ds_load_b128 v[118:121], v1 offset:864
	s_waitcnt lgkmcnt(0)
	v_fma_f64 v[2:3], v[134:135], v[118:119], v[2:3]
	ds_load_b64 v[118:119], v1 offset:880
	s_waitcnt vmcnt(0)
	v_fma_f64 v[2:3], v[140:141], v[120:121], v[2:3]
	s_waitcnt lgkmcnt(0)
	s_delay_alu instid0(VALU_DEP_1) | instskip(NEXT) | instid1(VALU_DEP_1)
	v_fma_f64 v[2:3], v[142:143], v[118:119], v[2:3]
	v_add_f64 v[2:3], v[116:117], -v[2:3]
	scratch_store_b64 off, v[2:3], off offset:344
	v_cmpx_lt_u32_e32 42, v0
	s_cbranch_execz .LBB54_255
; %bb.254:
	scratch_load_b64 v[3:4], off, off offset:336
	v_mov_b32_e32 v2, v1
	scratch_store_b64 off, v[1:2], off offset:336
	s_waitcnt vmcnt(0)
	ds_store_b64 v5, v[3:4]
.LBB54_255:
	s_or_b32 exec_lo, exec_lo, s0
	s_waitcnt lgkmcnt(0)
	s_waitcnt_vscnt null, 0x0
	s_barrier
	buffer_gl0_inv
	s_clause 0x4
	scratch_load_b128 v[116:119], off, off offset:336
	scratch_load_b128 v[120:123], off, off offset:352
	;; [unrolled: 1-line block ×5, first 2 shown]
	ds_load_2addr_b64 v[136:139], v1 offset0:99 offset1:100
	scratch_load_b128 v[140:143], off, off offset:416
	s_mov_b32 s0, exec_lo
	s_waitcnt vmcnt(5) lgkmcnt(0)
	v_fma_f64 v[2:3], v[118:119], v[136:137], 0
	s_waitcnt vmcnt(4)
	s_delay_alu instid0(VALU_DEP_1)
	v_fma_f64 v[2:3], v[120:121], v[138:139], v[2:3]
	ds_load_2addr_b64 v[118:121], v1 offset0:101 offset1:102
	s_waitcnt lgkmcnt(0)
	v_fma_f64 v[2:3], v[122:123], v[118:119], v[2:3]
	scratch_load_b64 v[122:123], off, off offset:432
	s_waitcnt vmcnt(4)
	v_fma_f64 v[2:3], v[124:125], v[120:121], v[2:3]
	ds_load_2addr_b64 v[118:121], v1 offset0:103 offset1:104
	s_waitcnt lgkmcnt(0)
	v_fma_f64 v[2:3], v[126:127], v[118:119], v[2:3]
	s_waitcnt vmcnt(3)
	s_delay_alu instid0(VALU_DEP_1) | instskip(SKIP_4) | instid1(VALU_DEP_1)
	v_fma_f64 v[2:3], v[128:129], v[120:121], v[2:3]
	ds_load_2addr_b64 v[118:121], v1 offset0:105 offset1:106
	s_waitcnt lgkmcnt(0)
	v_fma_f64 v[2:3], v[130:131], v[118:119], v[2:3]
	s_waitcnt vmcnt(2)
	v_fma_f64 v[2:3], v[132:133], v[120:121], v[2:3]
	ds_load_2addr_b64 v[118:121], v1 offset0:107 offset1:108
	s_waitcnt lgkmcnt(0)
	v_fma_f64 v[2:3], v[134:135], v[118:119], v[2:3]
	s_waitcnt vmcnt(1)
	s_delay_alu instid0(VALU_DEP_1) | instskip(SKIP_4) | instid1(VALU_DEP_1)
	v_fma_f64 v[118:119], v[140:141], v[120:121], v[2:3]
	ds_load_2addr_b64 v[1:4], v1 offset0:109 offset1:110
	s_waitcnt lgkmcnt(0)
	v_fma_f64 v[1:2], v[142:143], v[1:2], v[118:119]
	s_waitcnt vmcnt(0)
	v_fma_f64 v[1:2], v[122:123], v[3:4], v[1:2]
	s_delay_alu instid0(VALU_DEP_1)
	v_add_f64 v[1:2], v[116:117], -v[1:2]
	scratch_store_b64 off, v[1:2], off offset:336
	v_cmpx_lt_u32_e32 41, v0
	s_cbranch_execz .LBB54_257
; %bb.256:
	scratch_load_b64 v[1:2], off, off offset:328
	v_mov_b32_e32 v3, 0
	s_delay_alu instid0(VALU_DEP_1)
	v_mov_b32_e32 v4, v3
	scratch_store_b64 off, v[3:4], off offset:328
	s_waitcnt vmcnt(0)
	ds_store_b64 v5, v[1:2]
.LBB54_257:
	s_or_b32 exec_lo, exec_lo, s0
	s_waitcnt lgkmcnt(0)
	s_waitcnt_vscnt null, 0x0
	s_barrier
	buffer_gl0_inv
	s_clause 0x4
	scratch_load_b128 v[116:119], off, off offset:328
	scratch_load_b128 v[120:123], off, off offset:344
	;; [unrolled: 1-line block ×5, first 2 shown]
	v_mov_b32_e32 v1, 0
	scratch_load_b128 v[140:143], off, off offset:408
	s_mov_b32 s0, exec_lo
	ds_load_b128 v[136:139], v1 offset:784
	s_waitcnt vmcnt(5) lgkmcnt(0)
	v_fma_f64 v[2:3], v[118:119], v[136:137], 0
	s_waitcnt vmcnt(4)
	s_delay_alu instid0(VALU_DEP_1)
	v_fma_f64 v[2:3], v[120:121], v[138:139], v[2:3]
	scratch_load_b128 v[136:139], off, off offset:424
	ds_load_b128 v[118:121], v1 offset:800
	s_waitcnt lgkmcnt(0)
	v_fma_f64 v[2:3], v[122:123], v[118:119], v[2:3]
	s_waitcnt vmcnt(4)
	s_delay_alu instid0(VALU_DEP_1) | instskip(SKIP_4) | instid1(VALU_DEP_1)
	v_fma_f64 v[2:3], v[124:125], v[120:121], v[2:3]
	ds_load_b128 v[118:121], v1 offset:816
	s_waitcnt lgkmcnt(0)
	v_fma_f64 v[2:3], v[126:127], v[118:119], v[2:3]
	s_waitcnt vmcnt(3)
	v_fma_f64 v[2:3], v[128:129], v[120:121], v[2:3]
	ds_load_b128 v[118:121], v1 offset:832
	s_waitcnt lgkmcnt(0)
	v_fma_f64 v[2:3], v[130:131], v[118:119], v[2:3]
	s_waitcnt vmcnt(2)
	s_delay_alu instid0(VALU_DEP_1) | instskip(SKIP_4) | instid1(VALU_DEP_1)
	v_fma_f64 v[2:3], v[132:133], v[120:121], v[2:3]
	ds_load_b128 v[118:121], v1 offset:848
	s_waitcnt lgkmcnt(0)
	v_fma_f64 v[2:3], v[134:135], v[118:119], v[2:3]
	s_waitcnt vmcnt(1)
	v_fma_f64 v[2:3], v[140:141], v[120:121], v[2:3]
	ds_load_b128 v[118:121], v1 offset:864
	s_waitcnt lgkmcnt(0)
	v_fma_f64 v[2:3], v[142:143], v[118:119], v[2:3]
	ds_load_b64 v[118:119], v1 offset:880
	s_waitcnt vmcnt(0)
	v_fma_f64 v[2:3], v[136:137], v[120:121], v[2:3]
	s_waitcnt lgkmcnt(0)
	s_delay_alu instid0(VALU_DEP_1) | instskip(NEXT) | instid1(VALU_DEP_1)
	v_fma_f64 v[2:3], v[138:139], v[118:119], v[2:3]
	v_add_f64 v[2:3], v[116:117], -v[2:3]
	scratch_store_b64 off, v[2:3], off offset:328
	v_cmpx_lt_u32_e32 40, v0
	s_cbranch_execz .LBB54_259
; %bb.258:
	scratch_load_b64 v[3:4], off, off offset:320
	v_mov_b32_e32 v2, v1
	scratch_store_b64 off, v[1:2], off offset:320
	s_waitcnt vmcnt(0)
	ds_store_b64 v5, v[3:4]
.LBB54_259:
	s_or_b32 exec_lo, exec_lo, s0
	s_waitcnt lgkmcnt(0)
	s_waitcnt_vscnt null, 0x0
	s_barrier
	buffer_gl0_inv
	s_clause 0x4
	scratch_load_b128 v[116:119], off, off offset:320
	scratch_load_b128 v[120:123], off, off offset:336
	;; [unrolled: 1-line block ×5, first 2 shown]
	ds_load_2addr_b64 v[136:139], v1 offset0:97 offset1:98
	scratch_load_b128 v[140:143], off, off offset:400
	s_mov_b32 s0, exec_lo
	s_waitcnt vmcnt(5) lgkmcnt(0)
	v_fma_f64 v[2:3], v[118:119], v[136:137], 0
	s_waitcnt vmcnt(4)
	s_delay_alu instid0(VALU_DEP_1)
	v_fma_f64 v[2:3], v[120:121], v[138:139], v[2:3]
	scratch_load_b128 v[136:139], off, off offset:416
	ds_load_2addr_b64 v[118:121], v1 offset0:99 offset1:100
	s_waitcnt lgkmcnt(0)
	v_fma_f64 v[2:3], v[122:123], v[118:119], v[2:3]
	scratch_load_b64 v[122:123], off, off offset:432
	s_waitcnt vmcnt(5)
	v_fma_f64 v[2:3], v[124:125], v[120:121], v[2:3]
	ds_load_2addr_b64 v[118:121], v1 offset0:101 offset1:102
	s_waitcnt lgkmcnt(0)
	v_fma_f64 v[2:3], v[126:127], v[118:119], v[2:3]
	s_waitcnt vmcnt(4)
	s_delay_alu instid0(VALU_DEP_1) | instskip(SKIP_4) | instid1(VALU_DEP_1)
	v_fma_f64 v[2:3], v[128:129], v[120:121], v[2:3]
	ds_load_2addr_b64 v[118:121], v1 offset0:103 offset1:104
	s_waitcnt lgkmcnt(0)
	v_fma_f64 v[2:3], v[130:131], v[118:119], v[2:3]
	s_waitcnt vmcnt(3)
	v_fma_f64 v[2:3], v[132:133], v[120:121], v[2:3]
	ds_load_2addr_b64 v[118:121], v1 offset0:105 offset1:106
	s_waitcnt lgkmcnt(0)
	v_fma_f64 v[2:3], v[134:135], v[118:119], v[2:3]
	s_waitcnt vmcnt(2)
	s_delay_alu instid0(VALU_DEP_1) | instskip(SKIP_4) | instid1(VALU_DEP_1)
	v_fma_f64 v[2:3], v[140:141], v[120:121], v[2:3]
	ds_load_2addr_b64 v[118:121], v1 offset0:107 offset1:108
	s_waitcnt lgkmcnt(0)
	v_fma_f64 v[2:3], v[142:143], v[118:119], v[2:3]
	s_waitcnt vmcnt(1)
	v_fma_f64 v[118:119], v[136:137], v[120:121], v[2:3]
	ds_load_2addr_b64 v[1:4], v1 offset0:109 offset1:110
	s_waitcnt lgkmcnt(0)
	v_fma_f64 v[1:2], v[138:139], v[1:2], v[118:119]
	s_waitcnt vmcnt(0)
	s_delay_alu instid0(VALU_DEP_1) | instskip(NEXT) | instid1(VALU_DEP_1)
	v_fma_f64 v[1:2], v[122:123], v[3:4], v[1:2]
	v_add_f64 v[1:2], v[116:117], -v[1:2]
	scratch_store_b64 off, v[1:2], off offset:320
	v_cmpx_lt_u32_e32 39, v0
	s_cbranch_execz .LBB54_261
; %bb.260:
	scratch_load_b64 v[1:2], off, off offset:312
	v_mov_b32_e32 v3, 0
	s_delay_alu instid0(VALU_DEP_1)
	v_mov_b32_e32 v4, v3
	scratch_store_b64 off, v[3:4], off offset:312
	s_waitcnt vmcnt(0)
	ds_store_b64 v5, v[1:2]
.LBB54_261:
	s_or_b32 exec_lo, exec_lo, s0
	s_waitcnt lgkmcnt(0)
	s_waitcnt_vscnt null, 0x0
	s_barrier
	buffer_gl0_inv
	s_clause 0x4
	scratch_load_b128 v[116:119], off, off offset:312
	scratch_load_b128 v[120:123], off, off offset:328
	;; [unrolled: 1-line block ×5, first 2 shown]
	v_mov_b32_e32 v1, 0
	scratch_load_b128 v[140:143], off, off offset:392
	s_mov_b32 s0, exec_lo
	ds_load_b128 v[136:139], v1 offset:768
	s_waitcnt vmcnt(5) lgkmcnt(0)
	v_fma_f64 v[2:3], v[118:119], v[136:137], 0
	s_waitcnt vmcnt(4)
	s_delay_alu instid0(VALU_DEP_1)
	v_fma_f64 v[2:3], v[120:121], v[138:139], v[2:3]
	scratch_load_b128 v[136:139], off, off offset:408
	ds_load_b128 v[118:121], v1 offset:784
	s_waitcnt lgkmcnt(0)
	v_fma_f64 v[2:3], v[122:123], v[118:119], v[2:3]
	s_waitcnt vmcnt(4)
	s_delay_alu instid0(VALU_DEP_1)
	v_fma_f64 v[2:3], v[124:125], v[120:121], v[2:3]
	ds_load_b128 v[118:121], v1 offset:800
	scratch_load_b128 v[122:125], off, off offset:424
	s_waitcnt lgkmcnt(0)
	v_fma_f64 v[2:3], v[126:127], v[118:119], v[2:3]
	s_waitcnt vmcnt(4)
	s_delay_alu instid0(VALU_DEP_1) | instskip(SKIP_4) | instid1(VALU_DEP_1)
	v_fma_f64 v[2:3], v[128:129], v[120:121], v[2:3]
	ds_load_b128 v[118:121], v1 offset:816
	s_waitcnt lgkmcnt(0)
	v_fma_f64 v[2:3], v[130:131], v[118:119], v[2:3]
	s_waitcnt vmcnt(3)
	v_fma_f64 v[2:3], v[132:133], v[120:121], v[2:3]
	ds_load_b128 v[118:121], v1 offset:832
	s_waitcnt lgkmcnt(0)
	v_fma_f64 v[2:3], v[134:135], v[118:119], v[2:3]
	s_waitcnt vmcnt(2)
	s_delay_alu instid0(VALU_DEP_1) | instskip(SKIP_4) | instid1(VALU_DEP_1)
	v_fma_f64 v[2:3], v[140:141], v[120:121], v[2:3]
	ds_load_b128 v[118:121], v1 offset:848
	s_waitcnt lgkmcnt(0)
	v_fma_f64 v[2:3], v[142:143], v[118:119], v[2:3]
	s_waitcnt vmcnt(1)
	v_fma_f64 v[2:3], v[136:137], v[120:121], v[2:3]
	ds_load_b128 v[118:121], v1 offset:864
	s_waitcnt lgkmcnt(0)
	v_fma_f64 v[2:3], v[138:139], v[118:119], v[2:3]
	ds_load_b64 v[118:119], v1 offset:880
	s_waitcnt vmcnt(0)
	v_fma_f64 v[2:3], v[122:123], v[120:121], v[2:3]
	s_waitcnt lgkmcnt(0)
	s_delay_alu instid0(VALU_DEP_1) | instskip(NEXT) | instid1(VALU_DEP_1)
	v_fma_f64 v[2:3], v[124:125], v[118:119], v[2:3]
	v_add_f64 v[2:3], v[116:117], -v[2:3]
	scratch_store_b64 off, v[2:3], off offset:312
	v_cmpx_lt_u32_e32 38, v0
	s_cbranch_execz .LBB54_263
; %bb.262:
	scratch_load_b64 v[3:4], off, off offset:304
	v_mov_b32_e32 v2, v1
	scratch_store_b64 off, v[1:2], off offset:304
	s_waitcnt vmcnt(0)
	ds_store_b64 v5, v[3:4]
.LBB54_263:
	s_or_b32 exec_lo, exec_lo, s0
	s_waitcnt lgkmcnt(0)
	s_waitcnt_vscnt null, 0x0
	s_barrier
	buffer_gl0_inv
	s_clause 0x4
	scratch_load_b128 v[116:119], off, off offset:304
	scratch_load_b128 v[120:123], off, off offset:320
	;; [unrolled: 1-line block ×5, first 2 shown]
	ds_load_2addr_b64 v[136:139], v1 offset0:95 offset1:96
	scratch_load_b128 v[140:143], off, off offset:384
	s_mov_b32 s0, exec_lo
	s_waitcnt vmcnt(5) lgkmcnt(0)
	v_fma_f64 v[2:3], v[118:119], v[136:137], 0
	s_waitcnt vmcnt(4)
	s_delay_alu instid0(VALU_DEP_1)
	v_fma_f64 v[2:3], v[120:121], v[138:139], v[2:3]
	scratch_load_b128 v[136:139], off, off offset:400
	ds_load_2addr_b64 v[118:121], v1 offset0:97 offset1:98
	s_waitcnt lgkmcnt(0)
	v_fma_f64 v[2:3], v[122:123], v[118:119], v[2:3]
	s_waitcnt vmcnt(4)
	s_delay_alu instid0(VALU_DEP_1)
	v_fma_f64 v[2:3], v[124:125], v[120:121], v[2:3]
	ds_load_2addr_b64 v[118:121], v1 offset0:99 offset1:100
	scratch_load_b128 v[122:125], off, off offset:416
	s_waitcnt lgkmcnt(0)
	v_fma_f64 v[2:3], v[126:127], v[118:119], v[2:3]
	scratch_load_b64 v[126:127], off, off offset:432
	s_waitcnt vmcnt(5)
	v_fma_f64 v[2:3], v[128:129], v[120:121], v[2:3]
	ds_load_2addr_b64 v[118:121], v1 offset0:101 offset1:102
	s_waitcnt lgkmcnt(0)
	v_fma_f64 v[2:3], v[130:131], v[118:119], v[2:3]
	s_waitcnt vmcnt(4)
	s_delay_alu instid0(VALU_DEP_1) | instskip(SKIP_4) | instid1(VALU_DEP_1)
	v_fma_f64 v[2:3], v[132:133], v[120:121], v[2:3]
	ds_load_2addr_b64 v[118:121], v1 offset0:103 offset1:104
	s_waitcnt lgkmcnt(0)
	v_fma_f64 v[2:3], v[134:135], v[118:119], v[2:3]
	s_waitcnt vmcnt(3)
	v_fma_f64 v[2:3], v[140:141], v[120:121], v[2:3]
	ds_load_2addr_b64 v[118:121], v1 offset0:105 offset1:106
	s_waitcnt lgkmcnt(0)
	v_fma_f64 v[2:3], v[142:143], v[118:119], v[2:3]
	s_waitcnt vmcnt(2)
	s_delay_alu instid0(VALU_DEP_1) | instskip(SKIP_4) | instid1(VALU_DEP_1)
	v_fma_f64 v[2:3], v[136:137], v[120:121], v[2:3]
	ds_load_2addr_b64 v[118:121], v1 offset0:107 offset1:108
	s_waitcnt lgkmcnt(0)
	v_fma_f64 v[2:3], v[138:139], v[118:119], v[2:3]
	s_waitcnt vmcnt(1)
	v_fma_f64 v[118:119], v[122:123], v[120:121], v[2:3]
	ds_load_2addr_b64 v[1:4], v1 offset0:109 offset1:110
	s_waitcnt lgkmcnt(0)
	v_fma_f64 v[1:2], v[124:125], v[1:2], v[118:119]
	s_waitcnt vmcnt(0)
	s_delay_alu instid0(VALU_DEP_1) | instskip(NEXT) | instid1(VALU_DEP_1)
	v_fma_f64 v[1:2], v[126:127], v[3:4], v[1:2]
	v_add_f64 v[1:2], v[116:117], -v[1:2]
	scratch_store_b64 off, v[1:2], off offset:304
	v_cmpx_lt_u32_e32 37, v0
	s_cbranch_execz .LBB54_265
; %bb.264:
	scratch_load_b64 v[1:2], off, off offset:296
	v_mov_b32_e32 v3, 0
	s_delay_alu instid0(VALU_DEP_1)
	v_mov_b32_e32 v4, v3
	scratch_store_b64 off, v[3:4], off offset:296
	s_waitcnt vmcnt(0)
	ds_store_b64 v5, v[1:2]
.LBB54_265:
	s_or_b32 exec_lo, exec_lo, s0
	s_waitcnt lgkmcnt(0)
	s_waitcnt_vscnt null, 0x0
	s_barrier
	buffer_gl0_inv
	s_clause 0x4
	scratch_load_b128 v[116:119], off, off offset:296
	scratch_load_b128 v[120:123], off, off offset:312
	;; [unrolled: 1-line block ×5, first 2 shown]
	v_mov_b32_e32 v1, 0
	scratch_load_b128 v[140:143], off, off offset:376
	s_mov_b32 s0, exec_lo
	ds_load_b128 v[136:139], v1 offset:752
	s_waitcnt vmcnt(5) lgkmcnt(0)
	v_fma_f64 v[2:3], v[118:119], v[136:137], 0
	s_waitcnt vmcnt(4)
	s_delay_alu instid0(VALU_DEP_1)
	v_fma_f64 v[2:3], v[120:121], v[138:139], v[2:3]
	scratch_load_b128 v[136:139], off, off offset:392
	ds_load_b128 v[118:121], v1 offset:768
	s_waitcnt lgkmcnt(0)
	v_fma_f64 v[2:3], v[122:123], v[118:119], v[2:3]
	s_waitcnt vmcnt(4)
	s_delay_alu instid0(VALU_DEP_1)
	v_fma_f64 v[2:3], v[124:125], v[120:121], v[2:3]
	ds_load_b128 v[118:121], v1 offset:784
	scratch_load_b128 v[122:125], off, off offset:408
	s_waitcnt lgkmcnt(0)
	v_fma_f64 v[2:3], v[126:127], v[118:119], v[2:3]
	s_waitcnt vmcnt(4)
	s_delay_alu instid0(VALU_DEP_1)
	v_fma_f64 v[2:3], v[128:129], v[120:121], v[2:3]
	scratch_load_b128 v[126:129], off, off offset:424
	ds_load_b128 v[118:121], v1 offset:800
	s_waitcnt lgkmcnt(0)
	v_fma_f64 v[2:3], v[130:131], v[118:119], v[2:3]
	s_waitcnt vmcnt(4)
	s_delay_alu instid0(VALU_DEP_1) | instskip(SKIP_4) | instid1(VALU_DEP_1)
	v_fma_f64 v[2:3], v[132:133], v[120:121], v[2:3]
	ds_load_b128 v[118:121], v1 offset:816
	s_waitcnt lgkmcnt(0)
	v_fma_f64 v[2:3], v[134:135], v[118:119], v[2:3]
	s_waitcnt vmcnt(3)
	v_fma_f64 v[2:3], v[140:141], v[120:121], v[2:3]
	ds_load_b128 v[118:121], v1 offset:832
	s_waitcnt lgkmcnt(0)
	v_fma_f64 v[2:3], v[142:143], v[118:119], v[2:3]
	s_waitcnt vmcnt(2)
	s_delay_alu instid0(VALU_DEP_1) | instskip(SKIP_4) | instid1(VALU_DEP_1)
	v_fma_f64 v[2:3], v[136:137], v[120:121], v[2:3]
	ds_load_b128 v[118:121], v1 offset:848
	s_waitcnt lgkmcnt(0)
	v_fma_f64 v[2:3], v[138:139], v[118:119], v[2:3]
	s_waitcnt vmcnt(1)
	v_fma_f64 v[2:3], v[122:123], v[120:121], v[2:3]
	ds_load_b128 v[118:121], v1 offset:864
	s_waitcnt lgkmcnt(0)
	v_fma_f64 v[2:3], v[124:125], v[118:119], v[2:3]
	ds_load_b64 v[118:119], v1 offset:880
	s_waitcnt vmcnt(0)
	v_fma_f64 v[2:3], v[126:127], v[120:121], v[2:3]
	s_waitcnt lgkmcnt(0)
	s_delay_alu instid0(VALU_DEP_1) | instskip(NEXT) | instid1(VALU_DEP_1)
	v_fma_f64 v[2:3], v[128:129], v[118:119], v[2:3]
	v_add_f64 v[2:3], v[116:117], -v[2:3]
	scratch_store_b64 off, v[2:3], off offset:296
	v_cmpx_lt_u32_e32 36, v0
	s_cbranch_execz .LBB54_267
; %bb.266:
	scratch_load_b64 v[3:4], off, off offset:288
	v_mov_b32_e32 v2, v1
	scratch_store_b64 off, v[1:2], off offset:288
	s_waitcnt vmcnt(0)
	ds_store_b64 v5, v[3:4]
.LBB54_267:
	s_or_b32 exec_lo, exec_lo, s0
	s_waitcnt lgkmcnt(0)
	s_waitcnt_vscnt null, 0x0
	s_barrier
	buffer_gl0_inv
	s_clause 0x4
	scratch_load_b128 v[116:119], off, off offset:288
	scratch_load_b128 v[120:123], off, off offset:304
	;; [unrolled: 1-line block ×5, first 2 shown]
	ds_load_2addr_b64 v[136:139], v1 offset0:93 offset1:94
	scratch_load_b128 v[140:143], off, off offset:368
	s_mov_b32 s0, exec_lo
	s_waitcnt vmcnt(5) lgkmcnt(0)
	v_fma_f64 v[2:3], v[118:119], v[136:137], 0
	s_waitcnt vmcnt(4)
	s_delay_alu instid0(VALU_DEP_1)
	v_fma_f64 v[2:3], v[120:121], v[138:139], v[2:3]
	scratch_load_b128 v[136:139], off, off offset:384
	ds_load_2addr_b64 v[118:121], v1 offset0:95 offset1:96
	s_waitcnt lgkmcnt(0)
	v_fma_f64 v[2:3], v[122:123], v[118:119], v[2:3]
	s_waitcnt vmcnt(4)
	s_delay_alu instid0(VALU_DEP_1)
	v_fma_f64 v[2:3], v[124:125], v[120:121], v[2:3]
	ds_load_2addr_b64 v[118:121], v1 offset0:97 offset1:98
	scratch_load_b128 v[122:125], off, off offset:400
	s_waitcnt lgkmcnt(0)
	v_fma_f64 v[2:3], v[126:127], v[118:119], v[2:3]
	s_waitcnt vmcnt(4)
	s_delay_alu instid0(VALU_DEP_1)
	v_fma_f64 v[2:3], v[128:129], v[120:121], v[2:3]
	scratch_load_b128 v[126:129], off, off offset:416
	ds_load_2addr_b64 v[118:121], v1 offset0:99 offset1:100
	s_waitcnt lgkmcnt(0)
	v_fma_f64 v[2:3], v[130:131], v[118:119], v[2:3]
	scratch_load_b64 v[130:131], off, off offset:432
	s_waitcnt vmcnt(5)
	v_fma_f64 v[2:3], v[132:133], v[120:121], v[2:3]
	ds_load_2addr_b64 v[118:121], v1 offset0:101 offset1:102
	s_waitcnt lgkmcnt(0)
	v_fma_f64 v[2:3], v[134:135], v[118:119], v[2:3]
	s_waitcnt vmcnt(4)
	s_delay_alu instid0(VALU_DEP_1) | instskip(SKIP_4) | instid1(VALU_DEP_1)
	v_fma_f64 v[2:3], v[140:141], v[120:121], v[2:3]
	ds_load_2addr_b64 v[118:121], v1 offset0:103 offset1:104
	s_waitcnt lgkmcnt(0)
	v_fma_f64 v[2:3], v[142:143], v[118:119], v[2:3]
	s_waitcnt vmcnt(3)
	v_fma_f64 v[2:3], v[136:137], v[120:121], v[2:3]
	ds_load_2addr_b64 v[118:121], v1 offset0:105 offset1:106
	s_waitcnt lgkmcnt(0)
	v_fma_f64 v[2:3], v[138:139], v[118:119], v[2:3]
	s_waitcnt vmcnt(2)
	s_delay_alu instid0(VALU_DEP_1) | instskip(SKIP_4) | instid1(VALU_DEP_1)
	v_fma_f64 v[2:3], v[122:123], v[120:121], v[2:3]
	ds_load_2addr_b64 v[118:121], v1 offset0:107 offset1:108
	s_waitcnt lgkmcnt(0)
	v_fma_f64 v[2:3], v[124:125], v[118:119], v[2:3]
	s_waitcnt vmcnt(1)
	v_fma_f64 v[118:119], v[126:127], v[120:121], v[2:3]
	ds_load_2addr_b64 v[1:4], v1 offset0:109 offset1:110
	s_waitcnt lgkmcnt(0)
	v_fma_f64 v[1:2], v[128:129], v[1:2], v[118:119]
	s_waitcnt vmcnt(0)
	s_delay_alu instid0(VALU_DEP_1) | instskip(NEXT) | instid1(VALU_DEP_1)
	v_fma_f64 v[1:2], v[130:131], v[3:4], v[1:2]
	v_add_f64 v[1:2], v[116:117], -v[1:2]
	scratch_store_b64 off, v[1:2], off offset:288
	v_cmpx_lt_u32_e32 35, v0
	s_cbranch_execz .LBB54_269
; %bb.268:
	scratch_load_b64 v[1:2], off, off offset:280
	v_mov_b32_e32 v3, 0
	s_delay_alu instid0(VALU_DEP_1)
	v_mov_b32_e32 v4, v3
	scratch_store_b64 off, v[3:4], off offset:280
	s_waitcnt vmcnt(0)
	ds_store_b64 v5, v[1:2]
.LBB54_269:
	s_or_b32 exec_lo, exec_lo, s0
	s_waitcnt lgkmcnt(0)
	s_waitcnt_vscnt null, 0x0
	s_barrier
	buffer_gl0_inv
	s_clause 0x4
	scratch_load_b128 v[116:119], off, off offset:280
	scratch_load_b128 v[120:123], off, off offset:296
	;; [unrolled: 1-line block ×5, first 2 shown]
	v_mov_b32_e32 v1, 0
	scratch_load_b128 v[140:143], off, off offset:360
	s_mov_b32 s0, exec_lo
	ds_load_b128 v[136:139], v1 offset:736
	s_waitcnt vmcnt(5) lgkmcnt(0)
	v_fma_f64 v[2:3], v[118:119], v[136:137], 0
	s_waitcnt vmcnt(4)
	s_delay_alu instid0(VALU_DEP_1)
	v_fma_f64 v[2:3], v[120:121], v[138:139], v[2:3]
	scratch_load_b128 v[136:139], off, off offset:376
	ds_load_b128 v[118:121], v1 offset:752
	s_waitcnt lgkmcnt(0)
	v_fma_f64 v[2:3], v[122:123], v[118:119], v[2:3]
	s_waitcnt vmcnt(4)
	s_delay_alu instid0(VALU_DEP_1)
	v_fma_f64 v[2:3], v[124:125], v[120:121], v[2:3]
	ds_load_b128 v[118:121], v1 offset:768
	scratch_load_b128 v[122:125], off, off offset:392
	s_waitcnt lgkmcnt(0)
	v_fma_f64 v[2:3], v[126:127], v[118:119], v[2:3]
	s_waitcnt vmcnt(4)
	s_delay_alu instid0(VALU_DEP_1)
	v_fma_f64 v[2:3], v[128:129], v[120:121], v[2:3]
	scratch_load_b128 v[126:129], off, off offset:408
	ds_load_b128 v[118:121], v1 offset:784
	s_waitcnt lgkmcnt(0)
	v_fma_f64 v[2:3], v[130:131], v[118:119], v[2:3]
	s_waitcnt vmcnt(4)
	s_delay_alu instid0(VALU_DEP_1)
	v_fma_f64 v[2:3], v[132:133], v[120:121], v[2:3]
	ds_load_b128 v[118:121], v1 offset:800
	scratch_load_b128 v[130:133], off, off offset:424
	s_waitcnt lgkmcnt(0)
	v_fma_f64 v[2:3], v[134:135], v[118:119], v[2:3]
	s_waitcnt vmcnt(4)
	s_delay_alu instid0(VALU_DEP_1) | instskip(SKIP_4) | instid1(VALU_DEP_1)
	v_fma_f64 v[2:3], v[140:141], v[120:121], v[2:3]
	ds_load_b128 v[118:121], v1 offset:816
	s_waitcnt lgkmcnt(0)
	v_fma_f64 v[2:3], v[142:143], v[118:119], v[2:3]
	s_waitcnt vmcnt(3)
	v_fma_f64 v[2:3], v[136:137], v[120:121], v[2:3]
	ds_load_b128 v[118:121], v1 offset:832
	s_waitcnt lgkmcnt(0)
	v_fma_f64 v[2:3], v[138:139], v[118:119], v[2:3]
	s_waitcnt vmcnt(2)
	s_delay_alu instid0(VALU_DEP_1) | instskip(SKIP_4) | instid1(VALU_DEP_1)
	v_fma_f64 v[2:3], v[122:123], v[120:121], v[2:3]
	ds_load_b128 v[118:121], v1 offset:848
	s_waitcnt lgkmcnt(0)
	v_fma_f64 v[2:3], v[124:125], v[118:119], v[2:3]
	s_waitcnt vmcnt(1)
	v_fma_f64 v[2:3], v[126:127], v[120:121], v[2:3]
	ds_load_b128 v[118:121], v1 offset:864
	s_waitcnt lgkmcnt(0)
	v_fma_f64 v[2:3], v[128:129], v[118:119], v[2:3]
	ds_load_b64 v[118:119], v1 offset:880
	s_waitcnt vmcnt(0)
	v_fma_f64 v[2:3], v[130:131], v[120:121], v[2:3]
	s_waitcnt lgkmcnt(0)
	s_delay_alu instid0(VALU_DEP_1) | instskip(NEXT) | instid1(VALU_DEP_1)
	v_fma_f64 v[2:3], v[132:133], v[118:119], v[2:3]
	v_add_f64 v[2:3], v[116:117], -v[2:3]
	scratch_store_b64 off, v[2:3], off offset:280
	v_cmpx_lt_u32_e32 34, v0
	s_cbranch_execz .LBB54_271
; %bb.270:
	scratch_load_b64 v[3:4], off, off offset:272
	v_mov_b32_e32 v2, v1
	scratch_store_b64 off, v[1:2], off offset:272
	s_waitcnt vmcnt(0)
	ds_store_b64 v5, v[3:4]
.LBB54_271:
	s_or_b32 exec_lo, exec_lo, s0
	s_waitcnt lgkmcnt(0)
	s_waitcnt_vscnt null, 0x0
	s_barrier
	buffer_gl0_inv
	s_clause 0x4
	scratch_load_b128 v[116:119], off, off offset:272
	scratch_load_b128 v[120:123], off, off offset:288
	;; [unrolled: 1-line block ×5, first 2 shown]
	ds_load_2addr_b64 v[136:139], v1 offset0:91 offset1:92
	scratch_load_b128 v[140:143], off, off offset:352
	s_mov_b32 s0, exec_lo
	s_waitcnt vmcnt(5) lgkmcnt(0)
	v_fma_f64 v[2:3], v[118:119], v[136:137], 0
	s_waitcnt vmcnt(4)
	s_delay_alu instid0(VALU_DEP_1)
	v_fma_f64 v[2:3], v[120:121], v[138:139], v[2:3]
	scratch_load_b128 v[136:139], off, off offset:368
	ds_load_2addr_b64 v[118:121], v1 offset0:93 offset1:94
	s_waitcnt lgkmcnt(0)
	v_fma_f64 v[2:3], v[122:123], v[118:119], v[2:3]
	s_waitcnt vmcnt(4)
	s_delay_alu instid0(VALU_DEP_1)
	v_fma_f64 v[2:3], v[124:125], v[120:121], v[2:3]
	ds_load_2addr_b64 v[118:121], v1 offset0:95 offset1:96
	scratch_load_b128 v[122:125], off, off offset:384
	s_waitcnt lgkmcnt(0)
	v_fma_f64 v[2:3], v[126:127], v[118:119], v[2:3]
	s_waitcnt vmcnt(4)
	s_delay_alu instid0(VALU_DEP_1)
	v_fma_f64 v[2:3], v[128:129], v[120:121], v[2:3]
	scratch_load_b128 v[126:129], off, off offset:400
	ds_load_2addr_b64 v[118:121], v1 offset0:97 offset1:98
	s_waitcnt lgkmcnt(0)
	v_fma_f64 v[2:3], v[130:131], v[118:119], v[2:3]
	s_waitcnt vmcnt(4)
	s_delay_alu instid0(VALU_DEP_1)
	v_fma_f64 v[2:3], v[132:133], v[120:121], v[2:3]
	ds_load_2addr_b64 v[118:121], v1 offset0:99 offset1:100
	scratch_load_b128 v[130:133], off, off offset:416
	s_waitcnt lgkmcnt(0)
	v_fma_f64 v[2:3], v[134:135], v[118:119], v[2:3]
	scratch_load_b64 v[134:135], off, off offset:432
	s_waitcnt vmcnt(5)
	v_fma_f64 v[2:3], v[140:141], v[120:121], v[2:3]
	ds_load_2addr_b64 v[118:121], v1 offset0:101 offset1:102
	s_waitcnt lgkmcnt(0)
	v_fma_f64 v[2:3], v[142:143], v[118:119], v[2:3]
	s_waitcnt vmcnt(4)
	s_delay_alu instid0(VALU_DEP_1) | instskip(SKIP_4) | instid1(VALU_DEP_1)
	v_fma_f64 v[2:3], v[136:137], v[120:121], v[2:3]
	ds_load_2addr_b64 v[118:121], v1 offset0:103 offset1:104
	s_waitcnt lgkmcnt(0)
	v_fma_f64 v[2:3], v[138:139], v[118:119], v[2:3]
	s_waitcnt vmcnt(3)
	v_fma_f64 v[2:3], v[122:123], v[120:121], v[2:3]
	ds_load_2addr_b64 v[118:121], v1 offset0:105 offset1:106
	s_waitcnt lgkmcnt(0)
	v_fma_f64 v[2:3], v[124:125], v[118:119], v[2:3]
	s_waitcnt vmcnt(2)
	s_delay_alu instid0(VALU_DEP_1) | instskip(SKIP_4) | instid1(VALU_DEP_1)
	v_fma_f64 v[2:3], v[126:127], v[120:121], v[2:3]
	ds_load_2addr_b64 v[118:121], v1 offset0:107 offset1:108
	s_waitcnt lgkmcnt(0)
	v_fma_f64 v[2:3], v[128:129], v[118:119], v[2:3]
	s_waitcnt vmcnt(1)
	v_fma_f64 v[118:119], v[130:131], v[120:121], v[2:3]
	ds_load_2addr_b64 v[1:4], v1 offset0:109 offset1:110
	s_waitcnt lgkmcnt(0)
	v_fma_f64 v[1:2], v[132:133], v[1:2], v[118:119]
	s_waitcnt vmcnt(0)
	s_delay_alu instid0(VALU_DEP_1) | instskip(NEXT) | instid1(VALU_DEP_1)
	v_fma_f64 v[1:2], v[134:135], v[3:4], v[1:2]
	v_add_f64 v[1:2], v[116:117], -v[1:2]
	scratch_store_b64 off, v[1:2], off offset:272
	v_cmpx_lt_u32_e32 33, v0
	s_cbranch_execz .LBB54_273
; %bb.272:
	scratch_load_b64 v[1:2], off, off offset:264
	v_mov_b32_e32 v3, 0
	s_delay_alu instid0(VALU_DEP_1)
	v_mov_b32_e32 v4, v3
	scratch_store_b64 off, v[3:4], off offset:264
	s_waitcnt vmcnt(0)
	ds_store_b64 v5, v[1:2]
.LBB54_273:
	s_or_b32 exec_lo, exec_lo, s0
	s_waitcnt lgkmcnt(0)
	s_waitcnt_vscnt null, 0x0
	s_barrier
	buffer_gl0_inv
	s_clause 0x4
	scratch_load_b128 v[116:119], off, off offset:264
	scratch_load_b128 v[120:123], off, off offset:280
	scratch_load_b128 v[124:127], off, off offset:296
	scratch_load_b128 v[128:131], off, off offset:312
	scratch_load_b128 v[132:135], off, off offset:328
	v_mov_b32_e32 v1, 0
	scratch_load_b128 v[140:143], off, off offset:344
	s_mov_b32 s0, exec_lo
	ds_load_b128 v[136:139], v1 offset:720
	s_waitcnt vmcnt(5) lgkmcnt(0)
	v_fma_f64 v[2:3], v[118:119], v[136:137], 0
	s_waitcnt vmcnt(4)
	s_delay_alu instid0(VALU_DEP_1)
	v_fma_f64 v[2:3], v[120:121], v[138:139], v[2:3]
	scratch_load_b128 v[136:139], off, off offset:360
	ds_load_b128 v[118:121], v1 offset:736
	s_waitcnt lgkmcnt(0)
	v_fma_f64 v[2:3], v[122:123], v[118:119], v[2:3]
	s_waitcnt vmcnt(4)
	s_delay_alu instid0(VALU_DEP_1)
	v_fma_f64 v[2:3], v[124:125], v[120:121], v[2:3]
	ds_load_b128 v[118:121], v1 offset:752
	scratch_load_b128 v[122:125], off, off offset:376
	s_waitcnt lgkmcnt(0)
	v_fma_f64 v[2:3], v[126:127], v[118:119], v[2:3]
	s_waitcnt vmcnt(4)
	s_delay_alu instid0(VALU_DEP_1)
	v_fma_f64 v[2:3], v[128:129], v[120:121], v[2:3]
	scratch_load_b128 v[126:129], off, off offset:392
	ds_load_b128 v[118:121], v1 offset:768
	s_waitcnt lgkmcnt(0)
	v_fma_f64 v[2:3], v[130:131], v[118:119], v[2:3]
	s_waitcnt vmcnt(4)
	s_delay_alu instid0(VALU_DEP_1)
	v_fma_f64 v[2:3], v[132:133], v[120:121], v[2:3]
	ds_load_b128 v[118:121], v1 offset:784
	scratch_load_b128 v[130:133], off, off offset:408
	s_waitcnt lgkmcnt(0)
	v_fma_f64 v[2:3], v[134:135], v[118:119], v[2:3]
	s_waitcnt vmcnt(4)
	s_delay_alu instid0(VALU_DEP_1)
	v_fma_f64 v[2:3], v[140:141], v[120:121], v[2:3]
	ds_load_b128 v[118:121], v1 offset:800
	s_waitcnt lgkmcnt(0)
	v_fma_f64 v[2:3], v[142:143], v[118:119], v[2:3]
	scratch_load_b128 v[140:143], off, off offset:424
	s_waitcnt vmcnt(4)
	v_fma_f64 v[2:3], v[136:137], v[120:121], v[2:3]
	ds_load_b128 v[118:121], v1 offset:816
	s_waitcnt lgkmcnt(0)
	v_fma_f64 v[2:3], v[138:139], v[118:119], v[2:3]
	s_waitcnt vmcnt(3)
	s_delay_alu instid0(VALU_DEP_1) | instskip(SKIP_4) | instid1(VALU_DEP_1)
	v_fma_f64 v[2:3], v[122:123], v[120:121], v[2:3]
	ds_load_b128 v[118:121], v1 offset:832
	s_waitcnt lgkmcnt(0)
	v_fma_f64 v[2:3], v[124:125], v[118:119], v[2:3]
	s_waitcnt vmcnt(2)
	v_fma_f64 v[2:3], v[126:127], v[120:121], v[2:3]
	ds_load_b128 v[118:121], v1 offset:848
	s_waitcnt lgkmcnt(0)
	v_fma_f64 v[2:3], v[128:129], v[118:119], v[2:3]
	s_waitcnt vmcnt(1)
	s_delay_alu instid0(VALU_DEP_1)
	v_fma_f64 v[2:3], v[130:131], v[120:121], v[2:3]
	ds_load_b128 v[118:121], v1 offset:864
	s_waitcnt lgkmcnt(0)
	v_fma_f64 v[2:3], v[132:133], v[118:119], v[2:3]
	ds_load_b64 v[118:119], v1 offset:880
	s_waitcnt vmcnt(0)
	v_fma_f64 v[2:3], v[140:141], v[120:121], v[2:3]
	s_waitcnt lgkmcnt(0)
	s_delay_alu instid0(VALU_DEP_1) | instskip(NEXT) | instid1(VALU_DEP_1)
	v_fma_f64 v[2:3], v[142:143], v[118:119], v[2:3]
	v_add_f64 v[2:3], v[116:117], -v[2:3]
	scratch_store_b64 off, v[2:3], off offset:264
	v_cmpx_lt_u32_e32 32, v0
	s_cbranch_execz .LBB54_275
; %bb.274:
	scratch_load_b64 v[3:4], off, off offset:256
	v_mov_b32_e32 v2, v1
	scratch_store_b64 off, v[1:2], off offset:256
	s_waitcnt vmcnt(0)
	ds_store_b64 v5, v[3:4]
.LBB54_275:
	s_or_b32 exec_lo, exec_lo, s0
	s_waitcnt lgkmcnt(0)
	s_waitcnt_vscnt null, 0x0
	s_barrier
	buffer_gl0_inv
	s_clause 0x4
	scratch_load_b128 v[116:119], off, off offset:256
	scratch_load_b128 v[120:123], off, off offset:272
	scratch_load_b128 v[124:127], off, off offset:288
	scratch_load_b128 v[128:131], off, off offset:304
	scratch_load_b128 v[132:135], off, off offset:320
	ds_load_2addr_b64 v[136:139], v1 offset0:89 offset1:90
	scratch_load_b128 v[140:143], off, off offset:336
	s_mov_b32 s0, exec_lo
	s_waitcnt vmcnt(5) lgkmcnt(0)
	v_fma_f64 v[2:3], v[118:119], v[136:137], 0
	s_waitcnt vmcnt(4)
	s_delay_alu instid0(VALU_DEP_1)
	v_fma_f64 v[2:3], v[120:121], v[138:139], v[2:3]
	scratch_load_b128 v[136:139], off, off offset:352
	ds_load_2addr_b64 v[118:121], v1 offset0:91 offset1:92
	s_waitcnt lgkmcnt(0)
	v_fma_f64 v[2:3], v[122:123], v[118:119], v[2:3]
	s_waitcnt vmcnt(4)
	s_delay_alu instid0(VALU_DEP_1)
	v_fma_f64 v[2:3], v[124:125], v[120:121], v[2:3]
	ds_load_2addr_b64 v[118:121], v1 offset0:93 offset1:94
	scratch_load_b128 v[122:125], off, off offset:368
	s_waitcnt lgkmcnt(0)
	v_fma_f64 v[2:3], v[126:127], v[118:119], v[2:3]
	s_waitcnt vmcnt(4)
	s_delay_alu instid0(VALU_DEP_1)
	v_fma_f64 v[2:3], v[128:129], v[120:121], v[2:3]
	scratch_load_b128 v[126:129], off, off offset:384
	ds_load_2addr_b64 v[118:121], v1 offset0:95 offset1:96
	s_waitcnt lgkmcnt(0)
	v_fma_f64 v[2:3], v[130:131], v[118:119], v[2:3]
	s_waitcnt vmcnt(4)
	s_delay_alu instid0(VALU_DEP_1)
	v_fma_f64 v[2:3], v[132:133], v[120:121], v[2:3]
	ds_load_2addr_b64 v[118:121], v1 offset0:97 offset1:98
	scratch_load_b128 v[130:133], off, off offset:400
	s_waitcnt lgkmcnt(0)
	v_fma_f64 v[2:3], v[134:135], v[118:119], v[2:3]
	scratch_load_b64 v[134:135], off, off offset:432
	s_waitcnt vmcnt(5)
	v_fma_f64 v[2:3], v[140:141], v[120:121], v[2:3]
	ds_load_2addr_b64 v[118:121], v1 offset0:99 offset1:100
	s_waitcnt lgkmcnt(0)
	v_fma_f64 v[2:3], v[142:143], v[118:119], v[2:3]
	scratch_load_b128 v[140:143], off, off offset:416
	s_waitcnt vmcnt(5)
	v_fma_f64 v[2:3], v[136:137], v[120:121], v[2:3]
	ds_load_2addr_b64 v[118:121], v1 offset0:101 offset1:102
	s_waitcnt lgkmcnt(0)
	v_fma_f64 v[2:3], v[138:139], v[118:119], v[2:3]
	s_waitcnt vmcnt(4)
	s_delay_alu instid0(VALU_DEP_1) | instskip(SKIP_4) | instid1(VALU_DEP_1)
	v_fma_f64 v[2:3], v[122:123], v[120:121], v[2:3]
	ds_load_2addr_b64 v[118:121], v1 offset0:103 offset1:104
	s_waitcnt lgkmcnt(0)
	v_fma_f64 v[2:3], v[124:125], v[118:119], v[2:3]
	s_waitcnt vmcnt(3)
	v_fma_f64 v[2:3], v[126:127], v[120:121], v[2:3]
	ds_load_2addr_b64 v[118:121], v1 offset0:105 offset1:106
	s_waitcnt lgkmcnt(0)
	v_fma_f64 v[2:3], v[128:129], v[118:119], v[2:3]
	s_waitcnt vmcnt(2)
	s_delay_alu instid0(VALU_DEP_1) | instskip(SKIP_4) | instid1(VALU_DEP_1)
	v_fma_f64 v[2:3], v[130:131], v[120:121], v[2:3]
	ds_load_2addr_b64 v[118:121], v1 offset0:107 offset1:108
	s_waitcnt lgkmcnt(0)
	v_fma_f64 v[2:3], v[132:133], v[118:119], v[2:3]
	s_waitcnt vmcnt(0)
	v_fma_f64 v[118:119], v[140:141], v[120:121], v[2:3]
	ds_load_2addr_b64 v[1:4], v1 offset0:109 offset1:110
	s_waitcnt lgkmcnt(0)
	v_fma_f64 v[1:2], v[142:143], v[1:2], v[118:119]
	s_delay_alu instid0(VALU_DEP_1) | instskip(NEXT) | instid1(VALU_DEP_1)
	v_fma_f64 v[1:2], v[134:135], v[3:4], v[1:2]
	v_add_f64 v[1:2], v[116:117], -v[1:2]
	scratch_store_b64 off, v[1:2], off offset:256
	v_cmpx_lt_u32_e32 31, v0
	s_cbranch_execz .LBB54_277
; %bb.276:
	scratch_load_b64 v[1:2], off, off offset:248
	v_mov_b32_e32 v3, 0
	s_delay_alu instid0(VALU_DEP_1)
	v_mov_b32_e32 v4, v3
	scratch_store_b64 off, v[3:4], off offset:248
	s_waitcnt vmcnt(0)
	ds_store_b64 v5, v[1:2]
.LBB54_277:
	s_or_b32 exec_lo, exec_lo, s0
	s_waitcnt lgkmcnt(0)
	s_waitcnt_vscnt null, 0x0
	s_barrier
	buffer_gl0_inv
	s_clause 0x4
	scratch_load_b128 v[116:119], off, off offset:248
	scratch_load_b128 v[120:123], off, off offset:264
	;; [unrolled: 1-line block ×5, first 2 shown]
	v_mov_b32_e32 v1, 0
	scratch_load_b128 v[140:143], off, off offset:328
	s_mov_b32 s0, exec_lo
	ds_load_b128 v[136:139], v1 offset:704
	s_waitcnt vmcnt(5) lgkmcnt(0)
	v_fma_f64 v[2:3], v[118:119], v[136:137], 0
	s_waitcnt vmcnt(4)
	s_delay_alu instid0(VALU_DEP_1)
	v_fma_f64 v[2:3], v[120:121], v[138:139], v[2:3]
	scratch_load_b128 v[136:139], off, off offset:344
	ds_load_b128 v[118:121], v1 offset:720
	s_waitcnt lgkmcnt(0)
	v_fma_f64 v[2:3], v[122:123], v[118:119], v[2:3]
	s_waitcnt vmcnt(4)
	s_delay_alu instid0(VALU_DEP_1)
	v_fma_f64 v[2:3], v[124:125], v[120:121], v[2:3]
	ds_load_b128 v[118:121], v1 offset:736
	scratch_load_b128 v[122:125], off, off offset:360
	s_waitcnt lgkmcnt(0)
	v_fma_f64 v[2:3], v[126:127], v[118:119], v[2:3]
	s_waitcnt vmcnt(4)
	s_delay_alu instid0(VALU_DEP_1)
	v_fma_f64 v[2:3], v[128:129], v[120:121], v[2:3]
	scratch_load_b128 v[126:129], off, off offset:376
	ds_load_b128 v[118:121], v1 offset:752
	s_waitcnt lgkmcnt(0)
	v_fma_f64 v[2:3], v[130:131], v[118:119], v[2:3]
	s_waitcnt vmcnt(4)
	s_delay_alu instid0(VALU_DEP_1)
	v_fma_f64 v[2:3], v[132:133], v[120:121], v[2:3]
	ds_load_b128 v[118:121], v1 offset:768
	scratch_load_b128 v[130:133], off, off offset:392
	s_waitcnt lgkmcnt(0)
	v_fma_f64 v[2:3], v[134:135], v[118:119], v[2:3]
	s_waitcnt vmcnt(4)
	s_delay_alu instid0(VALU_DEP_1)
	v_fma_f64 v[2:3], v[140:141], v[120:121], v[2:3]
	ds_load_b128 v[118:121], v1 offset:784
	s_waitcnt lgkmcnt(0)
	v_fma_f64 v[2:3], v[142:143], v[118:119], v[2:3]
	scratch_load_b128 v[140:143], off, off offset:408
	s_waitcnt vmcnt(4)
	v_fma_f64 v[2:3], v[136:137], v[120:121], v[2:3]
	ds_load_b128 v[118:121], v1 offset:800
	scratch_load_b128 v[134:137], off, off offset:424
	s_waitcnt lgkmcnt(0)
	v_fma_f64 v[2:3], v[138:139], v[118:119], v[2:3]
	s_waitcnt vmcnt(4)
	s_delay_alu instid0(VALU_DEP_1) | instskip(SKIP_4) | instid1(VALU_DEP_1)
	v_fma_f64 v[2:3], v[122:123], v[120:121], v[2:3]
	ds_load_b128 v[118:121], v1 offset:816
	s_waitcnt lgkmcnt(0)
	v_fma_f64 v[2:3], v[124:125], v[118:119], v[2:3]
	s_waitcnt vmcnt(3)
	v_fma_f64 v[2:3], v[126:127], v[120:121], v[2:3]
	ds_load_b128 v[118:121], v1 offset:832
	s_waitcnt lgkmcnt(0)
	v_fma_f64 v[2:3], v[128:129], v[118:119], v[2:3]
	s_waitcnt vmcnt(2)
	s_delay_alu instid0(VALU_DEP_1) | instskip(SKIP_4) | instid1(VALU_DEP_1)
	v_fma_f64 v[2:3], v[130:131], v[120:121], v[2:3]
	ds_load_b128 v[118:121], v1 offset:848
	s_waitcnt lgkmcnt(0)
	v_fma_f64 v[2:3], v[132:133], v[118:119], v[2:3]
	s_waitcnt vmcnt(1)
	v_fma_f64 v[2:3], v[140:141], v[120:121], v[2:3]
	ds_load_b128 v[118:121], v1 offset:864
	s_waitcnt lgkmcnt(0)
	v_fma_f64 v[2:3], v[142:143], v[118:119], v[2:3]
	ds_load_b64 v[118:119], v1 offset:880
	s_waitcnt vmcnt(0)
	v_fma_f64 v[2:3], v[134:135], v[120:121], v[2:3]
	s_waitcnt lgkmcnt(0)
	s_delay_alu instid0(VALU_DEP_1) | instskip(NEXT) | instid1(VALU_DEP_1)
	v_fma_f64 v[2:3], v[136:137], v[118:119], v[2:3]
	v_add_f64 v[2:3], v[116:117], -v[2:3]
	scratch_store_b64 off, v[2:3], off offset:248
	v_cmpx_lt_u32_e32 30, v0
	s_cbranch_execz .LBB54_279
; %bb.278:
	scratch_load_b64 v[3:4], off, off offset:240
	v_mov_b32_e32 v2, v1
	scratch_store_b64 off, v[1:2], off offset:240
	s_waitcnt vmcnt(0)
	ds_store_b64 v5, v[3:4]
.LBB54_279:
	s_or_b32 exec_lo, exec_lo, s0
	s_waitcnt lgkmcnt(0)
	s_waitcnt_vscnt null, 0x0
	s_barrier
	buffer_gl0_inv
	s_clause 0x4
	scratch_load_b128 v[116:119], off, off offset:240
	scratch_load_b128 v[120:123], off, off offset:256
	;; [unrolled: 1-line block ×5, first 2 shown]
	ds_load_2addr_b64 v[136:139], v1 offset0:87 offset1:88
	scratch_load_b128 v[140:143], off, off offset:320
	s_mov_b32 s0, exec_lo
	s_waitcnt vmcnt(5) lgkmcnt(0)
	v_fma_f64 v[2:3], v[118:119], v[136:137], 0
	s_waitcnt vmcnt(4)
	s_delay_alu instid0(VALU_DEP_1)
	v_fma_f64 v[2:3], v[120:121], v[138:139], v[2:3]
	scratch_load_b128 v[136:139], off, off offset:336
	ds_load_2addr_b64 v[118:121], v1 offset0:89 offset1:90
	s_waitcnt lgkmcnt(0)
	v_fma_f64 v[2:3], v[122:123], v[118:119], v[2:3]
	s_waitcnt vmcnt(4)
	s_delay_alu instid0(VALU_DEP_1)
	v_fma_f64 v[2:3], v[124:125], v[120:121], v[2:3]
	ds_load_2addr_b64 v[118:121], v1 offset0:91 offset1:92
	scratch_load_b128 v[122:125], off, off offset:352
	s_waitcnt lgkmcnt(0)
	v_fma_f64 v[2:3], v[126:127], v[118:119], v[2:3]
	s_waitcnt vmcnt(4)
	s_delay_alu instid0(VALU_DEP_1)
	v_fma_f64 v[2:3], v[128:129], v[120:121], v[2:3]
	scratch_load_b128 v[126:129], off, off offset:368
	ds_load_2addr_b64 v[118:121], v1 offset0:93 offset1:94
	s_waitcnt lgkmcnt(0)
	v_fma_f64 v[2:3], v[130:131], v[118:119], v[2:3]
	s_waitcnt vmcnt(4)
	s_delay_alu instid0(VALU_DEP_1)
	v_fma_f64 v[2:3], v[132:133], v[120:121], v[2:3]
	ds_load_2addr_b64 v[118:121], v1 offset0:95 offset1:96
	scratch_load_b128 v[130:133], off, off offset:384
	s_waitcnt lgkmcnt(0)
	v_fma_f64 v[2:3], v[134:135], v[118:119], v[2:3]
	s_waitcnt vmcnt(4)
	s_delay_alu instid0(VALU_DEP_1)
	v_fma_f64 v[2:3], v[140:141], v[120:121], v[2:3]
	ds_load_2addr_b64 v[118:121], v1 offset0:97 offset1:98
	s_waitcnt lgkmcnt(0)
	v_fma_f64 v[2:3], v[142:143], v[118:119], v[2:3]
	scratch_load_b128 v[140:143], off, off offset:400
	s_waitcnt vmcnt(4)
	v_fma_f64 v[2:3], v[136:137], v[120:121], v[2:3]
	ds_load_2addr_b64 v[118:121], v1 offset0:99 offset1:100
	scratch_load_b128 v[134:137], off, off offset:416
	s_waitcnt lgkmcnt(0)
	v_fma_f64 v[2:3], v[138:139], v[118:119], v[2:3]
	s_waitcnt vmcnt(4)
	s_delay_alu instid0(VALU_DEP_1)
	v_fma_f64 v[2:3], v[122:123], v[120:121], v[2:3]
	scratch_load_b64 v[122:123], off, off offset:432
	ds_load_2addr_b64 v[118:121], v1 offset0:101 offset1:102
	s_waitcnt lgkmcnt(0)
	v_fma_f64 v[2:3], v[124:125], v[118:119], v[2:3]
	s_waitcnt vmcnt(4)
	s_delay_alu instid0(VALU_DEP_1) | instskip(SKIP_4) | instid1(VALU_DEP_1)
	v_fma_f64 v[2:3], v[126:127], v[120:121], v[2:3]
	ds_load_2addr_b64 v[118:121], v1 offset0:103 offset1:104
	s_waitcnt lgkmcnt(0)
	v_fma_f64 v[2:3], v[128:129], v[118:119], v[2:3]
	s_waitcnt vmcnt(3)
	v_fma_f64 v[2:3], v[130:131], v[120:121], v[2:3]
	ds_load_2addr_b64 v[118:121], v1 offset0:105 offset1:106
	s_waitcnt lgkmcnt(0)
	v_fma_f64 v[2:3], v[132:133], v[118:119], v[2:3]
	s_waitcnt vmcnt(2)
	s_delay_alu instid0(VALU_DEP_1) | instskip(SKIP_4) | instid1(VALU_DEP_1)
	v_fma_f64 v[2:3], v[140:141], v[120:121], v[2:3]
	ds_load_2addr_b64 v[118:121], v1 offset0:107 offset1:108
	s_waitcnt lgkmcnt(0)
	v_fma_f64 v[2:3], v[142:143], v[118:119], v[2:3]
	s_waitcnt vmcnt(1)
	v_fma_f64 v[118:119], v[134:135], v[120:121], v[2:3]
	ds_load_2addr_b64 v[1:4], v1 offset0:109 offset1:110
	s_waitcnt lgkmcnt(0)
	v_fma_f64 v[1:2], v[136:137], v[1:2], v[118:119]
	s_waitcnt vmcnt(0)
	s_delay_alu instid0(VALU_DEP_1) | instskip(NEXT) | instid1(VALU_DEP_1)
	v_fma_f64 v[1:2], v[122:123], v[3:4], v[1:2]
	v_add_f64 v[1:2], v[116:117], -v[1:2]
	scratch_store_b64 off, v[1:2], off offset:240
	v_cmpx_lt_u32_e32 29, v0
	s_cbranch_execz .LBB54_281
; %bb.280:
	scratch_load_b64 v[1:2], off, off offset:232
	v_mov_b32_e32 v3, 0
	s_delay_alu instid0(VALU_DEP_1)
	v_mov_b32_e32 v4, v3
	scratch_store_b64 off, v[3:4], off offset:232
	s_waitcnt vmcnt(0)
	ds_store_b64 v5, v[1:2]
.LBB54_281:
	s_or_b32 exec_lo, exec_lo, s0
	s_waitcnt lgkmcnt(0)
	s_waitcnt_vscnt null, 0x0
	s_barrier
	buffer_gl0_inv
	s_clause 0x4
	scratch_load_b128 v[116:119], off, off offset:232
	scratch_load_b128 v[120:123], off, off offset:248
	;; [unrolled: 1-line block ×5, first 2 shown]
	v_mov_b32_e32 v1, 0
	scratch_load_b128 v[140:143], off, off offset:312
	s_mov_b32 s0, exec_lo
	ds_load_b128 v[136:139], v1 offset:688
	s_waitcnt vmcnt(5) lgkmcnt(0)
	v_fma_f64 v[2:3], v[118:119], v[136:137], 0
	s_waitcnt vmcnt(4)
	s_delay_alu instid0(VALU_DEP_1)
	v_fma_f64 v[2:3], v[120:121], v[138:139], v[2:3]
	scratch_load_b128 v[136:139], off, off offset:328
	ds_load_b128 v[118:121], v1 offset:704
	s_waitcnt lgkmcnt(0)
	v_fma_f64 v[2:3], v[122:123], v[118:119], v[2:3]
	s_waitcnt vmcnt(4)
	s_delay_alu instid0(VALU_DEP_1)
	v_fma_f64 v[2:3], v[124:125], v[120:121], v[2:3]
	ds_load_b128 v[118:121], v1 offset:720
	scratch_load_b128 v[122:125], off, off offset:344
	s_waitcnt lgkmcnt(0)
	v_fma_f64 v[2:3], v[126:127], v[118:119], v[2:3]
	s_waitcnt vmcnt(4)
	s_delay_alu instid0(VALU_DEP_1)
	v_fma_f64 v[2:3], v[128:129], v[120:121], v[2:3]
	scratch_load_b128 v[126:129], off, off offset:360
	ds_load_b128 v[118:121], v1 offset:736
	s_waitcnt lgkmcnt(0)
	v_fma_f64 v[2:3], v[130:131], v[118:119], v[2:3]
	s_waitcnt vmcnt(4)
	s_delay_alu instid0(VALU_DEP_1)
	v_fma_f64 v[2:3], v[132:133], v[120:121], v[2:3]
	ds_load_b128 v[118:121], v1 offset:752
	scratch_load_b128 v[130:133], off, off offset:376
	s_waitcnt lgkmcnt(0)
	v_fma_f64 v[2:3], v[134:135], v[118:119], v[2:3]
	s_waitcnt vmcnt(4)
	s_delay_alu instid0(VALU_DEP_1)
	v_fma_f64 v[2:3], v[140:141], v[120:121], v[2:3]
	ds_load_b128 v[118:121], v1 offset:768
	s_waitcnt lgkmcnt(0)
	v_fma_f64 v[2:3], v[142:143], v[118:119], v[2:3]
	scratch_load_b128 v[140:143], off, off offset:392
	s_waitcnt vmcnt(4)
	v_fma_f64 v[2:3], v[136:137], v[120:121], v[2:3]
	ds_load_b128 v[118:121], v1 offset:784
	scratch_load_b128 v[134:137], off, off offset:408
	s_waitcnt lgkmcnt(0)
	v_fma_f64 v[2:3], v[138:139], v[118:119], v[2:3]
	s_waitcnt vmcnt(4)
	s_delay_alu instid0(VALU_DEP_1)
	v_fma_f64 v[2:3], v[122:123], v[120:121], v[2:3]
	ds_load_b128 v[118:121], v1 offset:800
	s_waitcnt lgkmcnt(0)
	v_fma_f64 v[2:3], v[124:125], v[118:119], v[2:3]
	scratch_load_b128 v[122:125], off, off offset:424
	s_waitcnt vmcnt(4)
	v_fma_f64 v[2:3], v[126:127], v[120:121], v[2:3]
	ds_load_b128 v[118:121], v1 offset:816
	s_waitcnt lgkmcnt(0)
	v_fma_f64 v[2:3], v[128:129], v[118:119], v[2:3]
	s_waitcnt vmcnt(3)
	s_delay_alu instid0(VALU_DEP_1) | instskip(SKIP_4) | instid1(VALU_DEP_1)
	v_fma_f64 v[2:3], v[130:131], v[120:121], v[2:3]
	ds_load_b128 v[118:121], v1 offset:832
	s_waitcnt lgkmcnt(0)
	v_fma_f64 v[2:3], v[132:133], v[118:119], v[2:3]
	s_waitcnt vmcnt(2)
	v_fma_f64 v[2:3], v[140:141], v[120:121], v[2:3]
	ds_load_b128 v[118:121], v1 offset:848
	s_waitcnt lgkmcnt(0)
	v_fma_f64 v[2:3], v[142:143], v[118:119], v[2:3]
	s_waitcnt vmcnt(1)
	s_delay_alu instid0(VALU_DEP_1)
	v_fma_f64 v[2:3], v[134:135], v[120:121], v[2:3]
	ds_load_b128 v[118:121], v1 offset:864
	s_waitcnt lgkmcnt(0)
	v_fma_f64 v[2:3], v[136:137], v[118:119], v[2:3]
	ds_load_b64 v[118:119], v1 offset:880
	s_waitcnt vmcnt(0)
	v_fma_f64 v[2:3], v[122:123], v[120:121], v[2:3]
	s_waitcnt lgkmcnt(0)
	s_delay_alu instid0(VALU_DEP_1) | instskip(NEXT) | instid1(VALU_DEP_1)
	v_fma_f64 v[2:3], v[124:125], v[118:119], v[2:3]
	v_add_f64 v[2:3], v[116:117], -v[2:3]
	scratch_store_b64 off, v[2:3], off offset:232
	v_cmpx_lt_u32_e32 28, v0
	s_cbranch_execz .LBB54_283
; %bb.282:
	scratch_load_b64 v[3:4], off, off offset:224
	v_mov_b32_e32 v2, v1
	scratch_store_b64 off, v[1:2], off offset:224
	s_waitcnt vmcnt(0)
	ds_store_b64 v5, v[3:4]
.LBB54_283:
	s_or_b32 exec_lo, exec_lo, s0
	s_waitcnt lgkmcnt(0)
	s_waitcnt_vscnt null, 0x0
	s_barrier
	buffer_gl0_inv
	s_clause 0x4
	scratch_load_b128 v[116:119], off, off offset:224
	scratch_load_b128 v[120:123], off, off offset:240
	;; [unrolled: 1-line block ×5, first 2 shown]
	ds_load_2addr_b64 v[136:139], v1 offset0:85 offset1:86
	scratch_load_b128 v[140:143], off, off offset:304
	s_mov_b32 s0, exec_lo
	s_waitcnt vmcnt(5) lgkmcnt(0)
	v_fma_f64 v[2:3], v[118:119], v[136:137], 0
	s_waitcnt vmcnt(4)
	s_delay_alu instid0(VALU_DEP_1)
	v_fma_f64 v[2:3], v[120:121], v[138:139], v[2:3]
	scratch_load_b128 v[136:139], off, off offset:320
	ds_load_2addr_b64 v[118:121], v1 offset0:87 offset1:88
	s_waitcnt lgkmcnt(0)
	v_fma_f64 v[2:3], v[122:123], v[118:119], v[2:3]
	s_waitcnt vmcnt(4)
	s_delay_alu instid0(VALU_DEP_1)
	v_fma_f64 v[2:3], v[124:125], v[120:121], v[2:3]
	ds_load_2addr_b64 v[118:121], v1 offset0:89 offset1:90
	scratch_load_b128 v[122:125], off, off offset:336
	s_waitcnt lgkmcnt(0)
	v_fma_f64 v[2:3], v[126:127], v[118:119], v[2:3]
	s_waitcnt vmcnt(4)
	s_delay_alu instid0(VALU_DEP_1)
	v_fma_f64 v[2:3], v[128:129], v[120:121], v[2:3]
	scratch_load_b128 v[126:129], off, off offset:352
	ds_load_2addr_b64 v[118:121], v1 offset0:91 offset1:92
	s_waitcnt lgkmcnt(0)
	v_fma_f64 v[2:3], v[130:131], v[118:119], v[2:3]
	s_waitcnt vmcnt(4)
	s_delay_alu instid0(VALU_DEP_1)
	v_fma_f64 v[2:3], v[132:133], v[120:121], v[2:3]
	ds_load_2addr_b64 v[118:121], v1 offset0:93 offset1:94
	scratch_load_b128 v[130:133], off, off offset:368
	s_waitcnt lgkmcnt(0)
	v_fma_f64 v[2:3], v[134:135], v[118:119], v[2:3]
	s_waitcnt vmcnt(4)
	s_delay_alu instid0(VALU_DEP_1)
	v_fma_f64 v[2:3], v[140:141], v[120:121], v[2:3]
	ds_load_2addr_b64 v[118:121], v1 offset0:95 offset1:96
	s_waitcnt lgkmcnt(0)
	v_fma_f64 v[2:3], v[142:143], v[118:119], v[2:3]
	scratch_load_b128 v[140:143], off, off offset:384
	s_waitcnt vmcnt(4)
	v_fma_f64 v[2:3], v[136:137], v[120:121], v[2:3]
	ds_load_2addr_b64 v[118:121], v1 offset0:97 offset1:98
	scratch_load_b128 v[134:137], off, off offset:400
	s_waitcnt lgkmcnt(0)
	v_fma_f64 v[2:3], v[138:139], v[118:119], v[2:3]
	s_waitcnt vmcnt(4)
	s_delay_alu instid0(VALU_DEP_1)
	v_fma_f64 v[2:3], v[122:123], v[120:121], v[2:3]
	ds_load_2addr_b64 v[118:121], v1 offset0:99 offset1:100
	s_waitcnt lgkmcnt(0)
	v_fma_f64 v[2:3], v[124:125], v[118:119], v[2:3]
	scratch_load_b128 v[122:125], off, off offset:416
	s_waitcnt vmcnt(4)
	v_fma_f64 v[2:3], v[126:127], v[120:121], v[2:3]
	ds_load_2addr_b64 v[118:121], v1 offset0:101 offset1:102
	scratch_load_b64 v[126:127], off, off offset:432
	s_waitcnt lgkmcnt(0)
	v_fma_f64 v[2:3], v[128:129], v[118:119], v[2:3]
	s_waitcnt vmcnt(4)
	s_delay_alu instid0(VALU_DEP_1) | instskip(SKIP_4) | instid1(VALU_DEP_1)
	v_fma_f64 v[2:3], v[130:131], v[120:121], v[2:3]
	ds_load_2addr_b64 v[118:121], v1 offset0:103 offset1:104
	s_waitcnt lgkmcnt(0)
	v_fma_f64 v[2:3], v[132:133], v[118:119], v[2:3]
	s_waitcnt vmcnt(3)
	v_fma_f64 v[2:3], v[140:141], v[120:121], v[2:3]
	ds_load_2addr_b64 v[118:121], v1 offset0:105 offset1:106
	s_waitcnt lgkmcnt(0)
	v_fma_f64 v[2:3], v[142:143], v[118:119], v[2:3]
	s_waitcnt vmcnt(2)
	s_delay_alu instid0(VALU_DEP_1) | instskip(SKIP_4) | instid1(VALU_DEP_1)
	v_fma_f64 v[2:3], v[134:135], v[120:121], v[2:3]
	ds_load_2addr_b64 v[118:121], v1 offset0:107 offset1:108
	s_waitcnt lgkmcnt(0)
	v_fma_f64 v[2:3], v[136:137], v[118:119], v[2:3]
	s_waitcnt vmcnt(1)
	v_fma_f64 v[118:119], v[122:123], v[120:121], v[2:3]
	ds_load_2addr_b64 v[1:4], v1 offset0:109 offset1:110
	s_waitcnt lgkmcnt(0)
	v_fma_f64 v[1:2], v[124:125], v[1:2], v[118:119]
	s_waitcnt vmcnt(0)
	s_delay_alu instid0(VALU_DEP_1) | instskip(NEXT) | instid1(VALU_DEP_1)
	v_fma_f64 v[1:2], v[126:127], v[3:4], v[1:2]
	v_add_f64 v[1:2], v[116:117], -v[1:2]
	scratch_store_b64 off, v[1:2], off offset:224
	v_cmpx_lt_u32_e32 27, v0
	s_cbranch_execz .LBB54_285
; %bb.284:
	scratch_load_b64 v[1:2], off, off offset:216
	v_mov_b32_e32 v3, 0
	s_delay_alu instid0(VALU_DEP_1)
	v_mov_b32_e32 v4, v3
	scratch_store_b64 off, v[3:4], off offset:216
	s_waitcnt vmcnt(0)
	ds_store_b64 v5, v[1:2]
.LBB54_285:
	s_or_b32 exec_lo, exec_lo, s0
	s_waitcnt lgkmcnt(0)
	s_waitcnt_vscnt null, 0x0
	s_barrier
	buffer_gl0_inv
	s_clause 0x4
	scratch_load_b128 v[116:119], off, off offset:216
	scratch_load_b128 v[120:123], off, off offset:232
	;; [unrolled: 1-line block ×5, first 2 shown]
	v_mov_b32_e32 v1, 0
	scratch_load_b128 v[140:143], off, off offset:296
	s_mov_b32 s0, exec_lo
	ds_load_b128 v[136:139], v1 offset:672
	s_waitcnt vmcnt(5) lgkmcnt(0)
	v_fma_f64 v[2:3], v[118:119], v[136:137], 0
	s_waitcnt vmcnt(4)
	s_delay_alu instid0(VALU_DEP_1)
	v_fma_f64 v[2:3], v[120:121], v[138:139], v[2:3]
	scratch_load_b128 v[136:139], off, off offset:312
	ds_load_b128 v[118:121], v1 offset:688
	s_waitcnt lgkmcnt(0)
	v_fma_f64 v[2:3], v[122:123], v[118:119], v[2:3]
	s_waitcnt vmcnt(4)
	s_delay_alu instid0(VALU_DEP_1)
	v_fma_f64 v[2:3], v[124:125], v[120:121], v[2:3]
	ds_load_b128 v[118:121], v1 offset:704
	scratch_load_b128 v[122:125], off, off offset:328
	s_waitcnt lgkmcnt(0)
	v_fma_f64 v[2:3], v[126:127], v[118:119], v[2:3]
	s_waitcnt vmcnt(4)
	s_delay_alu instid0(VALU_DEP_1)
	v_fma_f64 v[2:3], v[128:129], v[120:121], v[2:3]
	scratch_load_b128 v[126:129], off, off offset:344
	ds_load_b128 v[118:121], v1 offset:720
	s_waitcnt lgkmcnt(0)
	v_fma_f64 v[2:3], v[130:131], v[118:119], v[2:3]
	s_waitcnt vmcnt(4)
	s_delay_alu instid0(VALU_DEP_1)
	v_fma_f64 v[2:3], v[132:133], v[120:121], v[2:3]
	ds_load_b128 v[118:121], v1 offset:736
	scratch_load_b128 v[130:133], off, off offset:360
	s_waitcnt lgkmcnt(0)
	v_fma_f64 v[2:3], v[134:135], v[118:119], v[2:3]
	s_waitcnt vmcnt(4)
	s_delay_alu instid0(VALU_DEP_1)
	v_fma_f64 v[2:3], v[140:141], v[120:121], v[2:3]
	ds_load_b128 v[118:121], v1 offset:752
	s_waitcnt lgkmcnt(0)
	v_fma_f64 v[2:3], v[142:143], v[118:119], v[2:3]
	scratch_load_b128 v[140:143], off, off offset:376
	s_waitcnt vmcnt(4)
	v_fma_f64 v[2:3], v[136:137], v[120:121], v[2:3]
	ds_load_b128 v[118:121], v1 offset:768
	scratch_load_b128 v[134:137], off, off offset:392
	s_waitcnt lgkmcnt(0)
	v_fma_f64 v[2:3], v[138:139], v[118:119], v[2:3]
	s_waitcnt vmcnt(4)
	s_delay_alu instid0(VALU_DEP_1)
	v_fma_f64 v[2:3], v[122:123], v[120:121], v[2:3]
	ds_load_b128 v[118:121], v1 offset:784
	s_waitcnt lgkmcnt(0)
	v_fma_f64 v[2:3], v[124:125], v[118:119], v[2:3]
	scratch_load_b128 v[122:125], off, off offset:408
	s_waitcnt vmcnt(4)
	v_fma_f64 v[2:3], v[126:127], v[120:121], v[2:3]
	ds_load_b128 v[118:121], v1 offset:800
	s_waitcnt lgkmcnt(0)
	v_fma_f64 v[2:3], v[128:129], v[118:119], v[2:3]
	scratch_load_b128 v[126:129], off, off offset:424
	s_waitcnt vmcnt(4)
	v_fma_f64 v[2:3], v[130:131], v[120:121], v[2:3]
	ds_load_b128 v[118:121], v1 offset:816
	s_waitcnt lgkmcnt(0)
	v_fma_f64 v[2:3], v[132:133], v[118:119], v[2:3]
	s_waitcnt vmcnt(3)
	s_delay_alu instid0(VALU_DEP_1) | instskip(SKIP_4) | instid1(VALU_DEP_1)
	v_fma_f64 v[2:3], v[140:141], v[120:121], v[2:3]
	ds_load_b128 v[118:121], v1 offset:832
	s_waitcnt lgkmcnt(0)
	v_fma_f64 v[2:3], v[142:143], v[118:119], v[2:3]
	s_waitcnt vmcnt(2)
	v_fma_f64 v[2:3], v[134:135], v[120:121], v[2:3]
	ds_load_b128 v[118:121], v1 offset:848
	s_waitcnt lgkmcnt(0)
	v_fma_f64 v[2:3], v[136:137], v[118:119], v[2:3]
	s_waitcnt vmcnt(1)
	s_delay_alu instid0(VALU_DEP_1)
	v_fma_f64 v[2:3], v[122:123], v[120:121], v[2:3]
	ds_load_b128 v[118:121], v1 offset:864
	s_waitcnt lgkmcnt(0)
	v_fma_f64 v[2:3], v[124:125], v[118:119], v[2:3]
	ds_load_b64 v[118:119], v1 offset:880
	s_waitcnt vmcnt(0)
	v_fma_f64 v[2:3], v[126:127], v[120:121], v[2:3]
	s_waitcnt lgkmcnt(0)
	s_delay_alu instid0(VALU_DEP_1) | instskip(NEXT) | instid1(VALU_DEP_1)
	v_fma_f64 v[2:3], v[128:129], v[118:119], v[2:3]
	v_add_f64 v[2:3], v[116:117], -v[2:3]
	scratch_store_b64 off, v[2:3], off offset:216
	v_cmpx_lt_u32_e32 26, v0
	s_cbranch_execz .LBB54_287
; %bb.286:
	scratch_load_b64 v[3:4], off, off offset:208
	v_mov_b32_e32 v2, v1
	scratch_store_b64 off, v[1:2], off offset:208
	s_waitcnt vmcnt(0)
	ds_store_b64 v5, v[3:4]
.LBB54_287:
	s_or_b32 exec_lo, exec_lo, s0
	s_waitcnt lgkmcnt(0)
	s_waitcnt_vscnt null, 0x0
	s_barrier
	buffer_gl0_inv
	s_clause 0x4
	scratch_load_b128 v[116:119], off, off offset:208
	scratch_load_b128 v[120:123], off, off offset:224
	;; [unrolled: 1-line block ×5, first 2 shown]
	ds_load_2addr_b64 v[136:139], v1 offset0:83 offset1:84
	scratch_load_b128 v[140:143], off, off offset:288
	s_mov_b32 s0, exec_lo
	s_waitcnt vmcnt(5) lgkmcnt(0)
	v_fma_f64 v[2:3], v[118:119], v[136:137], 0
	s_waitcnt vmcnt(4)
	s_delay_alu instid0(VALU_DEP_1)
	v_fma_f64 v[2:3], v[120:121], v[138:139], v[2:3]
	scratch_load_b128 v[136:139], off, off offset:304
	ds_load_2addr_b64 v[118:121], v1 offset0:85 offset1:86
	s_waitcnt lgkmcnt(0)
	v_fma_f64 v[2:3], v[122:123], v[118:119], v[2:3]
	s_waitcnt vmcnt(4)
	s_delay_alu instid0(VALU_DEP_1)
	v_fma_f64 v[2:3], v[124:125], v[120:121], v[2:3]
	ds_load_2addr_b64 v[118:121], v1 offset0:87 offset1:88
	scratch_load_b128 v[122:125], off, off offset:320
	s_waitcnt lgkmcnt(0)
	v_fma_f64 v[2:3], v[126:127], v[118:119], v[2:3]
	s_waitcnt vmcnt(4)
	s_delay_alu instid0(VALU_DEP_1)
	v_fma_f64 v[2:3], v[128:129], v[120:121], v[2:3]
	scratch_load_b128 v[126:129], off, off offset:336
	ds_load_2addr_b64 v[118:121], v1 offset0:89 offset1:90
	s_waitcnt lgkmcnt(0)
	v_fma_f64 v[2:3], v[130:131], v[118:119], v[2:3]
	s_waitcnt vmcnt(4)
	s_delay_alu instid0(VALU_DEP_1)
	v_fma_f64 v[2:3], v[132:133], v[120:121], v[2:3]
	ds_load_2addr_b64 v[118:121], v1 offset0:91 offset1:92
	scratch_load_b128 v[130:133], off, off offset:352
	s_waitcnt lgkmcnt(0)
	v_fma_f64 v[2:3], v[134:135], v[118:119], v[2:3]
	s_waitcnt vmcnt(4)
	s_delay_alu instid0(VALU_DEP_1)
	v_fma_f64 v[2:3], v[140:141], v[120:121], v[2:3]
	ds_load_2addr_b64 v[118:121], v1 offset0:93 offset1:94
	s_waitcnt lgkmcnt(0)
	v_fma_f64 v[2:3], v[142:143], v[118:119], v[2:3]
	scratch_load_b128 v[140:143], off, off offset:368
	s_waitcnt vmcnt(4)
	v_fma_f64 v[2:3], v[136:137], v[120:121], v[2:3]
	ds_load_2addr_b64 v[118:121], v1 offset0:95 offset1:96
	scratch_load_b128 v[134:137], off, off offset:384
	s_waitcnt lgkmcnt(0)
	v_fma_f64 v[2:3], v[138:139], v[118:119], v[2:3]
	s_waitcnt vmcnt(4)
	s_delay_alu instid0(VALU_DEP_1)
	v_fma_f64 v[2:3], v[122:123], v[120:121], v[2:3]
	ds_load_2addr_b64 v[118:121], v1 offset0:97 offset1:98
	s_waitcnt lgkmcnt(0)
	v_fma_f64 v[2:3], v[124:125], v[118:119], v[2:3]
	scratch_load_b128 v[122:125], off, off offset:400
	s_waitcnt vmcnt(4)
	v_fma_f64 v[2:3], v[126:127], v[120:121], v[2:3]
	ds_load_2addr_b64 v[118:121], v1 offset0:99 offset1:100
	s_waitcnt lgkmcnt(0)
	v_fma_f64 v[2:3], v[128:129], v[118:119], v[2:3]
	scratch_load_b128 v[126:129], off, off offset:416
	s_waitcnt vmcnt(4)
	v_fma_f64 v[2:3], v[130:131], v[120:121], v[2:3]
	scratch_load_b64 v[130:131], off, off offset:432
	ds_load_2addr_b64 v[118:121], v1 offset0:101 offset1:102
	s_waitcnt lgkmcnt(0)
	v_fma_f64 v[2:3], v[132:133], v[118:119], v[2:3]
	s_waitcnt vmcnt(4)
	s_delay_alu instid0(VALU_DEP_1) | instskip(SKIP_4) | instid1(VALU_DEP_1)
	v_fma_f64 v[2:3], v[140:141], v[120:121], v[2:3]
	ds_load_2addr_b64 v[118:121], v1 offset0:103 offset1:104
	s_waitcnt lgkmcnt(0)
	v_fma_f64 v[2:3], v[142:143], v[118:119], v[2:3]
	s_waitcnt vmcnt(3)
	v_fma_f64 v[2:3], v[134:135], v[120:121], v[2:3]
	ds_load_2addr_b64 v[118:121], v1 offset0:105 offset1:106
	s_waitcnt lgkmcnt(0)
	v_fma_f64 v[2:3], v[136:137], v[118:119], v[2:3]
	s_waitcnt vmcnt(2)
	s_delay_alu instid0(VALU_DEP_1) | instskip(SKIP_4) | instid1(VALU_DEP_1)
	v_fma_f64 v[2:3], v[122:123], v[120:121], v[2:3]
	ds_load_2addr_b64 v[118:121], v1 offset0:107 offset1:108
	s_waitcnt lgkmcnt(0)
	v_fma_f64 v[2:3], v[124:125], v[118:119], v[2:3]
	s_waitcnt vmcnt(1)
	v_fma_f64 v[118:119], v[126:127], v[120:121], v[2:3]
	ds_load_2addr_b64 v[1:4], v1 offset0:109 offset1:110
	s_waitcnt lgkmcnt(0)
	v_fma_f64 v[1:2], v[128:129], v[1:2], v[118:119]
	s_waitcnt vmcnt(0)
	s_delay_alu instid0(VALU_DEP_1) | instskip(NEXT) | instid1(VALU_DEP_1)
	v_fma_f64 v[1:2], v[130:131], v[3:4], v[1:2]
	v_add_f64 v[1:2], v[116:117], -v[1:2]
	scratch_store_b64 off, v[1:2], off offset:208
	v_cmpx_lt_u32_e32 25, v0
	s_cbranch_execz .LBB54_289
; %bb.288:
	scratch_load_b64 v[1:2], off, off offset:200
	v_mov_b32_e32 v3, 0
	s_delay_alu instid0(VALU_DEP_1)
	v_mov_b32_e32 v4, v3
	scratch_store_b64 off, v[3:4], off offset:200
	s_waitcnt vmcnt(0)
	ds_store_b64 v5, v[1:2]
.LBB54_289:
	s_or_b32 exec_lo, exec_lo, s0
	s_waitcnt lgkmcnt(0)
	s_waitcnt_vscnt null, 0x0
	s_barrier
	buffer_gl0_inv
	s_clause 0x4
	scratch_load_b128 v[116:119], off, off offset:200
	scratch_load_b128 v[120:123], off, off offset:216
	;; [unrolled: 1-line block ×5, first 2 shown]
	v_mov_b32_e32 v1, 0
	scratch_load_b128 v[140:143], off, off offset:280
	s_mov_b32 s0, exec_lo
	ds_load_b128 v[136:139], v1 offset:656
	s_waitcnt vmcnt(5) lgkmcnt(0)
	v_fma_f64 v[2:3], v[118:119], v[136:137], 0
	s_waitcnt vmcnt(4)
	s_delay_alu instid0(VALU_DEP_1)
	v_fma_f64 v[2:3], v[120:121], v[138:139], v[2:3]
	scratch_load_b128 v[136:139], off, off offset:296
	ds_load_b128 v[118:121], v1 offset:672
	s_waitcnt lgkmcnt(0)
	v_fma_f64 v[2:3], v[122:123], v[118:119], v[2:3]
	s_waitcnt vmcnt(4)
	s_delay_alu instid0(VALU_DEP_1)
	v_fma_f64 v[2:3], v[124:125], v[120:121], v[2:3]
	ds_load_b128 v[118:121], v1 offset:688
	scratch_load_b128 v[122:125], off, off offset:312
	s_waitcnt lgkmcnt(0)
	v_fma_f64 v[2:3], v[126:127], v[118:119], v[2:3]
	s_waitcnt vmcnt(4)
	s_delay_alu instid0(VALU_DEP_1)
	v_fma_f64 v[2:3], v[128:129], v[120:121], v[2:3]
	scratch_load_b128 v[126:129], off, off offset:328
	ds_load_b128 v[118:121], v1 offset:704
	s_waitcnt lgkmcnt(0)
	v_fma_f64 v[2:3], v[130:131], v[118:119], v[2:3]
	s_waitcnt vmcnt(4)
	s_delay_alu instid0(VALU_DEP_1)
	v_fma_f64 v[2:3], v[132:133], v[120:121], v[2:3]
	ds_load_b128 v[118:121], v1 offset:720
	scratch_load_b128 v[130:133], off, off offset:344
	s_waitcnt lgkmcnt(0)
	v_fma_f64 v[2:3], v[134:135], v[118:119], v[2:3]
	s_waitcnt vmcnt(4)
	s_delay_alu instid0(VALU_DEP_1)
	v_fma_f64 v[2:3], v[140:141], v[120:121], v[2:3]
	ds_load_b128 v[118:121], v1 offset:736
	s_waitcnt lgkmcnt(0)
	v_fma_f64 v[2:3], v[142:143], v[118:119], v[2:3]
	scratch_load_b128 v[140:143], off, off offset:360
	s_waitcnt vmcnt(4)
	v_fma_f64 v[2:3], v[136:137], v[120:121], v[2:3]
	ds_load_b128 v[118:121], v1 offset:752
	scratch_load_b128 v[134:137], off, off offset:376
	s_waitcnt lgkmcnt(0)
	v_fma_f64 v[2:3], v[138:139], v[118:119], v[2:3]
	s_waitcnt vmcnt(4)
	s_delay_alu instid0(VALU_DEP_1)
	v_fma_f64 v[2:3], v[122:123], v[120:121], v[2:3]
	ds_load_b128 v[118:121], v1 offset:768
	s_waitcnt lgkmcnt(0)
	v_fma_f64 v[2:3], v[124:125], v[118:119], v[2:3]
	scratch_load_b128 v[122:125], off, off offset:392
	s_waitcnt vmcnt(4)
	v_fma_f64 v[2:3], v[126:127], v[120:121], v[2:3]
	ds_load_b128 v[118:121], v1 offset:784
	s_waitcnt lgkmcnt(0)
	v_fma_f64 v[2:3], v[128:129], v[118:119], v[2:3]
	scratch_load_b128 v[126:129], off, off offset:408
	s_waitcnt vmcnt(4)
	;; [unrolled: 6-line block ×3, first 2 shown]
	v_fma_f64 v[2:3], v[140:141], v[120:121], v[2:3]
	ds_load_b128 v[118:121], v1 offset:816
	s_waitcnt lgkmcnt(0)
	v_fma_f64 v[2:3], v[142:143], v[118:119], v[2:3]
	s_waitcnt vmcnt(3)
	s_delay_alu instid0(VALU_DEP_1) | instskip(SKIP_4) | instid1(VALU_DEP_1)
	v_fma_f64 v[2:3], v[134:135], v[120:121], v[2:3]
	ds_load_b128 v[118:121], v1 offset:832
	s_waitcnt lgkmcnt(0)
	v_fma_f64 v[2:3], v[136:137], v[118:119], v[2:3]
	s_waitcnt vmcnt(2)
	v_fma_f64 v[2:3], v[122:123], v[120:121], v[2:3]
	ds_load_b128 v[118:121], v1 offset:848
	s_waitcnt lgkmcnt(0)
	v_fma_f64 v[2:3], v[124:125], v[118:119], v[2:3]
	s_waitcnt vmcnt(1)
	s_delay_alu instid0(VALU_DEP_1)
	v_fma_f64 v[2:3], v[126:127], v[120:121], v[2:3]
	ds_load_b128 v[118:121], v1 offset:864
	s_waitcnt lgkmcnt(0)
	v_fma_f64 v[2:3], v[128:129], v[118:119], v[2:3]
	ds_load_b64 v[118:119], v1 offset:880
	s_waitcnt vmcnt(0)
	v_fma_f64 v[2:3], v[130:131], v[120:121], v[2:3]
	s_waitcnt lgkmcnt(0)
	s_delay_alu instid0(VALU_DEP_1) | instskip(NEXT) | instid1(VALU_DEP_1)
	v_fma_f64 v[2:3], v[132:133], v[118:119], v[2:3]
	v_add_f64 v[2:3], v[116:117], -v[2:3]
	scratch_store_b64 off, v[2:3], off offset:200
	v_cmpx_lt_u32_e32 24, v0
	s_cbranch_execz .LBB54_291
; %bb.290:
	scratch_load_b64 v[3:4], off, off offset:192
	v_mov_b32_e32 v2, v1
	scratch_store_b64 off, v[1:2], off offset:192
	s_waitcnt vmcnt(0)
	ds_store_b64 v5, v[3:4]
.LBB54_291:
	s_or_b32 exec_lo, exec_lo, s0
	s_waitcnt lgkmcnt(0)
	s_waitcnt_vscnt null, 0x0
	s_barrier
	buffer_gl0_inv
	s_clause 0x4
	scratch_load_b128 v[116:119], off, off offset:192
	scratch_load_b128 v[120:123], off, off offset:208
	;; [unrolled: 1-line block ×5, first 2 shown]
	ds_load_2addr_b64 v[136:139], v1 offset0:81 offset1:82
	scratch_load_b128 v[140:143], off, off offset:272
	s_mov_b32 s0, exec_lo
	s_waitcnt vmcnt(5) lgkmcnt(0)
	v_fma_f64 v[2:3], v[118:119], v[136:137], 0
	s_waitcnt vmcnt(4)
	s_delay_alu instid0(VALU_DEP_1)
	v_fma_f64 v[2:3], v[120:121], v[138:139], v[2:3]
	scratch_load_b128 v[136:139], off, off offset:288
	ds_load_2addr_b64 v[118:121], v1 offset0:83 offset1:84
	s_waitcnt lgkmcnt(0)
	v_fma_f64 v[2:3], v[122:123], v[118:119], v[2:3]
	s_waitcnt vmcnt(4)
	s_delay_alu instid0(VALU_DEP_1)
	v_fma_f64 v[2:3], v[124:125], v[120:121], v[2:3]
	ds_load_2addr_b64 v[118:121], v1 offset0:85 offset1:86
	scratch_load_b128 v[122:125], off, off offset:304
	s_waitcnt lgkmcnt(0)
	v_fma_f64 v[2:3], v[126:127], v[118:119], v[2:3]
	s_waitcnt vmcnt(4)
	s_delay_alu instid0(VALU_DEP_1)
	v_fma_f64 v[2:3], v[128:129], v[120:121], v[2:3]
	scratch_load_b128 v[126:129], off, off offset:320
	ds_load_2addr_b64 v[118:121], v1 offset0:87 offset1:88
	s_waitcnt lgkmcnt(0)
	v_fma_f64 v[2:3], v[130:131], v[118:119], v[2:3]
	s_waitcnt vmcnt(4)
	s_delay_alu instid0(VALU_DEP_1)
	v_fma_f64 v[2:3], v[132:133], v[120:121], v[2:3]
	ds_load_2addr_b64 v[118:121], v1 offset0:89 offset1:90
	scratch_load_b128 v[130:133], off, off offset:336
	s_waitcnt lgkmcnt(0)
	v_fma_f64 v[2:3], v[134:135], v[118:119], v[2:3]
	s_waitcnt vmcnt(4)
	s_delay_alu instid0(VALU_DEP_1)
	v_fma_f64 v[2:3], v[140:141], v[120:121], v[2:3]
	ds_load_2addr_b64 v[118:121], v1 offset0:91 offset1:92
	s_waitcnt lgkmcnt(0)
	v_fma_f64 v[2:3], v[142:143], v[118:119], v[2:3]
	scratch_load_b128 v[140:143], off, off offset:352
	s_waitcnt vmcnt(4)
	v_fma_f64 v[2:3], v[136:137], v[120:121], v[2:3]
	ds_load_2addr_b64 v[118:121], v1 offset0:93 offset1:94
	scratch_load_b128 v[134:137], off, off offset:368
	s_waitcnt lgkmcnt(0)
	v_fma_f64 v[2:3], v[138:139], v[118:119], v[2:3]
	scratch_load_b64 v[138:139], off, off offset:432
	s_waitcnt vmcnt(5)
	v_fma_f64 v[2:3], v[122:123], v[120:121], v[2:3]
	ds_load_2addr_b64 v[118:121], v1 offset0:95 offset1:96
	s_waitcnt lgkmcnt(0)
	v_fma_f64 v[2:3], v[124:125], v[118:119], v[2:3]
	scratch_load_b128 v[122:125], off, off offset:384
	s_waitcnt vmcnt(5)
	v_fma_f64 v[2:3], v[126:127], v[120:121], v[2:3]
	ds_load_2addr_b64 v[118:121], v1 offset0:97 offset1:98
	s_waitcnt lgkmcnt(0)
	v_fma_f64 v[2:3], v[128:129], v[118:119], v[2:3]
	scratch_load_b128 v[126:129], off, off offset:400
	;; [unrolled: 6-line block ×3, first 2 shown]
	s_waitcnt vmcnt(5)
	v_fma_f64 v[2:3], v[140:141], v[120:121], v[2:3]
	ds_load_2addr_b64 v[118:121], v1 offset0:101 offset1:102
	s_waitcnt lgkmcnt(0)
	v_fma_f64 v[2:3], v[142:143], v[118:119], v[2:3]
	s_waitcnt vmcnt(4)
	s_delay_alu instid0(VALU_DEP_1) | instskip(SKIP_4) | instid1(VALU_DEP_1)
	v_fma_f64 v[2:3], v[134:135], v[120:121], v[2:3]
	ds_load_2addr_b64 v[118:121], v1 offset0:103 offset1:104
	s_waitcnt lgkmcnt(0)
	v_fma_f64 v[2:3], v[136:137], v[118:119], v[2:3]
	s_waitcnt vmcnt(2)
	v_fma_f64 v[2:3], v[122:123], v[120:121], v[2:3]
	ds_load_2addr_b64 v[118:121], v1 offset0:105 offset1:106
	s_waitcnt lgkmcnt(0)
	v_fma_f64 v[2:3], v[124:125], v[118:119], v[2:3]
	s_waitcnt vmcnt(1)
	s_delay_alu instid0(VALU_DEP_1) | instskip(SKIP_4) | instid1(VALU_DEP_1)
	v_fma_f64 v[2:3], v[126:127], v[120:121], v[2:3]
	ds_load_2addr_b64 v[118:121], v1 offset0:107 offset1:108
	s_waitcnt lgkmcnt(0)
	v_fma_f64 v[2:3], v[128:129], v[118:119], v[2:3]
	s_waitcnt vmcnt(0)
	v_fma_f64 v[118:119], v[130:131], v[120:121], v[2:3]
	ds_load_2addr_b64 v[1:4], v1 offset0:109 offset1:110
	s_waitcnt lgkmcnt(0)
	v_fma_f64 v[1:2], v[132:133], v[1:2], v[118:119]
	s_delay_alu instid0(VALU_DEP_1) | instskip(NEXT) | instid1(VALU_DEP_1)
	v_fma_f64 v[1:2], v[138:139], v[3:4], v[1:2]
	v_add_f64 v[1:2], v[116:117], -v[1:2]
	scratch_store_b64 off, v[1:2], off offset:192
	v_cmpx_lt_u32_e32 23, v0
	s_cbranch_execz .LBB54_293
; %bb.292:
	scratch_load_b64 v[1:2], off, off offset:184
	v_mov_b32_e32 v3, 0
	s_delay_alu instid0(VALU_DEP_1)
	v_mov_b32_e32 v4, v3
	scratch_store_b64 off, v[3:4], off offset:184
	s_waitcnt vmcnt(0)
	ds_store_b64 v5, v[1:2]
.LBB54_293:
	s_or_b32 exec_lo, exec_lo, s0
	s_waitcnt lgkmcnt(0)
	s_waitcnt_vscnt null, 0x0
	s_barrier
	buffer_gl0_inv
	s_clause 0x4
	scratch_load_b128 v[116:119], off, off offset:184
	scratch_load_b128 v[120:123], off, off offset:200
	;; [unrolled: 1-line block ×5, first 2 shown]
	v_mov_b32_e32 v1, 0
	scratch_load_b128 v[140:143], off, off offset:264
	s_mov_b32 s0, exec_lo
	ds_load_b128 v[136:139], v1 offset:640
	s_waitcnt vmcnt(5) lgkmcnt(0)
	v_fma_f64 v[2:3], v[118:119], v[136:137], 0
	s_waitcnt vmcnt(4)
	s_delay_alu instid0(VALU_DEP_1)
	v_fma_f64 v[2:3], v[120:121], v[138:139], v[2:3]
	scratch_load_b128 v[136:139], off, off offset:280
	ds_load_b128 v[118:121], v1 offset:656
	s_waitcnt lgkmcnt(0)
	v_fma_f64 v[2:3], v[122:123], v[118:119], v[2:3]
	s_waitcnt vmcnt(4)
	s_delay_alu instid0(VALU_DEP_1)
	v_fma_f64 v[2:3], v[124:125], v[120:121], v[2:3]
	ds_load_b128 v[118:121], v1 offset:672
	scratch_load_b128 v[122:125], off, off offset:296
	s_waitcnt lgkmcnt(0)
	v_fma_f64 v[2:3], v[126:127], v[118:119], v[2:3]
	s_waitcnt vmcnt(4)
	s_delay_alu instid0(VALU_DEP_1)
	v_fma_f64 v[2:3], v[128:129], v[120:121], v[2:3]
	scratch_load_b128 v[126:129], off, off offset:312
	ds_load_b128 v[118:121], v1 offset:688
	s_waitcnt lgkmcnt(0)
	v_fma_f64 v[2:3], v[130:131], v[118:119], v[2:3]
	s_waitcnt vmcnt(4)
	s_delay_alu instid0(VALU_DEP_1)
	v_fma_f64 v[2:3], v[132:133], v[120:121], v[2:3]
	ds_load_b128 v[118:121], v1 offset:704
	scratch_load_b128 v[130:133], off, off offset:328
	s_waitcnt lgkmcnt(0)
	v_fma_f64 v[2:3], v[134:135], v[118:119], v[2:3]
	s_waitcnt vmcnt(4)
	s_delay_alu instid0(VALU_DEP_1)
	v_fma_f64 v[2:3], v[140:141], v[120:121], v[2:3]
	ds_load_b128 v[118:121], v1 offset:720
	s_waitcnt lgkmcnt(0)
	v_fma_f64 v[2:3], v[142:143], v[118:119], v[2:3]
	scratch_load_b128 v[140:143], off, off offset:344
	s_waitcnt vmcnt(4)
	v_fma_f64 v[2:3], v[136:137], v[120:121], v[2:3]
	ds_load_b128 v[118:121], v1 offset:736
	scratch_load_b128 v[134:137], off, off offset:360
	s_waitcnt lgkmcnt(0)
	v_fma_f64 v[2:3], v[138:139], v[118:119], v[2:3]
	s_waitcnt vmcnt(4)
	s_delay_alu instid0(VALU_DEP_1)
	v_fma_f64 v[2:3], v[122:123], v[120:121], v[2:3]
	ds_load_b128 v[118:121], v1 offset:752
	s_waitcnt lgkmcnt(0)
	v_fma_f64 v[2:3], v[124:125], v[118:119], v[2:3]
	scratch_load_b128 v[122:125], off, off offset:376
	s_waitcnt vmcnt(4)
	v_fma_f64 v[2:3], v[126:127], v[120:121], v[2:3]
	ds_load_b128 v[118:121], v1 offset:768
	s_waitcnt lgkmcnt(0)
	v_fma_f64 v[2:3], v[128:129], v[118:119], v[2:3]
	scratch_load_b128 v[126:129], off, off offset:392
	s_waitcnt vmcnt(4)
	;; [unrolled: 6-line block ×3, first 2 shown]
	v_fma_f64 v[2:3], v[140:141], v[120:121], v[2:3]
	ds_load_b128 v[118:121], v1 offset:800
	scratch_load_b128 v[138:141], off, off offset:424
	s_waitcnt lgkmcnt(0)
	v_fma_f64 v[2:3], v[142:143], v[118:119], v[2:3]
	s_waitcnt vmcnt(4)
	s_delay_alu instid0(VALU_DEP_1) | instskip(SKIP_4) | instid1(VALU_DEP_1)
	v_fma_f64 v[2:3], v[134:135], v[120:121], v[2:3]
	ds_load_b128 v[118:121], v1 offset:816
	s_waitcnt lgkmcnt(0)
	v_fma_f64 v[2:3], v[136:137], v[118:119], v[2:3]
	s_waitcnt vmcnt(3)
	v_fma_f64 v[2:3], v[122:123], v[120:121], v[2:3]
	ds_load_b128 v[118:121], v1 offset:832
	s_waitcnt lgkmcnt(0)
	v_fma_f64 v[2:3], v[124:125], v[118:119], v[2:3]
	s_waitcnt vmcnt(2)
	s_delay_alu instid0(VALU_DEP_1) | instskip(SKIP_4) | instid1(VALU_DEP_1)
	v_fma_f64 v[2:3], v[126:127], v[120:121], v[2:3]
	ds_load_b128 v[118:121], v1 offset:848
	s_waitcnt lgkmcnt(0)
	v_fma_f64 v[2:3], v[128:129], v[118:119], v[2:3]
	s_waitcnt vmcnt(1)
	v_fma_f64 v[2:3], v[130:131], v[120:121], v[2:3]
	ds_load_b128 v[118:121], v1 offset:864
	s_waitcnt lgkmcnt(0)
	v_fma_f64 v[2:3], v[132:133], v[118:119], v[2:3]
	ds_load_b64 v[118:119], v1 offset:880
	s_waitcnt vmcnt(0)
	v_fma_f64 v[2:3], v[138:139], v[120:121], v[2:3]
	s_waitcnt lgkmcnt(0)
	s_delay_alu instid0(VALU_DEP_1) | instskip(NEXT) | instid1(VALU_DEP_1)
	v_fma_f64 v[2:3], v[140:141], v[118:119], v[2:3]
	v_add_f64 v[2:3], v[116:117], -v[2:3]
	scratch_store_b64 off, v[2:3], off offset:184
	v_cmpx_lt_u32_e32 22, v0
	s_cbranch_execz .LBB54_295
; %bb.294:
	scratch_load_b64 v[3:4], off, off offset:176
	v_mov_b32_e32 v2, v1
	scratch_store_b64 off, v[1:2], off offset:176
	s_waitcnt vmcnt(0)
	ds_store_b64 v5, v[3:4]
.LBB54_295:
	s_or_b32 exec_lo, exec_lo, s0
	s_waitcnt lgkmcnt(0)
	s_waitcnt_vscnt null, 0x0
	s_barrier
	buffer_gl0_inv
	s_clause 0x4
	scratch_load_b128 v[116:119], off, off offset:176
	scratch_load_b128 v[120:123], off, off offset:192
	;; [unrolled: 1-line block ×5, first 2 shown]
	ds_load_2addr_b64 v[136:139], v1 offset0:79 offset1:80
	scratch_load_b128 v[140:143], off, off offset:256
	s_mov_b32 s0, exec_lo
	s_waitcnt vmcnt(5) lgkmcnt(0)
	v_fma_f64 v[2:3], v[118:119], v[136:137], 0
	s_waitcnt vmcnt(4)
	s_delay_alu instid0(VALU_DEP_1)
	v_fma_f64 v[2:3], v[120:121], v[138:139], v[2:3]
	scratch_load_b128 v[136:139], off, off offset:272
	ds_load_2addr_b64 v[118:121], v1 offset0:81 offset1:82
	s_waitcnt lgkmcnt(0)
	v_fma_f64 v[2:3], v[122:123], v[118:119], v[2:3]
	s_waitcnt vmcnt(4)
	s_delay_alu instid0(VALU_DEP_1)
	v_fma_f64 v[2:3], v[124:125], v[120:121], v[2:3]
	ds_load_2addr_b64 v[118:121], v1 offset0:83 offset1:84
	scratch_load_b128 v[122:125], off, off offset:288
	s_waitcnt lgkmcnt(0)
	v_fma_f64 v[2:3], v[126:127], v[118:119], v[2:3]
	s_waitcnt vmcnt(4)
	s_delay_alu instid0(VALU_DEP_1)
	v_fma_f64 v[2:3], v[128:129], v[120:121], v[2:3]
	scratch_load_b128 v[126:129], off, off offset:304
	ds_load_2addr_b64 v[118:121], v1 offset0:85 offset1:86
	s_waitcnt lgkmcnt(0)
	v_fma_f64 v[2:3], v[130:131], v[118:119], v[2:3]
	s_waitcnt vmcnt(4)
	s_delay_alu instid0(VALU_DEP_1)
	v_fma_f64 v[2:3], v[132:133], v[120:121], v[2:3]
	ds_load_2addr_b64 v[118:121], v1 offset0:87 offset1:88
	scratch_load_b128 v[130:133], off, off offset:320
	s_waitcnt lgkmcnt(0)
	v_fma_f64 v[2:3], v[134:135], v[118:119], v[2:3]
	s_waitcnt vmcnt(4)
	s_delay_alu instid0(VALU_DEP_1)
	v_fma_f64 v[2:3], v[140:141], v[120:121], v[2:3]
	ds_load_2addr_b64 v[118:121], v1 offset0:89 offset1:90
	s_waitcnt lgkmcnt(0)
	v_fma_f64 v[2:3], v[142:143], v[118:119], v[2:3]
	scratch_load_b128 v[140:143], off, off offset:336
	s_waitcnt vmcnt(4)
	v_fma_f64 v[2:3], v[136:137], v[120:121], v[2:3]
	ds_load_2addr_b64 v[118:121], v1 offset0:91 offset1:92
	scratch_load_b128 v[134:137], off, off offset:352
	s_waitcnt lgkmcnt(0)
	v_fma_f64 v[2:3], v[138:139], v[118:119], v[2:3]
	s_waitcnt vmcnt(4)
	s_delay_alu instid0(VALU_DEP_1)
	v_fma_f64 v[2:3], v[122:123], v[120:121], v[2:3]
	ds_load_2addr_b64 v[118:121], v1 offset0:93 offset1:94
	s_waitcnt lgkmcnt(0)
	v_fma_f64 v[2:3], v[124:125], v[118:119], v[2:3]
	scratch_load_b128 v[122:125], off, off offset:368
	s_waitcnt vmcnt(4)
	v_fma_f64 v[2:3], v[126:127], v[120:121], v[2:3]
	ds_load_2addr_b64 v[118:121], v1 offset0:95 offset1:96
	s_waitcnt lgkmcnt(0)
	v_fma_f64 v[2:3], v[128:129], v[118:119], v[2:3]
	scratch_load_b128 v[126:129], off, off offset:384
	s_waitcnt vmcnt(4)
	;; [unrolled: 6-line block ×3, first 2 shown]
	v_fma_f64 v[2:3], v[140:141], v[120:121], v[2:3]
	ds_load_2addr_b64 v[118:121], v1 offset0:99 offset1:100
	scratch_load_b128 v[138:141], off, off offset:416
	s_waitcnt lgkmcnt(0)
	v_fma_f64 v[2:3], v[142:143], v[118:119], v[2:3]
	s_waitcnt vmcnt(4)
	s_delay_alu instid0(VALU_DEP_1)
	v_fma_f64 v[2:3], v[134:135], v[120:121], v[2:3]
	scratch_load_b64 v[134:135], off, off offset:432
	ds_load_2addr_b64 v[118:121], v1 offset0:101 offset1:102
	s_waitcnt lgkmcnt(0)
	v_fma_f64 v[2:3], v[136:137], v[118:119], v[2:3]
	s_waitcnt vmcnt(4)
	s_delay_alu instid0(VALU_DEP_1) | instskip(SKIP_4) | instid1(VALU_DEP_1)
	v_fma_f64 v[2:3], v[122:123], v[120:121], v[2:3]
	ds_load_2addr_b64 v[118:121], v1 offset0:103 offset1:104
	s_waitcnt lgkmcnt(0)
	v_fma_f64 v[2:3], v[124:125], v[118:119], v[2:3]
	s_waitcnt vmcnt(3)
	v_fma_f64 v[2:3], v[126:127], v[120:121], v[2:3]
	ds_load_2addr_b64 v[118:121], v1 offset0:105 offset1:106
	s_waitcnt lgkmcnt(0)
	v_fma_f64 v[2:3], v[128:129], v[118:119], v[2:3]
	s_waitcnt vmcnt(2)
	s_delay_alu instid0(VALU_DEP_1) | instskip(SKIP_4) | instid1(VALU_DEP_1)
	v_fma_f64 v[2:3], v[130:131], v[120:121], v[2:3]
	ds_load_2addr_b64 v[118:121], v1 offset0:107 offset1:108
	s_waitcnt lgkmcnt(0)
	v_fma_f64 v[2:3], v[132:133], v[118:119], v[2:3]
	s_waitcnt vmcnt(1)
	v_fma_f64 v[118:119], v[138:139], v[120:121], v[2:3]
	ds_load_2addr_b64 v[1:4], v1 offset0:109 offset1:110
	s_waitcnt lgkmcnt(0)
	v_fma_f64 v[1:2], v[140:141], v[1:2], v[118:119]
	s_waitcnt vmcnt(0)
	s_delay_alu instid0(VALU_DEP_1) | instskip(NEXT) | instid1(VALU_DEP_1)
	v_fma_f64 v[1:2], v[134:135], v[3:4], v[1:2]
	v_add_f64 v[1:2], v[116:117], -v[1:2]
	scratch_store_b64 off, v[1:2], off offset:176
	v_cmpx_lt_u32_e32 21, v0
	s_cbranch_execz .LBB54_297
; %bb.296:
	scratch_load_b64 v[1:2], off, off offset:168
	v_mov_b32_e32 v3, 0
	s_delay_alu instid0(VALU_DEP_1)
	v_mov_b32_e32 v4, v3
	scratch_store_b64 off, v[3:4], off offset:168
	s_waitcnt vmcnt(0)
	ds_store_b64 v5, v[1:2]
.LBB54_297:
	s_or_b32 exec_lo, exec_lo, s0
	s_waitcnt lgkmcnt(0)
	s_waitcnt_vscnt null, 0x0
	s_barrier
	buffer_gl0_inv
	s_clause 0x4
	scratch_load_b128 v[116:119], off, off offset:168
	scratch_load_b128 v[120:123], off, off offset:184
	;; [unrolled: 1-line block ×5, first 2 shown]
	v_mov_b32_e32 v1, 0
	scratch_load_b128 v[140:143], off, off offset:248
	s_mov_b32 s0, exec_lo
	ds_load_b128 v[136:139], v1 offset:624
	s_waitcnt vmcnt(5) lgkmcnt(0)
	v_fma_f64 v[2:3], v[118:119], v[136:137], 0
	s_waitcnt vmcnt(4)
	s_delay_alu instid0(VALU_DEP_1)
	v_fma_f64 v[2:3], v[120:121], v[138:139], v[2:3]
	scratch_load_b128 v[136:139], off, off offset:264
	ds_load_b128 v[118:121], v1 offset:640
	s_waitcnt lgkmcnt(0)
	v_fma_f64 v[2:3], v[122:123], v[118:119], v[2:3]
	s_waitcnt vmcnt(4)
	s_delay_alu instid0(VALU_DEP_1)
	v_fma_f64 v[2:3], v[124:125], v[120:121], v[2:3]
	ds_load_b128 v[118:121], v1 offset:656
	scratch_load_b128 v[122:125], off, off offset:280
	s_waitcnt lgkmcnt(0)
	v_fma_f64 v[2:3], v[126:127], v[118:119], v[2:3]
	s_waitcnt vmcnt(4)
	s_delay_alu instid0(VALU_DEP_1)
	v_fma_f64 v[2:3], v[128:129], v[120:121], v[2:3]
	scratch_load_b128 v[126:129], off, off offset:296
	ds_load_b128 v[118:121], v1 offset:672
	s_waitcnt lgkmcnt(0)
	v_fma_f64 v[2:3], v[130:131], v[118:119], v[2:3]
	s_waitcnt vmcnt(4)
	s_delay_alu instid0(VALU_DEP_1)
	v_fma_f64 v[2:3], v[132:133], v[120:121], v[2:3]
	ds_load_b128 v[118:121], v1 offset:688
	scratch_load_b128 v[130:133], off, off offset:312
	s_waitcnt lgkmcnt(0)
	v_fma_f64 v[2:3], v[134:135], v[118:119], v[2:3]
	s_waitcnt vmcnt(4)
	s_delay_alu instid0(VALU_DEP_1)
	v_fma_f64 v[2:3], v[140:141], v[120:121], v[2:3]
	ds_load_b128 v[118:121], v1 offset:704
	s_waitcnt lgkmcnt(0)
	v_fma_f64 v[2:3], v[142:143], v[118:119], v[2:3]
	scratch_load_b128 v[140:143], off, off offset:328
	s_waitcnt vmcnt(4)
	v_fma_f64 v[2:3], v[136:137], v[120:121], v[2:3]
	ds_load_b128 v[118:121], v1 offset:720
	scratch_load_b128 v[134:137], off, off offset:344
	s_waitcnt lgkmcnt(0)
	v_fma_f64 v[2:3], v[138:139], v[118:119], v[2:3]
	s_waitcnt vmcnt(4)
	s_delay_alu instid0(VALU_DEP_1)
	v_fma_f64 v[2:3], v[122:123], v[120:121], v[2:3]
	ds_load_b128 v[118:121], v1 offset:736
	s_waitcnt lgkmcnt(0)
	v_fma_f64 v[2:3], v[124:125], v[118:119], v[2:3]
	scratch_load_b128 v[122:125], off, off offset:360
	s_waitcnt vmcnt(4)
	v_fma_f64 v[2:3], v[126:127], v[120:121], v[2:3]
	ds_load_b128 v[118:121], v1 offset:752
	s_waitcnt lgkmcnt(0)
	v_fma_f64 v[2:3], v[128:129], v[118:119], v[2:3]
	scratch_load_b128 v[126:129], off, off offset:376
	s_waitcnt vmcnt(4)
	;; [unrolled: 6-line block ×3, first 2 shown]
	v_fma_f64 v[2:3], v[140:141], v[120:121], v[2:3]
	ds_load_b128 v[118:121], v1 offset:784
	scratch_load_b128 v[138:141], off, off offset:408
	s_waitcnt lgkmcnt(0)
	v_fma_f64 v[2:3], v[142:143], v[118:119], v[2:3]
	s_waitcnt vmcnt(4)
	s_delay_alu instid0(VALU_DEP_1)
	v_fma_f64 v[2:3], v[134:135], v[120:121], v[2:3]
	ds_load_b128 v[118:121], v1 offset:800
	s_waitcnt lgkmcnt(0)
	v_fma_f64 v[2:3], v[136:137], v[118:119], v[2:3]
	scratch_load_b128 v[134:137], off, off offset:424
	s_waitcnt vmcnt(4)
	v_fma_f64 v[2:3], v[122:123], v[120:121], v[2:3]
	ds_load_b128 v[118:121], v1 offset:816
	s_waitcnt lgkmcnt(0)
	v_fma_f64 v[2:3], v[124:125], v[118:119], v[2:3]
	s_waitcnt vmcnt(3)
	s_delay_alu instid0(VALU_DEP_1) | instskip(SKIP_4) | instid1(VALU_DEP_1)
	v_fma_f64 v[2:3], v[126:127], v[120:121], v[2:3]
	ds_load_b128 v[118:121], v1 offset:832
	s_waitcnt lgkmcnt(0)
	v_fma_f64 v[2:3], v[128:129], v[118:119], v[2:3]
	s_waitcnt vmcnt(2)
	v_fma_f64 v[2:3], v[130:131], v[120:121], v[2:3]
	ds_load_b128 v[118:121], v1 offset:848
	s_waitcnt lgkmcnt(0)
	v_fma_f64 v[2:3], v[132:133], v[118:119], v[2:3]
	s_waitcnt vmcnt(1)
	s_delay_alu instid0(VALU_DEP_1)
	v_fma_f64 v[2:3], v[138:139], v[120:121], v[2:3]
	ds_load_b128 v[118:121], v1 offset:864
	s_waitcnt lgkmcnt(0)
	v_fma_f64 v[2:3], v[140:141], v[118:119], v[2:3]
	ds_load_b64 v[118:119], v1 offset:880
	s_waitcnt vmcnt(0)
	v_fma_f64 v[2:3], v[134:135], v[120:121], v[2:3]
	s_waitcnt lgkmcnt(0)
	s_delay_alu instid0(VALU_DEP_1) | instskip(NEXT) | instid1(VALU_DEP_1)
	v_fma_f64 v[2:3], v[136:137], v[118:119], v[2:3]
	v_add_f64 v[2:3], v[116:117], -v[2:3]
	scratch_store_b64 off, v[2:3], off offset:168
	v_cmpx_lt_u32_e32 20, v0
	s_cbranch_execz .LBB54_299
; %bb.298:
	scratch_load_b64 v[3:4], off, off offset:160
	v_mov_b32_e32 v2, v1
	scratch_store_b64 off, v[1:2], off offset:160
	s_waitcnt vmcnt(0)
	ds_store_b64 v5, v[3:4]
.LBB54_299:
	s_or_b32 exec_lo, exec_lo, s0
	s_waitcnt lgkmcnt(0)
	s_waitcnt_vscnt null, 0x0
	s_barrier
	buffer_gl0_inv
	s_clause 0x4
	scratch_load_b128 v[116:119], off, off offset:160
	scratch_load_b128 v[120:123], off, off offset:176
	;; [unrolled: 1-line block ×5, first 2 shown]
	ds_load_2addr_b64 v[136:139], v1 offset0:77 offset1:78
	scratch_load_b128 v[140:143], off, off offset:240
	s_mov_b32 s0, exec_lo
	s_waitcnt vmcnt(5) lgkmcnt(0)
	v_fma_f64 v[2:3], v[118:119], v[136:137], 0
	s_waitcnt vmcnt(4)
	s_delay_alu instid0(VALU_DEP_1)
	v_fma_f64 v[2:3], v[120:121], v[138:139], v[2:3]
	scratch_load_b128 v[136:139], off, off offset:256
	ds_load_2addr_b64 v[118:121], v1 offset0:79 offset1:80
	s_waitcnt lgkmcnt(0)
	v_fma_f64 v[2:3], v[122:123], v[118:119], v[2:3]
	s_waitcnt vmcnt(4)
	s_delay_alu instid0(VALU_DEP_1)
	v_fma_f64 v[2:3], v[124:125], v[120:121], v[2:3]
	ds_load_2addr_b64 v[118:121], v1 offset0:81 offset1:82
	scratch_load_b128 v[122:125], off, off offset:272
	s_waitcnt lgkmcnt(0)
	v_fma_f64 v[2:3], v[126:127], v[118:119], v[2:3]
	s_waitcnt vmcnt(4)
	s_delay_alu instid0(VALU_DEP_1)
	v_fma_f64 v[2:3], v[128:129], v[120:121], v[2:3]
	scratch_load_b128 v[126:129], off, off offset:288
	ds_load_2addr_b64 v[118:121], v1 offset0:83 offset1:84
	s_waitcnt lgkmcnt(0)
	v_fma_f64 v[2:3], v[130:131], v[118:119], v[2:3]
	s_waitcnt vmcnt(4)
	s_delay_alu instid0(VALU_DEP_1)
	v_fma_f64 v[2:3], v[132:133], v[120:121], v[2:3]
	ds_load_2addr_b64 v[118:121], v1 offset0:85 offset1:86
	scratch_load_b128 v[130:133], off, off offset:304
	s_waitcnt lgkmcnt(0)
	v_fma_f64 v[2:3], v[134:135], v[118:119], v[2:3]
	s_waitcnt vmcnt(4)
	s_delay_alu instid0(VALU_DEP_1)
	v_fma_f64 v[2:3], v[140:141], v[120:121], v[2:3]
	ds_load_2addr_b64 v[118:121], v1 offset0:87 offset1:88
	s_waitcnt lgkmcnt(0)
	v_fma_f64 v[2:3], v[142:143], v[118:119], v[2:3]
	scratch_load_b128 v[140:143], off, off offset:320
	s_waitcnt vmcnt(4)
	v_fma_f64 v[2:3], v[136:137], v[120:121], v[2:3]
	ds_load_2addr_b64 v[118:121], v1 offset0:89 offset1:90
	scratch_load_b128 v[134:137], off, off offset:336
	s_waitcnt lgkmcnt(0)
	v_fma_f64 v[2:3], v[138:139], v[118:119], v[2:3]
	s_waitcnt vmcnt(4)
	s_delay_alu instid0(VALU_DEP_1)
	v_fma_f64 v[2:3], v[122:123], v[120:121], v[2:3]
	ds_load_2addr_b64 v[118:121], v1 offset0:91 offset1:92
	s_waitcnt lgkmcnt(0)
	v_fma_f64 v[2:3], v[124:125], v[118:119], v[2:3]
	scratch_load_b128 v[122:125], off, off offset:352
	s_waitcnt vmcnt(4)
	v_fma_f64 v[2:3], v[126:127], v[120:121], v[2:3]
	ds_load_2addr_b64 v[118:121], v1 offset0:93 offset1:94
	s_waitcnt lgkmcnt(0)
	v_fma_f64 v[2:3], v[128:129], v[118:119], v[2:3]
	scratch_load_b128 v[126:129], off, off offset:368
	s_waitcnt vmcnt(4)
	;; [unrolled: 6-line block ×3, first 2 shown]
	v_fma_f64 v[2:3], v[140:141], v[120:121], v[2:3]
	ds_load_2addr_b64 v[118:121], v1 offset0:97 offset1:98
	scratch_load_b128 v[138:141], off, off offset:400
	s_waitcnt lgkmcnt(0)
	v_fma_f64 v[2:3], v[142:143], v[118:119], v[2:3]
	s_waitcnt vmcnt(4)
	s_delay_alu instid0(VALU_DEP_1)
	v_fma_f64 v[2:3], v[134:135], v[120:121], v[2:3]
	ds_load_2addr_b64 v[118:121], v1 offset0:99 offset1:100
	s_waitcnt lgkmcnt(0)
	v_fma_f64 v[2:3], v[136:137], v[118:119], v[2:3]
	scratch_load_b128 v[134:137], off, off offset:416
	s_waitcnt vmcnt(4)
	v_fma_f64 v[2:3], v[122:123], v[120:121], v[2:3]
	ds_load_2addr_b64 v[118:121], v1 offset0:101 offset1:102
	scratch_load_b64 v[122:123], off, off offset:432
	s_waitcnt lgkmcnt(0)
	v_fma_f64 v[2:3], v[124:125], v[118:119], v[2:3]
	s_waitcnt vmcnt(4)
	s_delay_alu instid0(VALU_DEP_1) | instskip(SKIP_4) | instid1(VALU_DEP_1)
	v_fma_f64 v[2:3], v[126:127], v[120:121], v[2:3]
	ds_load_2addr_b64 v[118:121], v1 offset0:103 offset1:104
	s_waitcnt lgkmcnt(0)
	v_fma_f64 v[2:3], v[128:129], v[118:119], v[2:3]
	s_waitcnt vmcnt(3)
	v_fma_f64 v[2:3], v[130:131], v[120:121], v[2:3]
	ds_load_2addr_b64 v[118:121], v1 offset0:105 offset1:106
	s_waitcnt lgkmcnt(0)
	v_fma_f64 v[2:3], v[132:133], v[118:119], v[2:3]
	s_waitcnt vmcnt(2)
	s_delay_alu instid0(VALU_DEP_1) | instskip(SKIP_4) | instid1(VALU_DEP_1)
	v_fma_f64 v[2:3], v[138:139], v[120:121], v[2:3]
	ds_load_2addr_b64 v[118:121], v1 offset0:107 offset1:108
	s_waitcnt lgkmcnt(0)
	v_fma_f64 v[2:3], v[140:141], v[118:119], v[2:3]
	s_waitcnt vmcnt(1)
	v_fma_f64 v[118:119], v[134:135], v[120:121], v[2:3]
	ds_load_2addr_b64 v[1:4], v1 offset0:109 offset1:110
	s_waitcnt lgkmcnt(0)
	v_fma_f64 v[1:2], v[136:137], v[1:2], v[118:119]
	s_waitcnt vmcnt(0)
	s_delay_alu instid0(VALU_DEP_1) | instskip(NEXT) | instid1(VALU_DEP_1)
	v_fma_f64 v[1:2], v[122:123], v[3:4], v[1:2]
	v_add_f64 v[1:2], v[116:117], -v[1:2]
	scratch_store_b64 off, v[1:2], off offset:160
	v_cmpx_lt_u32_e32 19, v0
	s_cbranch_execz .LBB54_301
; %bb.300:
	scratch_load_b64 v[1:2], off, off offset:152
	v_mov_b32_e32 v3, 0
	s_delay_alu instid0(VALU_DEP_1)
	v_mov_b32_e32 v4, v3
	scratch_store_b64 off, v[3:4], off offset:152
	s_waitcnt vmcnt(0)
	ds_store_b64 v5, v[1:2]
.LBB54_301:
	s_or_b32 exec_lo, exec_lo, s0
	s_waitcnt lgkmcnt(0)
	s_waitcnt_vscnt null, 0x0
	s_barrier
	buffer_gl0_inv
	s_clause 0x4
	scratch_load_b128 v[116:119], off, off offset:152
	scratch_load_b128 v[120:123], off, off offset:168
	;; [unrolled: 1-line block ×5, first 2 shown]
	v_mov_b32_e32 v1, 0
	scratch_load_b128 v[140:143], off, off offset:232
	s_mov_b32 s0, exec_lo
	ds_load_b128 v[136:139], v1 offset:608
	s_waitcnt vmcnt(5) lgkmcnt(0)
	v_fma_f64 v[2:3], v[118:119], v[136:137], 0
	s_waitcnt vmcnt(4)
	s_delay_alu instid0(VALU_DEP_1)
	v_fma_f64 v[2:3], v[120:121], v[138:139], v[2:3]
	scratch_load_b128 v[136:139], off, off offset:248
	ds_load_b128 v[118:121], v1 offset:624
	s_waitcnt lgkmcnt(0)
	v_fma_f64 v[2:3], v[122:123], v[118:119], v[2:3]
	s_waitcnt vmcnt(4)
	s_delay_alu instid0(VALU_DEP_1)
	v_fma_f64 v[2:3], v[124:125], v[120:121], v[2:3]
	ds_load_b128 v[118:121], v1 offset:640
	scratch_load_b128 v[122:125], off, off offset:264
	s_waitcnt lgkmcnt(0)
	v_fma_f64 v[2:3], v[126:127], v[118:119], v[2:3]
	s_waitcnt vmcnt(4)
	s_delay_alu instid0(VALU_DEP_1)
	v_fma_f64 v[2:3], v[128:129], v[120:121], v[2:3]
	scratch_load_b128 v[126:129], off, off offset:280
	ds_load_b128 v[118:121], v1 offset:656
	s_waitcnt lgkmcnt(0)
	v_fma_f64 v[2:3], v[130:131], v[118:119], v[2:3]
	s_waitcnt vmcnt(4)
	s_delay_alu instid0(VALU_DEP_1)
	v_fma_f64 v[2:3], v[132:133], v[120:121], v[2:3]
	ds_load_b128 v[118:121], v1 offset:672
	scratch_load_b128 v[130:133], off, off offset:296
	s_waitcnt lgkmcnt(0)
	v_fma_f64 v[2:3], v[134:135], v[118:119], v[2:3]
	s_waitcnt vmcnt(4)
	s_delay_alu instid0(VALU_DEP_1)
	v_fma_f64 v[2:3], v[140:141], v[120:121], v[2:3]
	ds_load_b128 v[118:121], v1 offset:688
	s_waitcnt lgkmcnt(0)
	v_fma_f64 v[2:3], v[142:143], v[118:119], v[2:3]
	scratch_load_b128 v[140:143], off, off offset:312
	s_waitcnt vmcnt(4)
	v_fma_f64 v[2:3], v[136:137], v[120:121], v[2:3]
	ds_load_b128 v[118:121], v1 offset:704
	scratch_load_b128 v[134:137], off, off offset:328
	s_waitcnt lgkmcnt(0)
	v_fma_f64 v[2:3], v[138:139], v[118:119], v[2:3]
	s_waitcnt vmcnt(4)
	s_delay_alu instid0(VALU_DEP_1)
	v_fma_f64 v[2:3], v[122:123], v[120:121], v[2:3]
	ds_load_b128 v[118:121], v1 offset:720
	s_waitcnt lgkmcnt(0)
	v_fma_f64 v[2:3], v[124:125], v[118:119], v[2:3]
	scratch_load_b128 v[122:125], off, off offset:344
	s_waitcnt vmcnt(4)
	v_fma_f64 v[2:3], v[126:127], v[120:121], v[2:3]
	ds_load_b128 v[118:121], v1 offset:736
	s_waitcnt lgkmcnt(0)
	v_fma_f64 v[2:3], v[128:129], v[118:119], v[2:3]
	scratch_load_b128 v[126:129], off, off offset:360
	s_waitcnt vmcnt(4)
	;; [unrolled: 6-line block ×3, first 2 shown]
	v_fma_f64 v[2:3], v[140:141], v[120:121], v[2:3]
	ds_load_b128 v[118:121], v1 offset:768
	scratch_load_b128 v[138:141], off, off offset:392
	s_waitcnt lgkmcnt(0)
	v_fma_f64 v[2:3], v[142:143], v[118:119], v[2:3]
	s_waitcnt vmcnt(4)
	s_delay_alu instid0(VALU_DEP_1)
	v_fma_f64 v[2:3], v[134:135], v[120:121], v[2:3]
	ds_load_b128 v[118:121], v1 offset:784
	s_waitcnt lgkmcnt(0)
	v_fma_f64 v[2:3], v[136:137], v[118:119], v[2:3]
	scratch_load_b128 v[134:137], off, off offset:408
	s_waitcnt vmcnt(4)
	v_fma_f64 v[2:3], v[122:123], v[120:121], v[2:3]
	ds_load_b128 v[118:121], v1 offset:800
	s_waitcnt lgkmcnt(0)
	v_fma_f64 v[2:3], v[124:125], v[118:119], v[2:3]
	scratch_load_b128 v[122:125], off, off offset:424
	s_waitcnt vmcnt(4)
	v_fma_f64 v[2:3], v[126:127], v[120:121], v[2:3]
	ds_load_b128 v[118:121], v1 offset:816
	s_waitcnt lgkmcnt(0)
	v_fma_f64 v[2:3], v[128:129], v[118:119], v[2:3]
	s_waitcnt vmcnt(3)
	s_delay_alu instid0(VALU_DEP_1) | instskip(SKIP_4) | instid1(VALU_DEP_1)
	v_fma_f64 v[2:3], v[130:131], v[120:121], v[2:3]
	ds_load_b128 v[118:121], v1 offset:832
	s_waitcnt lgkmcnt(0)
	v_fma_f64 v[2:3], v[132:133], v[118:119], v[2:3]
	s_waitcnt vmcnt(2)
	v_fma_f64 v[2:3], v[138:139], v[120:121], v[2:3]
	ds_load_b128 v[118:121], v1 offset:848
	s_waitcnt lgkmcnt(0)
	v_fma_f64 v[2:3], v[140:141], v[118:119], v[2:3]
	s_waitcnt vmcnt(1)
	s_delay_alu instid0(VALU_DEP_1)
	v_fma_f64 v[2:3], v[134:135], v[120:121], v[2:3]
	ds_load_b128 v[118:121], v1 offset:864
	s_waitcnt lgkmcnt(0)
	v_fma_f64 v[2:3], v[136:137], v[118:119], v[2:3]
	ds_load_b64 v[118:119], v1 offset:880
	s_waitcnt vmcnt(0)
	v_fma_f64 v[2:3], v[122:123], v[120:121], v[2:3]
	s_waitcnt lgkmcnt(0)
	s_delay_alu instid0(VALU_DEP_1) | instskip(NEXT) | instid1(VALU_DEP_1)
	v_fma_f64 v[2:3], v[124:125], v[118:119], v[2:3]
	v_add_f64 v[2:3], v[116:117], -v[2:3]
	scratch_store_b64 off, v[2:3], off offset:152
	v_cmpx_lt_u32_e32 18, v0
	s_cbranch_execz .LBB54_303
; %bb.302:
	scratch_load_b64 v[3:4], off, off offset:144
	v_mov_b32_e32 v2, v1
	scratch_store_b64 off, v[1:2], off offset:144
	s_waitcnt vmcnt(0)
	ds_store_b64 v5, v[3:4]
.LBB54_303:
	s_or_b32 exec_lo, exec_lo, s0
	s_waitcnt lgkmcnt(0)
	s_waitcnt_vscnt null, 0x0
	s_barrier
	buffer_gl0_inv
	s_clause 0x4
	scratch_load_b128 v[116:119], off, off offset:144
	scratch_load_b128 v[120:123], off, off offset:160
	;; [unrolled: 1-line block ×5, first 2 shown]
	ds_load_2addr_b64 v[136:139], v1 offset0:75 offset1:76
	scratch_load_b128 v[140:143], off, off offset:224
	s_mov_b32 s0, exec_lo
	s_waitcnt vmcnt(5) lgkmcnt(0)
	v_fma_f64 v[2:3], v[118:119], v[136:137], 0
	s_waitcnt vmcnt(4)
	s_delay_alu instid0(VALU_DEP_1)
	v_fma_f64 v[2:3], v[120:121], v[138:139], v[2:3]
	scratch_load_b128 v[136:139], off, off offset:240
	ds_load_2addr_b64 v[118:121], v1 offset0:77 offset1:78
	s_waitcnt lgkmcnt(0)
	v_fma_f64 v[2:3], v[122:123], v[118:119], v[2:3]
	s_waitcnt vmcnt(4)
	s_delay_alu instid0(VALU_DEP_1)
	v_fma_f64 v[2:3], v[124:125], v[120:121], v[2:3]
	ds_load_2addr_b64 v[118:121], v1 offset0:79 offset1:80
	scratch_load_b128 v[122:125], off, off offset:256
	s_waitcnt lgkmcnt(0)
	v_fma_f64 v[2:3], v[126:127], v[118:119], v[2:3]
	s_waitcnt vmcnt(4)
	s_delay_alu instid0(VALU_DEP_1)
	v_fma_f64 v[2:3], v[128:129], v[120:121], v[2:3]
	scratch_load_b128 v[126:129], off, off offset:272
	ds_load_2addr_b64 v[118:121], v1 offset0:81 offset1:82
	s_waitcnt lgkmcnt(0)
	v_fma_f64 v[2:3], v[130:131], v[118:119], v[2:3]
	s_waitcnt vmcnt(4)
	s_delay_alu instid0(VALU_DEP_1)
	v_fma_f64 v[2:3], v[132:133], v[120:121], v[2:3]
	ds_load_2addr_b64 v[118:121], v1 offset0:83 offset1:84
	scratch_load_b128 v[130:133], off, off offset:288
	s_waitcnt lgkmcnt(0)
	v_fma_f64 v[2:3], v[134:135], v[118:119], v[2:3]
	s_waitcnt vmcnt(4)
	s_delay_alu instid0(VALU_DEP_1)
	v_fma_f64 v[2:3], v[140:141], v[120:121], v[2:3]
	ds_load_2addr_b64 v[118:121], v1 offset0:85 offset1:86
	s_waitcnt lgkmcnt(0)
	v_fma_f64 v[2:3], v[142:143], v[118:119], v[2:3]
	scratch_load_b128 v[140:143], off, off offset:304
	s_waitcnt vmcnt(4)
	v_fma_f64 v[2:3], v[136:137], v[120:121], v[2:3]
	ds_load_2addr_b64 v[118:121], v1 offset0:87 offset1:88
	scratch_load_b128 v[134:137], off, off offset:320
	s_waitcnt lgkmcnt(0)
	v_fma_f64 v[2:3], v[138:139], v[118:119], v[2:3]
	s_waitcnt vmcnt(4)
	s_delay_alu instid0(VALU_DEP_1)
	v_fma_f64 v[2:3], v[122:123], v[120:121], v[2:3]
	ds_load_2addr_b64 v[118:121], v1 offset0:89 offset1:90
	s_waitcnt lgkmcnt(0)
	v_fma_f64 v[2:3], v[124:125], v[118:119], v[2:3]
	scratch_load_b128 v[122:125], off, off offset:336
	s_waitcnt vmcnt(4)
	v_fma_f64 v[2:3], v[126:127], v[120:121], v[2:3]
	ds_load_2addr_b64 v[118:121], v1 offset0:91 offset1:92
	s_waitcnt lgkmcnt(0)
	v_fma_f64 v[2:3], v[128:129], v[118:119], v[2:3]
	scratch_load_b128 v[126:129], off, off offset:352
	s_waitcnt vmcnt(4)
	;; [unrolled: 6-line block ×3, first 2 shown]
	v_fma_f64 v[2:3], v[140:141], v[120:121], v[2:3]
	ds_load_2addr_b64 v[118:121], v1 offset0:95 offset1:96
	scratch_load_b128 v[138:141], off, off offset:384
	s_waitcnt lgkmcnt(0)
	v_fma_f64 v[2:3], v[142:143], v[118:119], v[2:3]
	s_waitcnt vmcnt(4)
	s_delay_alu instid0(VALU_DEP_1)
	v_fma_f64 v[2:3], v[134:135], v[120:121], v[2:3]
	ds_load_2addr_b64 v[118:121], v1 offset0:97 offset1:98
	s_waitcnt lgkmcnt(0)
	v_fma_f64 v[2:3], v[136:137], v[118:119], v[2:3]
	scratch_load_b128 v[134:137], off, off offset:400
	s_waitcnt vmcnt(4)
	v_fma_f64 v[2:3], v[122:123], v[120:121], v[2:3]
	ds_load_2addr_b64 v[118:121], v1 offset0:99 offset1:100
	s_waitcnt lgkmcnt(0)
	v_fma_f64 v[2:3], v[124:125], v[118:119], v[2:3]
	scratch_load_b128 v[122:125], off, off offset:416
	s_waitcnt vmcnt(4)
	v_fma_f64 v[2:3], v[126:127], v[120:121], v[2:3]
	scratch_load_b64 v[126:127], off, off offset:432
	ds_load_2addr_b64 v[118:121], v1 offset0:101 offset1:102
	s_waitcnt lgkmcnt(0)
	v_fma_f64 v[2:3], v[128:129], v[118:119], v[2:3]
	s_waitcnt vmcnt(4)
	s_delay_alu instid0(VALU_DEP_1) | instskip(SKIP_4) | instid1(VALU_DEP_1)
	v_fma_f64 v[2:3], v[130:131], v[120:121], v[2:3]
	ds_load_2addr_b64 v[118:121], v1 offset0:103 offset1:104
	s_waitcnt lgkmcnt(0)
	v_fma_f64 v[2:3], v[132:133], v[118:119], v[2:3]
	s_waitcnt vmcnt(3)
	v_fma_f64 v[2:3], v[138:139], v[120:121], v[2:3]
	ds_load_2addr_b64 v[118:121], v1 offset0:105 offset1:106
	s_waitcnt lgkmcnt(0)
	v_fma_f64 v[2:3], v[140:141], v[118:119], v[2:3]
	s_waitcnt vmcnt(2)
	s_delay_alu instid0(VALU_DEP_1) | instskip(SKIP_4) | instid1(VALU_DEP_1)
	v_fma_f64 v[2:3], v[134:135], v[120:121], v[2:3]
	ds_load_2addr_b64 v[118:121], v1 offset0:107 offset1:108
	s_waitcnt lgkmcnt(0)
	v_fma_f64 v[2:3], v[136:137], v[118:119], v[2:3]
	s_waitcnt vmcnt(1)
	v_fma_f64 v[118:119], v[122:123], v[120:121], v[2:3]
	ds_load_2addr_b64 v[1:4], v1 offset0:109 offset1:110
	s_waitcnt lgkmcnt(0)
	v_fma_f64 v[1:2], v[124:125], v[1:2], v[118:119]
	s_waitcnt vmcnt(0)
	s_delay_alu instid0(VALU_DEP_1) | instskip(NEXT) | instid1(VALU_DEP_1)
	v_fma_f64 v[1:2], v[126:127], v[3:4], v[1:2]
	v_add_f64 v[1:2], v[116:117], -v[1:2]
	scratch_store_b64 off, v[1:2], off offset:144
	v_cmpx_lt_u32_e32 17, v0
	s_cbranch_execz .LBB54_305
; %bb.304:
	scratch_load_b64 v[1:2], off, off offset:136
	v_mov_b32_e32 v3, 0
	s_delay_alu instid0(VALU_DEP_1)
	v_mov_b32_e32 v4, v3
	scratch_store_b64 off, v[3:4], off offset:136
	s_waitcnt vmcnt(0)
	ds_store_b64 v5, v[1:2]
.LBB54_305:
	s_or_b32 exec_lo, exec_lo, s0
	s_waitcnt lgkmcnt(0)
	s_waitcnt_vscnt null, 0x0
	s_barrier
	buffer_gl0_inv
	s_clause 0x4
	scratch_load_b128 v[116:119], off, off offset:136
	scratch_load_b128 v[120:123], off, off offset:152
	;; [unrolled: 1-line block ×5, first 2 shown]
	v_mov_b32_e32 v1, 0
	scratch_load_b128 v[140:143], off, off offset:216
	s_mov_b32 s0, exec_lo
	ds_load_b128 v[136:139], v1 offset:592
	s_waitcnt vmcnt(5) lgkmcnt(0)
	v_fma_f64 v[2:3], v[118:119], v[136:137], 0
	s_waitcnt vmcnt(4)
	s_delay_alu instid0(VALU_DEP_1)
	v_fma_f64 v[2:3], v[120:121], v[138:139], v[2:3]
	scratch_load_b128 v[136:139], off, off offset:232
	ds_load_b128 v[118:121], v1 offset:608
	s_waitcnt lgkmcnt(0)
	v_fma_f64 v[2:3], v[122:123], v[118:119], v[2:3]
	s_waitcnt vmcnt(4)
	s_delay_alu instid0(VALU_DEP_1)
	v_fma_f64 v[2:3], v[124:125], v[120:121], v[2:3]
	ds_load_b128 v[118:121], v1 offset:624
	scratch_load_b128 v[122:125], off, off offset:248
	s_waitcnt lgkmcnt(0)
	v_fma_f64 v[2:3], v[126:127], v[118:119], v[2:3]
	s_waitcnt vmcnt(4)
	s_delay_alu instid0(VALU_DEP_1)
	v_fma_f64 v[2:3], v[128:129], v[120:121], v[2:3]
	scratch_load_b128 v[126:129], off, off offset:264
	ds_load_b128 v[118:121], v1 offset:640
	s_waitcnt lgkmcnt(0)
	v_fma_f64 v[2:3], v[130:131], v[118:119], v[2:3]
	s_waitcnt vmcnt(4)
	s_delay_alu instid0(VALU_DEP_1)
	v_fma_f64 v[2:3], v[132:133], v[120:121], v[2:3]
	ds_load_b128 v[118:121], v1 offset:656
	scratch_load_b128 v[130:133], off, off offset:280
	s_waitcnt lgkmcnt(0)
	v_fma_f64 v[2:3], v[134:135], v[118:119], v[2:3]
	s_waitcnt vmcnt(4)
	s_delay_alu instid0(VALU_DEP_1)
	v_fma_f64 v[2:3], v[140:141], v[120:121], v[2:3]
	ds_load_b128 v[118:121], v1 offset:672
	s_waitcnt lgkmcnt(0)
	v_fma_f64 v[2:3], v[142:143], v[118:119], v[2:3]
	scratch_load_b128 v[140:143], off, off offset:296
	s_waitcnt vmcnt(4)
	v_fma_f64 v[2:3], v[136:137], v[120:121], v[2:3]
	ds_load_b128 v[118:121], v1 offset:688
	scratch_load_b128 v[134:137], off, off offset:312
	s_waitcnt lgkmcnt(0)
	v_fma_f64 v[2:3], v[138:139], v[118:119], v[2:3]
	s_waitcnt vmcnt(4)
	s_delay_alu instid0(VALU_DEP_1)
	v_fma_f64 v[2:3], v[122:123], v[120:121], v[2:3]
	ds_load_b128 v[118:121], v1 offset:704
	s_waitcnt lgkmcnt(0)
	v_fma_f64 v[2:3], v[124:125], v[118:119], v[2:3]
	scratch_load_b128 v[122:125], off, off offset:328
	s_waitcnt vmcnt(4)
	v_fma_f64 v[2:3], v[126:127], v[120:121], v[2:3]
	ds_load_b128 v[118:121], v1 offset:720
	s_waitcnt lgkmcnt(0)
	v_fma_f64 v[2:3], v[128:129], v[118:119], v[2:3]
	scratch_load_b128 v[126:129], off, off offset:344
	s_waitcnt vmcnt(4)
	;; [unrolled: 6-line block ×3, first 2 shown]
	v_fma_f64 v[2:3], v[140:141], v[120:121], v[2:3]
	ds_load_b128 v[118:121], v1 offset:752
	scratch_load_b128 v[138:141], off, off offset:376
	s_waitcnt lgkmcnt(0)
	v_fma_f64 v[2:3], v[142:143], v[118:119], v[2:3]
	s_waitcnt vmcnt(4)
	s_delay_alu instid0(VALU_DEP_1)
	v_fma_f64 v[2:3], v[134:135], v[120:121], v[2:3]
	ds_load_b128 v[118:121], v1 offset:768
	s_waitcnt lgkmcnt(0)
	v_fma_f64 v[2:3], v[136:137], v[118:119], v[2:3]
	scratch_load_b128 v[134:137], off, off offset:392
	s_waitcnt vmcnt(4)
	v_fma_f64 v[2:3], v[122:123], v[120:121], v[2:3]
	ds_load_b128 v[118:121], v1 offset:784
	s_waitcnt lgkmcnt(0)
	v_fma_f64 v[2:3], v[124:125], v[118:119], v[2:3]
	scratch_load_b128 v[122:125], off, off offset:408
	s_waitcnt vmcnt(4)
	;; [unrolled: 6-line block ×3, first 2 shown]
	v_fma_f64 v[2:3], v[130:131], v[120:121], v[2:3]
	ds_load_b128 v[118:121], v1 offset:816
	s_waitcnt lgkmcnt(0)
	v_fma_f64 v[2:3], v[132:133], v[118:119], v[2:3]
	s_waitcnt vmcnt(3)
	s_delay_alu instid0(VALU_DEP_1) | instskip(SKIP_4) | instid1(VALU_DEP_1)
	v_fma_f64 v[2:3], v[138:139], v[120:121], v[2:3]
	ds_load_b128 v[118:121], v1 offset:832
	s_waitcnt lgkmcnt(0)
	v_fma_f64 v[2:3], v[140:141], v[118:119], v[2:3]
	s_waitcnt vmcnt(2)
	v_fma_f64 v[2:3], v[134:135], v[120:121], v[2:3]
	ds_load_b128 v[118:121], v1 offset:848
	s_waitcnt lgkmcnt(0)
	v_fma_f64 v[2:3], v[136:137], v[118:119], v[2:3]
	s_waitcnt vmcnt(1)
	s_delay_alu instid0(VALU_DEP_1)
	v_fma_f64 v[2:3], v[122:123], v[120:121], v[2:3]
	ds_load_b128 v[118:121], v1 offset:864
	s_waitcnt lgkmcnt(0)
	v_fma_f64 v[2:3], v[124:125], v[118:119], v[2:3]
	ds_load_b64 v[118:119], v1 offset:880
	s_waitcnt vmcnt(0)
	v_fma_f64 v[2:3], v[126:127], v[120:121], v[2:3]
	s_waitcnt lgkmcnt(0)
	s_delay_alu instid0(VALU_DEP_1) | instskip(NEXT) | instid1(VALU_DEP_1)
	v_fma_f64 v[2:3], v[128:129], v[118:119], v[2:3]
	v_add_f64 v[2:3], v[116:117], -v[2:3]
	scratch_store_b64 off, v[2:3], off offset:136
	v_cmpx_lt_u32_e32 16, v0
	s_cbranch_execz .LBB54_307
; %bb.306:
	scratch_load_b64 v[3:4], off, off offset:128
	v_mov_b32_e32 v2, v1
	scratch_store_b64 off, v[1:2], off offset:128
	s_waitcnt vmcnt(0)
	ds_store_b64 v5, v[3:4]
.LBB54_307:
	s_or_b32 exec_lo, exec_lo, s0
	s_waitcnt lgkmcnt(0)
	s_waitcnt_vscnt null, 0x0
	s_barrier
	buffer_gl0_inv
	s_clause 0x4
	scratch_load_b128 v[116:119], off, off offset:128
	scratch_load_b128 v[120:123], off, off offset:144
	;; [unrolled: 1-line block ×5, first 2 shown]
	ds_load_2addr_b64 v[136:139], v1 offset0:73 offset1:74
	scratch_load_b128 v[140:143], off, off offset:208
	s_mov_b32 s0, exec_lo
	s_waitcnt vmcnt(5) lgkmcnt(0)
	v_fma_f64 v[2:3], v[118:119], v[136:137], 0
	s_waitcnt vmcnt(4)
	s_delay_alu instid0(VALU_DEP_1)
	v_fma_f64 v[2:3], v[120:121], v[138:139], v[2:3]
	scratch_load_b128 v[136:139], off, off offset:224
	ds_load_2addr_b64 v[118:121], v1 offset0:75 offset1:76
	s_waitcnt lgkmcnt(0)
	v_fma_f64 v[2:3], v[122:123], v[118:119], v[2:3]
	s_waitcnt vmcnt(4)
	s_delay_alu instid0(VALU_DEP_1)
	v_fma_f64 v[2:3], v[124:125], v[120:121], v[2:3]
	ds_load_2addr_b64 v[118:121], v1 offset0:77 offset1:78
	scratch_load_b128 v[122:125], off, off offset:240
	s_waitcnt lgkmcnt(0)
	v_fma_f64 v[2:3], v[126:127], v[118:119], v[2:3]
	s_waitcnt vmcnt(4)
	s_delay_alu instid0(VALU_DEP_1)
	v_fma_f64 v[2:3], v[128:129], v[120:121], v[2:3]
	scratch_load_b128 v[126:129], off, off offset:256
	ds_load_2addr_b64 v[118:121], v1 offset0:79 offset1:80
	s_waitcnt lgkmcnt(0)
	v_fma_f64 v[2:3], v[130:131], v[118:119], v[2:3]
	s_waitcnt vmcnt(4)
	s_delay_alu instid0(VALU_DEP_1)
	v_fma_f64 v[2:3], v[132:133], v[120:121], v[2:3]
	ds_load_2addr_b64 v[118:121], v1 offset0:81 offset1:82
	scratch_load_b128 v[130:133], off, off offset:272
	s_waitcnt lgkmcnt(0)
	v_fma_f64 v[2:3], v[134:135], v[118:119], v[2:3]
	s_waitcnt vmcnt(4)
	s_delay_alu instid0(VALU_DEP_1)
	v_fma_f64 v[2:3], v[140:141], v[120:121], v[2:3]
	ds_load_2addr_b64 v[118:121], v1 offset0:83 offset1:84
	s_waitcnt lgkmcnt(0)
	v_fma_f64 v[2:3], v[142:143], v[118:119], v[2:3]
	scratch_load_b128 v[140:143], off, off offset:288
	s_waitcnt vmcnt(4)
	v_fma_f64 v[2:3], v[136:137], v[120:121], v[2:3]
	ds_load_2addr_b64 v[118:121], v1 offset0:85 offset1:86
	scratch_load_b128 v[134:137], off, off offset:304
	s_waitcnt lgkmcnt(0)
	v_fma_f64 v[2:3], v[138:139], v[118:119], v[2:3]
	s_waitcnt vmcnt(4)
	s_delay_alu instid0(VALU_DEP_1)
	v_fma_f64 v[2:3], v[122:123], v[120:121], v[2:3]
	ds_load_2addr_b64 v[118:121], v1 offset0:87 offset1:88
	s_waitcnt lgkmcnt(0)
	v_fma_f64 v[2:3], v[124:125], v[118:119], v[2:3]
	scratch_load_b128 v[122:125], off, off offset:320
	s_waitcnt vmcnt(4)
	v_fma_f64 v[2:3], v[126:127], v[120:121], v[2:3]
	ds_load_2addr_b64 v[118:121], v1 offset0:89 offset1:90
	s_waitcnt lgkmcnt(0)
	v_fma_f64 v[2:3], v[128:129], v[118:119], v[2:3]
	scratch_load_b128 v[126:129], off, off offset:336
	s_waitcnt vmcnt(4)
	;; [unrolled: 6-line block ×3, first 2 shown]
	v_fma_f64 v[2:3], v[140:141], v[120:121], v[2:3]
	ds_load_2addr_b64 v[118:121], v1 offset0:93 offset1:94
	scratch_load_b128 v[138:141], off, off offset:368
	s_waitcnt lgkmcnt(0)
	v_fma_f64 v[2:3], v[142:143], v[118:119], v[2:3]
	s_waitcnt vmcnt(4)
	s_delay_alu instid0(VALU_DEP_1)
	v_fma_f64 v[2:3], v[134:135], v[120:121], v[2:3]
	ds_load_2addr_b64 v[118:121], v1 offset0:95 offset1:96
	s_waitcnt lgkmcnt(0)
	v_fma_f64 v[2:3], v[136:137], v[118:119], v[2:3]
	scratch_load_b128 v[134:137], off, off offset:384
	s_waitcnt vmcnt(4)
	v_fma_f64 v[2:3], v[122:123], v[120:121], v[2:3]
	ds_load_2addr_b64 v[118:121], v1 offset0:97 offset1:98
	s_waitcnt lgkmcnt(0)
	v_fma_f64 v[2:3], v[124:125], v[118:119], v[2:3]
	scratch_load_b128 v[122:125], off, off offset:400
	s_waitcnt vmcnt(4)
	;; [unrolled: 6-line block ×3, first 2 shown]
	v_fma_f64 v[2:3], v[130:131], v[120:121], v[2:3]
	ds_load_2addr_b64 v[118:121], v1 offset0:101 offset1:102
	scratch_load_b64 v[130:131], off, off offset:432
	s_waitcnt lgkmcnt(0)
	v_fma_f64 v[2:3], v[132:133], v[118:119], v[2:3]
	s_waitcnt vmcnt(4)
	s_delay_alu instid0(VALU_DEP_1) | instskip(SKIP_4) | instid1(VALU_DEP_1)
	v_fma_f64 v[2:3], v[138:139], v[120:121], v[2:3]
	ds_load_2addr_b64 v[118:121], v1 offset0:103 offset1:104
	s_waitcnt lgkmcnt(0)
	v_fma_f64 v[2:3], v[140:141], v[118:119], v[2:3]
	s_waitcnt vmcnt(3)
	v_fma_f64 v[2:3], v[134:135], v[120:121], v[2:3]
	ds_load_2addr_b64 v[118:121], v1 offset0:105 offset1:106
	s_waitcnt lgkmcnt(0)
	v_fma_f64 v[2:3], v[136:137], v[118:119], v[2:3]
	s_waitcnt vmcnt(2)
	s_delay_alu instid0(VALU_DEP_1) | instskip(SKIP_4) | instid1(VALU_DEP_1)
	v_fma_f64 v[2:3], v[122:123], v[120:121], v[2:3]
	ds_load_2addr_b64 v[118:121], v1 offset0:107 offset1:108
	s_waitcnt lgkmcnt(0)
	v_fma_f64 v[2:3], v[124:125], v[118:119], v[2:3]
	s_waitcnt vmcnt(1)
	v_fma_f64 v[118:119], v[126:127], v[120:121], v[2:3]
	ds_load_2addr_b64 v[1:4], v1 offset0:109 offset1:110
	s_waitcnt lgkmcnt(0)
	v_fma_f64 v[1:2], v[128:129], v[1:2], v[118:119]
	s_waitcnt vmcnt(0)
	s_delay_alu instid0(VALU_DEP_1) | instskip(NEXT) | instid1(VALU_DEP_1)
	v_fma_f64 v[1:2], v[130:131], v[3:4], v[1:2]
	v_add_f64 v[1:2], v[116:117], -v[1:2]
	scratch_store_b64 off, v[1:2], off offset:128
	v_cmpx_lt_u32_e32 15, v0
	s_cbranch_execz .LBB54_309
; %bb.308:
	scratch_load_b64 v[1:2], off, off offset:120
	v_mov_b32_e32 v3, 0
	s_delay_alu instid0(VALU_DEP_1)
	v_mov_b32_e32 v4, v3
	scratch_store_b64 off, v[3:4], off offset:120
	s_waitcnt vmcnt(0)
	ds_store_b64 v5, v[1:2]
.LBB54_309:
	s_or_b32 exec_lo, exec_lo, s0
	s_waitcnt lgkmcnt(0)
	s_waitcnt_vscnt null, 0x0
	s_barrier
	buffer_gl0_inv
	s_clause 0x4
	scratch_load_b128 v[116:119], off, off offset:120
	scratch_load_b128 v[120:123], off, off offset:136
	;; [unrolled: 1-line block ×5, first 2 shown]
	v_mov_b32_e32 v1, 0
	scratch_load_b128 v[140:143], off, off offset:200
	s_mov_b32 s0, exec_lo
	ds_load_b128 v[136:139], v1 offset:576
	s_waitcnt vmcnt(5) lgkmcnt(0)
	v_fma_f64 v[2:3], v[118:119], v[136:137], 0
	s_waitcnt vmcnt(4)
	s_delay_alu instid0(VALU_DEP_1)
	v_fma_f64 v[2:3], v[120:121], v[138:139], v[2:3]
	scratch_load_b128 v[136:139], off, off offset:216
	ds_load_b128 v[118:121], v1 offset:592
	s_waitcnt lgkmcnt(0)
	v_fma_f64 v[2:3], v[122:123], v[118:119], v[2:3]
	s_waitcnt vmcnt(4)
	s_delay_alu instid0(VALU_DEP_1)
	v_fma_f64 v[2:3], v[124:125], v[120:121], v[2:3]
	ds_load_b128 v[118:121], v1 offset:608
	scratch_load_b128 v[122:125], off, off offset:232
	s_waitcnt lgkmcnt(0)
	v_fma_f64 v[2:3], v[126:127], v[118:119], v[2:3]
	s_waitcnt vmcnt(4)
	s_delay_alu instid0(VALU_DEP_1)
	v_fma_f64 v[2:3], v[128:129], v[120:121], v[2:3]
	scratch_load_b128 v[126:129], off, off offset:248
	ds_load_b128 v[118:121], v1 offset:624
	s_waitcnt lgkmcnt(0)
	v_fma_f64 v[2:3], v[130:131], v[118:119], v[2:3]
	s_waitcnt vmcnt(4)
	s_delay_alu instid0(VALU_DEP_1)
	v_fma_f64 v[2:3], v[132:133], v[120:121], v[2:3]
	ds_load_b128 v[118:121], v1 offset:640
	scratch_load_b128 v[130:133], off, off offset:264
	s_waitcnt lgkmcnt(0)
	v_fma_f64 v[2:3], v[134:135], v[118:119], v[2:3]
	s_waitcnt vmcnt(4)
	s_delay_alu instid0(VALU_DEP_1)
	v_fma_f64 v[2:3], v[140:141], v[120:121], v[2:3]
	ds_load_b128 v[118:121], v1 offset:656
	s_waitcnt lgkmcnt(0)
	v_fma_f64 v[2:3], v[142:143], v[118:119], v[2:3]
	scratch_load_b128 v[140:143], off, off offset:280
	s_waitcnt vmcnt(4)
	v_fma_f64 v[2:3], v[136:137], v[120:121], v[2:3]
	ds_load_b128 v[118:121], v1 offset:672
	scratch_load_b128 v[134:137], off, off offset:296
	s_waitcnt lgkmcnt(0)
	v_fma_f64 v[2:3], v[138:139], v[118:119], v[2:3]
	s_waitcnt vmcnt(4)
	s_delay_alu instid0(VALU_DEP_1)
	v_fma_f64 v[2:3], v[122:123], v[120:121], v[2:3]
	ds_load_b128 v[118:121], v1 offset:688
	s_waitcnt lgkmcnt(0)
	v_fma_f64 v[2:3], v[124:125], v[118:119], v[2:3]
	scratch_load_b128 v[122:125], off, off offset:312
	s_waitcnt vmcnt(4)
	v_fma_f64 v[2:3], v[126:127], v[120:121], v[2:3]
	ds_load_b128 v[118:121], v1 offset:704
	s_waitcnt lgkmcnt(0)
	v_fma_f64 v[2:3], v[128:129], v[118:119], v[2:3]
	scratch_load_b128 v[126:129], off, off offset:328
	s_waitcnt vmcnt(4)
	;; [unrolled: 6-line block ×3, first 2 shown]
	v_fma_f64 v[2:3], v[140:141], v[120:121], v[2:3]
	ds_load_b128 v[118:121], v1 offset:736
	scratch_load_b128 v[138:141], off, off offset:360
	s_waitcnt lgkmcnt(0)
	v_fma_f64 v[2:3], v[142:143], v[118:119], v[2:3]
	s_waitcnt vmcnt(4)
	s_delay_alu instid0(VALU_DEP_1)
	v_fma_f64 v[2:3], v[134:135], v[120:121], v[2:3]
	ds_load_b128 v[118:121], v1 offset:752
	s_waitcnt lgkmcnt(0)
	v_fma_f64 v[2:3], v[136:137], v[118:119], v[2:3]
	scratch_load_b128 v[134:137], off, off offset:376
	s_waitcnt vmcnt(4)
	v_fma_f64 v[2:3], v[122:123], v[120:121], v[2:3]
	ds_load_b128 v[118:121], v1 offset:768
	s_waitcnt lgkmcnt(0)
	v_fma_f64 v[2:3], v[124:125], v[118:119], v[2:3]
	scratch_load_b128 v[122:125], off, off offset:392
	s_waitcnt vmcnt(4)
	;; [unrolled: 6-line block ×4, first 2 shown]
	v_fma_f64 v[2:3], v[138:139], v[120:121], v[2:3]
	ds_load_b128 v[118:121], v1 offset:816
	s_waitcnt lgkmcnt(0)
	v_fma_f64 v[2:3], v[140:141], v[118:119], v[2:3]
	s_waitcnt vmcnt(3)
	s_delay_alu instid0(VALU_DEP_1) | instskip(SKIP_4) | instid1(VALU_DEP_1)
	v_fma_f64 v[2:3], v[134:135], v[120:121], v[2:3]
	ds_load_b128 v[118:121], v1 offset:832
	s_waitcnt lgkmcnt(0)
	v_fma_f64 v[2:3], v[136:137], v[118:119], v[2:3]
	s_waitcnt vmcnt(2)
	v_fma_f64 v[2:3], v[122:123], v[120:121], v[2:3]
	ds_load_b128 v[118:121], v1 offset:848
	s_waitcnt lgkmcnt(0)
	v_fma_f64 v[2:3], v[124:125], v[118:119], v[2:3]
	s_waitcnt vmcnt(1)
	s_delay_alu instid0(VALU_DEP_1)
	v_fma_f64 v[2:3], v[126:127], v[120:121], v[2:3]
	ds_load_b128 v[118:121], v1 offset:864
	s_waitcnt lgkmcnt(0)
	v_fma_f64 v[2:3], v[128:129], v[118:119], v[2:3]
	ds_load_b64 v[118:119], v1 offset:880
	s_waitcnt vmcnt(0)
	v_fma_f64 v[2:3], v[130:131], v[120:121], v[2:3]
	s_waitcnt lgkmcnt(0)
	s_delay_alu instid0(VALU_DEP_1) | instskip(NEXT) | instid1(VALU_DEP_1)
	v_fma_f64 v[2:3], v[132:133], v[118:119], v[2:3]
	v_add_f64 v[2:3], v[116:117], -v[2:3]
	scratch_store_b64 off, v[2:3], off offset:120
	v_cmpx_lt_u32_e32 14, v0
	s_cbranch_execz .LBB54_311
; %bb.310:
	scratch_load_b64 v[3:4], off, off offset:112
	v_mov_b32_e32 v2, v1
	scratch_store_b64 off, v[1:2], off offset:112
	s_waitcnt vmcnt(0)
	ds_store_b64 v5, v[3:4]
.LBB54_311:
	s_or_b32 exec_lo, exec_lo, s0
	s_waitcnt lgkmcnt(0)
	s_waitcnt_vscnt null, 0x0
	s_barrier
	buffer_gl0_inv
	s_clause 0x4
	scratch_load_b128 v[116:119], off, off offset:112
	scratch_load_b128 v[120:123], off, off offset:128
	;; [unrolled: 1-line block ×5, first 2 shown]
	ds_load_2addr_b64 v[136:139], v1 offset0:71 offset1:72
	scratch_load_b128 v[140:143], off, off offset:192
	s_mov_b32 s0, exec_lo
	s_waitcnt vmcnt(5) lgkmcnt(0)
	v_fma_f64 v[2:3], v[118:119], v[136:137], 0
	s_waitcnt vmcnt(4)
	s_delay_alu instid0(VALU_DEP_1)
	v_fma_f64 v[2:3], v[120:121], v[138:139], v[2:3]
	scratch_load_b128 v[136:139], off, off offset:208
	ds_load_2addr_b64 v[118:121], v1 offset0:73 offset1:74
	s_waitcnt lgkmcnt(0)
	v_fma_f64 v[2:3], v[122:123], v[118:119], v[2:3]
	s_waitcnt vmcnt(4)
	s_delay_alu instid0(VALU_DEP_1)
	v_fma_f64 v[2:3], v[124:125], v[120:121], v[2:3]
	ds_load_2addr_b64 v[118:121], v1 offset0:75 offset1:76
	scratch_load_b128 v[122:125], off, off offset:224
	s_waitcnt lgkmcnt(0)
	v_fma_f64 v[2:3], v[126:127], v[118:119], v[2:3]
	s_waitcnt vmcnt(4)
	s_delay_alu instid0(VALU_DEP_1)
	v_fma_f64 v[2:3], v[128:129], v[120:121], v[2:3]
	scratch_load_b128 v[126:129], off, off offset:240
	ds_load_2addr_b64 v[118:121], v1 offset0:77 offset1:78
	s_waitcnt lgkmcnt(0)
	v_fma_f64 v[2:3], v[130:131], v[118:119], v[2:3]
	s_waitcnt vmcnt(4)
	s_delay_alu instid0(VALU_DEP_1)
	v_fma_f64 v[2:3], v[132:133], v[120:121], v[2:3]
	ds_load_2addr_b64 v[118:121], v1 offset0:79 offset1:80
	scratch_load_b128 v[130:133], off, off offset:256
	s_waitcnt lgkmcnt(0)
	v_fma_f64 v[2:3], v[134:135], v[118:119], v[2:3]
	s_waitcnt vmcnt(4)
	s_delay_alu instid0(VALU_DEP_1)
	v_fma_f64 v[2:3], v[140:141], v[120:121], v[2:3]
	ds_load_2addr_b64 v[118:121], v1 offset0:81 offset1:82
	s_waitcnt lgkmcnt(0)
	v_fma_f64 v[2:3], v[142:143], v[118:119], v[2:3]
	scratch_load_b128 v[140:143], off, off offset:272
	s_waitcnt vmcnt(4)
	v_fma_f64 v[2:3], v[136:137], v[120:121], v[2:3]
	ds_load_2addr_b64 v[118:121], v1 offset0:83 offset1:84
	scratch_load_b128 v[134:137], off, off offset:288
	s_waitcnt lgkmcnt(0)
	v_fma_f64 v[2:3], v[138:139], v[118:119], v[2:3]
	s_waitcnt vmcnt(4)
	s_delay_alu instid0(VALU_DEP_1)
	v_fma_f64 v[2:3], v[122:123], v[120:121], v[2:3]
	ds_load_2addr_b64 v[118:121], v1 offset0:85 offset1:86
	s_waitcnt lgkmcnt(0)
	v_fma_f64 v[2:3], v[124:125], v[118:119], v[2:3]
	scratch_load_b128 v[122:125], off, off offset:304
	s_waitcnt vmcnt(4)
	v_fma_f64 v[2:3], v[126:127], v[120:121], v[2:3]
	ds_load_2addr_b64 v[118:121], v1 offset0:87 offset1:88
	s_waitcnt lgkmcnt(0)
	v_fma_f64 v[2:3], v[128:129], v[118:119], v[2:3]
	scratch_load_b128 v[126:129], off, off offset:320
	s_waitcnt vmcnt(4)
	;; [unrolled: 6-line block ×3, first 2 shown]
	v_fma_f64 v[2:3], v[140:141], v[120:121], v[2:3]
	ds_load_2addr_b64 v[118:121], v1 offset0:91 offset1:92
	scratch_load_b128 v[138:141], off, off offset:352
	s_waitcnt lgkmcnt(0)
	v_fma_f64 v[2:3], v[142:143], v[118:119], v[2:3]
	s_waitcnt vmcnt(4)
	s_delay_alu instid0(VALU_DEP_1)
	v_fma_f64 v[2:3], v[134:135], v[120:121], v[2:3]
	ds_load_2addr_b64 v[118:121], v1 offset0:93 offset1:94
	s_waitcnt lgkmcnt(0)
	v_fma_f64 v[2:3], v[136:137], v[118:119], v[2:3]
	scratch_load_b128 v[134:137], off, off offset:368
	s_waitcnt vmcnt(4)
	v_fma_f64 v[2:3], v[122:123], v[120:121], v[2:3]
	ds_load_2addr_b64 v[118:121], v1 offset0:95 offset1:96
	s_waitcnt lgkmcnt(0)
	v_fma_f64 v[2:3], v[124:125], v[118:119], v[2:3]
	scratch_load_b128 v[122:125], off, off offset:384
	s_waitcnt vmcnt(4)
	;; [unrolled: 6-line block ×4, first 2 shown]
	v_fma_f64 v[2:3], v[138:139], v[120:121], v[2:3]
	scratch_load_b64 v[138:139], off, off offset:432
	ds_load_2addr_b64 v[118:121], v1 offset0:101 offset1:102
	s_waitcnt lgkmcnt(0)
	v_fma_f64 v[2:3], v[140:141], v[118:119], v[2:3]
	s_waitcnt vmcnt(4)
	s_delay_alu instid0(VALU_DEP_1) | instskip(SKIP_4) | instid1(VALU_DEP_1)
	v_fma_f64 v[2:3], v[134:135], v[120:121], v[2:3]
	ds_load_2addr_b64 v[118:121], v1 offset0:103 offset1:104
	s_waitcnt lgkmcnt(0)
	v_fma_f64 v[2:3], v[136:137], v[118:119], v[2:3]
	s_waitcnt vmcnt(3)
	v_fma_f64 v[2:3], v[122:123], v[120:121], v[2:3]
	ds_load_2addr_b64 v[118:121], v1 offset0:105 offset1:106
	s_waitcnt lgkmcnt(0)
	v_fma_f64 v[2:3], v[124:125], v[118:119], v[2:3]
	s_waitcnt vmcnt(2)
	s_delay_alu instid0(VALU_DEP_1) | instskip(SKIP_4) | instid1(VALU_DEP_1)
	v_fma_f64 v[2:3], v[126:127], v[120:121], v[2:3]
	ds_load_2addr_b64 v[118:121], v1 offset0:107 offset1:108
	s_waitcnt lgkmcnt(0)
	v_fma_f64 v[2:3], v[128:129], v[118:119], v[2:3]
	s_waitcnt vmcnt(1)
	v_fma_f64 v[118:119], v[130:131], v[120:121], v[2:3]
	ds_load_2addr_b64 v[1:4], v1 offset0:109 offset1:110
	s_waitcnt lgkmcnt(0)
	v_fma_f64 v[1:2], v[132:133], v[1:2], v[118:119]
	s_waitcnt vmcnt(0)
	s_delay_alu instid0(VALU_DEP_1) | instskip(NEXT) | instid1(VALU_DEP_1)
	v_fma_f64 v[1:2], v[138:139], v[3:4], v[1:2]
	v_add_f64 v[1:2], v[116:117], -v[1:2]
	scratch_store_b64 off, v[1:2], off offset:112
	v_cmpx_lt_u32_e32 13, v0
	s_cbranch_execz .LBB54_313
; %bb.312:
	scratch_load_b64 v[1:2], off, off offset:104
	v_mov_b32_e32 v3, 0
	s_delay_alu instid0(VALU_DEP_1)
	v_mov_b32_e32 v4, v3
	scratch_store_b64 off, v[3:4], off offset:104
	s_waitcnt vmcnt(0)
	ds_store_b64 v5, v[1:2]
.LBB54_313:
	s_or_b32 exec_lo, exec_lo, s0
	s_waitcnt lgkmcnt(0)
	s_waitcnt_vscnt null, 0x0
	s_barrier
	buffer_gl0_inv
	s_clause 0x4
	scratch_load_b128 v[116:119], off, off offset:104
	scratch_load_b128 v[120:123], off, off offset:120
	;; [unrolled: 1-line block ×5, first 2 shown]
	v_mov_b32_e32 v1, 0
	scratch_load_b128 v[140:143], off, off offset:184
	s_mov_b32 s0, exec_lo
	ds_load_b128 v[136:139], v1 offset:560
	s_waitcnt vmcnt(5) lgkmcnt(0)
	v_fma_f64 v[2:3], v[118:119], v[136:137], 0
	s_waitcnt vmcnt(4)
	s_delay_alu instid0(VALU_DEP_1)
	v_fma_f64 v[2:3], v[120:121], v[138:139], v[2:3]
	scratch_load_b128 v[136:139], off, off offset:200
	ds_load_b128 v[118:121], v1 offset:576
	s_waitcnt lgkmcnt(0)
	v_fma_f64 v[2:3], v[122:123], v[118:119], v[2:3]
	s_waitcnt vmcnt(4)
	s_delay_alu instid0(VALU_DEP_1)
	v_fma_f64 v[2:3], v[124:125], v[120:121], v[2:3]
	ds_load_b128 v[118:121], v1 offset:592
	scratch_load_b128 v[122:125], off, off offset:216
	s_waitcnt lgkmcnt(0)
	v_fma_f64 v[2:3], v[126:127], v[118:119], v[2:3]
	s_waitcnt vmcnt(4)
	s_delay_alu instid0(VALU_DEP_1)
	v_fma_f64 v[2:3], v[128:129], v[120:121], v[2:3]
	scratch_load_b128 v[126:129], off, off offset:232
	ds_load_b128 v[118:121], v1 offset:608
	s_waitcnt lgkmcnt(0)
	v_fma_f64 v[2:3], v[130:131], v[118:119], v[2:3]
	s_waitcnt vmcnt(4)
	s_delay_alu instid0(VALU_DEP_1)
	v_fma_f64 v[2:3], v[132:133], v[120:121], v[2:3]
	ds_load_b128 v[118:121], v1 offset:624
	scratch_load_b128 v[130:133], off, off offset:248
	s_waitcnt lgkmcnt(0)
	v_fma_f64 v[2:3], v[134:135], v[118:119], v[2:3]
	s_waitcnt vmcnt(4)
	s_delay_alu instid0(VALU_DEP_1)
	v_fma_f64 v[2:3], v[140:141], v[120:121], v[2:3]
	ds_load_b128 v[118:121], v1 offset:640
	s_waitcnt lgkmcnt(0)
	v_fma_f64 v[2:3], v[142:143], v[118:119], v[2:3]
	scratch_load_b128 v[140:143], off, off offset:264
	s_waitcnt vmcnt(4)
	v_fma_f64 v[2:3], v[136:137], v[120:121], v[2:3]
	ds_load_b128 v[118:121], v1 offset:656
	scratch_load_b128 v[134:137], off, off offset:280
	s_waitcnt lgkmcnt(0)
	v_fma_f64 v[2:3], v[138:139], v[118:119], v[2:3]
	s_waitcnt vmcnt(4)
	s_delay_alu instid0(VALU_DEP_1)
	v_fma_f64 v[2:3], v[122:123], v[120:121], v[2:3]
	ds_load_b128 v[118:121], v1 offset:672
	s_waitcnt lgkmcnt(0)
	v_fma_f64 v[2:3], v[124:125], v[118:119], v[2:3]
	scratch_load_b128 v[122:125], off, off offset:296
	s_waitcnt vmcnt(4)
	v_fma_f64 v[2:3], v[126:127], v[120:121], v[2:3]
	ds_load_b128 v[118:121], v1 offset:688
	s_waitcnt lgkmcnt(0)
	v_fma_f64 v[2:3], v[128:129], v[118:119], v[2:3]
	scratch_load_b128 v[126:129], off, off offset:312
	s_waitcnt vmcnt(4)
	;; [unrolled: 6-line block ×3, first 2 shown]
	v_fma_f64 v[2:3], v[140:141], v[120:121], v[2:3]
	ds_load_b128 v[118:121], v1 offset:720
	scratch_load_b128 v[138:141], off, off offset:344
	s_waitcnt lgkmcnt(0)
	v_fma_f64 v[2:3], v[142:143], v[118:119], v[2:3]
	s_waitcnt vmcnt(4)
	s_delay_alu instid0(VALU_DEP_1)
	v_fma_f64 v[2:3], v[134:135], v[120:121], v[2:3]
	ds_load_b128 v[118:121], v1 offset:736
	s_waitcnt lgkmcnt(0)
	v_fma_f64 v[2:3], v[136:137], v[118:119], v[2:3]
	scratch_load_b128 v[134:137], off, off offset:360
	s_waitcnt vmcnt(4)
	v_fma_f64 v[2:3], v[122:123], v[120:121], v[2:3]
	ds_load_b128 v[118:121], v1 offset:752
	s_waitcnt lgkmcnt(0)
	v_fma_f64 v[2:3], v[124:125], v[118:119], v[2:3]
	scratch_load_b128 v[122:125], off, off offset:376
	s_waitcnt vmcnt(4)
	;; [unrolled: 6-line block ×5, first 2 shown]
	v_fma_f64 v[2:3], v[134:135], v[120:121], v[2:3]
	ds_load_b128 v[118:121], v1 offset:816
	s_waitcnt lgkmcnt(0)
	v_fma_f64 v[2:3], v[136:137], v[118:119], v[2:3]
	s_waitcnt vmcnt(3)
	s_delay_alu instid0(VALU_DEP_1) | instskip(SKIP_4) | instid1(VALU_DEP_1)
	v_fma_f64 v[2:3], v[122:123], v[120:121], v[2:3]
	ds_load_b128 v[118:121], v1 offset:832
	s_waitcnt lgkmcnt(0)
	v_fma_f64 v[2:3], v[124:125], v[118:119], v[2:3]
	s_waitcnt vmcnt(2)
	v_fma_f64 v[2:3], v[126:127], v[120:121], v[2:3]
	ds_load_b128 v[118:121], v1 offset:848
	s_waitcnt lgkmcnt(0)
	v_fma_f64 v[2:3], v[128:129], v[118:119], v[2:3]
	s_waitcnt vmcnt(1)
	s_delay_alu instid0(VALU_DEP_1)
	v_fma_f64 v[2:3], v[130:131], v[120:121], v[2:3]
	ds_load_b128 v[118:121], v1 offset:864
	s_waitcnt lgkmcnt(0)
	v_fma_f64 v[2:3], v[132:133], v[118:119], v[2:3]
	ds_load_b64 v[118:119], v1 offset:880
	s_waitcnt vmcnt(0)
	v_fma_f64 v[2:3], v[138:139], v[120:121], v[2:3]
	s_waitcnt lgkmcnt(0)
	s_delay_alu instid0(VALU_DEP_1) | instskip(NEXT) | instid1(VALU_DEP_1)
	v_fma_f64 v[2:3], v[140:141], v[118:119], v[2:3]
	v_add_f64 v[2:3], v[116:117], -v[2:3]
	scratch_store_b64 off, v[2:3], off offset:104
	v_cmpx_lt_u32_e32 12, v0
	s_cbranch_execz .LBB54_315
; %bb.314:
	scratch_load_b64 v[3:4], off, off offset:96
	v_mov_b32_e32 v2, v1
	scratch_store_b64 off, v[1:2], off offset:96
	s_waitcnt vmcnt(0)
	ds_store_b64 v5, v[3:4]
.LBB54_315:
	s_or_b32 exec_lo, exec_lo, s0
	s_waitcnt lgkmcnt(0)
	s_waitcnt_vscnt null, 0x0
	s_barrier
	buffer_gl0_inv
	s_clause 0x4
	scratch_load_b128 v[116:119], off, off offset:96
	scratch_load_b128 v[120:123], off, off offset:112
	;; [unrolled: 1-line block ×5, first 2 shown]
	ds_load_2addr_b64 v[136:139], v1 offset0:69 offset1:70
	scratch_load_b128 v[140:143], off, off offset:176
	s_mov_b32 s0, exec_lo
	s_waitcnt vmcnt(5) lgkmcnt(0)
	v_fma_f64 v[2:3], v[118:119], v[136:137], 0
	s_waitcnt vmcnt(4)
	s_delay_alu instid0(VALU_DEP_1)
	v_fma_f64 v[2:3], v[120:121], v[138:139], v[2:3]
	scratch_load_b128 v[136:139], off, off offset:192
	ds_load_2addr_b64 v[118:121], v1 offset0:71 offset1:72
	s_waitcnt lgkmcnt(0)
	v_fma_f64 v[2:3], v[122:123], v[118:119], v[2:3]
	s_waitcnt vmcnt(4)
	s_delay_alu instid0(VALU_DEP_1)
	v_fma_f64 v[2:3], v[124:125], v[120:121], v[2:3]
	ds_load_2addr_b64 v[118:121], v1 offset0:73 offset1:74
	scratch_load_b128 v[122:125], off, off offset:208
	s_waitcnt lgkmcnt(0)
	v_fma_f64 v[2:3], v[126:127], v[118:119], v[2:3]
	s_waitcnt vmcnt(4)
	s_delay_alu instid0(VALU_DEP_1)
	v_fma_f64 v[2:3], v[128:129], v[120:121], v[2:3]
	scratch_load_b128 v[126:129], off, off offset:224
	ds_load_2addr_b64 v[118:121], v1 offset0:75 offset1:76
	s_waitcnt lgkmcnt(0)
	v_fma_f64 v[2:3], v[130:131], v[118:119], v[2:3]
	s_waitcnt vmcnt(4)
	s_delay_alu instid0(VALU_DEP_1)
	v_fma_f64 v[2:3], v[132:133], v[120:121], v[2:3]
	ds_load_2addr_b64 v[118:121], v1 offset0:77 offset1:78
	scratch_load_b128 v[130:133], off, off offset:240
	s_waitcnt lgkmcnt(0)
	v_fma_f64 v[2:3], v[134:135], v[118:119], v[2:3]
	s_waitcnt vmcnt(4)
	s_delay_alu instid0(VALU_DEP_1)
	v_fma_f64 v[2:3], v[140:141], v[120:121], v[2:3]
	ds_load_2addr_b64 v[118:121], v1 offset0:79 offset1:80
	s_waitcnt lgkmcnt(0)
	v_fma_f64 v[2:3], v[142:143], v[118:119], v[2:3]
	scratch_load_b128 v[140:143], off, off offset:256
	s_waitcnt vmcnt(4)
	v_fma_f64 v[2:3], v[136:137], v[120:121], v[2:3]
	ds_load_2addr_b64 v[118:121], v1 offset0:81 offset1:82
	scratch_load_b128 v[134:137], off, off offset:272
	s_waitcnt lgkmcnt(0)
	v_fma_f64 v[2:3], v[138:139], v[118:119], v[2:3]
	s_waitcnt vmcnt(4)
	s_delay_alu instid0(VALU_DEP_1)
	v_fma_f64 v[2:3], v[122:123], v[120:121], v[2:3]
	ds_load_2addr_b64 v[118:121], v1 offset0:83 offset1:84
	s_waitcnt lgkmcnt(0)
	v_fma_f64 v[2:3], v[124:125], v[118:119], v[2:3]
	scratch_load_b128 v[122:125], off, off offset:288
	s_waitcnt vmcnt(4)
	v_fma_f64 v[2:3], v[126:127], v[120:121], v[2:3]
	ds_load_2addr_b64 v[118:121], v1 offset0:85 offset1:86
	s_waitcnt lgkmcnt(0)
	v_fma_f64 v[2:3], v[128:129], v[118:119], v[2:3]
	scratch_load_b128 v[126:129], off, off offset:304
	s_waitcnt vmcnt(4)
	;; [unrolled: 6-line block ×3, first 2 shown]
	v_fma_f64 v[2:3], v[140:141], v[120:121], v[2:3]
	ds_load_2addr_b64 v[118:121], v1 offset0:89 offset1:90
	scratch_load_b128 v[138:141], off, off offset:336
	s_waitcnt lgkmcnt(0)
	v_fma_f64 v[2:3], v[142:143], v[118:119], v[2:3]
	s_waitcnt vmcnt(4)
	s_delay_alu instid0(VALU_DEP_1)
	v_fma_f64 v[2:3], v[134:135], v[120:121], v[2:3]
	ds_load_2addr_b64 v[118:121], v1 offset0:91 offset1:92
	s_waitcnt lgkmcnt(0)
	v_fma_f64 v[2:3], v[136:137], v[118:119], v[2:3]
	scratch_load_b128 v[134:137], off, off offset:352
	s_waitcnt vmcnt(4)
	v_fma_f64 v[2:3], v[122:123], v[120:121], v[2:3]
	ds_load_2addr_b64 v[118:121], v1 offset0:93 offset1:94
	s_waitcnt lgkmcnt(0)
	v_fma_f64 v[2:3], v[124:125], v[118:119], v[2:3]
	scratch_load_b128 v[122:125], off, off offset:368
	s_waitcnt vmcnt(4)
	;; [unrolled: 6-line block ×5, first 2 shown]
	v_fma_f64 v[2:3], v[134:135], v[120:121], v[2:3]
	ds_load_2addr_b64 v[118:121], v1 offset0:101 offset1:102
	scratch_load_b64 v[134:135], off, off offset:432
	s_waitcnt lgkmcnt(0)
	v_fma_f64 v[2:3], v[136:137], v[118:119], v[2:3]
	s_waitcnt vmcnt(4)
	s_delay_alu instid0(VALU_DEP_1) | instskip(SKIP_4) | instid1(VALU_DEP_1)
	v_fma_f64 v[2:3], v[122:123], v[120:121], v[2:3]
	ds_load_2addr_b64 v[118:121], v1 offset0:103 offset1:104
	s_waitcnt lgkmcnt(0)
	v_fma_f64 v[2:3], v[124:125], v[118:119], v[2:3]
	s_waitcnt vmcnt(3)
	v_fma_f64 v[2:3], v[126:127], v[120:121], v[2:3]
	ds_load_2addr_b64 v[118:121], v1 offset0:105 offset1:106
	s_waitcnt lgkmcnt(0)
	v_fma_f64 v[2:3], v[128:129], v[118:119], v[2:3]
	s_waitcnt vmcnt(2)
	s_delay_alu instid0(VALU_DEP_1) | instskip(SKIP_4) | instid1(VALU_DEP_1)
	v_fma_f64 v[2:3], v[130:131], v[120:121], v[2:3]
	ds_load_2addr_b64 v[118:121], v1 offset0:107 offset1:108
	s_waitcnt lgkmcnt(0)
	v_fma_f64 v[2:3], v[132:133], v[118:119], v[2:3]
	s_waitcnt vmcnt(1)
	v_fma_f64 v[118:119], v[138:139], v[120:121], v[2:3]
	ds_load_2addr_b64 v[1:4], v1 offset0:109 offset1:110
	s_waitcnt lgkmcnt(0)
	v_fma_f64 v[1:2], v[140:141], v[1:2], v[118:119]
	s_waitcnt vmcnt(0)
	s_delay_alu instid0(VALU_DEP_1) | instskip(NEXT) | instid1(VALU_DEP_1)
	v_fma_f64 v[1:2], v[134:135], v[3:4], v[1:2]
	v_add_f64 v[1:2], v[116:117], -v[1:2]
	scratch_store_b64 off, v[1:2], off offset:96
	v_cmpx_lt_u32_e32 11, v0
	s_cbranch_execz .LBB54_317
; %bb.316:
	scratch_load_b64 v[1:2], off, off offset:88
	v_mov_b32_e32 v3, 0
	s_delay_alu instid0(VALU_DEP_1)
	v_mov_b32_e32 v4, v3
	scratch_store_b64 off, v[3:4], off offset:88
	s_waitcnt vmcnt(0)
	ds_store_b64 v5, v[1:2]
.LBB54_317:
	s_or_b32 exec_lo, exec_lo, s0
	s_waitcnt lgkmcnt(0)
	s_waitcnt_vscnt null, 0x0
	s_barrier
	buffer_gl0_inv
	s_clause 0x4
	scratch_load_b128 v[1:4], off, off offset:88
	scratch_load_b128 v[117:120], off, off offset:104
	;; [unrolled: 1-line block ×5, first 2 shown]
	v_mov_b32_e32 v116, 0
	scratch_load_b128 v[137:140], off, off offset:168
	s_mov_b32 s0, exec_lo
	ds_load_b128 v[133:136], v116 offset:544
	s_waitcnt vmcnt(5) lgkmcnt(0)
	v_fma_f64 v[3:4], v[3:4], v[133:134], 0
	s_waitcnt vmcnt(4)
	s_delay_alu instid0(VALU_DEP_1)
	v_fma_f64 v[3:4], v[117:118], v[135:136], v[3:4]
	ds_load_b128 v[133:136], v116 offset:560
	s_waitcnt lgkmcnt(0)
	v_fma_f64 v[3:4], v[119:120], v[133:134], v[3:4]
	scratch_load_b128 v[117:120], off, off offset:184
	s_waitcnt vmcnt(4)
	v_fma_f64 v[3:4], v[121:122], v[135:136], v[3:4]
	ds_load_b128 v[133:136], v116 offset:576
	s_waitcnt lgkmcnt(0)
	v_fma_f64 v[3:4], v[123:124], v[133:134], v[3:4]
	scratch_load_b128 v[121:124], off, off offset:200
	s_waitcnt vmcnt(4)
	;; [unrolled: 6-line block ×16, first 2 shown]
	v_fma_f64 v[3:4], v[121:122], v[135:136], v[3:4]
	ds_load_b128 v[133:136], v116 offset:816
	s_waitcnt lgkmcnt(0)
	v_fma_f64 v[3:4], v[123:124], v[133:134], v[3:4]
	ds_load_b128 v[121:124], v116 offset:832
	s_waitcnt vmcnt(3)
	v_fma_f64 v[3:4], v[125:126], v[135:136], v[3:4]
	s_waitcnt lgkmcnt(0)
	s_delay_alu instid0(VALU_DEP_1) | instskip(SKIP_1) | instid1(VALU_DEP_1)
	v_fma_f64 v[3:4], v[127:128], v[121:122], v[3:4]
	s_waitcnt vmcnt(2)
	v_fma_f64 v[3:4], v[129:130], v[123:124], v[3:4]
	ds_load_b128 v[121:124], v116 offset:848
	s_waitcnt lgkmcnt(0)
	v_fma_f64 v[3:4], v[131:132], v[121:122], v[3:4]
	s_waitcnt vmcnt(1)
	s_delay_alu instid0(VALU_DEP_1) | instskip(SKIP_4) | instid1(VALU_DEP_1)
	v_fma_f64 v[3:4], v[137:138], v[123:124], v[3:4]
	ds_load_b128 v[121:124], v116 offset:864
	s_waitcnt lgkmcnt(0)
	v_fma_f64 v[3:4], v[139:140], v[121:122], v[3:4]
	s_waitcnt vmcnt(0)
	v_fma_f64 v[3:4], v[117:118], v[123:124], v[3:4]
	ds_load_b64 v[117:118], v116 offset:880
	s_waitcnt lgkmcnt(0)
	v_fma_f64 v[3:4], v[119:120], v[117:118], v[3:4]
	s_delay_alu instid0(VALU_DEP_1)
	v_add_f64 v[1:2], v[1:2], -v[3:4]
	scratch_store_b64 off, v[1:2], off offset:88
	v_cmpx_lt_u32_e32 10, v0
	s_cbranch_execz .LBB54_319
; %bb.318:
	scratch_load_b64 v[1:2], off, off offset:80
	v_mov_b32_e32 v117, v116
	scratch_store_b64 off, v[116:117], off offset:80
	s_waitcnt vmcnt(0)
	ds_store_b64 v5, v[1:2]
.LBB54_319:
	s_or_b32 exec_lo, exec_lo, s0
	s_waitcnt lgkmcnt(0)
	s_waitcnt_vscnt null, 0x0
	s_barrier
	buffer_gl0_inv
	s_clause 0x4
	scratch_load_b128 v[1:4], off, off offset:80
	scratch_load_b128 v[117:120], off, off offset:96
	;; [unrolled: 1-line block ×5, first 2 shown]
	ds_load_2addr_b64 v[133:136], v116 offset0:67 offset1:68
	scratch_load_b128 v[137:140], off, off offset:160
	s_mov_b32 s0, exec_lo
	s_waitcnt vmcnt(5) lgkmcnt(0)
	v_fma_f64 v[3:4], v[3:4], v[133:134], 0
	s_waitcnt vmcnt(4)
	s_delay_alu instid0(VALU_DEP_1)
	v_fma_f64 v[3:4], v[117:118], v[135:136], v[3:4]
	ds_load_2addr_b64 v[133:136], v116 offset0:69 offset1:70
	s_waitcnt lgkmcnt(0)
	v_fma_f64 v[3:4], v[119:120], v[133:134], v[3:4]
	scratch_load_b128 v[117:120], off, off offset:176
	s_waitcnt vmcnt(4)
	v_fma_f64 v[3:4], v[121:122], v[135:136], v[3:4]
	ds_load_2addr_b64 v[133:136], v116 offset0:71 offset1:72
	s_waitcnt lgkmcnt(0)
	v_fma_f64 v[3:4], v[123:124], v[133:134], v[3:4]
	scratch_load_b128 v[121:124], off, off offset:192
	s_waitcnt vmcnt(4)
	v_fma_f64 v[3:4], v[125:126], v[135:136], v[3:4]
	ds_load_2addr_b64 v[133:136], v116 offset0:73 offset1:74
	s_waitcnt lgkmcnt(0)
	v_fma_f64 v[3:4], v[127:128], v[133:134], v[3:4]
	scratch_load_b128 v[125:128], off, off offset:208
	s_waitcnt vmcnt(4)
	v_fma_f64 v[3:4], v[129:130], v[135:136], v[3:4]
	ds_load_2addr_b64 v[133:136], v116 offset0:75 offset1:76
	s_waitcnt lgkmcnt(0)
	v_fma_f64 v[3:4], v[131:132], v[133:134], v[3:4]
	scratch_load_b128 v[129:132], off, off offset:224
	s_waitcnt vmcnt(4)
	v_fma_f64 v[3:4], v[137:138], v[135:136], v[3:4]
	ds_load_2addr_b64 v[133:136], v116 offset0:77 offset1:78
	s_waitcnt lgkmcnt(0)
	v_fma_f64 v[3:4], v[139:140], v[133:134], v[3:4]
	scratch_load_b128 v[137:140], off, off offset:240
	s_waitcnt vmcnt(4)
	v_fma_f64 v[3:4], v[117:118], v[135:136], v[3:4]
	ds_load_2addr_b64 v[133:136], v116 offset0:79 offset1:80
	s_waitcnt lgkmcnt(0)
	v_fma_f64 v[3:4], v[119:120], v[133:134], v[3:4]
	scratch_load_b128 v[117:120], off, off offset:256
	s_waitcnt vmcnt(4)
	v_fma_f64 v[3:4], v[121:122], v[135:136], v[3:4]
	ds_load_2addr_b64 v[133:136], v116 offset0:81 offset1:82
	s_waitcnt lgkmcnt(0)
	v_fma_f64 v[3:4], v[123:124], v[133:134], v[3:4]
	scratch_load_b128 v[121:124], off, off offset:272
	s_waitcnt vmcnt(4)
	v_fma_f64 v[3:4], v[125:126], v[135:136], v[3:4]
	ds_load_2addr_b64 v[133:136], v116 offset0:83 offset1:84
	s_waitcnt lgkmcnt(0)
	v_fma_f64 v[3:4], v[127:128], v[133:134], v[3:4]
	scratch_load_b128 v[125:128], off, off offset:288
	s_waitcnt vmcnt(4)
	v_fma_f64 v[3:4], v[129:130], v[135:136], v[3:4]
	ds_load_2addr_b64 v[133:136], v116 offset0:85 offset1:86
	s_waitcnt lgkmcnt(0)
	v_fma_f64 v[3:4], v[131:132], v[133:134], v[3:4]
	scratch_load_b128 v[129:132], off, off offset:304
	s_waitcnt vmcnt(4)
	v_fma_f64 v[3:4], v[137:138], v[135:136], v[3:4]
	ds_load_2addr_b64 v[133:136], v116 offset0:87 offset1:88
	s_waitcnt lgkmcnt(0)
	v_fma_f64 v[3:4], v[139:140], v[133:134], v[3:4]
	scratch_load_b128 v[137:140], off, off offset:320
	s_waitcnt vmcnt(4)
	v_fma_f64 v[3:4], v[117:118], v[135:136], v[3:4]
	ds_load_2addr_b64 v[133:136], v116 offset0:89 offset1:90
	s_waitcnt lgkmcnt(0)
	v_fma_f64 v[3:4], v[119:120], v[133:134], v[3:4]
	scratch_load_b128 v[117:120], off, off offset:336
	s_waitcnt vmcnt(4)
	v_fma_f64 v[3:4], v[121:122], v[135:136], v[3:4]
	ds_load_2addr_b64 v[133:136], v116 offset0:91 offset1:92
	s_waitcnt lgkmcnt(0)
	v_fma_f64 v[3:4], v[123:124], v[133:134], v[3:4]
	scratch_load_b128 v[121:124], off, off offset:352
	s_waitcnt vmcnt(4)
	v_fma_f64 v[3:4], v[125:126], v[135:136], v[3:4]
	ds_load_2addr_b64 v[133:136], v116 offset0:93 offset1:94
	s_waitcnt lgkmcnt(0)
	v_fma_f64 v[3:4], v[127:128], v[133:134], v[3:4]
	scratch_load_b128 v[125:128], off, off offset:368
	s_waitcnt vmcnt(4)
	v_fma_f64 v[3:4], v[129:130], v[135:136], v[3:4]
	ds_load_2addr_b64 v[133:136], v116 offset0:95 offset1:96
	s_waitcnt lgkmcnt(0)
	v_fma_f64 v[3:4], v[131:132], v[133:134], v[3:4]
	scratch_load_b128 v[129:132], off, off offset:384
	s_waitcnt vmcnt(4)
	v_fma_f64 v[3:4], v[137:138], v[135:136], v[3:4]
	ds_load_2addr_b64 v[133:136], v116 offset0:97 offset1:98
	s_waitcnt lgkmcnt(0)
	v_fma_f64 v[3:4], v[139:140], v[133:134], v[3:4]
	scratch_load_b128 v[137:140], off, off offset:400
	s_waitcnt vmcnt(4)
	v_fma_f64 v[3:4], v[117:118], v[135:136], v[3:4]
	ds_load_2addr_b64 v[133:136], v116 offset0:99 offset1:100
	s_waitcnt lgkmcnt(0)
	v_fma_f64 v[3:4], v[119:120], v[133:134], v[3:4]
	scratch_load_b128 v[117:120], off, off offset:416
	s_waitcnt vmcnt(4)
	v_fma_f64 v[3:4], v[121:122], v[135:136], v[3:4]
	ds_load_2addr_b64 v[133:136], v116 offset0:101 offset1:102
	s_waitcnt lgkmcnt(0)
	v_fma_f64 v[3:4], v[123:124], v[133:134], v[3:4]
	scratch_load_b64 v[133:134], off, off offset:432
	ds_load_2addr_b64 v[121:124], v116 offset0:103 offset1:104
	s_waitcnt vmcnt(4)
	v_fma_f64 v[3:4], v[125:126], v[135:136], v[3:4]
	s_waitcnt lgkmcnt(0)
	s_delay_alu instid0(VALU_DEP_1) | instskip(SKIP_1) | instid1(VALU_DEP_1)
	v_fma_f64 v[3:4], v[127:128], v[121:122], v[3:4]
	s_waitcnt vmcnt(3)
	v_fma_f64 v[3:4], v[129:130], v[123:124], v[3:4]
	ds_load_2addr_b64 v[121:124], v116 offset0:105 offset1:106
	s_waitcnt lgkmcnt(0)
	v_fma_f64 v[3:4], v[131:132], v[121:122], v[3:4]
	s_waitcnt vmcnt(2)
	s_delay_alu instid0(VALU_DEP_1) | instskip(SKIP_4) | instid1(VALU_DEP_1)
	v_fma_f64 v[3:4], v[137:138], v[123:124], v[3:4]
	ds_load_2addr_b64 v[121:124], v116 offset0:107 offset1:108
	s_waitcnt lgkmcnt(0)
	v_fma_f64 v[3:4], v[139:140], v[121:122], v[3:4]
	s_waitcnt vmcnt(1)
	v_fma_f64 v[3:4], v[117:118], v[123:124], v[3:4]
	ds_load_2addr_b64 v[121:124], v116 offset0:109 offset1:110
	s_waitcnt lgkmcnt(0)
	v_fma_f64 v[3:4], v[119:120], v[121:122], v[3:4]
	s_waitcnt vmcnt(0)
	s_delay_alu instid0(VALU_DEP_1) | instskip(NEXT) | instid1(VALU_DEP_1)
	v_fma_f64 v[3:4], v[133:134], v[123:124], v[3:4]
	v_add_f64 v[1:2], v[1:2], -v[3:4]
	scratch_store_b64 off, v[1:2], off offset:80
	v_cmpx_lt_u32_e32 9, v0
	s_cbranch_execz .LBB54_321
; %bb.320:
	scratch_load_b64 v[1:2], off, off offset:72
	v_mov_b32_e32 v3, 0
	s_delay_alu instid0(VALU_DEP_1)
	v_mov_b32_e32 v4, v3
	scratch_store_b64 off, v[3:4], off offset:72
	s_waitcnt vmcnt(0)
	ds_store_b64 v5, v[1:2]
.LBB54_321:
	s_or_b32 exec_lo, exec_lo, s0
	s_waitcnt lgkmcnt(0)
	s_waitcnt_vscnt null, 0x0
	s_barrier
	buffer_gl0_inv
	s_clause 0x4
	scratch_load_b128 v[1:4], off, off offset:72
	scratch_load_b128 v[117:120], off, off offset:88
	;; [unrolled: 1-line block ×5, first 2 shown]
	v_mov_b32_e32 v116, 0
	scratch_load_b128 v[137:140], off, off offset:152
	s_mov_b32 s0, exec_lo
	ds_load_b128 v[133:136], v116 offset:528
	s_waitcnt vmcnt(5) lgkmcnt(0)
	v_fma_f64 v[3:4], v[3:4], v[133:134], 0
	s_waitcnt vmcnt(4)
	s_delay_alu instid0(VALU_DEP_1)
	v_fma_f64 v[3:4], v[117:118], v[135:136], v[3:4]
	ds_load_b128 v[133:136], v116 offset:544
	s_waitcnt lgkmcnt(0)
	v_fma_f64 v[3:4], v[119:120], v[133:134], v[3:4]
	scratch_load_b128 v[117:120], off, off offset:168
	s_waitcnt vmcnt(4)
	v_fma_f64 v[3:4], v[121:122], v[135:136], v[3:4]
	ds_load_b128 v[133:136], v116 offset:560
	s_waitcnt lgkmcnt(0)
	v_fma_f64 v[3:4], v[123:124], v[133:134], v[3:4]
	scratch_load_b128 v[121:124], off, off offset:184
	s_waitcnt vmcnt(4)
	;; [unrolled: 6-line block ×17, first 2 shown]
	v_fma_f64 v[3:4], v[125:126], v[135:136], v[3:4]
	ds_load_b128 v[133:136], v116 offset:816
	s_waitcnt lgkmcnt(0)
	v_fma_f64 v[3:4], v[127:128], v[133:134], v[3:4]
	ds_load_b128 v[125:128], v116 offset:832
	s_waitcnt vmcnt(3)
	v_fma_f64 v[3:4], v[129:130], v[135:136], v[3:4]
	s_waitcnt lgkmcnt(0)
	s_delay_alu instid0(VALU_DEP_1) | instskip(SKIP_1) | instid1(VALU_DEP_1)
	v_fma_f64 v[3:4], v[131:132], v[125:126], v[3:4]
	s_waitcnt vmcnt(2)
	v_fma_f64 v[3:4], v[137:138], v[127:128], v[3:4]
	ds_load_b128 v[125:128], v116 offset:848
	s_waitcnt lgkmcnt(0)
	v_fma_f64 v[3:4], v[139:140], v[125:126], v[3:4]
	s_waitcnt vmcnt(1)
	s_delay_alu instid0(VALU_DEP_1)
	v_fma_f64 v[3:4], v[117:118], v[127:128], v[3:4]
	ds_load_b128 v[125:128], v116 offset:864
	ds_load_b64 v[117:118], v116 offset:880
	s_waitcnt lgkmcnt(1)
	v_fma_f64 v[3:4], v[119:120], v[125:126], v[3:4]
	s_waitcnt vmcnt(0)
	s_delay_alu instid0(VALU_DEP_1) | instskip(SKIP_1) | instid1(VALU_DEP_1)
	v_fma_f64 v[3:4], v[121:122], v[127:128], v[3:4]
	s_waitcnt lgkmcnt(0)
	v_fma_f64 v[3:4], v[123:124], v[117:118], v[3:4]
	s_delay_alu instid0(VALU_DEP_1)
	v_add_f64 v[1:2], v[1:2], -v[3:4]
	scratch_store_b64 off, v[1:2], off offset:72
	v_cmpx_lt_u32_e32 8, v0
	s_cbranch_execz .LBB54_323
; %bb.322:
	scratch_load_b64 v[1:2], off, off offset:64
	v_mov_b32_e32 v117, v116
	scratch_store_b64 off, v[116:117], off offset:64
	s_waitcnt vmcnt(0)
	ds_store_b64 v5, v[1:2]
.LBB54_323:
	s_or_b32 exec_lo, exec_lo, s0
	s_waitcnt lgkmcnt(0)
	s_waitcnt_vscnt null, 0x0
	s_barrier
	buffer_gl0_inv
	s_clause 0x4
	scratch_load_b128 v[1:4], off, off offset:64
	scratch_load_b128 v[117:120], off, off offset:80
	;; [unrolled: 1-line block ×5, first 2 shown]
	ds_load_2addr_b64 v[133:136], v116 offset0:65 offset1:66
	scratch_load_b128 v[137:140], off, off offset:144
	s_mov_b32 s0, exec_lo
	s_waitcnt vmcnt(5) lgkmcnt(0)
	v_fma_f64 v[3:4], v[3:4], v[133:134], 0
	s_waitcnt vmcnt(4)
	s_delay_alu instid0(VALU_DEP_1)
	v_fma_f64 v[3:4], v[117:118], v[135:136], v[3:4]
	ds_load_2addr_b64 v[133:136], v116 offset0:67 offset1:68
	s_waitcnt lgkmcnt(0)
	v_fma_f64 v[3:4], v[119:120], v[133:134], v[3:4]
	scratch_load_b128 v[117:120], off, off offset:160
	s_waitcnt vmcnt(4)
	v_fma_f64 v[3:4], v[121:122], v[135:136], v[3:4]
	ds_load_2addr_b64 v[133:136], v116 offset0:69 offset1:70
	s_waitcnt lgkmcnt(0)
	v_fma_f64 v[3:4], v[123:124], v[133:134], v[3:4]
	scratch_load_b128 v[121:124], off, off offset:176
	s_waitcnt vmcnt(4)
	;; [unrolled: 6-line block ×17, first 2 shown]
	v_fma_f64 v[3:4], v[125:126], v[135:136], v[3:4]
	ds_load_2addr_b64 v[133:136], v116 offset0:101 offset1:102
	s_waitcnt lgkmcnt(0)
	v_fma_f64 v[3:4], v[127:128], v[133:134], v[3:4]
	scratch_load_b64 v[133:134], off, off offset:432
	ds_load_2addr_b64 v[125:128], v116 offset0:103 offset1:104
	s_waitcnt vmcnt(4)
	v_fma_f64 v[3:4], v[129:130], v[135:136], v[3:4]
	s_waitcnt lgkmcnt(0)
	s_delay_alu instid0(VALU_DEP_1) | instskip(SKIP_1) | instid1(VALU_DEP_1)
	v_fma_f64 v[3:4], v[131:132], v[125:126], v[3:4]
	s_waitcnt vmcnt(3)
	v_fma_f64 v[3:4], v[137:138], v[127:128], v[3:4]
	ds_load_2addr_b64 v[125:128], v116 offset0:105 offset1:106
	s_waitcnt lgkmcnt(0)
	v_fma_f64 v[3:4], v[139:140], v[125:126], v[3:4]
	s_waitcnt vmcnt(2)
	s_delay_alu instid0(VALU_DEP_1)
	v_fma_f64 v[3:4], v[117:118], v[127:128], v[3:4]
	ds_load_2addr_b64 v[125:128], v116 offset0:107 offset1:108
	s_waitcnt lgkmcnt(0)
	v_fma_f64 v[3:4], v[119:120], v[125:126], v[3:4]
	ds_load_2addr_b64 v[116:119], v116 offset0:109 offset1:110
	s_waitcnt vmcnt(1)
	v_fma_f64 v[3:4], v[121:122], v[127:128], v[3:4]
	s_waitcnt lgkmcnt(0)
	s_delay_alu instid0(VALU_DEP_1) | instskip(SKIP_1) | instid1(VALU_DEP_1)
	v_fma_f64 v[3:4], v[123:124], v[116:117], v[3:4]
	s_waitcnt vmcnt(0)
	v_fma_f64 v[3:4], v[133:134], v[118:119], v[3:4]
	s_delay_alu instid0(VALU_DEP_1)
	v_add_f64 v[1:2], v[1:2], -v[3:4]
	scratch_store_b64 off, v[1:2], off offset:64
	v_cmpx_lt_u32_e32 7, v0
	s_cbranch_execz .LBB54_325
; %bb.324:
	scratch_load_b64 v[1:2], off, off offset:56
	v_mov_b32_e32 v3, 0
	s_delay_alu instid0(VALU_DEP_1)
	v_mov_b32_e32 v4, v3
	scratch_store_b64 off, v[3:4], off offset:56
	s_waitcnt vmcnt(0)
	ds_store_b64 v5, v[1:2]
.LBB54_325:
	s_or_b32 exec_lo, exec_lo, s0
	s_waitcnt lgkmcnt(0)
	s_waitcnt_vscnt null, 0x0
	s_barrier
	buffer_gl0_inv
	s_clause 0x4
	scratch_load_b128 v[1:4], off, off offset:56
	scratch_load_b128 v[117:120], off, off offset:72
	;; [unrolled: 1-line block ×5, first 2 shown]
	v_mov_b32_e32 v116, 0
	scratch_load_b128 v[137:140], off, off offset:136
	s_mov_b32 s0, exec_lo
	ds_load_b128 v[133:136], v116 offset:512
	s_waitcnt vmcnt(5) lgkmcnt(0)
	v_fma_f64 v[3:4], v[3:4], v[133:134], 0
	s_waitcnt vmcnt(4)
	s_delay_alu instid0(VALU_DEP_1)
	v_fma_f64 v[3:4], v[117:118], v[135:136], v[3:4]
	ds_load_b128 v[133:136], v116 offset:528
	s_waitcnt lgkmcnt(0)
	v_fma_f64 v[3:4], v[119:120], v[133:134], v[3:4]
	scratch_load_b128 v[117:120], off, off offset:152
	s_waitcnt vmcnt(4)
	v_fma_f64 v[3:4], v[121:122], v[135:136], v[3:4]
	ds_load_b128 v[133:136], v116 offset:544
	s_waitcnt lgkmcnt(0)
	v_fma_f64 v[3:4], v[123:124], v[133:134], v[3:4]
	scratch_load_b128 v[121:124], off, off offset:168
	s_waitcnt vmcnt(4)
	;; [unrolled: 6-line block ×18, first 2 shown]
	v_fma_f64 v[3:4], v[129:130], v[135:136], v[3:4]
	ds_load_b128 v[133:136], v116 offset:816
	s_waitcnt lgkmcnt(0)
	v_fma_f64 v[3:4], v[131:132], v[133:134], v[3:4]
	ds_load_b128 v[129:132], v116 offset:832
	s_waitcnt vmcnt(3)
	v_fma_f64 v[3:4], v[137:138], v[135:136], v[3:4]
	s_waitcnt lgkmcnt(0)
	s_delay_alu instid0(VALU_DEP_1) | instskip(SKIP_1) | instid1(VALU_DEP_1)
	v_fma_f64 v[3:4], v[139:140], v[129:130], v[3:4]
	s_waitcnt vmcnt(2)
	v_fma_f64 v[3:4], v[117:118], v[131:132], v[3:4]
	ds_load_b128 v[129:132], v116 offset:848
	s_waitcnt lgkmcnt(0)
	v_fma_f64 v[3:4], v[119:120], v[129:130], v[3:4]
	ds_load_b128 v[117:120], v116 offset:864
	s_waitcnt vmcnt(1)
	v_fma_f64 v[3:4], v[121:122], v[131:132], v[3:4]
	s_waitcnt lgkmcnt(0)
	s_delay_alu instid0(VALU_DEP_1) | instskip(SKIP_4) | instid1(VALU_DEP_1)
	v_fma_f64 v[3:4], v[123:124], v[117:118], v[3:4]
	ds_load_b64 v[117:118], v116 offset:880
	s_waitcnt vmcnt(0)
	v_fma_f64 v[3:4], v[125:126], v[119:120], v[3:4]
	s_waitcnt lgkmcnt(0)
	v_fma_f64 v[3:4], v[127:128], v[117:118], v[3:4]
	s_delay_alu instid0(VALU_DEP_1)
	v_add_f64 v[1:2], v[1:2], -v[3:4]
	scratch_store_b64 off, v[1:2], off offset:56
	v_cmpx_lt_u32_e32 6, v0
	s_cbranch_execz .LBB54_327
; %bb.326:
	scratch_load_b64 v[1:2], off, off offset:48
	v_mov_b32_e32 v117, v116
	scratch_store_b64 off, v[116:117], off offset:48
	s_waitcnt vmcnt(0)
	ds_store_b64 v5, v[1:2]
.LBB54_327:
	s_or_b32 exec_lo, exec_lo, s0
	s_waitcnt lgkmcnt(0)
	s_waitcnt_vscnt null, 0x0
	s_barrier
	buffer_gl0_inv
	s_clause 0x4
	scratch_load_b128 v[1:4], off, off offset:48
	scratch_load_b128 v[117:120], off, off offset:64
	;; [unrolled: 1-line block ×5, first 2 shown]
	ds_load_2addr_b64 v[133:136], v116 offset0:63 offset1:64
	scratch_load_b128 v[137:140], off, off offset:128
	s_mov_b32 s0, exec_lo
	s_waitcnt vmcnt(5) lgkmcnt(0)
	v_fma_f64 v[3:4], v[3:4], v[133:134], 0
	s_waitcnt vmcnt(4)
	s_delay_alu instid0(VALU_DEP_1)
	v_fma_f64 v[3:4], v[117:118], v[135:136], v[3:4]
	ds_load_2addr_b64 v[133:136], v116 offset0:65 offset1:66
	s_waitcnt lgkmcnt(0)
	v_fma_f64 v[3:4], v[119:120], v[133:134], v[3:4]
	scratch_load_b128 v[117:120], off, off offset:144
	s_waitcnt vmcnt(4)
	v_fma_f64 v[3:4], v[121:122], v[135:136], v[3:4]
	ds_load_2addr_b64 v[133:136], v116 offset0:67 offset1:68
	s_waitcnt lgkmcnt(0)
	v_fma_f64 v[3:4], v[123:124], v[133:134], v[3:4]
	scratch_load_b128 v[121:124], off, off offset:160
	s_waitcnt vmcnt(4)
	v_fma_f64 v[3:4], v[125:126], v[135:136], v[3:4]
	ds_load_2addr_b64 v[133:136], v116 offset0:69 offset1:70
	s_waitcnt lgkmcnt(0)
	v_fma_f64 v[3:4], v[127:128], v[133:134], v[3:4]
	scratch_load_b128 v[125:128], off, off offset:176
	s_waitcnt vmcnt(4)
	v_fma_f64 v[3:4], v[129:130], v[135:136], v[3:4]
	ds_load_2addr_b64 v[133:136], v116 offset0:71 offset1:72
	s_waitcnt lgkmcnt(0)
	v_fma_f64 v[3:4], v[131:132], v[133:134], v[3:4]
	scratch_load_b128 v[129:132], off, off offset:192
	s_waitcnt vmcnt(4)
	v_fma_f64 v[3:4], v[137:138], v[135:136], v[3:4]
	ds_load_2addr_b64 v[133:136], v116 offset0:73 offset1:74
	s_waitcnt lgkmcnt(0)
	v_fma_f64 v[3:4], v[139:140], v[133:134], v[3:4]
	scratch_load_b128 v[137:140], off, off offset:208
	s_waitcnt vmcnt(4)
	v_fma_f64 v[3:4], v[117:118], v[135:136], v[3:4]
	ds_load_2addr_b64 v[133:136], v116 offset0:75 offset1:76
	s_waitcnt lgkmcnt(0)
	v_fma_f64 v[3:4], v[119:120], v[133:134], v[3:4]
	scratch_load_b128 v[117:120], off, off offset:224
	s_waitcnt vmcnt(4)
	v_fma_f64 v[3:4], v[121:122], v[135:136], v[3:4]
	ds_load_2addr_b64 v[133:136], v116 offset0:77 offset1:78
	s_waitcnt lgkmcnt(0)
	v_fma_f64 v[3:4], v[123:124], v[133:134], v[3:4]
	scratch_load_b128 v[121:124], off, off offset:240
	s_waitcnt vmcnt(4)
	v_fma_f64 v[3:4], v[125:126], v[135:136], v[3:4]
	ds_load_2addr_b64 v[133:136], v116 offset0:79 offset1:80
	s_waitcnt lgkmcnt(0)
	v_fma_f64 v[3:4], v[127:128], v[133:134], v[3:4]
	scratch_load_b128 v[125:128], off, off offset:256
	s_waitcnt vmcnt(4)
	v_fma_f64 v[3:4], v[129:130], v[135:136], v[3:4]
	ds_load_2addr_b64 v[133:136], v116 offset0:81 offset1:82
	s_waitcnt lgkmcnt(0)
	v_fma_f64 v[3:4], v[131:132], v[133:134], v[3:4]
	scratch_load_b128 v[129:132], off, off offset:272
	s_waitcnt vmcnt(4)
	v_fma_f64 v[3:4], v[137:138], v[135:136], v[3:4]
	ds_load_2addr_b64 v[133:136], v116 offset0:83 offset1:84
	s_waitcnt lgkmcnt(0)
	v_fma_f64 v[3:4], v[139:140], v[133:134], v[3:4]
	scratch_load_b128 v[137:140], off, off offset:288
	s_waitcnt vmcnt(4)
	v_fma_f64 v[3:4], v[117:118], v[135:136], v[3:4]
	ds_load_2addr_b64 v[133:136], v116 offset0:85 offset1:86
	s_waitcnt lgkmcnt(0)
	v_fma_f64 v[3:4], v[119:120], v[133:134], v[3:4]
	scratch_load_b128 v[117:120], off, off offset:304
	s_waitcnt vmcnt(4)
	v_fma_f64 v[3:4], v[121:122], v[135:136], v[3:4]
	ds_load_2addr_b64 v[133:136], v116 offset0:87 offset1:88
	s_waitcnt lgkmcnt(0)
	v_fma_f64 v[3:4], v[123:124], v[133:134], v[3:4]
	scratch_load_b128 v[121:124], off, off offset:320
	s_waitcnt vmcnt(4)
	v_fma_f64 v[3:4], v[125:126], v[135:136], v[3:4]
	ds_load_2addr_b64 v[133:136], v116 offset0:89 offset1:90
	s_waitcnt lgkmcnt(0)
	v_fma_f64 v[3:4], v[127:128], v[133:134], v[3:4]
	scratch_load_b128 v[125:128], off, off offset:336
	s_waitcnt vmcnt(4)
	v_fma_f64 v[3:4], v[129:130], v[135:136], v[3:4]
	ds_load_2addr_b64 v[133:136], v116 offset0:91 offset1:92
	s_waitcnt lgkmcnt(0)
	v_fma_f64 v[3:4], v[131:132], v[133:134], v[3:4]
	scratch_load_b128 v[129:132], off, off offset:352
	s_waitcnt vmcnt(4)
	v_fma_f64 v[3:4], v[137:138], v[135:136], v[3:4]
	ds_load_2addr_b64 v[133:136], v116 offset0:93 offset1:94
	s_waitcnt lgkmcnt(0)
	v_fma_f64 v[3:4], v[139:140], v[133:134], v[3:4]
	scratch_load_b128 v[137:140], off, off offset:368
	s_waitcnt vmcnt(4)
	v_fma_f64 v[3:4], v[117:118], v[135:136], v[3:4]
	ds_load_2addr_b64 v[133:136], v116 offset0:95 offset1:96
	s_waitcnt lgkmcnt(0)
	v_fma_f64 v[3:4], v[119:120], v[133:134], v[3:4]
	scratch_load_b128 v[117:120], off, off offset:384
	s_waitcnt vmcnt(4)
	v_fma_f64 v[3:4], v[121:122], v[135:136], v[3:4]
	ds_load_2addr_b64 v[133:136], v116 offset0:97 offset1:98
	s_waitcnt lgkmcnt(0)
	v_fma_f64 v[3:4], v[123:124], v[133:134], v[3:4]
	scratch_load_b128 v[121:124], off, off offset:400
	s_waitcnt vmcnt(4)
	v_fma_f64 v[3:4], v[125:126], v[135:136], v[3:4]
	ds_load_2addr_b64 v[133:136], v116 offset0:99 offset1:100
	s_waitcnt lgkmcnt(0)
	v_fma_f64 v[3:4], v[127:128], v[133:134], v[3:4]
	scratch_load_b128 v[125:128], off, off offset:416
	s_waitcnt vmcnt(4)
	v_fma_f64 v[3:4], v[129:130], v[135:136], v[3:4]
	ds_load_2addr_b64 v[133:136], v116 offset0:101 offset1:102
	s_waitcnt lgkmcnt(0)
	v_fma_f64 v[3:4], v[131:132], v[133:134], v[3:4]
	scratch_load_b64 v[133:134], off, off offset:432
	ds_load_2addr_b64 v[129:132], v116 offset0:103 offset1:104
	s_waitcnt vmcnt(4)
	v_fma_f64 v[3:4], v[137:138], v[135:136], v[3:4]
	s_waitcnt lgkmcnt(0)
	s_delay_alu instid0(VALU_DEP_1) | instskip(SKIP_1) | instid1(VALU_DEP_1)
	v_fma_f64 v[3:4], v[139:140], v[129:130], v[3:4]
	s_waitcnt vmcnt(3)
	v_fma_f64 v[3:4], v[117:118], v[131:132], v[3:4]
	ds_load_2addr_b64 v[129:132], v116 offset0:105 offset1:106
	s_waitcnt lgkmcnt(0)
	v_fma_f64 v[3:4], v[119:120], v[129:130], v[3:4]
	ds_load_2addr_b64 v[117:120], v116 offset0:107 offset1:108
	s_waitcnt vmcnt(2)
	v_fma_f64 v[3:4], v[121:122], v[131:132], v[3:4]
	s_waitcnt lgkmcnt(0)
	s_delay_alu instid0(VALU_DEP_1) | instskip(SKIP_1) | instid1(VALU_DEP_1)
	v_fma_f64 v[3:4], v[123:124], v[117:118], v[3:4]
	s_waitcnt vmcnt(1)
	v_fma_f64 v[3:4], v[125:126], v[119:120], v[3:4]
	ds_load_2addr_b64 v[116:119], v116 offset0:109 offset1:110
	s_waitcnt lgkmcnt(0)
	v_fma_f64 v[3:4], v[127:128], v[116:117], v[3:4]
	s_waitcnt vmcnt(0)
	s_delay_alu instid0(VALU_DEP_1) | instskip(NEXT) | instid1(VALU_DEP_1)
	v_fma_f64 v[3:4], v[133:134], v[118:119], v[3:4]
	v_add_f64 v[1:2], v[1:2], -v[3:4]
	scratch_store_b64 off, v[1:2], off offset:48
	v_cmpx_lt_u32_e32 5, v0
	s_cbranch_execz .LBB54_329
; %bb.328:
	scratch_load_b64 v[1:2], off, off offset:40
	v_mov_b32_e32 v3, 0
	s_delay_alu instid0(VALU_DEP_1)
	v_mov_b32_e32 v4, v3
	scratch_store_b64 off, v[3:4], off offset:40
	s_waitcnt vmcnt(0)
	ds_store_b64 v5, v[1:2]
.LBB54_329:
	s_or_b32 exec_lo, exec_lo, s0
	s_waitcnt lgkmcnt(0)
	s_waitcnt_vscnt null, 0x0
	s_barrier
	buffer_gl0_inv
	s_clause 0x4
	scratch_load_b128 v[1:4], off, off offset:40
	scratch_load_b128 v[117:120], off, off offset:56
	;; [unrolled: 1-line block ×5, first 2 shown]
	v_mov_b32_e32 v116, 0
	scratch_load_b128 v[137:140], off, off offset:120
	s_mov_b32 s0, exec_lo
	ds_load_b128 v[133:136], v116 offset:496
	s_waitcnt vmcnt(5) lgkmcnt(0)
	v_fma_f64 v[3:4], v[3:4], v[133:134], 0
	s_waitcnt vmcnt(4)
	s_delay_alu instid0(VALU_DEP_1)
	v_fma_f64 v[3:4], v[117:118], v[135:136], v[3:4]
	ds_load_b128 v[133:136], v116 offset:512
	s_waitcnt lgkmcnt(0)
	v_fma_f64 v[3:4], v[119:120], v[133:134], v[3:4]
	scratch_load_b128 v[117:120], off, off offset:136
	s_waitcnt vmcnt(4)
	v_fma_f64 v[3:4], v[121:122], v[135:136], v[3:4]
	ds_load_b128 v[133:136], v116 offset:528
	s_waitcnt lgkmcnt(0)
	v_fma_f64 v[3:4], v[123:124], v[133:134], v[3:4]
	scratch_load_b128 v[121:124], off, off offset:152
	s_waitcnt vmcnt(4)
	;; [unrolled: 6-line block ×19, first 2 shown]
	v_fma_f64 v[3:4], v[137:138], v[135:136], v[3:4]
	ds_load_b128 v[133:136], v116 offset:816
	s_waitcnt lgkmcnt(0)
	v_fma_f64 v[3:4], v[139:140], v[133:134], v[3:4]
	s_waitcnt vmcnt(3)
	s_delay_alu instid0(VALU_DEP_1)
	v_fma_f64 v[3:4], v[117:118], v[135:136], v[3:4]
	ds_load_b128 v[133:136], v116 offset:832
	s_waitcnt lgkmcnt(0)
	v_fma_f64 v[3:4], v[119:120], v[133:134], v[3:4]
	ds_load_b128 v[117:120], v116 offset:848
	s_waitcnt vmcnt(2)
	v_fma_f64 v[3:4], v[121:122], v[135:136], v[3:4]
	s_waitcnt lgkmcnt(0)
	s_delay_alu instid0(VALU_DEP_1) | instskip(SKIP_1) | instid1(VALU_DEP_1)
	v_fma_f64 v[3:4], v[123:124], v[117:118], v[3:4]
	s_waitcnt vmcnt(1)
	v_fma_f64 v[3:4], v[125:126], v[119:120], v[3:4]
	ds_load_b128 v[117:120], v116 offset:864
	s_waitcnt lgkmcnt(0)
	v_fma_f64 v[3:4], v[127:128], v[117:118], v[3:4]
	ds_load_b64 v[117:118], v116 offset:880
	s_waitcnt vmcnt(0)
	v_fma_f64 v[3:4], v[129:130], v[119:120], v[3:4]
	s_waitcnt lgkmcnt(0)
	s_delay_alu instid0(VALU_DEP_1) | instskip(NEXT) | instid1(VALU_DEP_1)
	v_fma_f64 v[3:4], v[131:132], v[117:118], v[3:4]
	v_add_f64 v[1:2], v[1:2], -v[3:4]
	scratch_store_b64 off, v[1:2], off offset:40
	v_cmpx_lt_u32_e32 4, v0
	s_cbranch_execz .LBB54_331
; %bb.330:
	scratch_load_b64 v[1:2], off, off offset:32
	v_mov_b32_e32 v117, v116
	scratch_store_b64 off, v[116:117], off offset:32
	s_waitcnt vmcnt(0)
	ds_store_b64 v5, v[1:2]
.LBB54_331:
	s_or_b32 exec_lo, exec_lo, s0
	s_waitcnt lgkmcnt(0)
	s_waitcnt_vscnt null, 0x0
	s_barrier
	buffer_gl0_inv
	s_clause 0x4
	scratch_load_b128 v[1:4], off, off offset:32
	scratch_load_b128 v[117:120], off, off offset:48
	;; [unrolled: 1-line block ×5, first 2 shown]
	ds_load_2addr_b64 v[133:136], v116 offset0:61 offset1:62
	scratch_load_b128 v[137:140], off, off offset:112
	s_mov_b32 s0, exec_lo
	s_waitcnt vmcnt(5) lgkmcnt(0)
	v_fma_f64 v[3:4], v[3:4], v[133:134], 0
	s_waitcnt vmcnt(4)
	s_delay_alu instid0(VALU_DEP_1)
	v_fma_f64 v[3:4], v[117:118], v[135:136], v[3:4]
	ds_load_2addr_b64 v[133:136], v116 offset0:63 offset1:64
	s_waitcnt lgkmcnt(0)
	v_fma_f64 v[3:4], v[119:120], v[133:134], v[3:4]
	scratch_load_b128 v[117:120], off, off offset:128
	s_waitcnt vmcnt(4)
	v_fma_f64 v[3:4], v[121:122], v[135:136], v[3:4]
	ds_load_2addr_b64 v[133:136], v116 offset0:65 offset1:66
	s_waitcnt lgkmcnt(0)
	v_fma_f64 v[3:4], v[123:124], v[133:134], v[3:4]
	scratch_load_b128 v[121:124], off, off offset:144
	s_waitcnt vmcnt(4)
	v_fma_f64 v[3:4], v[125:126], v[135:136], v[3:4]
	ds_load_2addr_b64 v[133:136], v116 offset0:67 offset1:68
	s_waitcnt lgkmcnt(0)
	v_fma_f64 v[3:4], v[127:128], v[133:134], v[3:4]
	scratch_load_b128 v[125:128], off, off offset:160
	s_waitcnt vmcnt(4)
	v_fma_f64 v[3:4], v[129:130], v[135:136], v[3:4]
	ds_load_2addr_b64 v[133:136], v116 offset0:69 offset1:70
	s_waitcnt lgkmcnt(0)
	v_fma_f64 v[3:4], v[131:132], v[133:134], v[3:4]
	scratch_load_b128 v[129:132], off, off offset:176
	s_waitcnt vmcnt(4)
	v_fma_f64 v[3:4], v[137:138], v[135:136], v[3:4]
	ds_load_2addr_b64 v[133:136], v116 offset0:71 offset1:72
	s_waitcnt lgkmcnt(0)
	v_fma_f64 v[3:4], v[139:140], v[133:134], v[3:4]
	scratch_load_b128 v[137:140], off, off offset:192
	s_waitcnt vmcnt(4)
	v_fma_f64 v[3:4], v[117:118], v[135:136], v[3:4]
	ds_load_2addr_b64 v[133:136], v116 offset0:73 offset1:74
	s_waitcnt lgkmcnt(0)
	v_fma_f64 v[3:4], v[119:120], v[133:134], v[3:4]
	scratch_load_b128 v[117:120], off, off offset:208
	s_waitcnt vmcnt(4)
	v_fma_f64 v[3:4], v[121:122], v[135:136], v[3:4]
	ds_load_2addr_b64 v[133:136], v116 offset0:75 offset1:76
	s_waitcnt lgkmcnt(0)
	v_fma_f64 v[3:4], v[123:124], v[133:134], v[3:4]
	scratch_load_b128 v[121:124], off, off offset:224
	s_waitcnt vmcnt(4)
	v_fma_f64 v[3:4], v[125:126], v[135:136], v[3:4]
	ds_load_2addr_b64 v[133:136], v116 offset0:77 offset1:78
	s_waitcnt lgkmcnt(0)
	v_fma_f64 v[3:4], v[127:128], v[133:134], v[3:4]
	scratch_load_b128 v[125:128], off, off offset:240
	s_waitcnt vmcnt(4)
	v_fma_f64 v[3:4], v[129:130], v[135:136], v[3:4]
	ds_load_2addr_b64 v[133:136], v116 offset0:79 offset1:80
	s_waitcnt lgkmcnt(0)
	v_fma_f64 v[3:4], v[131:132], v[133:134], v[3:4]
	scratch_load_b128 v[129:132], off, off offset:256
	s_waitcnt vmcnt(4)
	v_fma_f64 v[3:4], v[137:138], v[135:136], v[3:4]
	ds_load_2addr_b64 v[133:136], v116 offset0:81 offset1:82
	s_waitcnt lgkmcnt(0)
	v_fma_f64 v[3:4], v[139:140], v[133:134], v[3:4]
	scratch_load_b128 v[137:140], off, off offset:272
	s_waitcnt vmcnt(4)
	v_fma_f64 v[3:4], v[117:118], v[135:136], v[3:4]
	ds_load_2addr_b64 v[133:136], v116 offset0:83 offset1:84
	s_waitcnt lgkmcnt(0)
	v_fma_f64 v[3:4], v[119:120], v[133:134], v[3:4]
	scratch_load_b128 v[117:120], off, off offset:288
	s_waitcnt vmcnt(4)
	v_fma_f64 v[3:4], v[121:122], v[135:136], v[3:4]
	ds_load_2addr_b64 v[133:136], v116 offset0:85 offset1:86
	s_waitcnt lgkmcnt(0)
	v_fma_f64 v[3:4], v[123:124], v[133:134], v[3:4]
	scratch_load_b128 v[121:124], off, off offset:304
	s_waitcnt vmcnt(4)
	v_fma_f64 v[3:4], v[125:126], v[135:136], v[3:4]
	ds_load_2addr_b64 v[133:136], v116 offset0:87 offset1:88
	s_waitcnt lgkmcnt(0)
	v_fma_f64 v[3:4], v[127:128], v[133:134], v[3:4]
	scratch_load_b128 v[125:128], off, off offset:320
	s_waitcnt vmcnt(4)
	v_fma_f64 v[3:4], v[129:130], v[135:136], v[3:4]
	ds_load_2addr_b64 v[133:136], v116 offset0:89 offset1:90
	s_waitcnt lgkmcnt(0)
	v_fma_f64 v[3:4], v[131:132], v[133:134], v[3:4]
	scratch_load_b128 v[129:132], off, off offset:336
	s_waitcnt vmcnt(4)
	v_fma_f64 v[3:4], v[137:138], v[135:136], v[3:4]
	ds_load_2addr_b64 v[133:136], v116 offset0:91 offset1:92
	s_waitcnt lgkmcnt(0)
	v_fma_f64 v[3:4], v[139:140], v[133:134], v[3:4]
	scratch_load_b128 v[137:140], off, off offset:352
	s_waitcnt vmcnt(4)
	v_fma_f64 v[3:4], v[117:118], v[135:136], v[3:4]
	ds_load_2addr_b64 v[133:136], v116 offset0:93 offset1:94
	s_waitcnt lgkmcnt(0)
	v_fma_f64 v[3:4], v[119:120], v[133:134], v[3:4]
	scratch_load_b128 v[117:120], off, off offset:368
	s_waitcnt vmcnt(4)
	v_fma_f64 v[3:4], v[121:122], v[135:136], v[3:4]
	ds_load_2addr_b64 v[133:136], v116 offset0:95 offset1:96
	s_waitcnt lgkmcnt(0)
	v_fma_f64 v[3:4], v[123:124], v[133:134], v[3:4]
	scratch_load_b128 v[121:124], off, off offset:384
	s_waitcnt vmcnt(4)
	v_fma_f64 v[3:4], v[125:126], v[135:136], v[3:4]
	ds_load_2addr_b64 v[133:136], v116 offset0:97 offset1:98
	s_waitcnt lgkmcnt(0)
	v_fma_f64 v[3:4], v[127:128], v[133:134], v[3:4]
	scratch_load_b128 v[125:128], off, off offset:400
	s_waitcnt vmcnt(4)
	v_fma_f64 v[3:4], v[129:130], v[135:136], v[3:4]
	ds_load_2addr_b64 v[133:136], v116 offset0:99 offset1:100
	s_waitcnt lgkmcnt(0)
	v_fma_f64 v[3:4], v[131:132], v[133:134], v[3:4]
	scratch_load_b128 v[129:132], off, off offset:416
	s_waitcnt vmcnt(4)
	v_fma_f64 v[3:4], v[137:138], v[135:136], v[3:4]
	ds_load_2addr_b64 v[133:136], v116 offset0:101 offset1:102
	scratch_load_b64 v[137:138], off, off offset:432
	s_waitcnt lgkmcnt(0)
	v_fma_f64 v[3:4], v[139:140], v[133:134], v[3:4]
	s_waitcnt vmcnt(4)
	s_delay_alu instid0(VALU_DEP_1)
	v_fma_f64 v[3:4], v[117:118], v[135:136], v[3:4]
	ds_load_2addr_b64 v[133:136], v116 offset0:103 offset1:104
	s_waitcnt lgkmcnt(0)
	v_fma_f64 v[3:4], v[119:120], v[133:134], v[3:4]
	ds_load_2addr_b64 v[117:120], v116 offset0:105 offset1:106
	s_waitcnt vmcnt(3)
	v_fma_f64 v[3:4], v[121:122], v[135:136], v[3:4]
	s_waitcnt lgkmcnt(0)
	s_delay_alu instid0(VALU_DEP_1) | instskip(SKIP_1) | instid1(VALU_DEP_1)
	v_fma_f64 v[3:4], v[123:124], v[117:118], v[3:4]
	s_waitcnt vmcnt(2)
	v_fma_f64 v[3:4], v[125:126], v[119:120], v[3:4]
	ds_load_2addr_b64 v[117:120], v116 offset0:107 offset1:108
	s_waitcnt lgkmcnt(0)
	v_fma_f64 v[3:4], v[127:128], v[117:118], v[3:4]
	s_waitcnt vmcnt(1)
	s_delay_alu instid0(VALU_DEP_1) | instskip(SKIP_4) | instid1(VALU_DEP_1)
	v_fma_f64 v[3:4], v[129:130], v[119:120], v[3:4]
	ds_load_2addr_b64 v[116:119], v116 offset0:109 offset1:110
	s_waitcnt lgkmcnt(0)
	v_fma_f64 v[3:4], v[131:132], v[116:117], v[3:4]
	s_waitcnt vmcnt(0)
	v_fma_f64 v[3:4], v[137:138], v[118:119], v[3:4]
	s_delay_alu instid0(VALU_DEP_1)
	v_add_f64 v[1:2], v[1:2], -v[3:4]
	scratch_store_b64 off, v[1:2], off offset:32
	v_cmpx_lt_u32_e32 3, v0
	s_cbranch_execz .LBB54_333
; %bb.332:
	scratch_load_b64 v[1:2], off, off offset:24
	v_mov_b32_e32 v3, 0
	s_delay_alu instid0(VALU_DEP_1)
	v_mov_b32_e32 v4, v3
	scratch_store_b64 off, v[3:4], off offset:24
	s_waitcnt vmcnt(0)
	ds_store_b64 v5, v[1:2]
.LBB54_333:
	s_or_b32 exec_lo, exec_lo, s0
	s_waitcnt lgkmcnt(0)
	s_waitcnt_vscnt null, 0x0
	s_barrier
	buffer_gl0_inv
	s_clause 0x4
	scratch_load_b128 v[1:4], off, off offset:24
	scratch_load_b128 v[117:120], off, off offset:40
	;; [unrolled: 1-line block ×5, first 2 shown]
	v_mov_b32_e32 v116, 0
	scratch_load_b128 v[137:140], off, off offset:104
	s_mov_b32 s0, exec_lo
	ds_load_b128 v[133:136], v116 offset:480
	s_waitcnt vmcnt(5) lgkmcnt(0)
	v_fma_f64 v[3:4], v[3:4], v[133:134], 0
	s_waitcnt vmcnt(4)
	s_delay_alu instid0(VALU_DEP_1)
	v_fma_f64 v[3:4], v[117:118], v[135:136], v[3:4]
	ds_load_b128 v[133:136], v116 offset:496
	s_waitcnt lgkmcnt(0)
	v_fma_f64 v[3:4], v[119:120], v[133:134], v[3:4]
	scratch_load_b128 v[117:120], off, off offset:120
	s_waitcnt vmcnt(4)
	v_fma_f64 v[3:4], v[121:122], v[135:136], v[3:4]
	ds_load_b128 v[133:136], v116 offset:512
	s_waitcnt lgkmcnt(0)
	v_fma_f64 v[3:4], v[123:124], v[133:134], v[3:4]
	scratch_load_b128 v[121:124], off, off offset:136
	s_waitcnt vmcnt(4)
	;; [unrolled: 6-line block ×20, first 2 shown]
	v_fma_f64 v[3:4], v[117:118], v[135:136], v[3:4]
	ds_load_b128 v[133:136], v116 offset:816
	s_waitcnt lgkmcnt(0)
	v_fma_f64 v[3:4], v[119:120], v[133:134], v[3:4]
	ds_load_b128 v[117:120], v116 offset:832
	s_waitcnt vmcnt(3)
	v_fma_f64 v[3:4], v[121:122], v[135:136], v[3:4]
	s_waitcnt lgkmcnt(0)
	s_delay_alu instid0(VALU_DEP_1) | instskip(SKIP_1) | instid1(VALU_DEP_1)
	v_fma_f64 v[3:4], v[123:124], v[117:118], v[3:4]
	s_waitcnt vmcnt(2)
	v_fma_f64 v[3:4], v[125:126], v[119:120], v[3:4]
	ds_load_b128 v[117:120], v116 offset:848
	s_waitcnt lgkmcnt(0)
	v_fma_f64 v[3:4], v[127:128], v[117:118], v[3:4]
	s_waitcnt vmcnt(1)
	s_delay_alu instid0(VALU_DEP_1)
	v_fma_f64 v[3:4], v[129:130], v[119:120], v[3:4]
	ds_load_b128 v[117:120], v116 offset:864
	s_waitcnt lgkmcnt(0)
	v_fma_f64 v[3:4], v[131:132], v[117:118], v[3:4]
	ds_load_b64 v[117:118], v116 offset:880
	s_waitcnt vmcnt(0)
	v_fma_f64 v[3:4], v[137:138], v[119:120], v[3:4]
	s_waitcnt lgkmcnt(0)
	s_delay_alu instid0(VALU_DEP_1) | instskip(NEXT) | instid1(VALU_DEP_1)
	v_fma_f64 v[3:4], v[139:140], v[117:118], v[3:4]
	v_add_f64 v[1:2], v[1:2], -v[3:4]
	scratch_store_b64 off, v[1:2], off offset:24
	v_cmpx_lt_u32_e32 2, v0
	s_cbranch_execz .LBB54_335
; %bb.334:
	scratch_load_b64 v[1:2], off, off offset:16
	v_mov_b32_e32 v117, v116
	scratch_store_b64 off, v[116:117], off offset:16
	s_waitcnt vmcnt(0)
	ds_store_b64 v5, v[1:2]
.LBB54_335:
	s_or_b32 exec_lo, exec_lo, s0
	s_waitcnt lgkmcnt(0)
	s_waitcnt_vscnt null, 0x0
	s_barrier
	buffer_gl0_inv
	s_clause 0x4
	scratch_load_b128 v[1:4], off, off offset:16
	scratch_load_b128 v[117:120], off, off offset:32
	;; [unrolled: 1-line block ×5, first 2 shown]
	ds_load_2addr_b64 v[133:136], v116 offset0:59 offset1:60
	scratch_load_b128 v[137:140], off, off offset:96
	s_mov_b32 s0, exec_lo
	s_waitcnt vmcnt(5) lgkmcnt(0)
	v_fma_f64 v[3:4], v[3:4], v[133:134], 0
	s_waitcnt vmcnt(4)
	s_delay_alu instid0(VALU_DEP_1)
	v_fma_f64 v[3:4], v[117:118], v[135:136], v[3:4]
	ds_load_2addr_b64 v[133:136], v116 offset0:61 offset1:62
	s_waitcnt lgkmcnt(0)
	v_fma_f64 v[3:4], v[119:120], v[133:134], v[3:4]
	scratch_load_b128 v[117:120], off, off offset:112
	s_waitcnt vmcnt(4)
	v_fma_f64 v[3:4], v[121:122], v[135:136], v[3:4]
	ds_load_2addr_b64 v[133:136], v116 offset0:63 offset1:64
	s_waitcnt lgkmcnt(0)
	v_fma_f64 v[3:4], v[123:124], v[133:134], v[3:4]
	scratch_load_b128 v[121:124], off, off offset:128
	s_waitcnt vmcnt(4)
	;; [unrolled: 6-line block ×20, first 2 shown]
	v_fma_f64 v[3:4], v[117:118], v[135:136], v[3:4]
	ds_load_2addr_b64 v[133:136], v116 offset0:101 offset1:102
	s_waitcnt lgkmcnt(0)
	v_fma_f64 v[3:4], v[119:120], v[133:134], v[3:4]
	scratch_load_b64 v[133:134], off, off offset:432
	ds_load_2addr_b64 v[117:120], v116 offset0:103 offset1:104
	s_waitcnt vmcnt(4)
	v_fma_f64 v[3:4], v[121:122], v[135:136], v[3:4]
	s_waitcnt lgkmcnt(0)
	s_delay_alu instid0(VALU_DEP_1) | instskip(SKIP_1) | instid1(VALU_DEP_1)
	v_fma_f64 v[3:4], v[123:124], v[117:118], v[3:4]
	s_waitcnt vmcnt(3)
	v_fma_f64 v[3:4], v[125:126], v[119:120], v[3:4]
	ds_load_2addr_b64 v[117:120], v116 offset0:105 offset1:106
	s_waitcnt lgkmcnt(0)
	v_fma_f64 v[3:4], v[127:128], v[117:118], v[3:4]
	s_waitcnt vmcnt(2)
	s_delay_alu instid0(VALU_DEP_1) | instskip(SKIP_4) | instid1(VALU_DEP_1)
	v_fma_f64 v[3:4], v[129:130], v[119:120], v[3:4]
	ds_load_2addr_b64 v[117:120], v116 offset0:107 offset1:108
	s_waitcnt lgkmcnt(0)
	v_fma_f64 v[3:4], v[131:132], v[117:118], v[3:4]
	s_waitcnt vmcnt(1)
	v_fma_f64 v[3:4], v[137:138], v[119:120], v[3:4]
	ds_load_2addr_b64 v[116:119], v116 offset0:109 offset1:110
	s_waitcnt lgkmcnt(0)
	v_fma_f64 v[3:4], v[139:140], v[116:117], v[3:4]
	s_waitcnt vmcnt(0)
	s_delay_alu instid0(VALU_DEP_1) | instskip(NEXT) | instid1(VALU_DEP_1)
	v_fma_f64 v[3:4], v[133:134], v[118:119], v[3:4]
	v_add_f64 v[1:2], v[1:2], -v[3:4]
	scratch_store_b64 off, v[1:2], off offset:16
	v_cmpx_lt_u32_e32 1, v0
	s_cbranch_execz .LBB54_337
; %bb.336:
	scratch_load_b64 v[1:2], off, off offset:8
	v_mov_b32_e32 v3, 0
	s_delay_alu instid0(VALU_DEP_1)
	v_mov_b32_e32 v4, v3
	scratch_store_b64 off, v[3:4], off offset:8
	s_waitcnt vmcnt(0)
	ds_store_b64 v5, v[1:2]
.LBB54_337:
	s_or_b32 exec_lo, exec_lo, s0
	s_waitcnt lgkmcnt(0)
	s_waitcnt_vscnt null, 0x0
	s_barrier
	buffer_gl0_inv
	s_clause 0x4
	scratch_load_b128 v[1:4], off, off offset:8
	scratch_load_b128 v[117:120], off, off offset:24
	;; [unrolled: 1-line block ×5, first 2 shown]
	v_mov_b32_e32 v116, 0
	scratch_load_b128 v[137:140], off, off offset:88
	s_mov_b32 s0, exec_lo
	ds_load_b128 v[133:136], v116 offset:464
	s_waitcnt vmcnt(5) lgkmcnt(0)
	v_fma_f64 v[3:4], v[3:4], v[133:134], 0
	s_waitcnt vmcnt(4)
	s_delay_alu instid0(VALU_DEP_1)
	v_fma_f64 v[3:4], v[117:118], v[135:136], v[3:4]
	ds_load_b128 v[133:136], v116 offset:480
	s_waitcnt lgkmcnt(0)
	v_fma_f64 v[3:4], v[119:120], v[133:134], v[3:4]
	scratch_load_b128 v[117:120], off, off offset:104
	s_waitcnt vmcnt(4)
	v_fma_f64 v[3:4], v[121:122], v[135:136], v[3:4]
	ds_load_b128 v[133:136], v116 offset:496
	s_waitcnt lgkmcnt(0)
	v_fma_f64 v[3:4], v[123:124], v[133:134], v[3:4]
	scratch_load_b128 v[121:124], off, off offset:120
	s_waitcnt vmcnt(4)
	;; [unrolled: 6-line block ×21, first 2 shown]
	v_fma_f64 v[3:4], v[121:122], v[135:136], v[3:4]
	ds_load_b128 v[133:136], v116 offset:816
	s_waitcnt lgkmcnt(0)
	v_fma_f64 v[3:4], v[123:124], v[133:134], v[3:4]
	ds_load_b128 v[121:124], v116 offset:832
	s_waitcnt vmcnt(3)
	v_fma_f64 v[3:4], v[125:126], v[135:136], v[3:4]
	s_waitcnt lgkmcnt(0)
	s_delay_alu instid0(VALU_DEP_1) | instskip(SKIP_1) | instid1(VALU_DEP_1)
	v_fma_f64 v[3:4], v[127:128], v[121:122], v[3:4]
	s_waitcnt vmcnt(2)
	v_fma_f64 v[3:4], v[129:130], v[123:124], v[3:4]
	ds_load_b128 v[121:124], v116 offset:848
	s_waitcnt lgkmcnt(0)
	v_fma_f64 v[3:4], v[131:132], v[121:122], v[3:4]
	s_waitcnt vmcnt(1)
	s_delay_alu instid0(VALU_DEP_1) | instskip(SKIP_4) | instid1(VALU_DEP_1)
	v_fma_f64 v[3:4], v[137:138], v[123:124], v[3:4]
	ds_load_b128 v[121:124], v116 offset:864
	s_waitcnt lgkmcnt(0)
	v_fma_f64 v[3:4], v[139:140], v[121:122], v[3:4]
	s_waitcnt vmcnt(0)
	v_fma_f64 v[3:4], v[117:118], v[123:124], v[3:4]
	ds_load_b64 v[117:118], v116 offset:880
	s_waitcnt lgkmcnt(0)
	v_fma_f64 v[3:4], v[119:120], v[117:118], v[3:4]
	s_delay_alu instid0(VALU_DEP_1)
	v_add_f64 v[1:2], v[1:2], -v[3:4]
	scratch_store_b64 off, v[1:2], off offset:8
	v_cmpx_ne_u32_e32 0, v0
	s_cbranch_execz .LBB54_339
; %bb.338:
	scratch_load_b64 v[0:1], off, off
	v_mov_b32_e32 v117, v116
	scratch_store_b64 off, v[116:117], off
	s_waitcnt vmcnt(0)
	ds_store_b64 v5, v[0:1]
.LBB54_339:
	s_or_b32 exec_lo, exec_lo, s0
	s_waitcnt lgkmcnt(0)
	s_waitcnt_vscnt null, 0x0
	s_barrier
	buffer_gl0_inv
	s_clause 0x4
	scratch_load_b128 v[0:3], off, off
	scratch_load_b128 v[117:120], off, off offset:16
	scratch_load_b128 v[121:124], off, off offset:32
	;; [unrolled: 1-line block ×4, first 2 shown]
	ds_load_2addr_b64 v[133:136], v116 offset0:57 offset1:58
	ds_load_2addr_b64 v[137:140], v116 offset0:59 offset1:60
	s_and_b32 vcc_lo, exec_lo, s16
	s_waitcnt vmcnt(4) lgkmcnt(1)
	v_fma_f64 v[133:134], v[2:3], v[133:134], 0
	scratch_load_b128 v[2:5], off, off offset:80
	s_waitcnt vmcnt(4)
	v_fma_f64 v[117:118], v[117:118], v[135:136], v[133:134]
	s_waitcnt lgkmcnt(0)
	s_delay_alu instid0(VALU_DEP_1)
	v_fma_f64 v[133:134], v[119:120], v[137:138], v[117:118]
	scratch_load_b128 v[117:120], off, off offset:96
	s_waitcnt vmcnt(4)
	v_fma_f64 v[121:122], v[121:122], v[139:140], v[133:134]
	ds_load_2addr_b64 v[133:136], v116 offset0:61 offset1:62
	ds_load_2addr_b64 v[137:140], v116 offset0:63 offset1:64
	s_waitcnt lgkmcnt(1)
	v_fma_f64 v[133:134], v[123:124], v[133:134], v[121:122]
	scratch_load_b128 v[121:124], off, off offset:112
	s_waitcnt vmcnt(4)
	v_fma_f64 v[125:126], v[125:126], v[135:136], v[133:134]
	s_waitcnt lgkmcnt(0)
	s_delay_alu instid0(VALU_DEP_1)
	v_fma_f64 v[133:134], v[127:128], v[137:138], v[125:126]
	scratch_load_b128 v[125:128], off, off offset:128
	s_waitcnt vmcnt(4)
	v_fma_f64 v[129:130], v[129:130], v[139:140], v[133:134]
	ds_load_2addr_b64 v[133:136], v116 offset0:65 offset1:66
	ds_load_2addr_b64 v[137:140], v116 offset0:67 offset1:68
	s_waitcnt lgkmcnt(1)
	;; [unrolled: 13-line block ×9, first 2 shown]
	v_fma_f64 v[133:134], v[127:128], v[133:134], v[125:126]
	scratch_load_b128 v[125:128], off, off offset:368
	s_waitcnt vmcnt(4)
	v_fma_f64 v[129:130], v[129:130], v[135:136], v[133:134]
	s_waitcnt lgkmcnt(0)
	s_delay_alu instid0(VALU_DEP_1)
	v_fma_f64 v[133:134], v[131:132], v[137:138], v[129:130]
	scratch_load_b128 v[129:132], off, off offset:384
	s_waitcnt vmcnt(4)
	v_fma_f64 v[2:3], v[2:3], v[139:140], v[133:134]
	ds_load_2addr_b64 v[133:136], v116 offset0:97 offset1:98
	ds_load_2addr_b64 v[137:140], v116 offset0:99 offset1:100
	scratch_load_b128 v[141:144], off, off offset:400
	s_waitcnt lgkmcnt(1)
	v_fma_f64 v[2:3], v[4:5], v[133:134], v[2:3]
	s_waitcnt vmcnt(4)
	s_delay_alu instid0(VALU_DEP_1) | instskip(SKIP_1) | instid1(VALU_DEP_1)
	v_fma_f64 v[2:3], v[117:118], v[135:136], v[2:3]
	s_waitcnt lgkmcnt(0)
	v_fma_f64 v[117:118], v[119:120], v[137:138], v[2:3]
	scratch_load_b128 v[2:5], off, off offset:416
	s_waitcnt vmcnt(4)
	v_fma_f64 v[121:122], v[121:122], v[139:140], v[117:118]
	ds_load_2addr_b64 v[117:120], v116 offset0:101 offset1:102
	ds_load_2addr_b64 v[133:136], v116 offset0:103 offset1:104
	scratch_load_b64 v[137:138], off, off offset:432
	s_waitcnt lgkmcnt(1)
	v_fma_f64 v[117:118], v[123:124], v[117:118], v[121:122]
	s_waitcnt vmcnt(4)
	s_delay_alu instid0(VALU_DEP_1) | instskip(SKIP_1) | instid1(VALU_DEP_1)
	v_fma_f64 v[117:118], v[125:126], v[119:120], v[117:118]
	s_waitcnt lgkmcnt(0)
	v_fma_f64 v[117:118], v[127:128], v[133:134], v[117:118]
	s_waitcnt vmcnt(3)
	s_delay_alu instid0(VALU_DEP_1)
	v_fma_f64 v[125:126], v[129:130], v[135:136], v[117:118]
	ds_load_2addr_b64 v[117:120], v116 offset0:105 offset1:106
	ds_load_2addr_b64 v[121:124], v116 offset0:107 offset1:108
	s_waitcnt lgkmcnt(1)
	v_fma_f64 v[117:118], v[131:132], v[117:118], v[125:126]
	s_waitcnt vmcnt(2)
	s_delay_alu instid0(VALU_DEP_1) | instskip(SKIP_1) | instid1(VALU_DEP_1)
	v_fma_f64 v[117:118], v[141:142], v[119:120], v[117:118]
	s_waitcnt lgkmcnt(0)
	v_fma_f64 v[117:118], v[143:144], v[121:122], v[117:118]
	s_waitcnt vmcnt(1)
	s_delay_alu instid0(VALU_DEP_1) | instskip(SKIP_4) | instid1(VALU_DEP_1)
	v_fma_f64 v[2:3], v[2:3], v[123:124], v[117:118]
	ds_load_2addr_b64 v[116:119], v116 offset0:109 offset1:110
	s_waitcnt lgkmcnt(0)
	v_fma_f64 v[2:3], v[4:5], v[116:117], v[2:3]
	s_waitcnt vmcnt(0)
	v_fma_f64 v[2:3], v[137:138], v[118:119], v[2:3]
	s_delay_alu instid0(VALU_DEP_1)
	v_add_f64 v[0:1], v[0:1], -v[2:3]
	scratch_store_b64 off, v[0:1], off
	s_cbranch_vccz .LBB54_449
; %bb.340:
	v_dual_mov_b32 v0, s12 :: v_dual_mov_b32 v1, s13
	s_mov_b32 s0, exec_lo
	flat_load_b32 v0, v[0:1] offset:212
	s_waitcnt vmcnt(0) lgkmcnt(0)
	v_cmpx_ne_u32_e32 54, v0
	s_cbranch_execz .LBB54_342
; %bb.341:
	v_lshl_add_u32 v2, v0, 3, 0
	scratch_load_b64 v[0:1], v2, off offset:-8
	s_waitcnt vmcnt(0)
	scratch_store_b64 off, v[0:1], off offset:424
	scratch_store_b64 v2, v[4:5], off offset:-8
.LBB54_342:
	s_or_b32 exec_lo, exec_lo, s0
	v_dual_mov_b32 v0, s12 :: v_dual_mov_b32 v1, s13
	s_mov_b32 s0, exec_lo
	flat_load_b32 v0, v[0:1] offset:208
	s_waitcnt vmcnt(0) lgkmcnt(0)
	v_cmpx_ne_u32_e32 53, v0
	s_cbranch_execz .LBB54_344
; %bb.343:
	v_lshl_add_u32 v4, v0, 3, 0
	scratch_load_b64 v[0:1], v4, off offset:-8
	scratch_load_b64 v[2:3], off, off offset:416
	s_waitcnt vmcnt(1)
	scratch_store_b64 off, v[0:1], off offset:416
	s_waitcnt vmcnt(0)
	scratch_store_b64 v4, v[2:3], off offset:-8
.LBB54_344:
	s_or_b32 exec_lo, exec_lo, s0
	v_dual_mov_b32 v0, s12 :: v_dual_mov_b32 v1, s13
	s_mov_b32 s0, exec_lo
	flat_load_b32 v0, v[0:1] offset:204
	s_waitcnt vmcnt(0) lgkmcnt(0)
	v_cmpx_ne_u32_e32 52, v0
	s_cbranch_execz .LBB54_346
; %bb.345:
	v_lshl_add_u32 v4, v0, 3, 0
	scratch_load_b64 v[0:1], v4, off offset:-8
	scratch_load_b64 v[2:3], off, off offset:408
	s_waitcnt vmcnt(1)
	scratch_store_b64 off, v[0:1], off offset:408
	s_waitcnt vmcnt(0)
	scratch_store_b64 v4, v[2:3], off offset:-8
.LBB54_346:
	;; [unrolled: 16-line block ×52, first 2 shown]
	s_or_b32 exec_lo, exec_lo, s0
	v_dual_mov_b32 v0, s12 :: v_dual_mov_b32 v1, s13
	s_mov_b32 s0, exec_lo
	flat_load_b32 v2, v[0:1]
	scratch_load_b64 v[0:1], off, off
	s_waitcnt vmcnt(1) lgkmcnt(0)
	v_cmpx_ne_u32_e32 1, v2
	s_cbranch_execz .LBB54_448
; %bb.447:
	v_lshl_add_u32 v4, v2, 3, 0
	scratch_load_b64 v[2:3], v4, off offset:-8
	s_waitcnt vmcnt(0)
	scratch_store_b64 off, v[2:3], off
	scratch_store_b64 v4, v[0:1], off offset:-8
	scratch_load_b64 v[0:1], off, off
.LBB54_448:
	s_or_b32 exec_lo, exec_lo, s0
.LBB54_449:
	s_clause 0x7
	scratch_load_b128 v[2:5], off, off offset:8
	scratch_load_b128 v[116:119], off, off offset:24
	;; [unrolled: 1-line block ×8, first 2 shown]
	s_waitcnt vmcnt(8)
	global_store_b64 v[16:17], v[0:1], off
	s_waitcnt vmcnt(7)
	s_clause 0x1
	global_store_b64 v[18:19], v[2:3], off
	global_store_b64 v[30:31], v[4:5], off
	s_clause 0x1
	scratch_load_b128 v[0:3], off, off offset:136
	scratch_load_b128 v[16:19], off, off offset:152
	s_waitcnt vmcnt(8)
	s_clause 0x1
	global_store_b64 v[12:13], v[116:117], off
	global_store_b64 v[14:15], v[118:119], off
	s_clause 0x1
	scratch_load_b128 v[12:15], off, off offset:168
	scratch_load_b128 v[116:119], off, off offset:184
	;; [unrolled: 7-line block ×9, first 2 shown]
	s_waitcnt vmcnt(16)
	s_clause 0x1
	global_store_b64 v[44:45], v[16:17], off
	global_store_b64 v[46:47], v[18:19], off
	scratch_load_b128 v[16:19], off, off offset:424
	s_waitcnt vmcnt(16)
	s_clause 0x1
	global_store_b64 v[48:49], v[12:13], off
	global_store_b64 v[52:53], v[14:15], off
	s_waitcnt vmcnt(15)
	s_clause 0x1
	global_store_b64 v[54:55], v[116:117], off
	global_store_b64 v[56:57], v[118:119], off
	s_waitcnt vmcnt(14)
	s_clause 0x1
	global_store_b64 v[58:59], v[120:121], off
	global_store_b64 v[60:61], v[122:123], off
	s_waitcnt vmcnt(13)
	s_clause 0x1
	global_store_b64 v[62:63], v[144:145], off
	global_store_b64 v[64:65], v[146:147], off
	s_waitcnt vmcnt(12)
	s_clause 0x1
	global_store_b64 v[66:67], v[124:125], off
	global_store_b64 v[68:69], v[126:127], off
	s_waitcnt vmcnt(11)
	s_clause 0x1
	global_store_b64 v[70:71], v[148:149], off
	global_store_b64 v[72:73], v[150:151], off
	s_waitcnt vmcnt(10)
	s_clause 0x1
	global_store_b64 v[74:75], v[34:35], off
	global_store_b64 v[76:77], v[36:37], off
	s_waitcnt vmcnt(9)
	s_clause 0x1
	global_store_b64 v[78:79], v[128:129], off
	global_store_b64 v[80:81], v[130:131], off
	s_waitcnt vmcnt(8)
	s_clause 0x1
	global_store_b64 v[82:83], v[30:31], off
	global_store_b64 v[84:85], v[32:33], off
	s_waitcnt vmcnt(7)
	s_clause 0x1
	global_store_b64 v[86:87], v[132:133], off
	global_store_b64 v[88:89], v[134:135], off
	s_waitcnt vmcnt(6)
	s_clause 0x1
	global_store_b64 v[90:91], v[8:9], off
	global_store_b64 v[92:93], v[10:11], off
	s_waitcnt vmcnt(5)
	s_clause 0x1
	global_store_b64 v[94:95], v[26:27], off
	global_store_b64 v[96:97], v[28:29], off
	s_waitcnt vmcnt(4)
	s_clause 0x1
	global_store_b64 v[98:99], v[22:23], off
	global_store_b64 v[100:101], v[24:25], off
	s_waitcnt vmcnt(3)
	s_clause 0x1
	global_store_b64 v[102:103], v[136:137], off
	global_store_b64 v[104:105], v[138:139], off
	s_waitcnt vmcnt(2)
	s_clause 0x1
	global_store_b64 v[106:107], v[0:1], off
	global_store_b64 v[108:109], v[2:3], off
	s_waitcnt vmcnt(1)
	s_clause 0x1
	global_store_b64 v[112:113], v[38:39], off
	global_store_b64 v[114:115], v[40:41], off
	s_waitcnt vmcnt(0)
	s_clause 0x1
	global_store_b64 v[110:111], v[16:17], off
	global_store_b64 v[6:7], v[18:19], off
	s_endpgm
	.section	.rodata,"a",@progbits
	.p2align	6, 0x0
	.amdhsa_kernel _ZN9rocsolver6v33100L18getri_kernel_smallILi55EdPdEEvT1_iilPiilS4_bb
		.amdhsa_group_segment_fixed_size 888
		.amdhsa_private_segment_fixed_size 448
		.amdhsa_kernarg_size 60
		.amdhsa_user_sgpr_count 15
		.amdhsa_user_sgpr_dispatch_ptr 0
		.amdhsa_user_sgpr_queue_ptr 0
		.amdhsa_user_sgpr_kernarg_segment_ptr 1
		.amdhsa_user_sgpr_dispatch_id 0
		.amdhsa_user_sgpr_private_segment_size 0
		.amdhsa_wavefront_size32 1
		.amdhsa_uses_dynamic_stack 0
		.amdhsa_enable_private_segment 1
		.amdhsa_system_sgpr_workgroup_id_x 1
		.amdhsa_system_sgpr_workgroup_id_y 0
		.amdhsa_system_sgpr_workgroup_id_z 0
		.amdhsa_system_sgpr_workgroup_info 0
		.amdhsa_system_vgpr_workitem_id 0
		.amdhsa_next_free_vgpr 152
		.amdhsa_next_free_sgpr 18
		.amdhsa_reserve_vcc 1
		.amdhsa_float_round_mode_32 0
		.amdhsa_float_round_mode_16_64 0
		.amdhsa_float_denorm_mode_32 3
		.amdhsa_float_denorm_mode_16_64 3
		.amdhsa_dx10_clamp 1
		.amdhsa_ieee_mode 1
		.amdhsa_fp16_overflow 0
		.amdhsa_workgroup_processor_mode 1
		.amdhsa_memory_ordered 1
		.amdhsa_forward_progress 0
		.amdhsa_shared_vgpr_count 0
		.amdhsa_exception_fp_ieee_invalid_op 0
		.amdhsa_exception_fp_denorm_src 0
		.amdhsa_exception_fp_ieee_div_zero 0
		.amdhsa_exception_fp_ieee_overflow 0
		.amdhsa_exception_fp_ieee_underflow 0
		.amdhsa_exception_fp_ieee_inexact 0
		.amdhsa_exception_int_div_zero 0
	.end_amdhsa_kernel
	.section	.text._ZN9rocsolver6v33100L18getri_kernel_smallILi55EdPdEEvT1_iilPiilS4_bb,"axG",@progbits,_ZN9rocsolver6v33100L18getri_kernel_smallILi55EdPdEEvT1_iilPiilS4_bb,comdat
.Lfunc_end54:
	.size	_ZN9rocsolver6v33100L18getri_kernel_smallILi55EdPdEEvT1_iilPiilS4_bb, .Lfunc_end54-_ZN9rocsolver6v33100L18getri_kernel_smallILi55EdPdEEvT1_iilPiilS4_bb
                                        ; -- End function
	.section	.AMDGPU.csdata,"",@progbits
; Kernel info:
; codeLenInByte = 55536
; NumSgprs: 20
; NumVgprs: 152
; ScratchSize: 448
; MemoryBound: 0
; FloatMode: 240
; IeeeMode: 1
; LDSByteSize: 888 bytes/workgroup (compile time only)
; SGPRBlocks: 2
; VGPRBlocks: 18
; NumSGPRsForWavesPerEU: 20
; NumVGPRsForWavesPerEU: 152
; Occupancy: 9
; WaveLimiterHint : 1
; COMPUTE_PGM_RSRC2:SCRATCH_EN: 1
; COMPUTE_PGM_RSRC2:USER_SGPR: 15
; COMPUTE_PGM_RSRC2:TRAP_HANDLER: 0
; COMPUTE_PGM_RSRC2:TGID_X_EN: 1
; COMPUTE_PGM_RSRC2:TGID_Y_EN: 0
; COMPUTE_PGM_RSRC2:TGID_Z_EN: 0
; COMPUTE_PGM_RSRC2:TIDIG_COMP_CNT: 0
	.section	.text._ZN9rocsolver6v33100L18getri_kernel_smallILi56EdPdEEvT1_iilPiilS4_bb,"axG",@progbits,_ZN9rocsolver6v33100L18getri_kernel_smallILi56EdPdEEvT1_iilPiilS4_bb,comdat
	.globl	_ZN9rocsolver6v33100L18getri_kernel_smallILi56EdPdEEvT1_iilPiilS4_bb ; -- Begin function _ZN9rocsolver6v33100L18getri_kernel_smallILi56EdPdEEvT1_iilPiilS4_bb
	.p2align	8
	.type	_ZN9rocsolver6v33100L18getri_kernel_smallILi56EdPdEEvT1_iilPiilS4_bb,@function
_ZN9rocsolver6v33100L18getri_kernel_smallILi56EdPdEEvT1_iilPiilS4_bb: ; @_ZN9rocsolver6v33100L18getri_kernel_smallILi56EdPdEEvT1_iilPiilS4_bb
; %bb.0:
	s_mov_b32 s2, exec_lo
	v_cmpx_gt_u32_e32 56, v0
	s_cbranch_execz .LBB55_234
; %bb.1:
	s_clause 0x2
	s_load_b32 s17, s[0:1], 0x38
	s_load_b128 s[8:11], s[0:1], 0x10
	s_load_b128 s[4:7], s[0:1], 0x28
	s_mov_b32 s14, s15
                                        ; implicit-def: $sgpr12_sgpr13
	s_waitcnt lgkmcnt(0)
	s_bitcmp1_b32 s17, 8
	s_cselect_b32 s16, -1, 0
	s_bfe_u32 s2, s17, 0x10008
	s_ashr_i32 s15, s15, 31
	s_cmp_eq_u32 s2, 0
	s_cbranch_scc1 .LBB55_3
; %bb.2:
	s_load_b32 s2, s[0:1], 0x20
	s_mul_i32 s3, s14, s5
	s_mul_hi_u32 s5, s14, s4
	s_mul_i32 s12, s15, s4
	s_add_i32 s3, s5, s3
	s_mul_i32 s4, s14, s4
	s_add_i32 s5, s3, s12
	s_delay_alu instid0(SALU_CYCLE_1)
	s_lshl_b64 s[4:5], s[4:5], 2
	s_waitcnt lgkmcnt(0)
	s_ashr_i32 s3, s2, 31
	s_add_u32 s4, s10, s4
	s_addc_u32 s5, s11, s5
	s_lshl_b64 s[2:3], s[2:3], 2
	s_delay_alu instid0(SALU_CYCLE_1)
	s_add_u32 s12, s4, s2
	s_addc_u32 s13, s5, s3
.LBB55_3:
	s_load_b128 s[0:3], s[0:1], 0x0
	s_mul_i32 s4, s14, s9
	s_mul_hi_u32 s5, s14, s8
	s_mul_i32 s9, s15, s8
	s_add_i32 s5, s5, s4
	s_mul_i32 s4, s14, s8
	s_add_i32 s5, s5, s9
	v_lshlrev_b32_e32 v3, 3, v0
	s_lshl_b64 s[4:5], s[4:5], 3
	s_waitcnt lgkmcnt(0)
	v_add3_u32 v1, s3, s3, v0
	s_ashr_i32 s9, s2, 31
	s_mov_b32 s8, s2
	s_add_u32 s2, s0, s4
	s_addc_u32 s5, s1, s5
	v_add_nc_u32_e32 v4, s3, v1
	s_lshl_b64 s[0:1], s[8:9], 3
	v_ashrrev_i32_e32 v2, 31, v1
	s_add_u32 s0, s2, s0
	s_addc_u32 s1, s5, s1
	v_add_co_u32 v36, s2, s0, v3
	v_ashrrev_i32_e32 v5, 31, v4
	s_mov_b32 s4, s3
	s_ashr_i32 s5, s3, 31
	v_add_co_ci_u32_e64 v37, null, s1, 0, s2
	v_lshlrev_b64 v[1:2], 3, v[1:2]
	s_lshl_b64 s[4:5], s[4:5], 3
	v_lshlrev_b64 v[5:6], 3, v[4:5]
	v_add_co_u32 v22, vcc_lo, v36, s4
	v_add_co_ci_u32_e32 v23, vcc_lo, s5, v37, vcc_lo
	s_delay_alu instid0(VALU_DEP_4)
	v_add_co_u32 v16, vcc_lo, s0, v1
	v_add_co_ci_u32_e32 v17, vcc_lo, s1, v2, vcc_lo
	v_add_co_u32 v8, vcc_lo, s0, v5
	s_clause 0x1
	global_load_b64 v[10:11], v3, s[0:1]
	global_load_b64 v[12:13], v[22:23], off
	v_add_co_ci_u32_e32 v9, vcc_lo, s1, v6, vcc_lo
	s_clause 0x1
	global_load_b64 v[18:19], v[16:17], off
	global_load_b64 v[20:21], v[8:9], off
	v_add_nc_u32_e32 v1, s3, v4
	s_bitcmp0_b32 s17, 0
	s_delay_alu instid0(VALU_DEP_1) | instskip(SKIP_1) | instid1(VALU_DEP_2)
	v_add_nc_u32_e32 v4, s3, v1
	v_ashrrev_i32_e32 v2, 31, v1
	v_add_nc_u32_e32 v6, s3, v4
	s_delay_alu instid0(VALU_DEP_2) | instskip(SKIP_1) | instid1(VALU_DEP_3)
	v_lshlrev_b64 v[1:2], 3, v[1:2]
	v_ashrrev_i32_e32 v5, 31, v4
	v_add_nc_u32_e32 v14, s3, v6
	v_ashrrev_i32_e32 v7, 31, v6
	s_delay_alu instid0(VALU_DEP_4) | instskip(NEXT) | instid1(VALU_DEP_4)
	v_add_co_u32 v50, vcc_lo, s0, v1
	v_lshlrev_b64 v[4:5], 3, v[4:5]
	s_delay_alu instid0(VALU_DEP_4) | instskip(SKIP_3) | instid1(VALU_DEP_4)
	v_add_nc_u32_e32 v24, s3, v14
	v_ashrrev_i32_e32 v15, 31, v14
	v_add_co_ci_u32_e32 v51, vcc_lo, s1, v2, vcc_lo
	v_lshlrev_b64 v[6:7], 3, v[6:7]
	v_add_nc_u32_e32 v26, s3, v24
	v_add_co_u32 v48, vcc_lo, s0, v4
	v_add_co_ci_u32_e32 v49, vcc_lo, s1, v5, vcc_lo
	s_delay_alu instid0(VALU_DEP_3) | instskip(SKIP_3) | instid1(VALU_DEP_4)
	v_add_nc_u32_e32 v32, s3, v26
	v_lshlrev_b64 v[4:5], 3, v[14:15]
	v_ashrrev_i32_e32 v25, 31, v24
	v_add_co_u32 v42, vcc_lo, s0, v6
	v_add_nc_u32_e32 v34, s3, v32
	v_ashrrev_i32_e32 v27, 31, v26
	v_add_co_ci_u32_e32 v43, vcc_lo, s1, v7, vcc_lo
	v_lshlrev_b64 v[6:7], 3, v[24:25]
	s_delay_alu instid0(VALU_DEP_4) | instskip(SKIP_2) | instid1(VALU_DEP_3)
	v_add_nc_u32_e32 v40, s3, v34
	v_add_co_u32 v44, vcc_lo, s0, v4
	v_add_co_ci_u32_e32 v45, vcc_lo, s1, v5, vcc_lo
	v_add_nc_u32_e32 v46, s3, v40
	v_lshlrev_b64 v[4:5], 3, v[26:27]
	v_add_co_u32 v38, vcc_lo, s0, v6
	v_add_co_ci_u32_e32 v39, vcc_lo, s1, v7, vcc_lo
	s_delay_alu instid0(VALU_DEP_4) | instskip(NEXT) | instid1(VALU_DEP_4)
	v_add_nc_u32_e32 v68, s3, v46
	v_add_co_u32 v24, vcc_lo, s0, v4
	v_ashrrev_i32_e32 v33, 31, v32
	s_clause 0x1
	global_load_b64 v[28:29], v[50:51], off
	global_load_b64 v[30:31], v[48:49], off
	v_add_nc_u32_e32 v70, s3, v68
	v_add_co_ci_u32_e32 v25, vcc_lo, s1, v5, vcc_lo
	v_lshlrev_b64 v[6:7], 3, v[32:33]
	v_ashrrev_i32_e32 v35, 31, v34
	s_delay_alu instid0(VALU_DEP_4)
	v_add_nc_u32_e32 v72, s3, v70
	v_ashrrev_i32_e32 v41, 31, v40
	v_ashrrev_i32_e32 v47, 31, v46
	s_clause 0x2
	global_load_b64 v[52:53], v[42:43], off
	global_load_b64 v[54:55], v[44:45], off
	;; [unrolled: 1-line block ×3, first 2 shown]
	v_lshlrev_b64 v[14:15], 3, v[34:35]
	v_add_nc_u32_e32 v74, s3, v72
	v_add_co_u32 v34, vcc_lo, s0, v6
	v_add_co_ci_u32_e32 v35, vcc_lo, s1, v7, vcc_lo
	s_delay_alu instid0(VALU_DEP_3)
	v_add_nc_u32_e32 v76, s3, v74
	v_lshlrev_b64 v[26:27], 3, v[40:41]
	global_load_b64 v[58:59], v[24:25], off
	v_ashrrev_i32_e32 v69, 31, v68
	v_ashrrev_i32_e32 v71, 31, v70
	v_add_nc_u32_e32 v78, s3, v76
	v_ashrrev_i32_e32 v73, 31, v72
	v_ashrrev_i32_e32 v75, 31, v74
	;; [unrolled: 1-line block ×3, first 2 shown]
	s_delay_alu instid0(VALU_DEP_4) | instskip(SKIP_1) | instid1(VALU_DEP_2)
	v_add_nc_u32_e32 v80, s3, v78
	v_ashrrev_i32_e32 v79, 31, v78
	v_add_nc_u32_e32 v82, s3, v80
	v_ashrrev_i32_e32 v81, 31, v80
	s_delay_alu instid0(VALU_DEP_2) | instskip(SKIP_1) | instid1(VALU_DEP_2)
	v_add_nc_u32_e32 v84, s3, v82
	v_ashrrev_i32_e32 v83, 31, v82
	v_add_nc_u32_e32 v86, s3, v84
	v_ashrrev_i32_e32 v85, 31, v84
	s_delay_alu instid0(VALU_DEP_3) | instskip(NEXT) | instid1(VALU_DEP_3)
	v_lshlrev_b64 v[40:41], 3, v[82:83]
	v_add_nc_u32_e32 v88, s3, v86
	v_ashrrev_i32_e32 v87, 31, v86
	s_delay_alu instid0(VALU_DEP_2) | instskip(SKIP_1) | instid1(VALU_DEP_2)
	v_add_nc_u32_e32 v90, s3, v88
	v_ashrrev_i32_e32 v89, 31, v88
	v_add_nc_u32_e32 v92, s3, v90
	v_ashrrev_i32_e32 v91, 31, v90
	s_delay_alu instid0(VALU_DEP_2) | instskip(SKIP_1) | instid1(VALU_DEP_2)
	v_add_nc_u32_e32 v94, s3, v92
	v_ashrrev_i32_e32 v93, 31, v92
	;; [unrolled: 5-line block ×13, first 2 shown]
	v_add_nc_u32_e32 v140, s3, v1
	v_ashrrev_i32_e32 v2, 31, v1
	s_delay_alu instid0(VALU_DEP_2) | instskip(SKIP_1) | instid1(VALU_DEP_3)
	v_add_nc_u32_e32 v142, s3, v140
	v_ashrrev_i32_e32 v141, 31, v140
	v_lshlrev_b64 v[1:2], 3, v[1:2]
	s_delay_alu instid0(VALU_DEP_3) | instskip(SKIP_1) | instid1(VALU_DEP_2)
	v_add_nc_u32_e32 v144, s3, v142
	v_ashrrev_i32_e32 v143, 31, v142
	v_add_nc_u32_e32 v146, s3, v144
	v_ashrrev_i32_e32 v145, 31, v144
	s_delay_alu instid0(VALU_DEP_2) | instskip(SKIP_1) | instid1(VALU_DEP_2)
	v_add_nc_u32_e32 v148, s3, v146
	v_ashrrev_i32_e32 v147, 31, v146
	v_add_nc_u32_e32 v4, s3, v148
	v_ashrrev_i32_e32 v149, 31, v148
	s_delay_alu instid0(VALU_DEP_2) | instskip(NEXT) | instid1(VALU_DEP_1)
	v_ashrrev_i32_e32 v5, 31, v4
	v_lshlrev_b64 v[4:5], 3, v[4:5]
	s_delay_alu instid0(VALU_DEP_1) | instskip(NEXT) | instid1(VALU_DEP_2)
	v_add_co_u32 v6, vcc_lo, s0, v4
	v_add_co_ci_u32_e32 v7, vcc_lo, s1, v5, vcc_lo
	v_add_co_u32 v32, vcc_lo, s0, v14
	v_lshlrev_b64 v[4:5], 3, v[46:47]
	global_load_b64 v[120:121], v[6:7], off
	v_add_co_ci_u32_e32 v33, vcc_lo, s1, v15, vcc_lo
	v_add_co_u32 v26, vcc_lo, s0, v26
	v_add_co_ci_u32_e32 v27, vcc_lo, s1, v27, vcc_lo
	v_lshlrev_b64 v[14:15], 3, v[70:71]
	s_waitcnt vmcnt(9)
	scratch_store_b128 off, v[10:13], off
	v_add_co_u32 v12, vcc_lo, s0, v4
	v_add_co_ci_u32_e32 v13, vcc_lo, s1, v5, vcc_lo
	s_clause 0x1
	global_load_b64 v[60:61], v[34:35], off
	global_load_b64 v[62:63], v[32:33], off
	s_waitcnt vmcnt(9)
	scratch_store_b128 off, v[18:21], off offset:16
	s_clause 0x1
	global_load_b64 v[64:65], v[26:27], off
	global_load_b64 v[66:67], v[12:13], off
	v_lshlrev_b64 v[4:5], 3, v[68:69]
	v_lshlrev_b64 v[20:21], 3, v[74:75]
	s_delay_alu instid0(VALU_DEP_2) | instskip(NEXT) | instid1(VALU_DEP_3)
	v_add_co_u32 v10, vcc_lo, s0, v4
	v_add_co_ci_u32_e32 v11, vcc_lo, s1, v5, vcc_lo
	v_lshlrev_b64 v[4:5], 3, v[72:73]
	v_add_co_u32 v14, vcc_lo, s0, v14
	v_add_co_ci_u32_e32 v15, vcc_lo, s1, v15, vcc_lo
	s_delay_alu instid0(VALU_DEP_3) | instskip(NEXT) | instid1(VALU_DEP_4)
	v_add_co_u32 v18, vcc_lo, s0, v4
	v_add_co_ci_u32_e32 v19, vcc_lo, s1, v5, vcc_lo
	v_lshlrev_b64 v[4:5], 3, v[76:77]
	s_waitcnt vmcnt(9)
	scratch_store_b128 off, v[28:31], off offset:32
	v_add_co_u32 v28, vcc_lo, s0, v20
	v_add_co_ci_u32_e32 v29, vcc_lo, s1, v21, vcc_lo
	v_lshlrev_b64 v[20:21], 3, v[78:79]
	v_add_co_u32 v30, vcc_lo, s0, v4
	v_add_co_ci_u32_e32 v31, vcc_lo, s1, v5, vcc_lo
	v_lshlrev_b64 v[4:5], 3, v[80:81]
	s_delay_alu instid0(VALU_DEP_4)
	v_add_co_u32 v20, vcc_lo, s0, v20
	v_add_co_ci_u32_e32 v21, vcc_lo, s1, v21, vcc_lo
	s_clause 0x1
	global_load_b64 v[68:69], v[10:11], off
	global_load_b64 v[70:71], v[14:15], off
	v_add_co_u32 v46, vcc_lo, s0, v4
	v_add_co_ci_u32_e32 v47, vcc_lo, s1, v5, vcc_lo
	v_lshlrev_b64 v[4:5], 3, v[84:85]
	s_waitcnt vmcnt(9)
	scratch_store_b128 off, v[52:55], off offset:48
	s_waitcnt vmcnt(7)
	scratch_store_b128 off, v[56:59], off offset:64
	s_clause 0x3
	global_load_b64 v[72:73], v[18:19], off
	global_load_b64 v[74:75], v[28:29], off
	;; [unrolled: 1-line block ×4, first 2 shown]
	v_add_co_u32 v40, vcc_lo, s0, v40
	v_lshlrev_b64 v[54:55], 3, v[86:87]
	v_add_co_ci_u32_e32 v41, vcc_lo, s1, v41, vcc_lo
	v_add_co_u32 v52, vcc_lo, s0, v4
	v_add_co_ci_u32_e32 v53, vcc_lo, s1, v5, vcc_lo
	s_delay_alu instid0(VALU_DEP_4) | instskip(SKIP_3) | instid1(VALU_DEP_2)
	v_add_co_u32 v54, vcc_lo, s0, v54
	v_add_co_ci_u32_e32 v55, vcc_lo, s1, v55, vcc_lo
	v_lshlrev_b64 v[4:5], 3, v[88:89]
	v_lshlrev_b64 v[58:59], 3, v[90:91]
	v_add_co_u32 v56, vcc_lo, s0, v4
	s_delay_alu instid0(VALU_DEP_3) | instskip(SKIP_1) | instid1(VALU_DEP_4)
	v_add_co_ci_u32_e32 v57, vcc_lo, s1, v5, vcc_lo
	v_lshlrev_b64 v[4:5], 3, v[92:93]
	v_add_co_u32 v58, vcc_lo, s0, v58
	v_add_co_ci_u32_e32 v59, vcc_lo, s1, v59, vcc_lo
	s_waitcnt vmcnt(8)
	scratch_store_b128 off, v[60:63], off offset:80
	s_clause 0x1
	global_load_b64 v[80:81], v[46:47], off
	global_load_b64 v[82:83], v[40:41], off
	s_waitcnt vmcnt(8)
	scratch_store_b128 off, v[64:67], off offset:96
	s_clause 0x1
	global_load_b64 v[84:85], v[52:53], off
	global_load_b64 v[86:87], v[54:55], off
	v_lshlrev_b64 v[62:63], 3, v[94:95]
	v_add_co_u32 v60, vcc_lo, s0, v4
	v_add_co_ci_u32_e32 v61, vcc_lo, s1, v5, vcc_lo
	v_lshlrev_b64 v[4:5], 3, v[96:97]
	s_delay_alu instid0(VALU_DEP_4) | instskip(SKIP_2) | instid1(VALU_DEP_4)
	v_add_co_u32 v62, vcc_lo, s0, v62
	v_add_co_ci_u32_e32 v63, vcc_lo, s1, v63, vcc_lo
	v_lshlrev_b64 v[66:67], 3, v[98:99]
	v_add_co_u32 v64, vcc_lo, s0, v4
	v_add_co_ci_u32_e32 v65, vcc_lo, s1, v5, vcc_lo
	v_lshlrev_b64 v[4:5], 3, v[100:101]
	s_clause 0x1
	global_load_b64 v[88:89], v[56:57], off
	global_load_b64 v[90:91], v[58:59], off
	v_add_co_u32 v66, vcc_lo, s0, v66
	v_add_co_ci_u32_e32 v67, vcc_lo, s1, v67, vcc_lo
	s_waitcnt vmcnt(10)
	scratch_store_b128 off, v[68:71], off offset:112
	v_lshlrev_b64 v[70:71], 3, v[102:103]
	v_add_co_u32 v68, vcc_lo, s0, v4
	v_add_co_ci_u32_e32 v69, vcc_lo, s1, v5, vcc_lo
	v_lshlrev_b64 v[4:5], 3, v[104:105]
	s_waitcnt vmcnt(8)
	scratch_store_b128 off, v[72:75], off offset:128
	s_waitcnt vmcnt(6)
	scratch_store_b128 off, v[76:79], off offset:144
	s_clause 0x3
	global_load_b64 v[92:93], v[60:61], off
	global_load_b64 v[94:95], v[62:63], off
	;; [unrolled: 1-line block ×4, first 2 shown]
	v_add_co_u32 v70, vcc_lo, s0, v70
	v_lshlrev_b64 v[74:75], 3, v[106:107]
	v_add_co_ci_u32_e32 v71, vcc_lo, s1, v71, vcc_lo
	v_add_co_u32 v72, vcc_lo, s0, v4
	v_add_co_ci_u32_e32 v73, vcc_lo, s1, v5, vcc_lo
	s_delay_alu instid0(VALU_DEP_4) | instskip(SKIP_3) | instid1(VALU_DEP_2)
	v_add_co_u32 v74, vcc_lo, s0, v74
	v_add_co_ci_u32_e32 v75, vcc_lo, s1, v75, vcc_lo
	v_lshlrev_b64 v[4:5], 3, v[108:109]
	v_lshlrev_b64 v[78:79], 3, v[110:111]
	v_add_co_u32 v76, vcc_lo, s0, v4
	s_delay_alu instid0(VALU_DEP_3) | instskip(SKIP_1) | instid1(VALU_DEP_4)
	v_add_co_ci_u32_e32 v77, vcc_lo, s1, v5, vcc_lo
	v_lshlrev_b64 v[4:5], 3, v[112:113]
	v_add_co_u32 v78, vcc_lo, s0, v78
	v_add_co_ci_u32_e32 v79, vcc_lo, s1, v79, vcc_lo
	s_waitcnt vmcnt(8)
	scratch_store_b128 off, v[80:83], off offset:160
	s_clause 0x1
	global_load_b64 v[100:101], v[68:69], off
	global_load_b64 v[102:103], v[70:71], off
	s_waitcnt vmcnt(8)
	scratch_store_b128 off, v[84:87], off offset:176
	s_clause 0x1
	global_load_b64 v[104:105], v[72:73], off
	global_load_b64 v[106:107], v[74:75], off
	v_lshlrev_b64 v[82:83], 3, v[114:115]
	v_add_co_u32 v80, vcc_lo, s0, v4
	v_add_co_ci_u32_e32 v81, vcc_lo, s1, v5, vcc_lo
	v_lshlrev_b64 v[4:5], 3, v[116:117]
	s_delay_alu instid0(VALU_DEP_4) | instskip(SKIP_2) | instid1(VALU_DEP_4)
	v_add_co_u32 v82, vcc_lo, s0, v82
	v_add_co_ci_u32_e32 v83, vcc_lo, s1, v83, vcc_lo
	v_lshlrev_b64 v[86:87], 3, v[118:119]
	v_add_co_u32 v84, vcc_lo, s0, v4
	v_add_co_ci_u32_e32 v85, vcc_lo, s1, v5, vcc_lo
	v_lshlrev_b64 v[4:5], 3, v[122:123]
	s_delay_alu instid0(VALU_DEP_4)
	v_add_co_u32 v86, vcc_lo, s0, v86
	v_add_co_ci_u32_e32 v87, vcc_lo, s1, v87, vcc_lo
	s_waitcnt vmcnt(8)
	scratch_store_b128 off, v[88:91], off offset:192
	v_add_co_u32 v88, vcc_lo, s0, v4
	s_clause 0x1
	global_load_b64 v[108:109], v[76:77], off
	global_load_b64 v[110:111], v[78:79], off
	v_add_co_ci_u32_e32 v89, vcc_lo, s1, v5, vcc_lo
	v_lshlrev_b64 v[4:5], 3, v[124:125]
	global_load_b64 v[112:113], v[80:81], off
	v_add_co_u32 v90, vcc_lo, s0, v4
	v_add_co_ci_u32_e32 v91, vcc_lo, s1, v5, vcc_lo
	v_lshlrev_b64 v[4:5], 3, v[128:129]
	s_waitcnt vmcnt(9)
	scratch_store_b128 off, v[92:95], off offset:208
	v_lshlrev_b64 v[92:93], 3, v[126:127]
	s_waitcnt vmcnt(7)
	scratch_store_b128 off, v[96:99], off offset:224
	s_clause 0x4
	global_load_b64 v[114:115], v[82:83], off
	global_load_b64 v[116:117], v[84:85], off
	;; [unrolled: 1-line block ×5, first 2 shown]
	v_add_co_u32 v92, vcc_lo, s0, v92
	v_add_co_ci_u32_e32 v93, vcc_lo, s1, v93, vcc_lo
	v_add_co_u32 v94, vcc_lo, s0, v4
	v_add_co_ci_u32_e32 v95, vcc_lo, s1, v5, vcc_lo
	v_lshlrev_b64 v[4:5], 3, v[130:131]
	s_delay_alu instid0(VALU_DEP_1) | instskip(NEXT) | instid1(VALU_DEP_2)
	v_add_co_u32 v96, vcc_lo, s0, v4
	v_add_co_ci_u32_e32 v97, vcc_lo, s1, v5, vcc_lo
	v_lshlrev_b64 v[4:5], 3, v[132:133]
	s_delay_alu instid0(VALU_DEP_1) | instskip(NEXT) | instid1(VALU_DEP_2)
	v_add_co_u32 v98, vcc_lo, s0, v4
	v_add_co_ci_u32_e32 v99, vcc_lo, s1, v5, vcc_lo
	v_lshlrev_b64 v[4:5], 3, v[136:137]
	s_waitcnt vmcnt(10)
	scratch_store_b128 off, v[100:103], off offset:240
	v_lshlrev_b64 v[100:101], 3, v[134:135]
	s_waitcnt vmcnt(8)
	scratch_store_b128 off, v[104:107], off offset:256
	s_clause 0x1
	global_load_b64 v[126:127], v[92:93], off
	global_load_b64 v[128:129], v[94:95], off
	v_lshlrev_b64 v[104:105], 3, v[138:139]
	global_load_b64 v[130:131], v[96:97], off
	v_add_co_u32 v100, vcc_lo, s0, v100
	v_add_co_ci_u32_e32 v101, vcc_lo, s1, v101, vcc_lo
	v_add_co_u32 v102, vcc_lo, s0, v4
	v_add_co_ci_u32_e32 v103, vcc_lo, s1, v5, vcc_lo
	v_add_co_u32 v104, vcc_lo, s0, v104
	v_lshlrev_b64 v[4:5], 3, v[140:141]
	v_add_co_ci_u32_e32 v105, vcc_lo, s1, v105, vcc_lo
	v_add_co_u32 v106, vcc_lo, s0, v1
	v_add_co_ci_u32_e32 v107, vcc_lo, s1, v2, vcc_lo
	v_lshlrev_b64 v[1:2], 3, v[142:143]
	s_waitcnt vmcnt(9)
	scratch_store_b128 off, v[108:111], off offset:272
	v_add_co_u32 v108, vcc_lo, s0, v4
	v_add_co_ci_u32_e32 v109, vcc_lo, s1, v5, vcc_lo
	v_lshlrev_b64 v[4:5], 3, v[144:145]
	v_add_co_u32 v110, vcc_lo, s0, v1
	v_add_co_ci_u32_e32 v111, vcc_lo, s1, v2, vcc_lo
	v_lshlrev_b64 v[1:2], 3, v[146:147]
	s_waitcnt vmcnt(7)
	scratch_store_b128 off, v[112:115], off offset:288
	s_waitcnt vmcnt(5)
	scratch_store_b128 off, v[116:119], off offset:304
	v_add_co_u32 v112, vcc_lo, s0, v4
	v_add_co_ci_u32_e32 v113, vcc_lo, s1, v5, vcc_lo
	v_lshlrev_b64 v[4:5], 3, v[148:149]
	v_add_co_u32 v114, vcc_lo, s0, v1
	v_add_co_ci_u32_e32 v115, vcc_lo, s1, v2, vcc_lo
	s_clause 0x3
	global_load_b64 v[132:133], v[98:99], off
	global_load_b64 v[134:135], v[100:101], off
	;; [unrolled: 1-line block ×4, first 2 shown]
	v_add_co_u32 v116, vcc_lo, s0, v4
	v_add_co_ci_u32_e32 v117, vcc_lo, s1, v5, vcc_lo
	s_waitcnt vmcnt(7)
	scratch_store_b128 off, v[122:125], off offset:320
	s_clause 0x2
	global_load_b64 v[140:141], v[106:107], off
	global_load_b64 v[122:123], v[108:109], off
	;; [unrolled: 1-line block ×3, first 2 shown]
	s_mov_b32 s1, -1
	s_waitcnt vmcnt(8)
	scratch_store_b128 off, v[126:129], off offset:336
	s_clause 0x2
	global_load_b64 v[126:127], v[112:113], off
	global_load_b64 v[128:129], v[114:115], off
	global_load_b64 v[118:119], v[116:117], off
	s_waitcnt vmcnt(9)
	scratch_store_b128 off, v[130:133], off offset:352
	s_waitcnt vmcnt(7)
	scratch_store_b128 off, v[134:137], off offset:368
	;; [unrolled: 2-line block ×6, first 2 shown]
	s_cbranch_scc1 .LBB55_232
; %bb.4:
	v_cmp_eq_u32_e64 s0, 0, v0
	s_delay_alu instid0(VALU_DEP_1)
	s_and_saveexec_b32 s1, s0
	s_cbranch_execz .LBB55_6
; %bb.5:
	v_mov_b32_e32 v1, 0
	ds_store_b32 v1, v1 offset:896
.LBB55_6:
	s_or_b32 exec_lo, exec_lo, s1
	s_waitcnt lgkmcnt(0)
	s_waitcnt_vscnt null, 0x0
	s_barrier
	buffer_gl0_inv
	scratch_load_b64 v[1:2], v3, off
	s_mov_b32 s2, exec_lo
	s_waitcnt vmcnt(0)
	v_cmpx_eq_f64_e32 0, v[1:2]
	s_cbranch_execz .LBB55_10
; %bb.7:
	v_mov_b32_e32 v1, 0
	s_mov_b32 s3, 0
	ds_load_b32 v2, v1 offset:896
	s_waitcnt lgkmcnt(0)
	v_readfirstlane_b32 s1, v2
	v_add_nc_u32_e32 v2, 1, v0
	s_delay_alu instid0(VALU_DEP_2) | instskip(NEXT) | instid1(VALU_DEP_1)
	s_cmp_eq_u32 s1, 0
	v_cmp_gt_i32_e32 vcc_lo, s1, v2
	s_cselect_b32 s4, -1, 0
	s_delay_alu instid0(SALU_CYCLE_1) | instskip(NEXT) | instid1(SALU_CYCLE_1)
	s_or_b32 s4, s4, vcc_lo
	s_and_b32 exec_lo, exec_lo, s4
	s_cbranch_execz .LBB55_10
; %bb.8:
	v_mov_b32_e32 v4, s1
.LBB55_9:                               ; =>This Inner Loop Header: Depth=1
	ds_cmpstore_rtn_b32 v4, v1, v2, v4 offset:896
	s_waitcnt lgkmcnt(0)
	v_cmp_ne_u32_e32 vcc_lo, 0, v4
	v_cmp_le_i32_e64 s1, v4, v2
	s_delay_alu instid0(VALU_DEP_1) | instskip(NEXT) | instid1(SALU_CYCLE_1)
	s_and_b32 s1, vcc_lo, s1
	s_and_b32 s1, exec_lo, s1
	s_delay_alu instid0(SALU_CYCLE_1) | instskip(NEXT) | instid1(SALU_CYCLE_1)
	s_or_b32 s3, s1, s3
	s_and_not1_b32 exec_lo, exec_lo, s3
	s_cbranch_execnz .LBB55_9
.LBB55_10:
	s_or_b32 exec_lo, exec_lo, s2
	v_mov_b32_e32 v1, 0
	s_barrier
	buffer_gl0_inv
	ds_load_b32 v2, v1 offset:896
	s_and_saveexec_b32 s1, s0
	s_cbranch_execz .LBB55_12
; %bb.11:
	s_lshl_b64 s[2:3], s[14:15], 2
	s_delay_alu instid0(SALU_CYCLE_1)
	s_add_u32 s2, s6, s2
	s_addc_u32 s3, s7, s3
	s_waitcnt lgkmcnt(0)
	global_store_b32 v1, v2, s[2:3]
.LBB55_12:
	s_or_b32 exec_lo, exec_lo, s1
	s_waitcnt lgkmcnt(0)
	v_cmp_ne_u32_e32 vcc_lo, 0, v2
	s_mov_b32 s1, 0
	s_cbranch_vccnz .LBB55_232
; %bb.13:
	v_add_nc_u32_e32 v4, 0, v3
	v_add_nc_u32_e32 v5, 0x1c0, v3
	scratch_load_b64 v[1:2], v4, off
	s_waitcnt vmcnt(0)
	v_div_scale_f64 v[118:119], null, v[1:2], v[1:2], 1.0
	v_div_scale_f64 v[124:125], vcc_lo, 1.0, v[1:2], 1.0
	s_delay_alu instid0(VALU_DEP_2) | instskip(SKIP_2) | instid1(VALU_DEP_1)
	v_rcp_f64_e32 v[120:121], v[118:119]
	s_waitcnt_depctr 0xfff
	v_fma_f64 v[122:123], -v[118:119], v[120:121], 1.0
	v_fma_f64 v[120:121], v[120:121], v[122:123], v[120:121]
	s_delay_alu instid0(VALU_DEP_1) | instskip(NEXT) | instid1(VALU_DEP_1)
	v_fma_f64 v[122:123], -v[118:119], v[120:121], 1.0
	v_fma_f64 v[120:121], v[120:121], v[122:123], v[120:121]
	s_delay_alu instid0(VALU_DEP_1) | instskip(NEXT) | instid1(VALU_DEP_1)
	v_mul_f64 v[122:123], v[124:125], v[120:121]
	v_fma_f64 v[118:119], -v[118:119], v[122:123], v[124:125]
	s_delay_alu instid0(VALU_DEP_1) | instskip(NEXT) | instid1(VALU_DEP_1)
	v_div_fmas_f64 v[118:119], v[118:119], v[120:121], v[122:123]
	v_div_fixup_f64 v[1:2], v[118:119], v[1:2], 1.0
	scratch_store_b64 v4, v[1:2], off
	scratch_load_b64 v[118:119], off, off offset:8
	v_xor_b32_e32 v2, 0x80000000, v2
	s_waitcnt vmcnt(0)
	ds_store_2addr_b64 v3, v[1:2], v[118:119] offset1:56
	s_waitcnt lgkmcnt(0)
	s_waitcnt_vscnt null, 0x0
	s_barrier
	buffer_gl0_inv
	s_and_saveexec_b32 s1, s0
	s_cbranch_execz .LBB55_15
; %bb.14:
	scratch_load_b64 v[1:2], v4, off
	ds_load_b64 v[118:119], v5
	s_waitcnt vmcnt(0) lgkmcnt(0)
	v_fma_f64 v[1:2], v[1:2], v[118:119], 0
	v_mov_b32_e32 v118, 0
	ds_load_b64 v[118:119], v118 offset:8
	s_waitcnt lgkmcnt(0)
	v_mul_f64 v[1:2], v[1:2], v[118:119]
	scratch_store_b64 off, v[1:2], off offset:8
.LBB55_15:
	s_or_b32 exec_lo, exec_lo, s1
	s_waitcnt_vscnt null, 0x0
	s_barrier
	buffer_gl0_inv
	scratch_load_b64 v[1:2], off, off offset:16
	s_mov_b32 s1, exec_lo
	s_waitcnt vmcnt(0)
	ds_store_b64 v5, v[1:2]
	s_waitcnt lgkmcnt(0)
	s_barrier
	buffer_gl0_inv
	v_cmpx_gt_u32_e32 2, v0
	s_cbranch_execz .LBB55_19
; %bb.16:
	scratch_load_b64 v[1:2], v4, off
	ds_load_b64 v[118:119], v5
	s_waitcnt vmcnt(0) lgkmcnt(0)
	v_fma_f64 v[1:2], v[1:2], v[118:119], 0
	s_and_saveexec_b32 s2, s0
	s_cbranch_execz .LBB55_18
; %bb.17:
	scratch_load_b64 v[118:119], off, off offset:8
	v_mov_b32_e32 v120, 0
	ds_load_b64 v[120:121], v120 offset:456
	s_waitcnt vmcnt(0) lgkmcnt(0)
	v_fma_f64 v[1:2], v[118:119], v[120:121], v[1:2]
.LBB55_18:
	s_or_b32 exec_lo, exec_lo, s2
	v_mov_b32_e32 v118, 0
	ds_load_b64 v[118:119], v118 offset:16
	s_waitcnt lgkmcnt(0)
	v_mul_f64 v[1:2], v[1:2], v[118:119]
	scratch_store_b64 off, v[1:2], off offset:16
.LBB55_19:
	s_or_b32 exec_lo, exec_lo, s1
	s_waitcnt_vscnt null, 0x0
	s_barrier
	buffer_gl0_inv
	scratch_load_b64 v[1:2], off, off offset:24
	v_add_nc_u32_e32 v118, -1, v0
	s_mov_b32 s0, exec_lo
	s_waitcnt vmcnt(0)
	ds_store_b64 v5, v[1:2]
	s_waitcnt lgkmcnt(0)
	s_barrier
	buffer_gl0_inv
	v_cmpx_gt_u32_e32 3, v0
	s_cbranch_execz .LBB55_23
; %bb.20:
	v_dual_mov_b32 v1, 0 :: v_dual_add_nc_u32 v120, 0x1c0, v3
	v_dual_mov_b32 v2, 0 :: v_dual_add_nc_u32 v119, -1, v0
	v_add_nc_u32_e32 v121, 0, v3
	s_mov_b32 s1, 0
.LBB55_21:                              ; =>This Inner Loop Header: Depth=1
	scratch_load_b64 v[122:123], v121, off
	ds_load_b64 v[124:125], v120
	v_add_nc_u32_e32 v119, 1, v119
	v_add_nc_u32_e32 v120, 8, v120
	v_add_nc_u32_e32 v121, 8, v121
	s_delay_alu instid0(VALU_DEP_3)
	v_cmp_lt_u32_e32 vcc_lo, 1, v119
	s_or_b32 s1, vcc_lo, s1
	s_waitcnt vmcnt(0) lgkmcnt(0)
	v_fma_f64 v[1:2], v[122:123], v[124:125], v[1:2]
	s_and_not1_b32 exec_lo, exec_lo, s1
	s_cbranch_execnz .LBB55_21
; %bb.22:
	s_or_b32 exec_lo, exec_lo, s1
	v_mov_b32_e32 v119, 0
	ds_load_b64 v[119:120], v119 offset:24
	s_waitcnt lgkmcnt(0)
	v_mul_f64 v[1:2], v[1:2], v[119:120]
	scratch_store_b64 off, v[1:2], off offset:24
.LBB55_23:
	s_or_b32 exec_lo, exec_lo, s0
	s_waitcnt_vscnt null, 0x0
	s_barrier
	buffer_gl0_inv
	scratch_load_b64 v[1:2], off, off offset:32
	s_mov_b32 s0, exec_lo
	s_waitcnt vmcnt(0)
	ds_store_b64 v5, v[1:2]
	s_waitcnt lgkmcnt(0)
	s_barrier
	buffer_gl0_inv
	v_cmpx_gt_u32_e32 4, v0
	s_cbranch_execz .LBB55_27
; %bb.24:
	v_dual_mov_b32 v1, 0 :: v_dual_add_nc_u32 v120, 0x1c0, v3
	v_dual_mov_b32 v2, 0 :: v_dual_add_nc_u32 v119, -1, v0
	v_add_nc_u32_e32 v121, 0, v3
	s_mov_b32 s1, 0
.LBB55_25:                              ; =>This Inner Loop Header: Depth=1
	scratch_load_b64 v[122:123], v121, off
	ds_load_b64 v[124:125], v120
	v_add_nc_u32_e32 v119, 1, v119
	v_add_nc_u32_e32 v120, 8, v120
	v_add_nc_u32_e32 v121, 8, v121
	s_delay_alu instid0(VALU_DEP_3)
	v_cmp_lt_u32_e32 vcc_lo, 2, v119
	s_or_b32 s1, vcc_lo, s1
	s_waitcnt vmcnt(0) lgkmcnt(0)
	v_fma_f64 v[1:2], v[122:123], v[124:125], v[1:2]
	s_and_not1_b32 exec_lo, exec_lo, s1
	s_cbranch_execnz .LBB55_25
; %bb.26:
	s_or_b32 exec_lo, exec_lo, s1
	v_mov_b32_e32 v119, 0
	ds_load_b64 v[119:120], v119 offset:32
	s_waitcnt lgkmcnt(0)
	v_mul_f64 v[1:2], v[1:2], v[119:120]
	scratch_store_b64 off, v[1:2], off offset:32
.LBB55_27:
	s_or_b32 exec_lo, exec_lo, s0
	s_waitcnt_vscnt null, 0x0
	s_barrier
	buffer_gl0_inv
	scratch_load_b64 v[1:2], off, off offset:40
	;; [unrolled: 39-line block ×20, first 2 shown]
	s_mov_b32 s0, exec_lo
	s_waitcnt vmcnt(0)
	ds_store_b64 v5, v[1:2]
	s_waitcnt lgkmcnt(0)
	s_barrier
	buffer_gl0_inv
	v_cmpx_gt_u32_e32 23, v0
	s_cbranch_execz .LBB55_103
; %bb.100:
	v_dual_mov_b32 v1, 0 :: v_dual_add_nc_u32 v120, 0x1c0, v3
	v_dual_mov_b32 v2, 0 :: v_dual_add_nc_u32 v119, -1, v0
	v_add_nc_u32_e32 v121, 0, v3
	s_mov_b32 s1, 0
.LBB55_101:                             ; =>This Inner Loop Header: Depth=1
	scratch_load_b64 v[122:123], v121, off
	ds_load_b64 v[124:125], v120
	v_add_nc_u32_e32 v119, 1, v119
	v_add_nc_u32_e32 v120, 8, v120
	v_add_nc_u32_e32 v121, 8, v121
	s_delay_alu instid0(VALU_DEP_3)
	v_cmp_lt_u32_e32 vcc_lo, 21, v119
	s_or_b32 s1, vcc_lo, s1
	s_waitcnt vmcnt(0) lgkmcnt(0)
	v_fma_f64 v[1:2], v[122:123], v[124:125], v[1:2]
	s_and_not1_b32 exec_lo, exec_lo, s1
	s_cbranch_execnz .LBB55_101
; %bb.102:
	s_or_b32 exec_lo, exec_lo, s1
	v_mov_b32_e32 v119, 0
	ds_load_b64 v[119:120], v119 offset:184
	s_waitcnt lgkmcnt(0)
	v_mul_f64 v[1:2], v[1:2], v[119:120]
	scratch_store_b64 off, v[1:2], off offset:184
.LBB55_103:
	s_or_b32 exec_lo, exec_lo, s0
	s_waitcnt_vscnt null, 0x0
	s_barrier
	buffer_gl0_inv
	scratch_load_b64 v[1:2], off, off offset:192
	s_mov_b32 s0, exec_lo
	s_waitcnt vmcnt(0)
	ds_store_b64 v5, v[1:2]
	s_waitcnt lgkmcnt(0)
	s_barrier
	buffer_gl0_inv
	v_cmpx_gt_u32_e32 24, v0
	s_cbranch_execz .LBB55_107
; %bb.104:
	v_dual_mov_b32 v1, 0 :: v_dual_add_nc_u32 v120, 0x1c0, v3
	v_dual_mov_b32 v2, 0 :: v_dual_add_nc_u32 v119, -1, v0
	v_add_nc_u32_e32 v121, 0, v3
	s_mov_b32 s1, 0
.LBB55_105:                             ; =>This Inner Loop Header: Depth=1
	scratch_load_b64 v[122:123], v121, off
	ds_load_b64 v[124:125], v120
	v_add_nc_u32_e32 v119, 1, v119
	v_add_nc_u32_e32 v120, 8, v120
	v_add_nc_u32_e32 v121, 8, v121
	s_delay_alu instid0(VALU_DEP_3)
	v_cmp_lt_u32_e32 vcc_lo, 22, v119
	s_or_b32 s1, vcc_lo, s1
	s_waitcnt vmcnt(0) lgkmcnt(0)
	v_fma_f64 v[1:2], v[122:123], v[124:125], v[1:2]
	s_and_not1_b32 exec_lo, exec_lo, s1
	s_cbranch_execnz .LBB55_105
; %bb.106:
	s_or_b32 exec_lo, exec_lo, s1
	v_mov_b32_e32 v119, 0
	ds_load_b64 v[119:120], v119 offset:192
	s_waitcnt lgkmcnt(0)
	v_mul_f64 v[1:2], v[1:2], v[119:120]
	scratch_store_b64 off, v[1:2], off offset:192
.LBB55_107:
	s_or_b32 exec_lo, exec_lo, s0
	s_waitcnt_vscnt null, 0x0
	s_barrier
	buffer_gl0_inv
	scratch_load_b64 v[1:2], off, off offset:200
	;; [unrolled: 39-line block ×32, first 2 shown]
	s_mov_b32 s0, exec_lo
	s_waitcnt vmcnt(0)
	ds_store_b64 v5, v[1:2]
	s_waitcnt lgkmcnt(0)
	s_barrier
	buffer_gl0_inv
	v_cmpx_ne_u32_e32 55, v0
	s_cbranch_execz .LBB55_231
; %bb.228:
	v_mov_b32_e32 v1, 0
	v_mov_b32_e32 v2, 0
	s_mov_b32 s1, 0
.LBB55_229:                             ; =>This Inner Loop Header: Depth=1
	scratch_load_b64 v[119:120], v4, off
	ds_load_b64 v[121:122], v5
	v_add_nc_u32_e32 v118, 1, v118
	v_add_nc_u32_e32 v5, 8, v5
	;; [unrolled: 1-line block ×3, first 2 shown]
	s_delay_alu instid0(VALU_DEP_3)
	v_cmp_lt_u32_e32 vcc_lo, 53, v118
	s_or_b32 s1, vcc_lo, s1
	s_waitcnt vmcnt(0) lgkmcnt(0)
	v_fma_f64 v[1:2], v[119:120], v[121:122], v[1:2]
	s_and_not1_b32 exec_lo, exec_lo, s1
	s_cbranch_execnz .LBB55_229
; %bb.230:
	s_or_b32 exec_lo, exec_lo, s1
	v_mov_b32_e32 v3, 0
	ds_load_b64 v[3:4], v3 offset:440
	s_waitcnt lgkmcnt(0)
	v_mul_f64 v[1:2], v[1:2], v[3:4]
	scratch_store_b64 off, v[1:2], off offset:440
.LBB55_231:
	s_or_b32 exec_lo, exec_lo, s0
	s_mov_b32 s1, -1
	s_waitcnt_vscnt null, 0x0
	s_barrier
	buffer_gl0_inv
.LBB55_232:
	s_and_b32 vcc_lo, exec_lo, s1
	s_cbranch_vccz .LBB55_234
; %bb.233:
	s_lshl_b64 s[0:1], s[14:15], 2
	v_mov_b32_e32 v1, 0
	s_add_u32 s0, s6, s0
	s_addc_u32 s1, s7, s1
	global_load_b32 v1, v1, s[0:1]
	s_waitcnt vmcnt(0)
	v_cmp_ne_u32_e32 vcc_lo, 0, v1
	s_cbranch_vccz .LBB55_235
.LBB55_234:
	s_endpgm
.LBB55_235:
	v_lshl_add_u32 v5, v0, 3, 0x1c0
	s_mov_b32 s0, exec_lo
	v_cmpx_eq_u32_e32 55, v0
	s_cbranch_execz .LBB55_237
; %bb.236:
	scratch_load_b64 v[1:2], off, off offset:432
	v_mov_b32_e32 v3, 0
	s_delay_alu instid0(VALU_DEP_1)
	v_mov_b32_e32 v4, v3
	scratch_store_b64 off, v[3:4], off offset:432
	s_waitcnt vmcnt(0)
	ds_store_b64 v5, v[1:2]
.LBB55_237:
	s_or_b32 exec_lo, exec_lo, s0
	s_waitcnt lgkmcnt(0)
	s_waitcnt_vscnt null, 0x0
	s_barrier
	buffer_gl0_inv
	scratch_load_b128 v[118:121], off, off offset:432
	v_mov_b32_e32 v1, 0
	s_mov_b32 s0, exec_lo
	ds_load_b64 v[2:3], v1 offset:888
	s_waitcnt vmcnt(0) lgkmcnt(0)
	v_fma_f64 v[2:3], v[120:121], v[2:3], 0
	s_delay_alu instid0(VALU_DEP_1)
	v_add_f64 v[2:3], v[118:119], -v[2:3]
	scratch_store_b64 off, v[2:3], off offset:432
	v_cmpx_lt_u32_e32 53, v0
	s_cbranch_execz .LBB55_239
; %bb.238:
	scratch_load_b64 v[3:4], off, off offset:424
	v_mov_b32_e32 v2, v1
	scratch_store_b64 off, v[1:2], off offset:424
	s_waitcnt vmcnt(0)
	ds_store_b64 v5, v[3:4]
.LBB55_239:
	s_or_b32 exec_lo, exec_lo, s0
	s_waitcnt lgkmcnt(0)
	s_waitcnt_vscnt null, 0x0
	s_barrier
	buffer_gl0_inv
	s_clause 0x1
	scratch_load_b128 v[118:121], off, off offset:424
	scratch_load_b64 v[122:123], off, off offset:440
	ds_load_b128 v[1:4], v1 offset:880
	s_mov_b32 s0, exec_lo
	s_waitcnt vmcnt(1) lgkmcnt(0)
	v_fma_f64 v[1:2], v[120:121], v[1:2], 0
	s_waitcnt vmcnt(0)
	s_delay_alu instid0(VALU_DEP_1) | instskip(NEXT) | instid1(VALU_DEP_1)
	v_fma_f64 v[1:2], v[122:123], v[3:4], v[1:2]
	v_add_f64 v[1:2], v[118:119], -v[1:2]
	scratch_store_b64 off, v[1:2], off offset:424
	v_cmpx_lt_u32_e32 52, v0
	s_cbranch_execz .LBB55_241
; %bb.240:
	scratch_load_b64 v[1:2], off, off offset:416
	v_mov_b32_e32 v3, 0
	s_delay_alu instid0(VALU_DEP_1)
	v_mov_b32_e32 v4, v3
	scratch_store_b64 off, v[3:4], off offset:416
	s_waitcnt vmcnt(0)
	ds_store_b64 v5, v[1:2]
.LBB55_241:
	s_or_b32 exec_lo, exec_lo, s0
	s_waitcnt lgkmcnt(0)
	s_waitcnt_vscnt null, 0x0
	s_barrier
	buffer_gl0_inv
	s_clause 0x1
	scratch_load_b128 v[118:121], off, off offset:416
	scratch_load_b128 v[122:125], off, off offset:432
	v_mov_b32_e32 v1, 0
	ds_load_2addr_b64 v[126:129], v1 offset0:109 offset1:110
	ds_load_b64 v[2:3], v1 offset:888
	s_mov_b32 s0, exec_lo
	s_waitcnt vmcnt(1) lgkmcnt(1)
	v_fma_f64 v[120:121], v[120:121], v[126:127], 0
	s_waitcnt vmcnt(0)
	s_delay_alu instid0(VALU_DEP_1) | instskip(SKIP_1) | instid1(VALU_DEP_1)
	v_fma_f64 v[120:121], v[122:123], v[128:129], v[120:121]
	s_waitcnt lgkmcnt(0)
	v_fma_f64 v[2:3], v[124:125], v[2:3], v[120:121]
	s_delay_alu instid0(VALU_DEP_1)
	v_add_f64 v[2:3], v[118:119], -v[2:3]
	scratch_store_b64 off, v[2:3], off offset:416
	v_cmpx_lt_u32_e32 51, v0
	s_cbranch_execz .LBB55_243
; %bb.242:
	scratch_load_b64 v[3:4], off, off offset:408
	v_mov_b32_e32 v2, v1
	scratch_store_b64 off, v[1:2], off offset:408
	s_waitcnt vmcnt(0)
	ds_store_b64 v5, v[3:4]
.LBB55_243:
	s_or_b32 exec_lo, exec_lo, s0
	s_waitcnt lgkmcnt(0)
	s_waitcnt_vscnt null, 0x0
	s_barrier
	buffer_gl0_inv
	s_clause 0x2
	scratch_load_b128 v[118:121], off, off offset:408
	scratch_load_b128 v[122:125], off, off offset:424
	scratch_load_b64 v[130:131], off, off offset:440
	ds_load_b128 v[126:129], v1 offset:864
	ds_load_b128 v[1:4], v1 offset:880
	s_mov_b32 s0, exec_lo
	s_waitcnt vmcnt(2) lgkmcnt(1)
	v_fma_f64 v[120:121], v[120:121], v[126:127], 0
	s_waitcnt vmcnt(1)
	s_delay_alu instid0(VALU_DEP_1) | instskip(SKIP_1) | instid1(VALU_DEP_1)
	v_fma_f64 v[120:121], v[122:123], v[128:129], v[120:121]
	s_waitcnt lgkmcnt(0)
	v_fma_f64 v[1:2], v[124:125], v[1:2], v[120:121]
	s_waitcnt vmcnt(0)
	s_delay_alu instid0(VALU_DEP_1) | instskip(NEXT) | instid1(VALU_DEP_1)
	v_fma_f64 v[1:2], v[130:131], v[3:4], v[1:2]
	v_add_f64 v[1:2], v[118:119], -v[1:2]
	scratch_store_b64 off, v[1:2], off offset:408
	v_cmpx_lt_u32_e32 50, v0
	s_cbranch_execz .LBB55_245
; %bb.244:
	scratch_load_b64 v[1:2], off, off offset:400
	v_mov_b32_e32 v3, 0
	s_delay_alu instid0(VALU_DEP_1)
	v_mov_b32_e32 v4, v3
	scratch_store_b64 off, v[3:4], off offset:400
	s_waitcnt vmcnt(0)
	ds_store_b64 v5, v[1:2]
.LBB55_245:
	s_or_b32 exec_lo, exec_lo, s0
	s_waitcnt lgkmcnt(0)
	s_waitcnt_vscnt null, 0x0
	s_barrier
	buffer_gl0_inv
	s_clause 0x2
	scratch_load_b128 v[118:121], off, off offset:400
	scratch_load_b128 v[122:125], off, off offset:416
	;; [unrolled: 1-line block ×3, first 2 shown]
	v_mov_b32_e32 v1, 0
	ds_load_2addr_b64 v[130:133], v1 offset0:107 offset1:108
	ds_load_2addr_b64 v[134:137], v1 offset0:109 offset1:110
	s_mov_b32 s0, exec_lo
	s_waitcnt vmcnt(2) lgkmcnt(1)
	v_fma_f64 v[2:3], v[120:121], v[130:131], 0
	ds_load_b64 v[120:121], v1 offset:888
	s_waitcnt vmcnt(1)
	v_fma_f64 v[2:3], v[122:123], v[132:133], v[2:3]
	s_waitcnt lgkmcnt(1)
	s_delay_alu instid0(VALU_DEP_1) | instskip(SKIP_1) | instid1(VALU_DEP_1)
	v_fma_f64 v[2:3], v[124:125], v[134:135], v[2:3]
	s_waitcnt vmcnt(0)
	v_fma_f64 v[2:3], v[126:127], v[136:137], v[2:3]
	s_waitcnt lgkmcnt(0)
	s_delay_alu instid0(VALU_DEP_1) | instskip(NEXT) | instid1(VALU_DEP_1)
	v_fma_f64 v[2:3], v[128:129], v[120:121], v[2:3]
	v_add_f64 v[2:3], v[118:119], -v[2:3]
	scratch_store_b64 off, v[2:3], off offset:400
	v_cmpx_lt_u32_e32 49, v0
	s_cbranch_execz .LBB55_247
; %bb.246:
	scratch_load_b64 v[3:4], off, off offset:392
	v_mov_b32_e32 v2, v1
	scratch_store_b64 off, v[1:2], off offset:392
	s_waitcnt vmcnt(0)
	ds_store_b64 v5, v[3:4]
.LBB55_247:
	s_or_b32 exec_lo, exec_lo, s0
	s_waitcnt lgkmcnt(0)
	s_waitcnt_vscnt null, 0x0
	s_barrier
	buffer_gl0_inv
	s_clause 0x3
	scratch_load_b128 v[118:121], off, off offset:392
	scratch_load_b128 v[122:125], off, off offset:408
	;; [unrolled: 1-line block ×3, first 2 shown]
	scratch_load_b64 v[138:139], off, off offset:440
	ds_load_b128 v[130:133], v1 offset:848
	ds_load_b128 v[134:137], v1 offset:864
	s_mov_b32 s0, exec_lo
	s_waitcnt vmcnt(3) lgkmcnt(1)
	v_fma_f64 v[2:3], v[120:121], v[130:131], 0
	s_waitcnt vmcnt(2)
	s_delay_alu instid0(VALU_DEP_1) | instskip(SKIP_1) | instid1(VALU_DEP_1)
	v_fma_f64 v[2:3], v[122:123], v[132:133], v[2:3]
	s_waitcnt lgkmcnt(0)
	v_fma_f64 v[2:3], v[124:125], v[134:135], v[2:3]
	s_waitcnt vmcnt(1)
	s_delay_alu instid0(VALU_DEP_1) | instskip(SKIP_4) | instid1(VALU_DEP_1)
	v_fma_f64 v[120:121], v[126:127], v[136:137], v[2:3]
	ds_load_b128 v[1:4], v1 offset:880
	s_waitcnt lgkmcnt(0)
	v_fma_f64 v[1:2], v[128:129], v[1:2], v[120:121]
	s_waitcnt vmcnt(0)
	v_fma_f64 v[1:2], v[138:139], v[3:4], v[1:2]
	s_delay_alu instid0(VALU_DEP_1)
	v_add_f64 v[1:2], v[118:119], -v[1:2]
	scratch_store_b64 off, v[1:2], off offset:392
	v_cmpx_lt_u32_e32 48, v0
	s_cbranch_execz .LBB55_249
; %bb.248:
	scratch_load_b64 v[1:2], off, off offset:384
	v_mov_b32_e32 v3, 0
	s_delay_alu instid0(VALU_DEP_1)
	v_mov_b32_e32 v4, v3
	scratch_store_b64 off, v[3:4], off offset:384
	s_waitcnt vmcnt(0)
	ds_store_b64 v5, v[1:2]
.LBB55_249:
	s_or_b32 exec_lo, exec_lo, s0
	s_waitcnt lgkmcnt(0)
	s_waitcnt_vscnt null, 0x0
	s_barrier
	buffer_gl0_inv
	s_clause 0x3
	scratch_load_b128 v[118:121], off, off offset:384
	scratch_load_b128 v[122:125], off, off offset:400
	;; [unrolled: 1-line block ×4, first 2 shown]
	v_mov_b32_e32 v1, 0
	ds_load_2addr_b64 v[134:137], v1 offset0:105 offset1:106
	ds_load_2addr_b64 v[138:141], v1 offset0:107 offset1:108
	s_mov_b32 s0, exec_lo
	s_waitcnt vmcnt(3) lgkmcnt(1)
	v_fma_f64 v[2:3], v[120:121], v[134:135], 0
	s_waitcnt vmcnt(2)
	s_delay_alu instid0(VALU_DEP_1) | instskip(SKIP_1) | instid1(VALU_DEP_1)
	v_fma_f64 v[2:3], v[122:123], v[136:137], v[2:3]
	s_waitcnt lgkmcnt(0)
	v_fma_f64 v[2:3], v[124:125], v[138:139], v[2:3]
	ds_load_2addr_b64 v[120:123], v1 offset0:109 offset1:110
	ds_load_b64 v[124:125], v1 offset:888
	s_waitcnt vmcnt(1)
	v_fma_f64 v[2:3], v[126:127], v[140:141], v[2:3]
	s_waitcnt lgkmcnt(1)
	s_delay_alu instid0(VALU_DEP_1) | instskip(SKIP_1) | instid1(VALU_DEP_1)
	v_fma_f64 v[2:3], v[128:129], v[120:121], v[2:3]
	s_waitcnt vmcnt(0)
	v_fma_f64 v[2:3], v[130:131], v[122:123], v[2:3]
	s_waitcnt lgkmcnt(0)
	s_delay_alu instid0(VALU_DEP_1) | instskip(NEXT) | instid1(VALU_DEP_1)
	v_fma_f64 v[2:3], v[132:133], v[124:125], v[2:3]
	v_add_f64 v[2:3], v[118:119], -v[2:3]
	scratch_store_b64 off, v[2:3], off offset:384
	v_cmpx_lt_u32_e32 47, v0
	s_cbranch_execz .LBB55_251
; %bb.250:
	scratch_load_b64 v[3:4], off, off offset:376
	v_mov_b32_e32 v2, v1
	scratch_store_b64 off, v[1:2], off offset:376
	s_waitcnt vmcnt(0)
	ds_store_b64 v5, v[3:4]
.LBB55_251:
	s_or_b32 exec_lo, exec_lo, s0
	s_waitcnt lgkmcnt(0)
	s_waitcnt_vscnt null, 0x0
	s_barrier
	buffer_gl0_inv
	s_clause 0x4
	scratch_load_b128 v[118:121], off, off offset:376
	scratch_load_b128 v[122:125], off, off offset:392
	;; [unrolled: 1-line block ×4, first 2 shown]
	scratch_load_b64 v[142:143], off, off offset:440
	ds_load_b128 v[134:137], v1 offset:832
	ds_load_b128 v[138:141], v1 offset:848
	s_mov_b32 s0, exec_lo
	s_waitcnt vmcnt(4) lgkmcnt(1)
	v_fma_f64 v[2:3], v[120:121], v[134:135], 0
	s_waitcnt vmcnt(3)
	s_delay_alu instid0(VALU_DEP_1) | instskip(SKIP_1) | instid1(VALU_DEP_1)
	v_fma_f64 v[2:3], v[122:123], v[136:137], v[2:3]
	s_waitcnt lgkmcnt(0)
	v_fma_f64 v[2:3], v[124:125], v[138:139], v[2:3]
	s_waitcnt vmcnt(2)
	s_delay_alu instid0(VALU_DEP_1)
	v_fma_f64 v[124:125], v[126:127], v[140:141], v[2:3]
	ds_load_b128 v[120:123], v1 offset:864
	ds_load_b128 v[1:4], v1 offset:880
	s_waitcnt lgkmcnt(1)
	v_fma_f64 v[120:121], v[128:129], v[120:121], v[124:125]
	s_waitcnt vmcnt(1)
	s_delay_alu instid0(VALU_DEP_1) | instskip(SKIP_1) | instid1(VALU_DEP_1)
	v_fma_f64 v[120:121], v[130:131], v[122:123], v[120:121]
	s_waitcnt lgkmcnt(0)
	v_fma_f64 v[1:2], v[132:133], v[1:2], v[120:121]
	s_waitcnt vmcnt(0)
	s_delay_alu instid0(VALU_DEP_1) | instskip(NEXT) | instid1(VALU_DEP_1)
	v_fma_f64 v[1:2], v[142:143], v[3:4], v[1:2]
	v_add_f64 v[1:2], v[118:119], -v[1:2]
	scratch_store_b64 off, v[1:2], off offset:376
	v_cmpx_lt_u32_e32 46, v0
	s_cbranch_execz .LBB55_253
; %bb.252:
	scratch_load_b64 v[1:2], off, off offset:368
	v_mov_b32_e32 v3, 0
	s_delay_alu instid0(VALU_DEP_1)
	v_mov_b32_e32 v4, v3
	scratch_store_b64 off, v[3:4], off offset:368
	s_waitcnt vmcnt(0)
	ds_store_b64 v5, v[1:2]
.LBB55_253:
	s_or_b32 exec_lo, exec_lo, s0
	s_waitcnt lgkmcnt(0)
	s_waitcnt_vscnt null, 0x0
	s_barrier
	buffer_gl0_inv
	s_clause 0x4
	scratch_load_b128 v[118:121], off, off offset:368
	scratch_load_b128 v[122:125], off, off offset:384
	;; [unrolled: 1-line block ×5, first 2 shown]
	v_mov_b32_e32 v1, 0
	s_mov_b32 s0, exec_lo
	ds_load_2addr_b64 v[138:141], v1 offset0:103 offset1:104
	s_waitcnt vmcnt(4) lgkmcnt(0)
	v_fma_f64 v[2:3], v[120:121], v[138:139], 0
	s_waitcnt vmcnt(3)
	s_delay_alu instid0(VALU_DEP_1) | instskip(SKIP_4) | instid1(VALU_DEP_1)
	v_fma_f64 v[2:3], v[122:123], v[140:141], v[2:3]
	ds_load_2addr_b64 v[120:123], v1 offset0:105 offset1:106
	s_waitcnt lgkmcnt(0)
	v_fma_f64 v[2:3], v[124:125], v[120:121], v[2:3]
	s_waitcnt vmcnt(2)
	v_fma_f64 v[2:3], v[126:127], v[122:123], v[2:3]
	ds_load_2addr_b64 v[120:123], v1 offset0:107 offset1:108
	s_waitcnt lgkmcnt(0)
	v_fma_f64 v[2:3], v[128:129], v[120:121], v[2:3]
	s_waitcnt vmcnt(1)
	s_delay_alu instid0(VALU_DEP_1)
	v_fma_f64 v[2:3], v[130:131], v[122:123], v[2:3]
	ds_load_2addr_b64 v[120:123], v1 offset0:109 offset1:110
	s_waitcnt lgkmcnt(0)
	v_fma_f64 v[2:3], v[132:133], v[120:121], v[2:3]
	ds_load_b64 v[120:121], v1 offset:888
	s_waitcnt vmcnt(0)
	v_fma_f64 v[2:3], v[134:135], v[122:123], v[2:3]
	s_waitcnt lgkmcnt(0)
	s_delay_alu instid0(VALU_DEP_1) | instskip(NEXT) | instid1(VALU_DEP_1)
	v_fma_f64 v[2:3], v[136:137], v[120:121], v[2:3]
	v_add_f64 v[2:3], v[118:119], -v[2:3]
	scratch_store_b64 off, v[2:3], off offset:368
	v_cmpx_lt_u32_e32 45, v0
	s_cbranch_execz .LBB55_255
; %bb.254:
	scratch_load_b64 v[3:4], off, off offset:360
	v_mov_b32_e32 v2, v1
	scratch_store_b64 off, v[1:2], off offset:360
	s_waitcnt vmcnt(0)
	ds_store_b64 v5, v[3:4]
.LBB55_255:
	s_or_b32 exec_lo, exec_lo, s0
	s_waitcnt lgkmcnt(0)
	s_waitcnt_vscnt null, 0x0
	s_barrier
	buffer_gl0_inv
	s_clause 0x4
	scratch_load_b128 v[118:121], off, off offset:360
	scratch_load_b128 v[122:125], off, off offset:376
	;; [unrolled: 1-line block ×5, first 2 shown]
	ds_load_b128 v[138:141], v1 offset:816
	s_mov_b32 s0, exec_lo
	s_waitcnt vmcnt(4) lgkmcnt(0)
	v_fma_f64 v[2:3], v[120:121], v[138:139], 0
	scratch_load_b64 v[138:139], off, off offset:440
	s_waitcnt vmcnt(4)
	v_fma_f64 v[2:3], v[122:123], v[140:141], v[2:3]
	ds_load_b128 v[120:123], v1 offset:832
	s_waitcnt lgkmcnt(0)
	v_fma_f64 v[2:3], v[124:125], v[120:121], v[2:3]
	s_waitcnt vmcnt(3)
	s_delay_alu instid0(VALU_DEP_1) | instskip(SKIP_4) | instid1(VALU_DEP_1)
	v_fma_f64 v[2:3], v[126:127], v[122:123], v[2:3]
	ds_load_b128 v[120:123], v1 offset:848
	s_waitcnt lgkmcnt(0)
	v_fma_f64 v[2:3], v[128:129], v[120:121], v[2:3]
	s_waitcnt vmcnt(2)
	v_fma_f64 v[2:3], v[130:131], v[122:123], v[2:3]
	ds_load_b128 v[120:123], v1 offset:864
	s_waitcnt lgkmcnt(0)
	v_fma_f64 v[2:3], v[132:133], v[120:121], v[2:3]
	s_waitcnt vmcnt(1)
	s_delay_alu instid0(VALU_DEP_1) | instskip(SKIP_4) | instid1(VALU_DEP_1)
	v_fma_f64 v[120:121], v[134:135], v[122:123], v[2:3]
	ds_load_b128 v[1:4], v1 offset:880
	s_waitcnt lgkmcnt(0)
	v_fma_f64 v[1:2], v[136:137], v[1:2], v[120:121]
	s_waitcnt vmcnt(0)
	v_fma_f64 v[1:2], v[138:139], v[3:4], v[1:2]
	s_delay_alu instid0(VALU_DEP_1)
	v_add_f64 v[1:2], v[118:119], -v[1:2]
	scratch_store_b64 off, v[1:2], off offset:360
	v_cmpx_lt_u32_e32 44, v0
	s_cbranch_execz .LBB55_257
; %bb.256:
	scratch_load_b64 v[1:2], off, off offset:352
	v_mov_b32_e32 v3, 0
	s_delay_alu instid0(VALU_DEP_1)
	v_mov_b32_e32 v4, v3
	scratch_store_b64 off, v[3:4], off offset:352
	s_waitcnt vmcnt(0)
	ds_store_b64 v5, v[1:2]
.LBB55_257:
	s_or_b32 exec_lo, exec_lo, s0
	s_waitcnt lgkmcnt(0)
	s_waitcnt_vscnt null, 0x0
	s_barrier
	buffer_gl0_inv
	s_clause 0x4
	scratch_load_b128 v[118:121], off, off offset:352
	scratch_load_b128 v[122:125], off, off offset:368
	;; [unrolled: 1-line block ×5, first 2 shown]
	v_mov_b32_e32 v1, 0
	scratch_load_b128 v[142:145], off, off offset:432
	s_mov_b32 s0, exec_lo
	ds_load_2addr_b64 v[138:141], v1 offset0:101 offset1:102
	s_waitcnt vmcnt(5) lgkmcnt(0)
	v_fma_f64 v[2:3], v[120:121], v[138:139], 0
	s_waitcnt vmcnt(4)
	s_delay_alu instid0(VALU_DEP_1) | instskip(SKIP_4) | instid1(VALU_DEP_1)
	v_fma_f64 v[2:3], v[122:123], v[140:141], v[2:3]
	ds_load_2addr_b64 v[120:123], v1 offset0:103 offset1:104
	s_waitcnt lgkmcnt(0)
	v_fma_f64 v[2:3], v[124:125], v[120:121], v[2:3]
	s_waitcnt vmcnt(3)
	v_fma_f64 v[2:3], v[126:127], v[122:123], v[2:3]
	ds_load_2addr_b64 v[120:123], v1 offset0:105 offset1:106
	s_waitcnt lgkmcnt(0)
	v_fma_f64 v[2:3], v[128:129], v[120:121], v[2:3]
	s_waitcnt vmcnt(2)
	s_delay_alu instid0(VALU_DEP_1) | instskip(SKIP_4) | instid1(VALU_DEP_1)
	v_fma_f64 v[2:3], v[130:131], v[122:123], v[2:3]
	ds_load_2addr_b64 v[120:123], v1 offset0:107 offset1:108
	s_waitcnt lgkmcnt(0)
	v_fma_f64 v[2:3], v[132:133], v[120:121], v[2:3]
	s_waitcnt vmcnt(1)
	v_fma_f64 v[2:3], v[134:135], v[122:123], v[2:3]
	ds_load_2addr_b64 v[120:123], v1 offset0:109 offset1:110
	s_waitcnt lgkmcnt(0)
	v_fma_f64 v[2:3], v[136:137], v[120:121], v[2:3]
	ds_load_b64 v[120:121], v1 offset:888
	s_waitcnt vmcnt(0)
	v_fma_f64 v[2:3], v[142:143], v[122:123], v[2:3]
	s_waitcnt lgkmcnt(0)
	s_delay_alu instid0(VALU_DEP_1) | instskip(NEXT) | instid1(VALU_DEP_1)
	v_fma_f64 v[2:3], v[144:145], v[120:121], v[2:3]
	v_add_f64 v[2:3], v[118:119], -v[2:3]
	scratch_store_b64 off, v[2:3], off offset:352
	v_cmpx_lt_u32_e32 43, v0
	s_cbranch_execz .LBB55_259
; %bb.258:
	scratch_load_b64 v[3:4], off, off offset:344
	v_mov_b32_e32 v2, v1
	scratch_store_b64 off, v[1:2], off offset:344
	s_waitcnt vmcnt(0)
	ds_store_b64 v5, v[3:4]
.LBB55_259:
	s_or_b32 exec_lo, exec_lo, s0
	s_waitcnt lgkmcnt(0)
	s_waitcnt_vscnt null, 0x0
	s_barrier
	buffer_gl0_inv
	s_clause 0x4
	scratch_load_b128 v[118:121], off, off offset:344
	scratch_load_b128 v[122:125], off, off offset:360
	scratch_load_b128 v[126:129], off, off offset:376
	scratch_load_b128 v[130:133], off, off offset:392
	scratch_load_b128 v[134:137], off, off offset:408
	ds_load_b128 v[138:141], v1 offset:800
	scratch_load_b128 v[142:145], off, off offset:424
	s_mov_b32 s0, exec_lo
	s_waitcnt vmcnt(5) lgkmcnt(0)
	v_fma_f64 v[2:3], v[120:121], v[138:139], 0
	s_waitcnt vmcnt(4)
	s_delay_alu instid0(VALU_DEP_1)
	v_fma_f64 v[2:3], v[122:123], v[140:141], v[2:3]
	ds_load_b128 v[120:123], v1 offset:816
	s_waitcnt lgkmcnt(0)
	v_fma_f64 v[2:3], v[124:125], v[120:121], v[2:3]
	scratch_load_b64 v[124:125], off, off offset:440
	s_waitcnt vmcnt(4)
	v_fma_f64 v[2:3], v[126:127], v[122:123], v[2:3]
	ds_load_b128 v[120:123], v1 offset:832
	s_waitcnt lgkmcnt(0)
	v_fma_f64 v[2:3], v[128:129], v[120:121], v[2:3]
	s_waitcnt vmcnt(3)
	s_delay_alu instid0(VALU_DEP_1) | instskip(SKIP_4) | instid1(VALU_DEP_1)
	v_fma_f64 v[2:3], v[130:131], v[122:123], v[2:3]
	ds_load_b128 v[120:123], v1 offset:848
	s_waitcnt lgkmcnt(0)
	v_fma_f64 v[2:3], v[132:133], v[120:121], v[2:3]
	s_waitcnt vmcnt(2)
	v_fma_f64 v[2:3], v[134:135], v[122:123], v[2:3]
	ds_load_b128 v[120:123], v1 offset:864
	s_waitcnt lgkmcnt(0)
	v_fma_f64 v[2:3], v[136:137], v[120:121], v[2:3]
	s_waitcnt vmcnt(1)
	s_delay_alu instid0(VALU_DEP_1) | instskip(SKIP_4) | instid1(VALU_DEP_1)
	v_fma_f64 v[120:121], v[142:143], v[122:123], v[2:3]
	ds_load_b128 v[1:4], v1 offset:880
	s_waitcnt lgkmcnt(0)
	v_fma_f64 v[1:2], v[144:145], v[1:2], v[120:121]
	s_waitcnt vmcnt(0)
	v_fma_f64 v[1:2], v[124:125], v[3:4], v[1:2]
	s_delay_alu instid0(VALU_DEP_1)
	v_add_f64 v[1:2], v[118:119], -v[1:2]
	scratch_store_b64 off, v[1:2], off offset:344
	v_cmpx_lt_u32_e32 42, v0
	s_cbranch_execz .LBB55_261
; %bb.260:
	scratch_load_b64 v[1:2], off, off offset:336
	v_mov_b32_e32 v3, 0
	s_delay_alu instid0(VALU_DEP_1)
	v_mov_b32_e32 v4, v3
	scratch_store_b64 off, v[3:4], off offset:336
	s_waitcnt vmcnt(0)
	ds_store_b64 v5, v[1:2]
.LBB55_261:
	s_or_b32 exec_lo, exec_lo, s0
	s_waitcnt lgkmcnt(0)
	s_waitcnt_vscnt null, 0x0
	s_barrier
	buffer_gl0_inv
	s_clause 0x4
	scratch_load_b128 v[118:121], off, off offset:336
	scratch_load_b128 v[122:125], off, off offset:352
	;; [unrolled: 1-line block ×5, first 2 shown]
	v_mov_b32_e32 v1, 0
	scratch_load_b128 v[142:145], off, off offset:416
	s_mov_b32 s0, exec_lo
	ds_load_2addr_b64 v[138:141], v1 offset0:99 offset1:100
	s_waitcnt vmcnt(5) lgkmcnt(0)
	v_fma_f64 v[2:3], v[120:121], v[138:139], 0
	s_waitcnt vmcnt(4)
	s_delay_alu instid0(VALU_DEP_1)
	v_fma_f64 v[2:3], v[122:123], v[140:141], v[2:3]
	scratch_load_b128 v[138:141], off, off offset:432
	ds_load_2addr_b64 v[120:123], v1 offset0:101 offset1:102
	s_waitcnt lgkmcnt(0)
	v_fma_f64 v[2:3], v[124:125], v[120:121], v[2:3]
	s_waitcnt vmcnt(4)
	s_delay_alu instid0(VALU_DEP_1) | instskip(SKIP_4) | instid1(VALU_DEP_1)
	v_fma_f64 v[2:3], v[126:127], v[122:123], v[2:3]
	ds_load_2addr_b64 v[120:123], v1 offset0:103 offset1:104
	s_waitcnt lgkmcnt(0)
	v_fma_f64 v[2:3], v[128:129], v[120:121], v[2:3]
	s_waitcnt vmcnt(3)
	v_fma_f64 v[2:3], v[130:131], v[122:123], v[2:3]
	ds_load_2addr_b64 v[120:123], v1 offset0:105 offset1:106
	s_waitcnt lgkmcnt(0)
	v_fma_f64 v[2:3], v[132:133], v[120:121], v[2:3]
	s_waitcnt vmcnt(2)
	s_delay_alu instid0(VALU_DEP_1) | instskip(SKIP_4) | instid1(VALU_DEP_1)
	v_fma_f64 v[2:3], v[134:135], v[122:123], v[2:3]
	ds_load_2addr_b64 v[120:123], v1 offset0:107 offset1:108
	s_waitcnt lgkmcnt(0)
	v_fma_f64 v[2:3], v[136:137], v[120:121], v[2:3]
	s_waitcnt vmcnt(1)
	v_fma_f64 v[2:3], v[142:143], v[122:123], v[2:3]
	ds_load_2addr_b64 v[120:123], v1 offset0:109 offset1:110
	s_waitcnt lgkmcnt(0)
	v_fma_f64 v[2:3], v[144:145], v[120:121], v[2:3]
	ds_load_b64 v[120:121], v1 offset:888
	s_waitcnt vmcnt(0)
	v_fma_f64 v[2:3], v[138:139], v[122:123], v[2:3]
	s_waitcnt lgkmcnt(0)
	s_delay_alu instid0(VALU_DEP_1) | instskip(NEXT) | instid1(VALU_DEP_1)
	v_fma_f64 v[2:3], v[140:141], v[120:121], v[2:3]
	v_add_f64 v[2:3], v[118:119], -v[2:3]
	scratch_store_b64 off, v[2:3], off offset:336
	v_cmpx_lt_u32_e32 41, v0
	s_cbranch_execz .LBB55_263
; %bb.262:
	scratch_load_b64 v[3:4], off, off offset:328
	v_mov_b32_e32 v2, v1
	scratch_store_b64 off, v[1:2], off offset:328
	s_waitcnt vmcnt(0)
	ds_store_b64 v5, v[3:4]
.LBB55_263:
	s_or_b32 exec_lo, exec_lo, s0
	s_waitcnt lgkmcnt(0)
	s_waitcnt_vscnt null, 0x0
	s_barrier
	buffer_gl0_inv
	s_clause 0x4
	scratch_load_b128 v[118:121], off, off offset:328
	scratch_load_b128 v[122:125], off, off offset:344
	;; [unrolled: 1-line block ×5, first 2 shown]
	ds_load_b128 v[138:141], v1 offset:784
	scratch_load_b128 v[142:145], off, off offset:408
	s_mov_b32 s0, exec_lo
	s_waitcnt vmcnt(5) lgkmcnt(0)
	v_fma_f64 v[2:3], v[120:121], v[138:139], 0
	s_waitcnt vmcnt(4)
	s_delay_alu instid0(VALU_DEP_1)
	v_fma_f64 v[2:3], v[122:123], v[140:141], v[2:3]
	scratch_load_b128 v[138:141], off, off offset:424
	ds_load_b128 v[120:123], v1 offset:800
	s_waitcnt lgkmcnt(0)
	v_fma_f64 v[2:3], v[124:125], v[120:121], v[2:3]
	scratch_load_b64 v[124:125], off, off offset:440
	s_waitcnt vmcnt(5)
	v_fma_f64 v[2:3], v[126:127], v[122:123], v[2:3]
	ds_load_b128 v[120:123], v1 offset:816
	s_waitcnt lgkmcnt(0)
	v_fma_f64 v[2:3], v[128:129], v[120:121], v[2:3]
	s_waitcnt vmcnt(4)
	s_delay_alu instid0(VALU_DEP_1) | instskip(SKIP_4) | instid1(VALU_DEP_1)
	v_fma_f64 v[2:3], v[130:131], v[122:123], v[2:3]
	ds_load_b128 v[120:123], v1 offset:832
	s_waitcnt lgkmcnt(0)
	v_fma_f64 v[2:3], v[132:133], v[120:121], v[2:3]
	s_waitcnt vmcnt(3)
	v_fma_f64 v[2:3], v[134:135], v[122:123], v[2:3]
	ds_load_b128 v[120:123], v1 offset:848
	s_waitcnt lgkmcnt(0)
	v_fma_f64 v[2:3], v[136:137], v[120:121], v[2:3]
	s_waitcnt vmcnt(2)
	s_delay_alu instid0(VALU_DEP_1) | instskip(SKIP_4) | instid1(VALU_DEP_1)
	v_fma_f64 v[2:3], v[142:143], v[122:123], v[2:3]
	ds_load_b128 v[120:123], v1 offset:864
	s_waitcnt lgkmcnt(0)
	v_fma_f64 v[2:3], v[144:145], v[120:121], v[2:3]
	s_waitcnt vmcnt(1)
	v_fma_f64 v[120:121], v[138:139], v[122:123], v[2:3]
	ds_load_b128 v[1:4], v1 offset:880
	s_waitcnt lgkmcnt(0)
	v_fma_f64 v[1:2], v[140:141], v[1:2], v[120:121]
	s_waitcnt vmcnt(0)
	s_delay_alu instid0(VALU_DEP_1) | instskip(NEXT) | instid1(VALU_DEP_1)
	v_fma_f64 v[1:2], v[124:125], v[3:4], v[1:2]
	v_add_f64 v[1:2], v[118:119], -v[1:2]
	scratch_store_b64 off, v[1:2], off offset:328
	v_cmpx_lt_u32_e32 40, v0
	s_cbranch_execz .LBB55_265
; %bb.264:
	scratch_load_b64 v[1:2], off, off offset:320
	v_mov_b32_e32 v3, 0
	s_delay_alu instid0(VALU_DEP_1)
	v_mov_b32_e32 v4, v3
	scratch_store_b64 off, v[3:4], off offset:320
	s_waitcnt vmcnt(0)
	ds_store_b64 v5, v[1:2]
.LBB55_265:
	s_or_b32 exec_lo, exec_lo, s0
	s_waitcnt lgkmcnt(0)
	s_waitcnt_vscnt null, 0x0
	s_barrier
	buffer_gl0_inv
	s_clause 0x4
	scratch_load_b128 v[118:121], off, off offset:320
	scratch_load_b128 v[122:125], off, off offset:336
	scratch_load_b128 v[126:129], off, off offset:352
	scratch_load_b128 v[130:133], off, off offset:368
	scratch_load_b128 v[134:137], off, off offset:384
	v_mov_b32_e32 v1, 0
	scratch_load_b128 v[142:145], off, off offset:400
	s_mov_b32 s0, exec_lo
	ds_load_2addr_b64 v[138:141], v1 offset0:97 offset1:98
	s_waitcnt vmcnt(5) lgkmcnt(0)
	v_fma_f64 v[2:3], v[120:121], v[138:139], 0
	s_waitcnt vmcnt(4)
	s_delay_alu instid0(VALU_DEP_1)
	v_fma_f64 v[2:3], v[122:123], v[140:141], v[2:3]
	scratch_load_b128 v[138:141], off, off offset:416
	ds_load_2addr_b64 v[120:123], v1 offset0:99 offset1:100
	s_waitcnt lgkmcnt(0)
	v_fma_f64 v[2:3], v[124:125], v[120:121], v[2:3]
	s_waitcnt vmcnt(4)
	s_delay_alu instid0(VALU_DEP_1)
	v_fma_f64 v[2:3], v[126:127], v[122:123], v[2:3]
	ds_load_2addr_b64 v[120:123], v1 offset0:101 offset1:102
	scratch_load_b128 v[124:127], off, off offset:432
	s_waitcnt lgkmcnt(0)
	v_fma_f64 v[2:3], v[128:129], v[120:121], v[2:3]
	s_waitcnt vmcnt(4)
	s_delay_alu instid0(VALU_DEP_1) | instskip(SKIP_4) | instid1(VALU_DEP_1)
	v_fma_f64 v[2:3], v[130:131], v[122:123], v[2:3]
	ds_load_2addr_b64 v[120:123], v1 offset0:103 offset1:104
	s_waitcnt lgkmcnt(0)
	v_fma_f64 v[2:3], v[132:133], v[120:121], v[2:3]
	s_waitcnt vmcnt(3)
	v_fma_f64 v[2:3], v[134:135], v[122:123], v[2:3]
	ds_load_2addr_b64 v[120:123], v1 offset0:105 offset1:106
	s_waitcnt lgkmcnt(0)
	v_fma_f64 v[2:3], v[136:137], v[120:121], v[2:3]
	s_waitcnt vmcnt(2)
	s_delay_alu instid0(VALU_DEP_1) | instskip(SKIP_4) | instid1(VALU_DEP_1)
	v_fma_f64 v[2:3], v[142:143], v[122:123], v[2:3]
	ds_load_2addr_b64 v[120:123], v1 offset0:107 offset1:108
	s_waitcnt lgkmcnt(0)
	v_fma_f64 v[2:3], v[144:145], v[120:121], v[2:3]
	s_waitcnt vmcnt(1)
	v_fma_f64 v[2:3], v[138:139], v[122:123], v[2:3]
	ds_load_2addr_b64 v[120:123], v1 offset0:109 offset1:110
	s_waitcnt lgkmcnt(0)
	v_fma_f64 v[2:3], v[140:141], v[120:121], v[2:3]
	ds_load_b64 v[120:121], v1 offset:888
	s_waitcnt vmcnt(0)
	v_fma_f64 v[2:3], v[124:125], v[122:123], v[2:3]
	s_waitcnt lgkmcnt(0)
	s_delay_alu instid0(VALU_DEP_1) | instskip(NEXT) | instid1(VALU_DEP_1)
	v_fma_f64 v[2:3], v[126:127], v[120:121], v[2:3]
	v_add_f64 v[2:3], v[118:119], -v[2:3]
	scratch_store_b64 off, v[2:3], off offset:320
	v_cmpx_lt_u32_e32 39, v0
	s_cbranch_execz .LBB55_267
; %bb.266:
	scratch_load_b64 v[3:4], off, off offset:312
	v_mov_b32_e32 v2, v1
	scratch_store_b64 off, v[1:2], off offset:312
	s_waitcnt vmcnt(0)
	ds_store_b64 v5, v[3:4]
.LBB55_267:
	s_or_b32 exec_lo, exec_lo, s0
	s_waitcnt lgkmcnt(0)
	s_waitcnt_vscnt null, 0x0
	s_barrier
	buffer_gl0_inv
	s_clause 0x4
	scratch_load_b128 v[118:121], off, off offset:312
	scratch_load_b128 v[122:125], off, off offset:328
	;; [unrolled: 1-line block ×5, first 2 shown]
	ds_load_b128 v[138:141], v1 offset:768
	scratch_load_b128 v[142:145], off, off offset:392
	s_mov_b32 s0, exec_lo
	s_waitcnt vmcnt(5) lgkmcnt(0)
	v_fma_f64 v[2:3], v[120:121], v[138:139], 0
	s_waitcnt vmcnt(4)
	s_delay_alu instid0(VALU_DEP_1)
	v_fma_f64 v[2:3], v[122:123], v[140:141], v[2:3]
	scratch_load_b128 v[138:141], off, off offset:408
	ds_load_b128 v[120:123], v1 offset:784
	s_waitcnt lgkmcnt(0)
	v_fma_f64 v[2:3], v[124:125], v[120:121], v[2:3]
	s_waitcnt vmcnt(4)
	s_delay_alu instid0(VALU_DEP_1)
	v_fma_f64 v[2:3], v[126:127], v[122:123], v[2:3]
	ds_load_b128 v[120:123], v1 offset:800
	scratch_load_b128 v[124:127], off, off offset:424
	s_waitcnt lgkmcnt(0)
	v_fma_f64 v[2:3], v[128:129], v[120:121], v[2:3]
	scratch_load_b64 v[128:129], off, off offset:440
	s_waitcnt vmcnt(5)
	v_fma_f64 v[2:3], v[130:131], v[122:123], v[2:3]
	ds_load_b128 v[120:123], v1 offset:816
	s_waitcnt lgkmcnt(0)
	v_fma_f64 v[2:3], v[132:133], v[120:121], v[2:3]
	s_waitcnt vmcnt(4)
	s_delay_alu instid0(VALU_DEP_1) | instskip(SKIP_4) | instid1(VALU_DEP_1)
	v_fma_f64 v[2:3], v[134:135], v[122:123], v[2:3]
	ds_load_b128 v[120:123], v1 offset:832
	s_waitcnt lgkmcnt(0)
	v_fma_f64 v[2:3], v[136:137], v[120:121], v[2:3]
	s_waitcnt vmcnt(3)
	v_fma_f64 v[2:3], v[142:143], v[122:123], v[2:3]
	ds_load_b128 v[120:123], v1 offset:848
	s_waitcnt lgkmcnt(0)
	v_fma_f64 v[2:3], v[144:145], v[120:121], v[2:3]
	s_waitcnt vmcnt(2)
	s_delay_alu instid0(VALU_DEP_1) | instskip(SKIP_4) | instid1(VALU_DEP_1)
	v_fma_f64 v[2:3], v[138:139], v[122:123], v[2:3]
	ds_load_b128 v[120:123], v1 offset:864
	s_waitcnt lgkmcnt(0)
	v_fma_f64 v[2:3], v[140:141], v[120:121], v[2:3]
	s_waitcnt vmcnt(1)
	v_fma_f64 v[120:121], v[124:125], v[122:123], v[2:3]
	ds_load_b128 v[1:4], v1 offset:880
	s_waitcnt lgkmcnt(0)
	v_fma_f64 v[1:2], v[126:127], v[1:2], v[120:121]
	s_waitcnt vmcnt(0)
	s_delay_alu instid0(VALU_DEP_1) | instskip(NEXT) | instid1(VALU_DEP_1)
	v_fma_f64 v[1:2], v[128:129], v[3:4], v[1:2]
	v_add_f64 v[1:2], v[118:119], -v[1:2]
	scratch_store_b64 off, v[1:2], off offset:312
	v_cmpx_lt_u32_e32 38, v0
	s_cbranch_execz .LBB55_269
; %bb.268:
	scratch_load_b64 v[1:2], off, off offset:304
	v_mov_b32_e32 v3, 0
	s_delay_alu instid0(VALU_DEP_1)
	v_mov_b32_e32 v4, v3
	scratch_store_b64 off, v[3:4], off offset:304
	s_waitcnt vmcnt(0)
	ds_store_b64 v5, v[1:2]
.LBB55_269:
	s_or_b32 exec_lo, exec_lo, s0
	s_waitcnt lgkmcnt(0)
	s_waitcnt_vscnt null, 0x0
	s_barrier
	buffer_gl0_inv
	s_clause 0x4
	scratch_load_b128 v[118:121], off, off offset:304
	scratch_load_b128 v[122:125], off, off offset:320
	;; [unrolled: 1-line block ×5, first 2 shown]
	v_mov_b32_e32 v1, 0
	scratch_load_b128 v[142:145], off, off offset:384
	s_mov_b32 s0, exec_lo
	ds_load_2addr_b64 v[138:141], v1 offset0:95 offset1:96
	s_waitcnt vmcnt(5) lgkmcnt(0)
	v_fma_f64 v[2:3], v[120:121], v[138:139], 0
	s_waitcnt vmcnt(4)
	s_delay_alu instid0(VALU_DEP_1)
	v_fma_f64 v[2:3], v[122:123], v[140:141], v[2:3]
	scratch_load_b128 v[138:141], off, off offset:400
	ds_load_2addr_b64 v[120:123], v1 offset0:97 offset1:98
	s_waitcnt lgkmcnt(0)
	v_fma_f64 v[2:3], v[124:125], v[120:121], v[2:3]
	s_waitcnt vmcnt(4)
	s_delay_alu instid0(VALU_DEP_1)
	v_fma_f64 v[2:3], v[126:127], v[122:123], v[2:3]
	ds_load_2addr_b64 v[120:123], v1 offset0:99 offset1:100
	scratch_load_b128 v[124:127], off, off offset:416
	s_waitcnt lgkmcnt(0)
	v_fma_f64 v[2:3], v[128:129], v[120:121], v[2:3]
	s_waitcnt vmcnt(4)
	s_delay_alu instid0(VALU_DEP_1)
	v_fma_f64 v[2:3], v[130:131], v[122:123], v[2:3]
	scratch_load_b128 v[128:131], off, off offset:432
	ds_load_2addr_b64 v[120:123], v1 offset0:101 offset1:102
	s_waitcnt lgkmcnt(0)
	v_fma_f64 v[2:3], v[132:133], v[120:121], v[2:3]
	s_waitcnt vmcnt(4)
	s_delay_alu instid0(VALU_DEP_1) | instskip(SKIP_4) | instid1(VALU_DEP_1)
	v_fma_f64 v[2:3], v[134:135], v[122:123], v[2:3]
	ds_load_2addr_b64 v[120:123], v1 offset0:103 offset1:104
	s_waitcnt lgkmcnt(0)
	v_fma_f64 v[2:3], v[136:137], v[120:121], v[2:3]
	s_waitcnt vmcnt(3)
	v_fma_f64 v[2:3], v[142:143], v[122:123], v[2:3]
	ds_load_2addr_b64 v[120:123], v1 offset0:105 offset1:106
	s_waitcnt lgkmcnt(0)
	v_fma_f64 v[2:3], v[144:145], v[120:121], v[2:3]
	s_waitcnt vmcnt(2)
	s_delay_alu instid0(VALU_DEP_1) | instskip(SKIP_4) | instid1(VALU_DEP_1)
	v_fma_f64 v[2:3], v[138:139], v[122:123], v[2:3]
	ds_load_2addr_b64 v[120:123], v1 offset0:107 offset1:108
	s_waitcnt lgkmcnt(0)
	v_fma_f64 v[2:3], v[140:141], v[120:121], v[2:3]
	s_waitcnt vmcnt(1)
	v_fma_f64 v[2:3], v[124:125], v[122:123], v[2:3]
	ds_load_2addr_b64 v[120:123], v1 offset0:109 offset1:110
	s_waitcnt lgkmcnt(0)
	v_fma_f64 v[2:3], v[126:127], v[120:121], v[2:3]
	ds_load_b64 v[120:121], v1 offset:888
	s_waitcnt vmcnt(0)
	v_fma_f64 v[2:3], v[128:129], v[122:123], v[2:3]
	s_waitcnt lgkmcnt(0)
	s_delay_alu instid0(VALU_DEP_1) | instskip(NEXT) | instid1(VALU_DEP_1)
	v_fma_f64 v[2:3], v[130:131], v[120:121], v[2:3]
	v_add_f64 v[2:3], v[118:119], -v[2:3]
	scratch_store_b64 off, v[2:3], off offset:304
	v_cmpx_lt_u32_e32 37, v0
	s_cbranch_execz .LBB55_271
; %bb.270:
	scratch_load_b64 v[3:4], off, off offset:296
	v_mov_b32_e32 v2, v1
	scratch_store_b64 off, v[1:2], off offset:296
	s_waitcnt vmcnt(0)
	ds_store_b64 v5, v[3:4]
.LBB55_271:
	s_or_b32 exec_lo, exec_lo, s0
	s_waitcnt lgkmcnt(0)
	s_waitcnt_vscnt null, 0x0
	s_barrier
	buffer_gl0_inv
	s_clause 0x4
	scratch_load_b128 v[118:121], off, off offset:296
	scratch_load_b128 v[122:125], off, off offset:312
	;; [unrolled: 1-line block ×5, first 2 shown]
	ds_load_b128 v[138:141], v1 offset:752
	scratch_load_b128 v[142:145], off, off offset:376
	s_mov_b32 s0, exec_lo
	s_waitcnt vmcnt(5) lgkmcnt(0)
	v_fma_f64 v[2:3], v[120:121], v[138:139], 0
	s_waitcnt vmcnt(4)
	s_delay_alu instid0(VALU_DEP_1)
	v_fma_f64 v[2:3], v[122:123], v[140:141], v[2:3]
	scratch_load_b128 v[138:141], off, off offset:392
	ds_load_b128 v[120:123], v1 offset:768
	s_waitcnt lgkmcnt(0)
	v_fma_f64 v[2:3], v[124:125], v[120:121], v[2:3]
	s_waitcnt vmcnt(4)
	s_delay_alu instid0(VALU_DEP_1)
	v_fma_f64 v[2:3], v[126:127], v[122:123], v[2:3]
	ds_load_b128 v[120:123], v1 offset:784
	scratch_load_b128 v[124:127], off, off offset:408
	s_waitcnt lgkmcnt(0)
	v_fma_f64 v[2:3], v[128:129], v[120:121], v[2:3]
	s_waitcnt vmcnt(4)
	s_delay_alu instid0(VALU_DEP_1)
	v_fma_f64 v[2:3], v[130:131], v[122:123], v[2:3]
	scratch_load_b128 v[128:131], off, off offset:424
	ds_load_b128 v[120:123], v1 offset:800
	s_waitcnt lgkmcnt(0)
	v_fma_f64 v[2:3], v[132:133], v[120:121], v[2:3]
	scratch_load_b64 v[132:133], off, off offset:440
	s_waitcnt vmcnt(5)
	v_fma_f64 v[2:3], v[134:135], v[122:123], v[2:3]
	ds_load_b128 v[120:123], v1 offset:816
	s_waitcnt lgkmcnt(0)
	v_fma_f64 v[2:3], v[136:137], v[120:121], v[2:3]
	s_waitcnt vmcnt(4)
	s_delay_alu instid0(VALU_DEP_1) | instskip(SKIP_4) | instid1(VALU_DEP_1)
	v_fma_f64 v[2:3], v[142:143], v[122:123], v[2:3]
	ds_load_b128 v[120:123], v1 offset:832
	s_waitcnt lgkmcnt(0)
	v_fma_f64 v[2:3], v[144:145], v[120:121], v[2:3]
	s_waitcnt vmcnt(3)
	v_fma_f64 v[2:3], v[138:139], v[122:123], v[2:3]
	ds_load_b128 v[120:123], v1 offset:848
	s_waitcnt lgkmcnt(0)
	v_fma_f64 v[2:3], v[140:141], v[120:121], v[2:3]
	s_waitcnt vmcnt(2)
	s_delay_alu instid0(VALU_DEP_1) | instskip(SKIP_4) | instid1(VALU_DEP_1)
	v_fma_f64 v[2:3], v[124:125], v[122:123], v[2:3]
	ds_load_b128 v[120:123], v1 offset:864
	s_waitcnt lgkmcnt(0)
	v_fma_f64 v[2:3], v[126:127], v[120:121], v[2:3]
	s_waitcnt vmcnt(1)
	v_fma_f64 v[120:121], v[128:129], v[122:123], v[2:3]
	ds_load_b128 v[1:4], v1 offset:880
	s_waitcnt lgkmcnt(0)
	v_fma_f64 v[1:2], v[130:131], v[1:2], v[120:121]
	s_waitcnt vmcnt(0)
	s_delay_alu instid0(VALU_DEP_1) | instskip(NEXT) | instid1(VALU_DEP_1)
	v_fma_f64 v[1:2], v[132:133], v[3:4], v[1:2]
	v_add_f64 v[1:2], v[118:119], -v[1:2]
	scratch_store_b64 off, v[1:2], off offset:296
	v_cmpx_lt_u32_e32 36, v0
	s_cbranch_execz .LBB55_273
; %bb.272:
	scratch_load_b64 v[1:2], off, off offset:288
	v_mov_b32_e32 v3, 0
	s_delay_alu instid0(VALU_DEP_1)
	v_mov_b32_e32 v4, v3
	scratch_store_b64 off, v[3:4], off offset:288
	s_waitcnt vmcnt(0)
	ds_store_b64 v5, v[1:2]
.LBB55_273:
	s_or_b32 exec_lo, exec_lo, s0
	s_waitcnt lgkmcnt(0)
	s_waitcnt_vscnt null, 0x0
	s_barrier
	buffer_gl0_inv
	s_clause 0x4
	scratch_load_b128 v[118:121], off, off offset:288
	scratch_load_b128 v[122:125], off, off offset:304
	;; [unrolled: 1-line block ×5, first 2 shown]
	v_mov_b32_e32 v1, 0
	scratch_load_b128 v[142:145], off, off offset:368
	s_mov_b32 s0, exec_lo
	ds_load_2addr_b64 v[138:141], v1 offset0:93 offset1:94
	s_waitcnt vmcnt(5) lgkmcnt(0)
	v_fma_f64 v[2:3], v[120:121], v[138:139], 0
	s_waitcnt vmcnt(4)
	s_delay_alu instid0(VALU_DEP_1)
	v_fma_f64 v[2:3], v[122:123], v[140:141], v[2:3]
	scratch_load_b128 v[138:141], off, off offset:384
	ds_load_2addr_b64 v[120:123], v1 offset0:95 offset1:96
	s_waitcnt lgkmcnt(0)
	v_fma_f64 v[2:3], v[124:125], v[120:121], v[2:3]
	s_waitcnt vmcnt(4)
	s_delay_alu instid0(VALU_DEP_1)
	v_fma_f64 v[2:3], v[126:127], v[122:123], v[2:3]
	ds_load_2addr_b64 v[120:123], v1 offset0:97 offset1:98
	scratch_load_b128 v[124:127], off, off offset:400
	s_waitcnt lgkmcnt(0)
	v_fma_f64 v[2:3], v[128:129], v[120:121], v[2:3]
	s_waitcnt vmcnt(4)
	s_delay_alu instid0(VALU_DEP_1)
	v_fma_f64 v[2:3], v[130:131], v[122:123], v[2:3]
	scratch_load_b128 v[128:131], off, off offset:416
	ds_load_2addr_b64 v[120:123], v1 offset0:99 offset1:100
	s_waitcnt lgkmcnt(0)
	v_fma_f64 v[2:3], v[132:133], v[120:121], v[2:3]
	s_waitcnt vmcnt(4)
	s_delay_alu instid0(VALU_DEP_1)
	v_fma_f64 v[2:3], v[134:135], v[122:123], v[2:3]
	ds_load_2addr_b64 v[120:123], v1 offset0:101 offset1:102
	scratch_load_b128 v[132:135], off, off offset:432
	s_waitcnt lgkmcnt(0)
	v_fma_f64 v[2:3], v[136:137], v[120:121], v[2:3]
	s_waitcnt vmcnt(4)
	s_delay_alu instid0(VALU_DEP_1) | instskip(SKIP_4) | instid1(VALU_DEP_1)
	v_fma_f64 v[2:3], v[142:143], v[122:123], v[2:3]
	ds_load_2addr_b64 v[120:123], v1 offset0:103 offset1:104
	s_waitcnt lgkmcnt(0)
	v_fma_f64 v[2:3], v[144:145], v[120:121], v[2:3]
	s_waitcnt vmcnt(3)
	v_fma_f64 v[2:3], v[138:139], v[122:123], v[2:3]
	ds_load_2addr_b64 v[120:123], v1 offset0:105 offset1:106
	s_waitcnt lgkmcnt(0)
	v_fma_f64 v[2:3], v[140:141], v[120:121], v[2:3]
	s_waitcnt vmcnt(2)
	s_delay_alu instid0(VALU_DEP_1) | instskip(SKIP_4) | instid1(VALU_DEP_1)
	v_fma_f64 v[2:3], v[124:125], v[122:123], v[2:3]
	ds_load_2addr_b64 v[120:123], v1 offset0:107 offset1:108
	s_waitcnt lgkmcnt(0)
	v_fma_f64 v[2:3], v[126:127], v[120:121], v[2:3]
	s_waitcnt vmcnt(1)
	v_fma_f64 v[2:3], v[128:129], v[122:123], v[2:3]
	ds_load_2addr_b64 v[120:123], v1 offset0:109 offset1:110
	s_waitcnt lgkmcnt(0)
	v_fma_f64 v[2:3], v[130:131], v[120:121], v[2:3]
	ds_load_b64 v[120:121], v1 offset:888
	s_waitcnt vmcnt(0)
	v_fma_f64 v[2:3], v[132:133], v[122:123], v[2:3]
	s_waitcnt lgkmcnt(0)
	s_delay_alu instid0(VALU_DEP_1) | instskip(NEXT) | instid1(VALU_DEP_1)
	v_fma_f64 v[2:3], v[134:135], v[120:121], v[2:3]
	v_add_f64 v[2:3], v[118:119], -v[2:3]
	scratch_store_b64 off, v[2:3], off offset:288
	v_cmpx_lt_u32_e32 35, v0
	s_cbranch_execz .LBB55_275
; %bb.274:
	scratch_load_b64 v[3:4], off, off offset:280
	v_mov_b32_e32 v2, v1
	scratch_store_b64 off, v[1:2], off offset:280
	s_waitcnt vmcnt(0)
	ds_store_b64 v5, v[3:4]
.LBB55_275:
	s_or_b32 exec_lo, exec_lo, s0
	s_waitcnt lgkmcnt(0)
	s_waitcnt_vscnt null, 0x0
	s_barrier
	buffer_gl0_inv
	s_clause 0x4
	scratch_load_b128 v[118:121], off, off offset:280
	scratch_load_b128 v[122:125], off, off offset:296
	;; [unrolled: 1-line block ×5, first 2 shown]
	ds_load_b128 v[138:141], v1 offset:736
	scratch_load_b128 v[142:145], off, off offset:360
	s_mov_b32 s0, exec_lo
	s_waitcnt vmcnt(5) lgkmcnt(0)
	v_fma_f64 v[2:3], v[120:121], v[138:139], 0
	s_waitcnt vmcnt(4)
	s_delay_alu instid0(VALU_DEP_1)
	v_fma_f64 v[2:3], v[122:123], v[140:141], v[2:3]
	scratch_load_b128 v[138:141], off, off offset:376
	ds_load_b128 v[120:123], v1 offset:752
	s_waitcnt lgkmcnt(0)
	v_fma_f64 v[2:3], v[124:125], v[120:121], v[2:3]
	s_waitcnt vmcnt(4)
	s_delay_alu instid0(VALU_DEP_1)
	v_fma_f64 v[2:3], v[126:127], v[122:123], v[2:3]
	ds_load_b128 v[120:123], v1 offset:768
	scratch_load_b128 v[124:127], off, off offset:392
	s_waitcnt lgkmcnt(0)
	v_fma_f64 v[2:3], v[128:129], v[120:121], v[2:3]
	s_waitcnt vmcnt(4)
	s_delay_alu instid0(VALU_DEP_1)
	v_fma_f64 v[2:3], v[130:131], v[122:123], v[2:3]
	scratch_load_b128 v[128:131], off, off offset:408
	ds_load_b128 v[120:123], v1 offset:784
	s_waitcnt lgkmcnt(0)
	v_fma_f64 v[2:3], v[132:133], v[120:121], v[2:3]
	s_waitcnt vmcnt(4)
	s_delay_alu instid0(VALU_DEP_1)
	v_fma_f64 v[2:3], v[134:135], v[122:123], v[2:3]
	ds_load_b128 v[120:123], v1 offset:800
	scratch_load_b128 v[132:135], off, off offset:424
	s_waitcnt lgkmcnt(0)
	v_fma_f64 v[2:3], v[136:137], v[120:121], v[2:3]
	scratch_load_b64 v[136:137], off, off offset:440
	s_waitcnt vmcnt(5)
	v_fma_f64 v[2:3], v[142:143], v[122:123], v[2:3]
	ds_load_b128 v[120:123], v1 offset:816
	s_waitcnt lgkmcnt(0)
	v_fma_f64 v[2:3], v[144:145], v[120:121], v[2:3]
	s_waitcnt vmcnt(4)
	s_delay_alu instid0(VALU_DEP_1) | instskip(SKIP_4) | instid1(VALU_DEP_1)
	v_fma_f64 v[2:3], v[138:139], v[122:123], v[2:3]
	ds_load_b128 v[120:123], v1 offset:832
	s_waitcnt lgkmcnt(0)
	v_fma_f64 v[2:3], v[140:141], v[120:121], v[2:3]
	s_waitcnt vmcnt(3)
	v_fma_f64 v[2:3], v[124:125], v[122:123], v[2:3]
	ds_load_b128 v[120:123], v1 offset:848
	s_waitcnt lgkmcnt(0)
	v_fma_f64 v[2:3], v[126:127], v[120:121], v[2:3]
	s_waitcnt vmcnt(2)
	s_delay_alu instid0(VALU_DEP_1) | instskip(SKIP_4) | instid1(VALU_DEP_1)
	v_fma_f64 v[2:3], v[128:129], v[122:123], v[2:3]
	ds_load_b128 v[120:123], v1 offset:864
	s_waitcnt lgkmcnt(0)
	v_fma_f64 v[2:3], v[130:131], v[120:121], v[2:3]
	s_waitcnt vmcnt(1)
	v_fma_f64 v[120:121], v[132:133], v[122:123], v[2:3]
	ds_load_b128 v[1:4], v1 offset:880
	s_waitcnt lgkmcnt(0)
	v_fma_f64 v[1:2], v[134:135], v[1:2], v[120:121]
	s_waitcnt vmcnt(0)
	s_delay_alu instid0(VALU_DEP_1) | instskip(NEXT) | instid1(VALU_DEP_1)
	v_fma_f64 v[1:2], v[136:137], v[3:4], v[1:2]
	v_add_f64 v[1:2], v[118:119], -v[1:2]
	scratch_store_b64 off, v[1:2], off offset:280
	v_cmpx_lt_u32_e32 34, v0
	s_cbranch_execz .LBB55_277
; %bb.276:
	scratch_load_b64 v[1:2], off, off offset:272
	v_mov_b32_e32 v3, 0
	s_delay_alu instid0(VALU_DEP_1)
	v_mov_b32_e32 v4, v3
	scratch_store_b64 off, v[3:4], off offset:272
	s_waitcnt vmcnt(0)
	ds_store_b64 v5, v[1:2]
.LBB55_277:
	s_or_b32 exec_lo, exec_lo, s0
	s_waitcnt lgkmcnt(0)
	s_waitcnt_vscnt null, 0x0
	s_barrier
	buffer_gl0_inv
	s_clause 0x4
	scratch_load_b128 v[118:121], off, off offset:272
	scratch_load_b128 v[122:125], off, off offset:288
	;; [unrolled: 1-line block ×5, first 2 shown]
	v_mov_b32_e32 v1, 0
	scratch_load_b128 v[142:145], off, off offset:352
	s_mov_b32 s0, exec_lo
	ds_load_2addr_b64 v[138:141], v1 offset0:91 offset1:92
	s_waitcnt vmcnt(5) lgkmcnt(0)
	v_fma_f64 v[2:3], v[120:121], v[138:139], 0
	s_waitcnt vmcnt(4)
	s_delay_alu instid0(VALU_DEP_1)
	v_fma_f64 v[2:3], v[122:123], v[140:141], v[2:3]
	scratch_load_b128 v[138:141], off, off offset:368
	ds_load_2addr_b64 v[120:123], v1 offset0:93 offset1:94
	s_waitcnt lgkmcnt(0)
	v_fma_f64 v[2:3], v[124:125], v[120:121], v[2:3]
	s_waitcnt vmcnt(4)
	s_delay_alu instid0(VALU_DEP_1)
	v_fma_f64 v[2:3], v[126:127], v[122:123], v[2:3]
	ds_load_2addr_b64 v[120:123], v1 offset0:95 offset1:96
	scratch_load_b128 v[124:127], off, off offset:384
	s_waitcnt lgkmcnt(0)
	v_fma_f64 v[2:3], v[128:129], v[120:121], v[2:3]
	s_waitcnt vmcnt(4)
	s_delay_alu instid0(VALU_DEP_1)
	v_fma_f64 v[2:3], v[130:131], v[122:123], v[2:3]
	scratch_load_b128 v[128:131], off, off offset:400
	ds_load_2addr_b64 v[120:123], v1 offset0:97 offset1:98
	s_waitcnt lgkmcnt(0)
	v_fma_f64 v[2:3], v[132:133], v[120:121], v[2:3]
	s_waitcnt vmcnt(4)
	s_delay_alu instid0(VALU_DEP_1)
	v_fma_f64 v[2:3], v[134:135], v[122:123], v[2:3]
	ds_load_2addr_b64 v[120:123], v1 offset0:99 offset1:100
	scratch_load_b128 v[132:135], off, off offset:416
	s_waitcnt lgkmcnt(0)
	v_fma_f64 v[2:3], v[136:137], v[120:121], v[2:3]
	s_waitcnt vmcnt(4)
	s_delay_alu instid0(VALU_DEP_1)
	v_fma_f64 v[2:3], v[142:143], v[122:123], v[2:3]
	ds_load_2addr_b64 v[120:123], v1 offset0:101 offset1:102
	s_waitcnt lgkmcnt(0)
	v_fma_f64 v[2:3], v[144:145], v[120:121], v[2:3]
	scratch_load_b128 v[142:145], off, off offset:432
	s_waitcnt vmcnt(4)
	v_fma_f64 v[2:3], v[138:139], v[122:123], v[2:3]
	ds_load_2addr_b64 v[120:123], v1 offset0:103 offset1:104
	s_waitcnt lgkmcnt(0)
	v_fma_f64 v[2:3], v[140:141], v[120:121], v[2:3]
	s_waitcnt vmcnt(3)
	s_delay_alu instid0(VALU_DEP_1) | instskip(SKIP_4) | instid1(VALU_DEP_1)
	v_fma_f64 v[2:3], v[124:125], v[122:123], v[2:3]
	ds_load_2addr_b64 v[120:123], v1 offset0:105 offset1:106
	s_waitcnt lgkmcnt(0)
	v_fma_f64 v[2:3], v[126:127], v[120:121], v[2:3]
	s_waitcnt vmcnt(2)
	v_fma_f64 v[2:3], v[128:129], v[122:123], v[2:3]
	ds_load_2addr_b64 v[120:123], v1 offset0:107 offset1:108
	s_waitcnt lgkmcnt(0)
	v_fma_f64 v[2:3], v[130:131], v[120:121], v[2:3]
	s_waitcnt vmcnt(1)
	s_delay_alu instid0(VALU_DEP_1)
	v_fma_f64 v[2:3], v[132:133], v[122:123], v[2:3]
	ds_load_2addr_b64 v[120:123], v1 offset0:109 offset1:110
	s_waitcnt lgkmcnt(0)
	v_fma_f64 v[2:3], v[134:135], v[120:121], v[2:3]
	ds_load_b64 v[120:121], v1 offset:888
	s_waitcnt vmcnt(0)
	v_fma_f64 v[2:3], v[142:143], v[122:123], v[2:3]
	s_waitcnt lgkmcnt(0)
	s_delay_alu instid0(VALU_DEP_1) | instskip(NEXT) | instid1(VALU_DEP_1)
	v_fma_f64 v[2:3], v[144:145], v[120:121], v[2:3]
	v_add_f64 v[2:3], v[118:119], -v[2:3]
	scratch_store_b64 off, v[2:3], off offset:272
	v_cmpx_lt_u32_e32 33, v0
	s_cbranch_execz .LBB55_279
; %bb.278:
	scratch_load_b64 v[3:4], off, off offset:264
	v_mov_b32_e32 v2, v1
	scratch_store_b64 off, v[1:2], off offset:264
	s_waitcnt vmcnt(0)
	ds_store_b64 v5, v[3:4]
.LBB55_279:
	s_or_b32 exec_lo, exec_lo, s0
	s_waitcnt lgkmcnt(0)
	s_waitcnt_vscnt null, 0x0
	s_barrier
	buffer_gl0_inv
	s_clause 0x4
	scratch_load_b128 v[118:121], off, off offset:264
	scratch_load_b128 v[122:125], off, off offset:280
	;; [unrolled: 1-line block ×5, first 2 shown]
	ds_load_b128 v[138:141], v1 offset:720
	scratch_load_b128 v[142:145], off, off offset:344
	s_mov_b32 s0, exec_lo
	s_waitcnt vmcnt(5) lgkmcnt(0)
	v_fma_f64 v[2:3], v[120:121], v[138:139], 0
	s_waitcnt vmcnt(4)
	s_delay_alu instid0(VALU_DEP_1)
	v_fma_f64 v[2:3], v[122:123], v[140:141], v[2:3]
	scratch_load_b128 v[138:141], off, off offset:360
	ds_load_b128 v[120:123], v1 offset:736
	s_waitcnt lgkmcnt(0)
	v_fma_f64 v[2:3], v[124:125], v[120:121], v[2:3]
	s_waitcnt vmcnt(4)
	s_delay_alu instid0(VALU_DEP_1)
	v_fma_f64 v[2:3], v[126:127], v[122:123], v[2:3]
	ds_load_b128 v[120:123], v1 offset:752
	scratch_load_b128 v[124:127], off, off offset:376
	s_waitcnt lgkmcnt(0)
	v_fma_f64 v[2:3], v[128:129], v[120:121], v[2:3]
	s_waitcnt vmcnt(4)
	s_delay_alu instid0(VALU_DEP_1)
	v_fma_f64 v[2:3], v[130:131], v[122:123], v[2:3]
	scratch_load_b128 v[128:131], off, off offset:392
	ds_load_b128 v[120:123], v1 offset:768
	s_waitcnt lgkmcnt(0)
	v_fma_f64 v[2:3], v[132:133], v[120:121], v[2:3]
	s_waitcnt vmcnt(4)
	s_delay_alu instid0(VALU_DEP_1)
	v_fma_f64 v[2:3], v[134:135], v[122:123], v[2:3]
	ds_load_b128 v[120:123], v1 offset:784
	scratch_load_b128 v[132:135], off, off offset:408
	s_waitcnt lgkmcnt(0)
	v_fma_f64 v[2:3], v[136:137], v[120:121], v[2:3]
	scratch_load_b64 v[136:137], off, off offset:440
	s_waitcnt vmcnt(5)
	v_fma_f64 v[2:3], v[142:143], v[122:123], v[2:3]
	ds_load_b128 v[120:123], v1 offset:800
	s_waitcnt lgkmcnt(0)
	v_fma_f64 v[2:3], v[144:145], v[120:121], v[2:3]
	scratch_load_b128 v[142:145], off, off offset:424
	s_waitcnt vmcnt(5)
	v_fma_f64 v[2:3], v[138:139], v[122:123], v[2:3]
	ds_load_b128 v[120:123], v1 offset:816
	s_waitcnt lgkmcnt(0)
	v_fma_f64 v[2:3], v[140:141], v[120:121], v[2:3]
	s_waitcnt vmcnt(4)
	s_delay_alu instid0(VALU_DEP_1) | instskip(SKIP_4) | instid1(VALU_DEP_1)
	v_fma_f64 v[2:3], v[124:125], v[122:123], v[2:3]
	ds_load_b128 v[120:123], v1 offset:832
	s_waitcnt lgkmcnt(0)
	v_fma_f64 v[2:3], v[126:127], v[120:121], v[2:3]
	s_waitcnt vmcnt(3)
	v_fma_f64 v[2:3], v[128:129], v[122:123], v[2:3]
	ds_load_b128 v[120:123], v1 offset:848
	s_waitcnt lgkmcnt(0)
	v_fma_f64 v[2:3], v[130:131], v[120:121], v[2:3]
	s_waitcnt vmcnt(2)
	s_delay_alu instid0(VALU_DEP_1) | instskip(SKIP_4) | instid1(VALU_DEP_1)
	v_fma_f64 v[2:3], v[132:133], v[122:123], v[2:3]
	ds_load_b128 v[120:123], v1 offset:864
	s_waitcnt lgkmcnt(0)
	v_fma_f64 v[2:3], v[134:135], v[120:121], v[2:3]
	s_waitcnt vmcnt(0)
	v_fma_f64 v[120:121], v[142:143], v[122:123], v[2:3]
	ds_load_b128 v[1:4], v1 offset:880
	s_waitcnt lgkmcnt(0)
	v_fma_f64 v[1:2], v[144:145], v[1:2], v[120:121]
	s_delay_alu instid0(VALU_DEP_1) | instskip(NEXT) | instid1(VALU_DEP_1)
	v_fma_f64 v[1:2], v[136:137], v[3:4], v[1:2]
	v_add_f64 v[1:2], v[118:119], -v[1:2]
	scratch_store_b64 off, v[1:2], off offset:264
	v_cmpx_lt_u32_e32 32, v0
	s_cbranch_execz .LBB55_281
; %bb.280:
	scratch_load_b64 v[1:2], off, off offset:256
	v_mov_b32_e32 v3, 0
	s_delay_alu instid0(VALU_DEP_1)
	v_mov_b32_e32 v4, v3
	scratch_store_b64 off, v[3:4], off offset:256
	s_waitcnt vmcnt(0)
	ds_store_b64 v5, v[1:2]
.LBB55_281:
	s_or_b32 exec_lo, exec_lo, s0
	s_waitcnt lgkmcnt(0)
	s_waitcnt_vscnt null, 0x0
	s_barrier
	buffer_gl0_inv
	s_clause 0x4
	scratch_load_b128 v[118:121], off, off offset:256
	scratch_load_b128 v[122:125], off, off offset:272
	;; [unrolled: 1-line block ×5, first 2 shown]
	v_mov_b32_e32 v1, 0
	scratch_load_b128 v[142:145], off, off offset:336
	s_mov_b32 s0, exec_lo
	ds_load_2addr_b64 v[138:141], v1 offset0:89 offset1:90
	s_waitcnt vmcnt(5) lgkmcnt(0)
	v_fma_f64 v[2:3], v[120:121], v[138:139], 0
	s_waitcnt vmcnt(4)
	s_delay_alu instid0(VALU_DEP_1)
	v_fma_f64 v[2:3], v[122:123], v[140:141], v[2:3]
	scratch_load_b128 v[138:141], off, off offset:352
	ds_load_2addr_b64 v[120:123], v1 offset0:91 offset1:92
	s_waitcnt lgkmcnt(0)
	v_fma_f64 v[2:3], v[124:125], v[120:121], v[2:3]
	s_waitcnt vmcnt(4)
	s_delay_alu instid0(VALU_DEP_1)
	v_fma_f64 v[2:3], v[126:127], v[122:123], v[2:3]
	ds_load_2addr_b64 v[120:123], v1 offset0:93 offset1:94
	scratch_load_b128 v[124:127], off, off offset:368
	s_waitcnt lgkmcnt(0)
	v_fma_f64 v[2:3], v[128:129], v[120:121], v[2:3]
	s_waitcnt vmcnt(4)
	s_delay_alu instid0(VALU_DEP_1)
	v_fma_f64 v[2:3], v[130:131], v[122:123], v[2:3]
	scratch_load_b128 v[128:131], off, off offset:384
	ds_load_2addr_b64 v[120:123], v1 offset0:95 offset1:96
	s_waitcnt lgkmcnt(0)
	v_fma_f64 v[2:3], v[132:133], v[120:121], v[2:3]
	s_waitcnt vmcnt(4)
	s_delay_alu instid0(VALU_DEP_1)
	v_fma_f64 v[2:3], v[134:135], v[122:123], v[2:3]
	ds_load_2addr_b64 v[120:123], v1 offset0:97 offset1:98
	scratch_load_b128 v[132:135], off, off offset:400
	s_waitcnt lgkmcnt(0)
	v_fma_f64 v[2:3], v[136:137], v[120:121], v[2:3]
	s_waitcnt vmcnt(4)
	s_delay_alu instid0(VALU_DEP_1)
	v_fma_f64 v[2:3], v[142:143], v[122:123], v[2:3]
	ds_load_2addr_b64 v[120:123], v1 offset0:99 offset1:100
	s_waitcnt lgkmcnt(0)
	v_fma_f64 v[2:3], v[144:145], v[120:121], v[2:3]
	scratch_load_b128 v[142:145], off, off offset:416
	s_waitcnt vmcnt(4)
	v_fma_f64 v[2:3], v[138:139], v[122:123], v[2:3]
	ds_load_2addr_b64 v[120:123], v1 offset0:101 offset1:102
	scratch_load_b128 v[136:139], off, off offset:432
	s_waitcnt lgkmcnt(0)
	v_fma_f64 v[2:3], v[140:141], v[120:121], v[2:3]
	s_waitcnt vmcnt(4)
	s_delay_alu instid0(VALU_DEP_1) | instskip(SKIP_4) | instid1(VALU_DEP_1)
	v_fma_f64 v[2:3], v[124:125], v[122:123], v[2:3]
	ds_load_2addr_b64 v[120:123], v1 offset0:103 offset1:104
	s_waitcnt lgkmcnt(0)
	v_fma_f64 v[2:3], v[126:127], v[120:121], v[2:3]
	s_waitcnt vmcnt(3)
	v_fma_f64 v[2:3], v[128:129], v[122:123], v[2:3]
	ds_load_2addr_b64 v[120:123], v1 offset0:105 offset1:106
	s_waitcnt lgkmcnt(0)
	v_fma_f64 v[2:3], v[130:131], v[120:121], v[2:3]
	s_waitcnt vmcnt(2)
	s_delay_alu instid0(VALU_DEP_1) | instskip(SKIP_4) | instid1(VALU_DEP_1)
	v_fma_f64 v[2:3], v[132:133], v[122:123], v[2:3]
	ds_load_2addr_b64 v[120:123], v1 offset0:107 offset1:108
	s_waitcnt lgkmcnt(0)
	v_fma_f64 v[2:3], v[134:135], v[120:121], v[2:3]
	s_waitcnt vmcnt(1)
	v_fma_f64 v[2:3], v[142:143], v[122:123], v[2:3]
	ds_load_2addr_b64 v[120:123], v1 offset0:109 offset1:110
	s_waitcnt lgkmcnt(0)
	v_fma_f64 v[2:3], v[144:145], v[120:121], v[2:3]
	ds_load_b64 v[120:121], v1 offset:888
	s_waitcnt vmcnt(0)
	v_fma_f64 v[2:3], v[136:137], v[122:123], v[2:3]
	s_waitcnt lgkmcnt(0)
	s_delay_alu instid0(VALU_DEP_1) | instskip(NEXT) | instid1(VALU_DEP_1)
	v_fma_f64 v[2:3], v[138:139], v[120:121], v[2:3]
	v_add_f64 v[2:3], v[118:119], -v[2:3]
	scratch_store_b64 off, v[2:3], off offset:256
	v_cmpx_lt_u32_e32 31, v0
	s_cbranch_execz .LBB55_283
; %bb.282:
	scratch_load_b64 v[3:4], off, off offset:248
	v_mov_b32_e32 v2, v1
	scratch_store_b64 off, v[1:2], off offset:248
	s_waitcnt vmcnt(0)
	ds_store_b64 v5, v[3:4]
.LBB55_283:
	s_or_b32 exec_lo, exec_lo, s0
	s_waitcnt lgkmcnt(0)
	s_waitcnt_vscnt null, 0x0
	s_barrier
	buffer_gl0_inv
	s_clause 0x4
	scratch_load_b128 v[118:121], off, off offset:248
	scratch_load_b128 v[122:125], off, off offset:264
	;; [unrolled: 1-line block ×5, first 2 shown]
	ds_load_b128 v[138:141], v1 offset:704
	scratch_load_b128 v[142:145], off, off offset:328
	s_mov_b32 s0, exec_lo
	s_waitcnt vmcnt(5) lgkmcnt(0)
	v_fma_f64 v[2:3], v[120:121], v[138:139], 0
	s_waitcnt vmcnt(4)
	s_delay_alu instid0(VALU_DEP_1)
	v_fma_f64 v[2:3], v[122:123], v[140:141], v[2:3]
	scratch_load_b128 v[138:141], off, off offset:344
	ds_load_b128 v[120:123], v1 offset:720
	s_waitcnt lgkmcnt(0)
	v_fma_f64 v[2:3], v[124:125], v[120:121], v[2:3]
	s_waitcnt vmcnt(4)
	s_delay_alu instid0(VALU_DEP_1)
	v_fma_f64 v[2:3], v[126:127], v[122:123], v[2:3]
	ds_load_b128 v[120:123], v1 offset:736
	scratch_load_b128 v[124:127], off, off offset:360
	s_waitcnt lgkmcnt(0)
	v_fma_f64 v[2:3], v[128:129], v[120:121], v[2:3]
	s_waitcnt vmcnt(4)
	s_delay_alu instid0(VALU_DEP_1)
	v_fma_f64 v[2:3], v[130:131], v[122:123], v[2:3]
	scratch_load_b128 v[128:131], off, off offset:376
	ds_load_b128 v[120:123], v1 offset:752
	s_waitcnt lgkmcnt(0)
	v_fma_f64 v[2:3], v[132:133], v[120:121], v[2:3]
	s_waitcnt vmcnt(4)
	s_delay_alu instid0(VALU_DEP_1)
	v_fma_f64 v[2:3], v[134:135], v[122:123], v[2:3]
	ds_load_b128 v[120:123], v1 offset:768
	scratch_load_b128 v[132:135], off, off offset:392
	s_waitcnt lgkmcnt(0)
	v_fma_f64 v[2:3], v[136:137], v[120:121], v[2:3]
	s_waitcnt vmcnt(4)
	s_delay_alu instid0(VALU_DEP_1)
	v_fma_f64 v[2:3], v[142:143], v[122:123], v[2:3]
	ds_load_b128 v[120:123], v1 offset:784
	s_waitcnt lgkmcnt(0)
	v_fma_f64 v[2:3], v[144:145], v[120:121], v[2:3]
	scratch_load_b128 v[142:145], off, off offset:408
	s_waitcnt vmcnt(4)
	v_fma_f64 v[2:3], v[138:139], v[122:123], v[2:3]
	ds_load_b128 v[120:123], v1 offset:800
	scratch_load_b128 v[136:139], off, off offset:424
	s_waitcnt lgkmcnt(0)
	v_fma_f64 v[2:3], v[140:141], v[120:121], v[2:3]
	s_waitcnt vmcnt(4)
	s_delay_alu instid0(VALU_DEP_1)
	v_fma_f64 v[2:3], v[124:125], v[122:123], v[2:3]
	scratch_load_b64 v[124:125], off, off offset:440
	ds_load_b128 v[120:123], v1 offset:816
	s_waitcnt lgkmcnt(0)
	v_fma_f64 v[2:3], v[126:127], v[120:121], v[2:3]
	s_waitcnt vmcnt(4)
	s_delay_alu instid0(VALU_DEP_1) | instskip(SKIP_4) | instid1(VALU_DEP_1)
	v_fma_f64 v[2:3], v[128:129], v[122:123], v[2:3]
	ds_load_b128 v[120:123], v1 offset:832
	s_waitcnt lgkmcnt(0)
	v_fma_f64 v[2:3], v[130:131], v[120:121], v[2:3]
	s_waitcnt vmcnt(3)
	v_fma_f64 v[2:3], v[132:133], v[122:123], v[2:3]
	ds_load_b128 v[120:123], v1 offset:848
	s_waitcnt lgkmcnt(0)
	v_fma_f64 v[2:3], v[134:135], v[120:121], v[2:3]
	s_waitcnt vmcnt(2)
	s_delay_alu instid0(VALU_DEP_1) | instskip(SKIP_4) | instid1(VALU_DEP_1)
	v_fma_f64 v[2:3], v[142:143], v[122:123], v[2:3]
	ds_load_b128 v[120:123], v1 offset:864
	s_waitcnt lgkmcnt(0)
	v_fma_f64 v[2:3], v[144:145], v[120:121], v[2:3]
	s_waitcnt vmcnt(1)
	v_fma_f64 v[120:121], v[136:137], v[122:123], v[2:3]
	ds_load_b128 v[1:4], v1 offset:880
	s_waitcnt lgkmcnt(0)
	v_fma_f64 v[1:2], v[138:139], v[1:2], v[120:121]
	s_waitcnt vmcnt(0)
	s_delay_alu instid0(VALU_DEP_1) | instskip(NEXT) | instid1(VALU_DEP_1)
	v_fma_f64 v[1:2], v[124:125], v[3:4], v[1:2]
	v_add_f64 v[1:2], v[118:119], -v[1:2]
	scratch_store_b64 off, v[1:2], off offset:248
	v_cmpx_lt_u32_e32 30, v0
	s_cbranch_execz .LBB55_285
; %bb.284:
	scratch_load_b64 v[1:2], off, off offset:240
	v_mov_b32_e32 v3, 0
	s_delay_alu instid0(VALU_DEP_1)
	v_mov_b32_e32 v4, v3
	scratch_store_b64 off, v[3:4], off offset:240
	s_waitcnt vmcnt(0)
	ds_store_b64 v5, v[1:2]
.LBB55_285:
	s_or_b32 exec_lo, exec_lo, s0
	s_waitcnt lgkmcnt(0)
	s_waitcnt_vscnt null, 0x0
	s_barrier
	buffer_gl0_inv
	s_clause 0x4
	scratch_load_b128 v[118:121], off, off offset:240
	scratch_load_b128 v[122:125], off, off offset:256
	;; [unrolled: 1-line block ×5, first 2 shown]
	v_mov_b32_e32 v1, 0
	scratch_load_b128 v[142:145], off, off offset:320
	s_mov_b32 s0, exec_lo
	ds_load_2addr_b64 v[138:141], v1 offset0:87 offset1:88
	s_waitcnt vmcnt(5) lgkmcnt(0)
	v_fma_f64 v[2:3], v[120:121], v[138:139], 0
	s_waitcnt vmcnt(4)
	s_delay_alu instid0(VALU_DEP_1)
	v_fma_f64 v[2:3], v[122:123], v[140:141], v[2:3]
	scratch_load_b128 v[138:141], off, off offset:336
	ds_load_2addr_b64 v[120:123], v1 offset0:89 offset1:90
	s_waitcnt lgkmcnt(0)
	v_fma_f64 v[2:3], v[124:125], v[120:121], v[2:3]
	s_waitcnt vmcnt(4)
	s_delay_alu instid0(VALU_DEP_1)
	v_fma_f64 v[2:3], v[126:127], v[122:123], v[2:3]
	ds_load_2addr_b64 v[120:123], v1 offset0:91 offset1:92
	scratch_load_b128 v[124:127], off, off offset:352
	s_waitcnt lgkmcnt(0)
	v_fma_f64 v[2:3], v[128:129], v[120:121], v[2:3]
	s_waitcnt vmcnt(4)
	s_delay_alu instid0(VALU_DEP_1)
	v_fma_f64 v[2:3], v[130:131], v[122:123], v[2:3]
	scratch_load_b128 v[128:131], off, off offset:368
	ds_load_2addr_b64 v[120:123], v1 offset0:93 offset1:94
	s_waitcnt lgkmcnt(0)
	v_fma_f64 v[2:3], v[132:133], v[120:121], v[2:3]
	s_waitcnt vmcnt(4)
	s_delay_alu instid0(VALU_DEP_1)
	v_fma_f64 v[2:3], v[134:135], v[122:123], v[2:3]
	ds_load_2addr_b64 v[120:123], v1 offset0:95 offset1:96
	scratch_load_b128 v[132:135], off, off offset:384
	s_waitcnt lgkmcnt(0)
	v_fma_f64 v[2:3], v[136:137], v[120:121], v[2:3]
	s_waitcnt vmcnt(4)
	s_delay_alu instid0(VALU_DEP_1)
	v_fma_f64 v[2:3], v[142:143], v[122:123], v[2:3]
	ds_load_2addr_b64 v[120:123], v1 offset0:97 offset1:98
	s_waitcnt lgkmcnt(0)
	v_fma_f64 v[2:3], v[144:145], v[120:121], v[2:3]
	scratch_load_b128 v[142:145], off, off offset:400
	s_waitcnt vmcnt(4)
	v_fma_f64 v[2:3], v[138:139], v[122:123], v[2:3]
	ds_load_2addr_b64 v[120:123], v1 offset0:99 offset1:100
	scratch_load_b128 v[136:139], off, off offset:416
	s_waitcnt lgkmcnt(0)
	v_fma_f64 v[2:3], v[140:141], v[120:121], v[2:3]
	s_waitcnt vmcnt(4)
	s_delay_alu instid0(VALU_DEP_1)
	v_fma_f64 v[2:3], v[124:125], v[122:123], v[2:3]
	ds_load_2addr_b64 v[120:123], v1 offset0:101 offset1:102
	s_waitcnt lgkmcnt(0)
	v_fma_f64 v[2:3], v[126:127], v[120:121], v[2:3]
	scratch_load_b128 v[124:127], off, off offset:432
	s_waitcnt vmcnt(4)
	v_fma_f64 v[2:3], v[128:129], v[122:123], v[2:3]
	ds_load_2addr_b64 v[120:123], v1 offset0:103 offset1:104
	s_waitcnt lgkmcnt(0)
	v_fma_f64 v[2:3], v[130:131], v[120:121], v[2:3]
	s_waitcnt vmcnt(3)
	s_delay_alu instid0(VALU_DEP_1) | instskip(SKIP_4) | instid1(VALU_DEP_1)
	v_fma_f64 v[2:3], v[132:133], v[122:123], v[2:3]
	ds_load_2addr_b64 v[120:123], v1 offset0:105 offset1:106
	s_waitcnt lgkmcnt(0)
	v_fma_f64 v[2:3], v[134:135], v[120:121], v[2:3]
	s_waitcnt vmcnt(2)
	v_fma_f64 v[2:3], v[142:143], v[122:123], v[2:3]
	ds_load_2addr_b64 v[120:123], v1 offset0:107 offset1:108
	s_waitcnt lgkmcnt(0)
	v_fma_f64 v[2:3], v[144:145], v[120:121], v[2:3]
	s_waitcnt vmcnt(1)
	s_delay_alu instid0(VALU_DEP_1)
	v_fma_f64 v[2:3], v[136:137], v[122:123], v[2:3]
	ds_load_2addr_b64 v[120:123], v1 offset0:109 offset1:110
	s_waitcnt lgkmcnt(0)
	v_fma_f64 v[2:3], v[138:139], v[120:121], v[2:3]
	ds_load_b64 v[120:121], v1 offset:888
	s_waitcnt vmcnt(0)
	v_fma_f64 v[2:3], v[124:125], v[122:123], v[2:3]
	s_waitcnt lgkmcnt(0)
	s_delay_alu instid0(VALU_DEP_1) | instskip(NEXT) | instid1(VALU_DEP_1)
	v_fma_f64 v[2:3], v[126:127], v[120:121], v[2:3]
	v_add_f64 v[2:3], v[118:119], -v[2:3]
	scratch_store_b64 off, v[2:3], off offset:240
	v_cmpx_lt_u32_e32 29, v0
	s_cbranch_execz .LBB55_287
; %bb.286:
	scratch_load_b64 v[3:4], off, off offset:232
	v_mov_b32_e32 v2, v1
	scratch_store_b64 off, v[1:2], off offset:232
	s_waitcnt vmcnt(0)
	ds_store_b64 v5, v[3:4]
.LBB55_287:
	s_or_b32 exec_lo, exec_lo, s0
	s_waitcnt lgkmcnt(0)
	s_waitcnt_vscnt null, 0x0
	s_barrier
	buffer_gl0_inv
	s_clause 0x4
	scratch_load_b128 v[118:121], off, off offset:232
	scratch_load_b128 v[122:125], off, off offset:248
	;; [unrolled: 1-line block ×5, first 2 shown]
	ds_load_b128 v[138:141], v1 offset:688
	scratch_load_b128 v[142:145], off, off offset:312
	s_mov_b32 s0, exec_lo
	s_waitcnt vmcnt(5) lgkmcnt(0)
	v_fma_f64 v[2:3], v[120:121], v[138:139], 0
	s_waitcnt vmcnt(4)
	s_delay_alu instid0(VALU_DEP_1)
	v_fma_f64 v[2:3], v[122:123], v[140:141], v[2:3]
	scratch_load_b128 v[138:141], off, off offset:328
	ds_load_b128 v[120:123], v1 offset:704
	s_waitcnt lgkmcnt(0)
	v_fma_f64 v[2:3], v[124:125], v[120:121], v[2:3]
	s_waitcnt vmcnt(4)
	s_delay_alu instid0(VALU_DEP_1)
	v_fma_f64 v[2:3], v[126:127], v[122:123], v[2:3]
	ds_load_b128 v[120:123], v1 offset:720
	scratch_load_b128 v[124:127], off, off offset:344
	s_waitcnt lgkmcnt(0)
	v_fma_f64 v[2:3], v[128:129], v[120:121], v[2:3]
	s_waitcnt vmcnt(4)
	s_delay_alu instid0(VALU_DEP_1)
	v_fma_f64 v[2:3], v[130:131], v[122:123], v[2:3]
	scratch_load_b128 v[128:131], off, off offset:360
	ds_load_b128 v[120:123], v1 offset:736
	s_waitcnt lgkmcnt(0)
	v_fma_f64 v[2:3], v[132:133], v[120:121], v[2:3]
	s_waitcnt vmcnt(4)
	s_delay_alu instid0(VALU_DEP_1)
	v_fma_f64 v[2:3], v[134:135], v[122:123], v[2:3]
	ds_load_b128 v[120:123], v1 offset:752
	scratch_load_b128 v[132:135], off, off offset:376
	s_waitcnt lgkmcnt(0)
	v_fma_f64 v[2:3], v[136:137], v[120:121], v[2:3]
	s_waitcnt vmcnt(4)
	s_delay_alu instid0(VALU_DEP_1)
	v_fma_f64 v[2:3], v[142:143], v[122:123], v[2:3]
	ds_load_b128 v[120:123], v1 offset:768
	s_waitcnt lgkmcnt(0)
	v_fma_f64 v[2:3], v[144:145], v[120:121], v[2:3]
	scratch_load_b128 v[142:145], off, off offset:392
	s_waitcnt vmcnt(4)
	v_fma_f64 v[2:3], v[138:139], v[122:123], v[2:3]
	ds_load_b128 v[120:123], v1 offset:784
	scratch_load_b128 v[136:139], off, off offset:408
	s_waitcnt lgkmcnt(0)
	v_fma_f64 v[2:3], v[140:141], v[120:121], v[2:3]
	s_waitcnt vmcnt(4)
	s_delay_alu instid0(VALU_DEP_1)
	v_fma_f64 v[2:3], v[124:125], v[122:123], v[2:3]
	ds_load_b128 v[120:123], v1 offset:800
	s_waitcnt lgkmcnt(0)
	v_fma_f64 v[2:3], v[126:127], v[120:121], v[2:3]
	scratch_load_b128 v[124:127], off, off offset:424
	s_waitcnt vmcnt(4)
	v_fma_f64 v[2:3], v[128:129], v[122:123], v[2:3]
	ds_load_b128 v[120:123], v1 offset:816
	scratch_load_b64 v[128:129], off, off offset:440
	s_waitcnt lgkmcnt(0)
	v_fma_f64 v[2:3], v[130:131], v[120:121], v[2:3]
	s_waitcnt vmcnt(4)
	s_delay_alu instid0(VALU_DEP_1) | instskip(SKIP_4) | instid1(VALU_DEP_1)
	v_fma_f64 v[2:3], v[132:133], v[122:123], v[2:3]
	ds_load_b128 v[120:123], v1 offset:832
	s_waitcnt lgkmcnt(0)
	v_fma_f64 v[2:3], v[134:135], v[120:121], v[2:3]
	s_waitcnt vmcnt(3)
	v_fma_f64 v[2:3], v[142:143], v[122:123], v[2:3]
	ds_load_b128 v[120:123], v1 offset:848
	s_waitcnt lgkmcnt(0)
	v_fma_f64 v[2:3], v[144:145], v[120:121], v[2:3]
	s_waitcnt vmcnt(2)
	s_delay_alu instid0(VALU_DEP_1) | instskip(SKIP_4) | instid1(VALU_DEP_1)
	v_fma_f64 v[2:3], v[136:137], v[122:123], v[2:3]
	ds_load_b128 v[120:123], v1 offset:864
	s_waitcnt lgkmcnt(0)
	v_fma_f64 v[2:3], v[138:139], v[120:121], v[2:3]
	s_waitcnt vmcnt(1)
	v_fma_f64 v[120:121], v[124:125], v[122:123], v[2:3]
	ds_load_b128 v[1:4], v1 offset:880
	s_waitcnt lgkmcnt(0)
	v_fma_f64 v[1:2], v[126:127], v[1:2], v[120:121]
	s_waitcnt vmcnt(0)
	s_delay_alu instid0(VALU_DEP_1) | instskip(NEXT) | instid1(VALU_DEP_1)
	v_fma_f64 v[1:2], v[128:129], v[3:4], v[1:2]
	v_add_f64 v[1:2], v[118:119], -v[1:2]
	scratch_store_b64 off, v[1:2], off offset:232
	v_cmpx_lt_u32_e32 28, v0
	s_cbranch_execz .LBB55_289
; %bb.288:
	scratch_load_b64 v[1:2], off, off offset:224
	v_mov_b32_e32 v3, 0
	s_delay_alu instid0(VALU_DEP_1)
	v_mov_b32_e32 v4, v3
	scratch_store_b64 off, v[3:4], off offset:224
	s_waitcnt vmcnt(0)
	ds_store_b64 v5, v[1:2]
.LBB55_289:
	s_or_b32 exec_lo, exec_lo, s0
	s_waitcnt lgkmcnt(0)
	s_waitcnt_vscnt null, 0x0
	s_barrier
	buffer_gl0_inv
	s_clause 0x4
	scratch_load_b128 v[118:121], off, off offset:224
	scratch_load_b128 v[122:125], off, off offset:240
	;; [unrolled: 1-line block ×5, first 2 shown]
	v_mov_b32_e32 v1, 0
	scratch_load_b128 v[142:145], off, off offset:304
	s_mov_b32 s0, exec_lo
	ds_load_2addr_b64 v[138:141], v1 offset0:85 offset1:86
	s_waitcnt vmcnt(5) lgkmcnt(0)
	v_fma_f64 v[2:3], v[120:121], v[138:139], 0
	s_waitcnt vmcnt(4)
	s_delay_alu instid0(VALU_DEP_1)
	v_fma_f64 v[2:3], v[122:123], v[140:141], v[2:3]
	scratch_load_b128 v[138:141], off, off offset:320
	ds_load_2addr_b64 v[120:123], v1 offset0:87 offset1:88
	s_waitcnt lgkmcnt(0)
	v_fma_f64 v[2:3], v[124:125], v[120:121], v[2:3]
	s_waitcnt vmcnt(4)
	s_delay_alu instid0(VALU_DEP_1)
	v_fma_f64 v[2:3], v[126:127], v[122:123], v[2:3]
	ds_load_2addr_b64 v[120:123], v1 offset0:89 offset1:90
	scratch_load_b128 v[124:127], off, off offset:336
	s_waitcnt lgkmcnt(0)
	v_fma_f64 v[2:3], v[128:129], v[120:121], v[2:3]
	s_waitcnt vmcnt(4)
	s_delay_alu instid0(VALU_DEP_1)
	v_fma_f64 v[2:3], v[130:131], v[122:123], v[2:3]
	scratch_load_b128 v[128:131], off, off offset:352
	ds_load_2addr_b64 v[120:123], v1 offset0:91 offset1:92
	s_waitcnt lgkmcnt(0)
	v_fma_f64 v[2:3], v[132:133], v[120:121], v[2:3]
	s_waitcnt vmcnt(4)
	s_delay_alu instid0(VALU_DEP_1)
	v_fma_f64 v[2:3], v[134:135], v[122:123], v[2:3]
	ds_load_2addr_b64 v[120:123], v1 offset0:93 offset1:94
	scratch_load_b128 v[132:135], off, off offset:368
	s_waitcnt lgkmcnt(0)
	v_fma_f64 v[2:3], v[136:137], v[120:121], v[2:3]
	s_waitcnt vmcnt(4)
	s_delay_alu instid0(VALU_DEP_1)
	v_fma_f64 v[2:3], v[142:143], v[122:123], v[2:3]
	ds_load_2addr_b64 v[120:123], v1 offset0:95 offset1:96
	s_waitcnt lgkmcnt(0)
	v_fma_f64 v[2:3], v[144:145], v[120:121], v[2:3]
	scratch_load_b128 v[142:145], off, off offset:384
	s_waitcnt vmcnt(4)
	v_fma_f64 v[2:3], v[138:139], v[122:123], v[2:3]
	ds_load_2addr_b64 v[120:123], v1 offset0:97 offset1:98
	scratch_load_b128 v[136:139], off, off offset:400
	s_waitcnt lgkmcnt(0)
	v_fma_f64 v[2:3], v[140:141], v[120:121], v[2:3]
	s_waitcnt vmcnt(4)
	s_delay_alu instid0(VALU_DEP_1)
	v_fma_f64 v[2:3], v[124:125], v[122:123], v[2:3]
	ds_load_2addr_b64 v[120:123], v1 offset0:99 offset1:100
	s_waitcnt lgkmcnt(0)
	v_fma_f64 v[2:3], v[126:127], v[120:121], v[2:3]
	scratch_load_b128 v[124:127], off, off offset:416
	s_waitcnt vmcnt(4)
	v_fma_f64 v[2:3], v[128:129], v[122:123], v[2:3]
	ds_load_2addr_b64 v[120:123], v1 offset0:101 offset1:102
	s_waitcnt lgkmcnt(0)
	v_fma_f64 v[2:3], v[130:131], v[120:121], v[2:3]
	scratch_load_b128 v[128:131], off, off offset:432
	s_waitcnt vmcnt(4)
	v_fma_f64 v[2:3], v[132:133], v[122:123], v[2:3]
	ds_load_2addr_b64 v[120:123], v1 offset0:103 offset1:104
	s_waitcnt lgkmcnt(0)
	v_fma_f64 v[2:3], v[134:135], v[120:121], v[2:3]
	s_waitcnt vmcnt(3)
	s_delay_alu instid0(VALU_DEP_1) | instskip(SKIP_4) | instid1(VALU_DEP_1)
	v_fma_f64 v[2:3], v[142:143], v[122:123], v[2:3]
	ds_load_2addr_b64 v[120:123], v1 offset0:105 offset1:106
	s_waitcnt lgkmcnt(0)
	v_fma_f64 v[2:3], v[144:145], v[120:121], v[2:3]
	s_waitcnt vmcnt(2)
	v_fma_f64 v[2:3], v[136:137], v[122:123], v[2:3]
	ds_load_2addr_b64 v[120:123], v1 offset0:107 offset1:108
	s_waitcnt lgkmcnt(0)
	v_fma_f64 v[2:3], v[138:139], v[120:121], v[2:3]
	s_waitcnt vmcnt(1)
	s_delay_alu instid0(VALU_DEP_1)
	v_fma_f64 v[2:3], v[124:125], v[122:123], v[2:3]
	ds_load_2addr_b64 v[120:123], v1 offset0:109 offset1:110
	s_waitcnt lgkmcnt(0)
	v_fma_f64 v[2:3], v[126:127], v[120:121], v[2:3]
	ds_load_b64 v[120:121], v1 offset:888
	s_waitcnt vmcnt(0)
	v_fma_f64 v[2:3], v[128:129], v[122:123], v[2:3]
	s_waitcnt lgkmcnt(0)
	s_delay_alu instid0(VALU_DEP_1) | instskip(NEXT) | instid1(VALU_DEP_1)
	v_fma_f64 v[2:3], v[130:131], v[120:121], v[2:3]
	v_add_f64 v[2:3], v[118:119], -v[2:3]
	scratch_store_b64 off, v[2:3], off offset:224
	v_cmpx_lt_u32_e32 27, v0
	s_cbranch_execz .LBB55_291
; %bb.290:
	scratch_load_b64 v[3:4], off, off offset:216
	v_mov_b32_e32 v2, v1
	scratch_store_b64 off, v[1:2], off offset:216
	s_waitcnt vmcnt(0)
	ds_store_b64 v5, v[3:4]
.LBB55_291:
	s_or_b32 exec_lo, exec_lo, s0
	s_waitcnt lgkmcnt(0)
	s_waitcnt_vscnt null, 0x0
	s_barrier
	buffer_gl0_inv
	s_clause 0x4
	scratch_load_b128 v[118:121], off, off offset:216
	scratch_load_b128 v[122:125], off, off offset:232
	;; [unrolled: 1-line block ×5, first 2 shown]
	ds_load_b128 v[138:141], v1 offset:672
	scratch_load_b128 v[142:145], off, off offset:296
	s_mov_b32 s0, exec_lo
	s_waitcnt vmcnt(5) lgkmcnt(0)
	v_fma_f64 v[2:3], v[120:121], v[138:139], 0
	s_waitcnt vmcnt(4)
	s_delay_alu instid0(VALU_DEP_1)
	v_fma_f64 v[2:3], v[122:123], v[140:141], v[2:3]
	scratch_load_b128 v[138:141], off, off offset:312
	ds_load_b128 v[120:123], v1 offset:688
	s_waitcnt lgkmcnt(0)
	v_fma_f64 v[2:3], v[124:125], v[120:121], v[2:3]
	s_waitcnt vmcnt(4)
	s_delay_alu instid0(VALU_DEP_1)
	v_fma_f64 v[2:3], v[126:127], v[122:123], v[2:3]
	ds_load_b128 v[120:123], v1 offset:704
	scratch_load_b128 v[124:127], off, off offset:328
	s_waitcnt lgkmcnt(0)
	v_fma_f64 v[2:3], v[128:129], v[120:121], v[2:3]
	s_waitcnt vmcnt(4)
	s_delay_alu instid0(VALU_DEP_1)
	v_fma_f64 v[2:3], v[130:131], v[122:123], v[2:3]
	scratch_load_b128 v[128:131], off, off offset:344
	ds_load_b128 v[120:123], v1 offset:720
	s_waitcnt lgkmcnt(0)
	v_fma_f64 v[2:3], v[132:133], v[120:121], v[2:3]
	s_waitcnt vmcnt(4)
	s_delay_alu instid0(VALU_DEP_1)
	v_fma_f64 v[2:3], v[134:135], v[122:123], v[2:3]
	ds_load_b128 v[120:123], v1 offset:736
	scratch_load_b128 v[132:135], off, off offset:360
	s_waitcnt lgkmcnt(0)
	v_fma_f64 v[2:3], v[136:137], v[120:121], v[2:3]
	s_waitcnt vmcnt(4)
	s_delay_alu instid0(VALU_DEP_1)
	v_fma_f64 v[2:3], v[142:143], v[122:123], v[2:3]
	ds_load_b128 v[120:123], v1 offset:752
	s_waitcnt lgkmcnt(0)
	v_fma_f64 v[2:3], v[144:145], v[120:121], v[2:3]
	scratch_load_b128 v[142:145], off, off offset:376
	s_waitcnt vmcnt(4)
	v_fma_f64 v[2:3], v[138:139], v[122:123], v[2:3]
	ds_load_b128 v[120:123], v1 offset:768
	scratch_load_b128 v[136:139], off, off offset:392
	s_waitcnt lgkmcnt(0)
	v_fma_f64 v[2:3], v[140:141], v[120:121], v[2:3]
	s_waitcnt vmcnt(4)
	s_delay_alu instid0(VALU_DEP_1)
	v_fma_f64 v[2:3], v[124:125], v[122:123], v[2:3]
	ds_load_b128 v[120:123], v1 offset:784
	s_waitcnt lgkmcnt(0)
	v_fma_f64 v[2:3], v[126:127], v[120:121], v[2:3]
	scratch_load_b128 v[124:127], off, off offset:408
	s_waitcnt vmcnt(4)
	v_fma_f64 v[2:3], v[128:129], v[122:123], v[2:3]
	ds_load_b128 v[120:123], v1 offset:800
	s_waitcnt lgkmcnt(0)
	v_fma_f64 v[2:3], v[130:131], v[120:121], v[2:3]
	scratch_load_b128 v[128:131], off, off offset:424
	s_waitcnt vmcnt(4)
	v_fma_f64 v[2:3], v[132:133], v[122:123], v[2:3]
	scratch_load_b64 v[132:133], off, off offset:440
	ds_load_b128 v[120:123], v1 offset:816
	s_waitcnt lgkmcnt(0)
	v_fma_f64 v[2:3], v[134:135], v[120:121], v[2:3]
	s_waitcnt vmcnt(4)
	s_delay_alu instid0(VALU_DEP_1) | instskip(SKIP_4) | instid1(VALU_DEP_1)
	v_fma_f64 v[2:3], v[142:143], v[122:123], v[2:3]
	ds_load_b128 v[120:123], v1 offset:832
	s_waitcnt lgkmcnt(0)
	v_fma_f64 v[2:3], v[144:145], v[120:121], v[2:3]
	s_waitcnt vmcnt(3)
	v_fma_f64 v[2:3], v[136:137], v[122:123], v[2:3]
	ds_load_b128 v[120:123], v1 offset:848
	s_waitcnt lgkmcnt(0)
	v_fma_f64 v[2:3], v[138:139], v[120:121], v[2:3]
	s_waitcnt vmcnt(2)
	s_delay_alu instid0(VALU_DEP_1) | instskip(SKIP_4) | instid1(VALU_DEP_1)
	v_fma_f64 v[2:3], v[124:125], v[122:123], v[2:3]
	ds_load_b128 v[120:123], v1 offset:864
	s_waitcnt lgkmcnt(0)
	v_fma_f64 v[2:3], v[126:127], v[120:121], v[2:3]
	s_waitcnt vmcnt(1)
	v_fma_f64 v[120:121], v[128:129], v[122:123], v[2:3]
	ds_load_b128 v[1:4], v1 offset:880
	s_waitcnt lgkmcnt(0)
	v_fma_f64 v[1:2], v[130:131], v[1:2], v[120:121]
	s_waitcnt vmcnt(0)
	s_delay_alu instid0(VALU_DEP_1) | instskip(NEXT) | instid1(VALU_DEP_1)
	v_fma_f64 v[1:2], v[132:133], v[3:4], v[1:2]
	v_add_f64 v[1:2], v[118:119], -v[1:2]
	scratch_store_b64 off, v[1:2], off offset:216
	v_cmpx_lt_u32_e32 26, v0
	s_cbranch_execz .LBB55_293
; %bb.292:
	scratch_load_b64 v[1:2], off, off offset:208
	v_mov_b32_e32 v3, 0
	s_delay_alu instid0(VALU_DEP_1)
	v_mov_b32_e32 v4, v3
	scratch_store_b64 off, v[3:4], off offset:208
	s_waitcnt vmcnt(0)
	ds_store_b64 v5, v[1:2]
.LBB55_293:
	s_or_b32 exec_lo, exec_lo, s0
	s_waitcnt lgkmcnt(0)
	s_waitcnt_vscnt null, 0x0
	s_barrier
	buffer_gl0_inv
	s_clause 0x4
	scratch_load_b128 v[118:121], off, off offset:208
	scratch_load_b128 v[122:125], off, off offset:224
	;; [unrolled: 1-line block ×5, first 2 shown]
	v_mov_b32_e32 v1, 0
	scratch_load_b128 v[142:145], off, off offset:288
	s_mov_b32 s0, exec_lo
	ds_load_2addr_b64 v[138:141], v1 offset0:83 offset1:84
	s_waitcnt vmcnt(5) lgkmcnt(0)
	v_fma_f64 v[2:3], v[120:121], v[138:139], 0
	s_waitcnt vmcnt(4)
	s_delay_alu instid0(VALU_DEP_1)
	v_fma_f64 v[2:3], v[122:123], v[140:141], v[2:3]
	scratch_load_b128 v[138:141], off, off offset:304
	ds_load_2addr_b64 v[120:123], v1 offset0:85 offset1:86
	s_waitcnt lgkmcnt(0)
	v_fma_f64 v[2:3], v[124:125], v[120:121], v[2:3]
	s_waitcnt vmcnt(4)
	s_delay_alu instid0(VALU_DEP_1)
	v_fma_f64 v[2:3], v[126:127], v[122:123], v[2:3]
	ds_load_2addr_b64 v[120:123], v1 offset0:87 offset1:88
	scratch_load_b128 v[124:127], off, off offset:320
	s_waitcnt lgkmcnt(0)
	v_fma_f64 v[2:3], v[128:129], v[120:121], v[2:3]
	s_waitcnt vmcnt(4)
	s_delay_alu instid0(VALU_DEP_1)
	v_fma_f64 v[2:3], v[130:131], v[122:123], v[2:3]
	scratch_load_b128 v[128:131], off, off offset:336
	ds_load_2addr_b64 v[120:123], v1 offset0:89 offset1:90
	s_waitcnt lgkmcnt(0)
	v_fma_f64 v[2:3], v[132:133], v[120:121], v[2:3]
	s_waitcnt vmcnt(4)
	s_delay_alu instid0(VALU_DEP_1)
	v_fma_f64 v[2:3], v[134:135], v[122:123], v[2:3]
	ds_load_2addr_b64 v[120:123], v1 offset0:91 offset1:92
	scratch_load_b128 v[132:135], off, off offset:352
	s_waitcnt lgkmcnt(0)
	v_fma_f64 v[2:3], v[136:137], v[120:121], v[2:3]
	s_waitcnt vmcnt(4)
	s_delay_alu instid0(VALU_DEP_1)
	v_fma_f64 v[2:3], v[142:143], v[122:123], v[2:3]
	ds_load_2addr_b64 v[120:123], v1 offset0:93 offset1:94
	s_waitcnt lgkmcnt(0)
	v_fma_f64 v[2:3], v[144:145], v[120:121], v[2:3]
	scratch_load_b128 v[142:145], off, off offset:368
	s_waitcnt vmcnt(4)
	v_fma_f64 v[2:3], v[138:139], v[122:123], v[2:3]
	ds_load_2addr_b64 v[120:123], v1 offset0:95 offset1:96
	scratch_load_b128 v[136:139], off, off offset:384
	s_waitcnt lgkmcnt(0)
	v_fma_f64 v[2:3], v[140:141], v[120:121], v[2:3]
	s_waitcnt vmcnt(4)
	s_delay_alu instid0(VALU_DEP_1)
	v_fma_f64 v[2:3], v[124:125], v[122:123], v[2:3]
	ds_load_2addr_b64 v[120:123], v1 offset0:97 offset1:98
	s_waitcnt lgkmcnt(0)
	v_fma_f64 v[2:3], v[126:127], v[120:121], v[2:3]
	scratch_load_b128 v[124:127], off, off offset:400
	s_waitcnt vmcnt(4)
	v_fma_f64 v[2:3], v[128:129], v[122:123], v[2:3]
	ds_load_2addr_b64 v[120:123], v1 offset0:99 offset1:100
	s_waitcnt lgkmcnt(0)
	v_fma_f64 v[2:3], v[130:131], v[120:121], v[2:3]
	scratch_load_b128 v[128:131], off, off offset:416
	s_waitcnt vmcnt(4)
	v_fma_f64 v[2:3], v[132:133], v[122:123], v[2:3]
	ds_load_2addr_b64 v[120:123], v1 offset0:101 offset1:102
	s_waitcnt lgkmcnt(0)
	v_fma_f64 v[2:3], v[134:135], v[120:121], v[2:3]
	scratch_load_b128 v[132:135], off, off offset:432
	s_waitcnt vmcnt(4)
	v_fma_f64 v[2:3], v[142:143], v[122:123], v[2:3]
	ds_load_2addr_b64 v[120:123], v1 offset0:103 offset1:104
	s_waitcnt lgkmcnt(0)
	v_fma_f64 v[2:3], v[144:145], v[120:121], v[2:3]
	s_waitcnt vmcnt(3)
	s_delay_alu instid0(VALU_DEP_1) | instskip(SKIP_4) | instid1(VALU_DEP_1)
	v_fma_f64 v[2:3], v[136:137], v[122:123], v[2:3]
	ds_load_2addr_b64 v[120:123], v1 offset0:105 offset1:106
	s_waitcnt lgkmcnt(0)
	v_fma_f64 v[2:3], v[138:139], v[120:121], v[2:3]
	s_waitcnt vmcnt(2)
	v_fma_f64 v[2:3], v[124:125], v[122:123], v[2:3]
	ds_load_2addr_b64 v[120:123], v1 offset0:107 offset1:108
	s_waitcnt lgkmcnt(0)
	v_fma_f64 v[2:3], v[126:127], v[120:121], v[2:3]
	s_waitcnt vmcnt(1)
	s_delay_alu instid0(VALU_DEP_1)
	v_fma_f64 v[2:3], v[128:129], v[122:123], v[2:3]
	ds_load_2addr_b64 v[120:123], v1 offset0:109 offset1:110
	s_waitcnt lgkmcnt(0)
	v_fma_f64 v[2:3], v[130:131], v[120:121], v[2:3]
	ds_load_b64 v[120:121], v1 offset:888
	s_waitcnt vmcnt(0)
	v_fma_f64 v[2:3], v[132:133], v[122:123], v[2:3]
	s_waitcnt lgkmcnt(0)
	s_delay_alu instid0(VALU_DEP_1) | instskip(NEXT) | instid1(VALU_DEP_1)
	v_fma_f64 v[2:3], v[134:135], v[120:121], v[2:3]
	v_add_f64 v[2:3], v[118:119], -v[2:3]
	scratch_store_b64 off, v[2:3], off offset:208
	v_cmpx_lt_u32_e32 25, v0
	s_cbranch_execz .LBB55_295
; %bb.294:
	scratch_load_b64 v[3:4], off, off offset:200
	v_mov_b32_e32 v2, v1
	scratch_store_b64 off, v[1:2], off offset:200
	s_waitcnt vmcnt(0)
	ds_store_b64 v5, v[3:4]
.LBB55_295:
	s_or_b32 exec_lo, exec_lo, s0
	s_waitcnt lgkmcnt(0)
	s_waitcnt_vscnt null, 0x0
	s_barrier
	buffer_gl0_inv
	s_clause 0x4
	scratch_load_b128 v[118:121], off, off offset:200
	scratch_load_b128 v[122:125], off, off offset:216
	;; [unrolled: 1-line block ×5, first 2 shown]
	ds_load_b128 v[138:141], v1 offset:656
	scratch_load_b128 v[142:145], off, off offset:280
	s_mov_b32 s0, exec_lo
	s_waitcnt vmcnt(5) lgkmcnt(0)
	v_fma_f64 v[2:3], v[120:121], v[138:139], 0
	s_waitcnt vmcnt(4)
	s_delay_alu instid0(VALU_DEP_1)
	v_fma_f64 v[2:3], v[122:123], v[140:141], v[2:3]
	scratch_load_b128 v[138:141], off, off offset:296
	ds_load_b128 v[120:123], v1 offset:672
	s_waitcnt lgkmcnt(0)
	v_fma_f64 v[2:3], v[124:125], v[120:121], v[2:3]
	s_waitcnt vmcnt(4)
	s_delay_alu instid0(VALU_DEP_1)
	v_fma_f64 v[2:3], v[126:127], v[122:123], v[2:3]
	ds_load_b128 v[120:123], v1 offset:688
	scratch_load_b128 v[124:127], off, off offset:312
	s_waitcnt lgkmcnt(0)
	v_fma_f64 v[2:3], v[128:129], v[120:121], v[2:3]
	s_waitcnt vmcnt(4)
	s_delay_alu instid0(VALU_DEP_1)
	v_fma_f64 v[2:3], v[130:131], v[122:123], v[2:3]
	scratch_load_b128 v[128:131], off, off offset:328
	ds_load_b128 v[120:123], v1 offset:704
	s_waitcnt lgkmcnt(0)
	v_fma_f64 v[2:3], v[132:133], v[120:121], v[2:3]
	s_waitcnt vmcnt(4)
	s_delay_alu instid0(VALU_DEP_1)
	v_fma_f64 v[2:3], v[134:135], v[122:123], v[2:3]
	ds_load_b128 v[120:123], v1 offset:720
	scratch_load_b128 v[132:135], off, off offset:344
	s_waitcnt lgkmcnt(0)
	v_fma_f64 v[2:3], v[136:137], v[120:121], v[2:3]
	s_waitcnt vmcnt(4)
	s_delay_alu instid0(VALU_DEP_1)
	v_fma_f64 v[2:3], v[142:143], v[122:123], v[2:3]
	ds_load_b128 v[120:123], v1 offset:736
	s_waitcnt lgkmcnt(0)
	v_fma_f64 v[2:3], v[144:145], v[120:121], v[2:3]
	scratch_load_b128 v[142:145], off, off offset:360
	s_waitcnt vmcnt(4)
	v_fma_f64 v[2:3], v[138:139], v[122:123], v[2:3]
	ds_load_b128 v[120:123], v1 offset:752
	scratch_load_b128 v[136:139], off, off offset:376
	s_waitcnt lgkmcnt(0)
	v_fma_f64 v[2:3], v[140:141], v[120:121], v[2:3]
	scratch_load_b64 v[140:141], off, off offset:440
	s_waitcnt vmcnt(5)
	v_fma_f64 v[2:3], v[124:125], v[122:123], v[2:3]
	ds_load_b128 v[120:123], v1 offset:768
	s_waitcnt lgkmcnt(0)
	v_fma_f64 v[2:3], v[126:127], v[120:121], v[2:3]
	scratch_load_b128 v[124:127], off, off offset:392
	s_waitcnt vmcnt(5)
	v_fma_f64 v[2:3], v[128:129], v[122:123], v[2:3]
	ds_load_b128 v[120:123], v1 offset:784
	s_waitcnt lgkmcnt(0)
	v_fma_f64 v[2:3], v[130:131], v[120:121], v[2:3]
	scratch_load_b128 v[128:131], off, off offset:408
	;; [unrolled: 6-line block ×3, first 2 shown]
	s_waitcnt vmcnt(5)
	v_fma_f64 v[2:3], v[142:143], v[122:123], v[2:3]
	ds_load_b128 v[120:123], v1 offset:816
	s_waitcnt lgkmcnt(0)
	v_fma_f64 v[2:3], v[144:145], v[120:121], v[2:3]
	s_waitcnt vmcnt(4)
	s_delay_alu instid0(VALU_DEP_1) | instskip(SKIP_4) | instid1(VALU_DEP_1)
	v_fma_f64 v[2:3], v[136:137], v[122:123], v[2:3]
	ds_load_b128 v[120:123], v1 offset:832
	s_waitcnt lgkmcnt(0)
	v_fma_f64 v[2:3], v[138:139], v[120:121], v[2:3]
	s_waitcnt vmcnt(2)
	v_fma_f64 v[2:3], v[124:125], v[122:123], v[2:3]
	ds_load_b128 v[120:123], v1 offset:848
	s_waitcnt lgkmcnt(0)
	v_fma_f64 v[2:3], v[126:127], v[120:121], v[2:3]
	s_waitcnt vmcnt(1)
	s_delay_alu instid0(VALU_DEP_1) | instskip(SKIP_4) | instid1(VALU_DEP_1)
	v_fma_f64 v[2:3], v[128:129], v[122:123], v[2:3]
	ds_load_b128 v[120:123], v1 offset:864
	s_waitcnt lgkmcnt(0)
	v_fma_f64 v[2:3], v[130:131], v[120:121], v[2:3]
	s_waitcnt vmcnt(0)
	v_fma_f64 v[120:121], v[132:133], v[122:123], v[2:3]
	ds_load_b128 v[1:4], v1 offset:880
	s_waitcnt lgkmcnt(0)
	v_fma_f64 v[1:2], v[134:135], v[1:2], v[120:121]
	s_delay_alu instid0(VALU_DEP_1) | instskip(NEXT) | instid1(VALU_DEP_1)
	v_fma_f64 v[1:2], v[140:141], v[3:4], v[1:2]
	v_add_f64 v[1:2], v[118:119], -v[1:2]
	scratch_store_b64 off, v[1:2], off offset:200
	v_cmpx_lt_u32_e32 24, v0
	s_cbranch_execz .LBB55_297
; %bb.296:
	scratch_load_b64 v[1:2], off, off offset:192
	v_mov_b32_e32 v3, 0
	s_delay_alu instid0(VALU_DEP_1)
	v_mov_b32_e32 v4, v3
	scratch_store_b64 off, v[3:4], off offset:192
	s_waitcnt vmcnt(0)
	ds_store_b64 v5, v[1:2]
.LBB55_297:
	s_or_b32 exec_lo, exec_lo, s0
	s_waitcnt lgkmcnt(0)
	s_waitcnt_vscnt null, 0x0
	s_barrier
	buffer_gl0_inv
	s_clause 0x4
	scratch_load_b128 v[118:121], off, off offset:192
	scratch_load_b128 v[122:125], off, off offset:208
	;; [unrolled: 1-line block ×5, first 2 shown]
	v_mov_b32_e32 v1, 0
	scratch_load_b128 v[142:145], off, off offset:272
	s_mov_b32 s0, exec_lo
	ds_load_2addr_b64 v[138:141], v1 offset0:81 offset1:82
	s_waitcnt vmcnt(5) lgkmcnt(0)
	v_fma_f64 v[2:3], v[120:121], v[138:139], 0
	s_waitcnt vmcnt(4)
	s_delay_alu instid0(VALU_DEP_1)
	v_fma_f64 v[2:3], v[122:123], v[140:141], v[2:3]
	scratch_load_b128 v[138:141], off, off offset:288
	ds_load_2addr_b64 v[120:123], v1 offset0:83 offset1:84
	s_waitcnt lgkmcnt(0)
	v_fma_f64 v[2:3], v[124:125], v[120:121], v[2:3]
	s_waitcnt vmcnt(4)
	s_delay_alu instid0(VALU_DEP_1)
	v_fma_f64 v[2:3], v[126:127], v[122:123], v[2:3]
	ds_load_2addr_b64 v[120:123], v1 offset0:85 offset1:86
	scratch_load_b128 v[124:127], off, off offset:304
	s_waitcnt lgkmcnt(0)
	v_fma_f64 v[2:3], v[128:129], v[120:121], v[2:3]
	s_waitcnt vmcnt(4)
	s_delay_alu instid0(VALU_DEP_1)
	v_fma_f64 v[2:3], v[130:131], v[122:123], v[2:3]
	scratch_load_b128 v[128:131], off, off offset:320
	ds_load_2addr_b64 v[120:123], v1 offset0:87 offset1:88
	s_waitcnt lgkmcnt(0)
	v_fma_f64 v[2:3], v[132:133], v[120:121], v[2:3]
	s_waitcnt vmcnt(4)
	s_delay_alu instid0(VALU_DEP_1)
	v_fma_f64 v[2:3], v[134:135], v[122:123], v[2:3]
	ds_load_2addr_b64 v[120:123], v1 offset0:89 offset1:90
	scratch_load_b128 v[132:135], off, off offset:336
	s_waitcnt lgkmcnt(0)
	v_fma_f64 v[2:3], v[136:137], v[120:121], v[2:3]
	s_waitcnt vmcnt(4)
	s_delay_alu instid0(VALU_DEP_1)
	v_fma_f64 v[2:3], v[142:143], v[122:123], v[2:3]
	ds_load_2addr_b64 v[120:123], v1 offset0:91 offset1:92
	s_waitcnt lgkmcnt(0)
	v_fma_f64 v[2:3], v[144:145], v[120:121], v[2:3]
	scratch_load_b128 v[142:145], off, off offset:352
	s_waitcnt vmcnt(4)
	v_fma_f64 v[2:3], v[138:139], v[122:123], v[2:3]
	ds_load_2addr_b64 v[120:123], v1 offset0:93 offset1:94
	scratch_load_b128 v[136:139], off, off offset:368
	s_waitcnt lgkmcnt(0)
	v_fma_f64 v[2:3], v[140:141], v[120:121], v[2:3]
	s_waitcnt vmcnt(4)
	s_delay_alu instid0(VALU_DEP_1)
	v_fma_f64 v[2:3], v[124:125], v[122:123], v[2:3]
	ds_load_2addr_b64 v[120:123], v1 offset0:95 offset1:96
	s_waitcnt lgkmcnt(0)
	v_fma_f64 v[2:3], v[126:127], v[120:121], v[2:3]
	scratch_load_b128 v[124:127], off, off offset:384
	s_waitcnt vmcnt(4)
	v_fma_f64 v[2:3], v[128:129], v[122:123], v[2:3]
	ds_load_2addr_b64 v[120:123], v1 offset0:97 offset1:98
	s_waitcnt lgkmcnt(0)
	v_fma_f64 v[2:3], v[130:131], v[120:121], v[2:3]
	scratch_load_b128 v[128:131], off, off offset:400
	s_waitcnt vmcnt(4)
	;; [unrolled: 6-line block ×3, first 2 shown]
	v_fma_f64 v[2:3], v[142:143], v[122:123], v[2:3]
	ds_load_2addr_b64 v[120:123], v1 offset0:101 offset1:102
	scratch_load_b128 v[140:143], off, off offset:432
	s_waitcnt lgkmcnt(0)
	v_fma_f64 v[2:3], v[144:145], v[120:121], v[2:3]
	s_waitcnt vmcnt(4)
	s_delay_alu instid0(VALU_DEP_1) | instskip(SKIP_4) | instid1(VALU_DEP_1)
	v_fma_f64 v[2:3], v[136:137], v[122:123], v[2:3]
	ds_load_2addr_b64 v[120:123], v1 offset0:103 offset1:104
	s_waitcnt lgkmcnt(0)
	v_fma_f64 v[2:3], v[138:139], v[120:121], v[2:3]
	s_waitcnt vmcnt(3)
	v_fma_f64 v[2:3], v[124:125], v[122:123], v[2:3]
	ds_load_2addr_b64 v[120:123], v1 offset0:105 offset1:106
	s_waitcnt lgkmcnt(0)
	v_fma_f64 v[2:3], v[126:127], v[120:121], v[2:3]
	s_waitcnt vmcnt(2)
	s_delay_alu instid0(VALU_DEP_1) | instskip(SKIP_4) | instid1(VALU_DEP_1)
	v_fma_f64 v[2:3], v[128:129], v[122:123], v[2:3]
	ds_load_2addr_b64 v[120:123], v1 offset0:107 offset1:108
	s_waitcnt lgkmcnt(0)
	v_fma_f64 v[2:3], v[130:131], v[120:121], v[2:3]
	s_waitcnt vmcnt(1)
	v_fma_f64 v[2:3], v[132:133], v[122:123], v[2:3]
	ds_load_2addr_b64 v[120:123], v1 offset0:109 offset1:110
	s_waitcnt lgkmcnt(0)
	v_fma_f64 v[2:3], v[134:135], v[120:121], v[2:3]
	ds_load_b64 v[120:121], v1 offset:888
	s_waitcnt vmcnt(0)
	v_fma_f64 v[2:3], v[140:141], v[122:123], v[2:3]
	s_waitcnt lgkmcnt(0)
	s_delay_alu instid0(VALU_DEP_1) | instskip(NEXT) | instid1(VALU_DEP_1)
	v_fma_f64 v[2:3], v[142:143], v[120:121], v[2:3]
	v_add_f64 v[2:3], v[118:119], -v[2:3]
	scratch_store_b64 off, v[2:3], off offset:192
	v_cmpx_lt_u32_e32 23, v0
	s_cbranch_execz .LBB55_299
; %bb.298:
	scratch_load_b64 v[3:4], off, off offset:184
	v_mov_b32_e32 v2, v1
	scratch_store_b64 off, v[1:2], off offset:184
	s_waitcnt vmcnt(0)
	ds_store_b64 v5, v[3:4]
.LBB55_299:
	s_or_b32 exec_lo, exec_lo, s0
	s_waitcnt lgkmcnt(0)
	s_waitcnt_vscnt null, 0x0
	s_barrier
	buffer_gl0_inv
	s_clause 0x4
	scratch_load_b128 v[118:121], off, off offset:184
	scratch_load_b128 v[122:125], off, off offset:200
	;; [unrolled: 1-line block ×5, first 2 shown]
	ds_load_b128 v[138:141], v1 offset:640
	scratch_load_b128 v[142:145], off, off offset:264
	s_mov_b32 s0, exec_lo
	s_waitcnt vmcnt(5) lgkmcnt(0)
	v_fma_f64 v[2:3], v[120:121], v[138:139], 0
	s_waitcnt vmcnt(4)
	s_delay_alu instid0(VALU_DEP_1)
	v_fma_f64 v[2:3], v[122:123], v[140:141], v[2:3]
	scratch_load_b128 v[138:141], off, off offset:280
	ds_load_b128 v[120:123], v1 offset:656
	s_waitcnt lgkmcnt(0)
	v_fma_f64 v[2:3], v[124:125], v[120:121], v[2:3]
	s_waitcnt vmcnt(4)
	s_delay_alu instid0(VALU_DEP_1)
	v_fma_f64 v[2:3], v[126:127], v[122:123], v[2:3]
	ds_load_b128 v[120:123], v1 offset:672
	scratch_load_b128 v[124:127], off, off offset:296
	s_waitcnt lgkmcnt(0)
	v_fma_f64 v[2:3], v[128:129], v[120:121], v[2:3]
	s_waitcnt vmcnt(4)
	s_delay_alu instid0(VALU_DEP_1)
	v_fma_f64 v[2:3], v[130:131], v[122:123], v[2:3]
	scratch_load_b128 v[128:131], off, off offset:312
	ds_load_b128 v[120:123], v1 offset:688
	s_waitcnt lgkmcnt(0)
	v_fma_f64 v[2:3], v[132:133], v[120:121], v[2:3]
	s_waitcnt vmcnt(4)
	s_delay_alu instid0(VALU_DEP_1)
	v_fma_f64 v[2:3], v[134:135], v[122:123], v[2:3]
	ds_load_b128 v[120:123], v1 offset:704
	scratch_load_b128 v[132:135], off, off offset:328
	s_waitcnt lgkmcnt(0)
	v_fma_f64 v[2:3], v[136:137], v[120:121], v[2:3]
	s_waitcnt vmcnt(4)
	s_delay_alu instid0(VALU_DEP_1)
	v_fma_f64 v[2:3], v[142:143], v[122:123], v[2:3]
	ds_load_b128 v[120:123], v1 offset:720
	s_waitcnt lgkmcnt(0)
	v_fma_f64 v[2:3], v[144:145], v[120:121], v[2:3]
	scratch_load_b128 v[142:145], off, off offset:344
	s_waitcnt vmcnt(4)
	v_fma_f64 v[2:3], v[138:139], v[122:123], v[2:3]
	ds_load_b128 v[120:123], v1 offset:736
	scratch_load_b128 v[136:139], off, off offset:360
	s_waitcnt lgkmcnt(0)
	v_fma_f64 v[2:3], v[140:141], v[120:121], v[2:3]
	s_waitcnt vmcnt(4)
	s_delay_alu instid0(VALU_DEP_1)
	v_fma_f64 v[2:3], v[124:125], v[122:123], v[2:3]
	ds_load_b128 v[120:123], v1 offset:752
	s_waitcnt lgkmcnt(0)
	v_fma_f64 v[2:3], v[126:127], v[120:121], v[2:3]
	scratch_load_b128 v[124:127], off, off offset:376
	s_waitcnt vmcnt(4)
	v_fma_f64 v[2:3], v[128:129], v[122:123], v[2:3]
	ds_load_b128 v[120:123], v1 offset:768
	s_waitcnt lgkmcnt(0)
	v_fma_f64 v[2:3], v[130:131], v[120:121], v[2:3]
	scratch_load_b128 v[128:131], off, off offset:392
	s_waitcnt vmcnt(4)
	;; [unrolled: 6-line block ×3, first 2 shown]
	v_fma_f64 v[2:3], v[142:143], v[122:123], v[2:3]
	ds_load_b128 v[120:123], v1 offset:800
	scratch_load_b128 v[140:143], off, off offset:424
	s_waitcnt lgkmcnt(0)
	v_fma_f64 v[2:3], v[144:145], v[120:121], v[2:3]
	s_waitcnt vmcnt(4)
	s_delay_alu instid0(VALU_DEP_1)
	v_fma_f64 v[2:3], v[136:137], v[122:123], v[2:3]
	scratch_load_b64 v[136:137], off, off offset:440
	ds_load_b128 v[120:123], v1 offset:816
	s_waitcnt lgkmcnt(0)
	v_fma_f64 v[2:3], v[138:139], v[120:121], v[2:3]
	s_waitcnt vmcnt(4)
	s_delay_alu instid0(VALU_DEP_1) | instskip(SKIP_4) | instid1(VALU_DEP_1)
	v_fma_f64 v[2:3], v[124:125], v[122:123], v[2:3]
	ds_load_b128 v[120:123], v1 offset:832
	s_waitcnt lgkmcnt(0)
	v_fma_f64 v[2:3], v[126:127], v[120:121], v[2:3]
	s_waitcnt vmcnt(3)
	v_fma_f64 v[2:3], v[128:129], v[122:123], v[2:3]
	ds_load_b128 v[120:123], v1 offset:848
	s_waitcnt lgkmcnt(0)
	v_fma_f64 v[2:3], v[130:131], v[120:121], v[2:3]
	s_waitcnt vmcnt(2)
	s_delay_alu instid0(VALU_DEP_1) | instskip(SKIP_4) | instid1(VALU_DEP_1)
	v_fma_f64 v[2:3], v[132:133], v[122:123], v[2:3]
	ds_load_b128 v[120:123], v1 offset:864
	s_waitcnt lgkmcnt(0)
	v_fma_f64 v[2:3], v[134:135], v[120:121], v[2:3]
	s_waitcnt vmcnt(1)
	v_fma_f64 v[120:121], v[140:141], v[122:123], v[2:3]
	ds_load_b128 v[1:4], v1 offset:880
	s_waitcnt lgkmcnt(0)
	v_fma_f64 v[1:2], v[142:143], v[1:2], v[120:121]
	s_waitcnt vmcnt(0)
	s_delay_alu instid0(VALU_DEP_1) | instskip(NEXT) | instid1(VALU_DEP_1)
	v_fma_f64 v[1:2], v[136:137], v[3:4], v[1:2]
	v_add_f64 v[1:2], v[118:119], -v[1:2]
	scratch_store_b64 off, v[1:2], off offset:184
	v_cmpx_lt_u32_e32 22, v0
	s_cbranch_execz .LBB55_301
; %bb.300:
	scratch_load_b64 v[1:2], off, off offset:176
	v_mov_b32_e32 v3, 0
	s_delay_alu instid0(VALU_DEP_1)
	v_mov_b32_e32 v4, v3
	scratch_store_b64 off, v[3:4], off offset:176
	s_waitcnt vmcnt(0)
	ds_store_b64 v5, v[1:2]
.LBB55_301:
	s_or_b32 exec_lo, exec_lo, s0
	s_waitcnt lgkmcnt(0)
	s_waitcnt_vscnt null, 0x0
	s_barrier
	buffer_gl0_inv
	s_clause 0x4
	scratch_load_b128 v[118:121], off, off offset:176
	scratch_load_b128 v[122:125], off, off offset:192
	;; [unrolled: 1-line block ×5, first 2 shown]
	v_mov_b32_e32 v1, 0
	scratch_load_b128 v[142:145], off, off offset:256
	s_mov_b32 s0, exec_lo
	ds_load_2addr_b64 v[138:141], v1 offset0:79 offset1:80
	s_waitcnt vmcnt(5) lgkmcnt(0)
	v_fma_f64 v[2:3], v[120:121], v[138:139], 0
	s_waitcnt vmcnt(4)
	s_delay_alu instid0(VALU_DEP_1)
	v_fma_f64 v[2:3], v[122:123], v[140:141], v[2:3]
	scratch_load_b128 v[138:141], off, off offset:272
	ds_load_2addr_b64 v[120:123], v1 offset0:81 offset1:82
	s_waitcnt lgkmcnt(0)
	v_fma_f64 v[2:3], v[124:125], v[120:121], v[2:3]
	s_waitcnt vmcnt(4)
	s_delay_alu instid0(VALU_DEP_1)
	v_fma_f64 v[2:3], v[126:127], v[122:123], v[2:3]
	ds_load_2addr_b64 v[120:123], v1 offset0:83 offset1:84
	scratch_load_b128 v[124:127], off, off offset:288
	s_waitcnt lgkmcnt(0)
	v_fma_f64 v[2:3], v[128:129], v[120:121], v[2:3]
	s_waitcnt vmcnt(4)
	s_delay_alu instid0(VALU_DEP_1)
	v_fma_f64 v[2:3], v[130:131], v[122:123], v[2:3]
	scratch_load_b128 v[128:131], off, off offset:304
	ds_load_2addr_b64 v[120:123], v1 offset0:85 offset1:86
	s_waitcnt lgkmcnt(0)
	v_fma_f64 v[2:3], v[132:133], v[120:121], v[2:3]
	s_waitcnt vmcnt(4)
	s_delay_alu instid0(VALU_DEP_1)
	v_fma_f64 v[2:3], v[134:135], v[122:123], v[2:3]
	ds_load_2addr_b64 v[120:123], v1 offset0:87 offset1:88
	scratch_load_b128 v[132:135], off, off offset:320
	s_waitcnt lgkmcnt(0)
	v_fma_f64 v[2:3], v[136:137], v[120:121], v[2:3]
	s_waitcnt vmcnt(4)
	s_delay_alu instid0(VALU_DEP_1)
	v_fma_f64 v[2:3], v[142:143], v[122:123], v[2:3]
	ds_load_2addr_b64 v[120:123], v1 offset0:89 offset1:90
	s_waitcnt lgkmcnt(0)
	v_fma_f64 v[2:3], v[144:145], v[120:121], v[2:3]
	scratch_load_b128 v[142:145], off, off offset:336
	s_waitcnt vmcnt(4)
	v_fma_f64 v[2:3], v[138:139], v[122:123], v[2:3]
	ds_load_2addr_b64 v[120:123], v1 offset0:91 offset1:92
	scratch_load_b128 v[136:139], off, off offset:352
	s_waitcnt lgkmcnt(0)
	v_fma_f64 v[2:3], v[140:141], v[120:121], v[2:3]
	s_waitcnt vmcnt(4)
	s_delay_alu instid0(VALU_DEP_1)
	v_fma_f64 v[2:3], v[124:125], v[122:123], v[2:3]
	ds_load_2addr_b64 v[120:123], v1 offset0:93 offset1:94
	s_waitcnt lgkmcnt(0)
	v_fma_f64 v[2:3], v[126:127], v[120:121], v[2:3]
	scratch_load_b128 v[124:127], off, off offset:368
	s_waitcnt vmcnt(4)
	v_fma_f64 v[2:3], v[128:129], v[122:123], v[2:3]
	ds_load_2addr_b64 v[120:123], v1 offset0:95 offset1:96
	s_waitcnt lgkmcnt(0)
	v_fma_f64 v[2:3], v[130:131], v[120:121], v[2:3]
	scratch_load_b128 v[128:131], off, off offset:384
	s_waitcnt vmcnt(4)
	;; [unrolled: 6-line block ×3, first 2 shown]
	v_fma_f64 v[2:3], v[142:143], v[122:123], v[2:3]
	ds_load_2addr_b64 v[120:123], v1 offset0:99 offset1:100
	scratch_load_b128 v[140:143], off, off offset:416
	s_waitcnt lgkmcnt(0)
	v_fma_f64 v[2:3], v[144:145], v[120:121], v[2:3]
	s_waitcnt vmcnt(4)
	s_delay_alu instid0(VALU_DEP_1)
	v_fma_f64 v[2:3], v[136:137], v[122:123], v[2:3]
	ds_load_2addr_b64 v[120:123], v1 offset0:101 offset1:102
	s_waitcnt lgkmcnt(0)
	v_fma_f64 v[2:3], v[138:139], v[120:121], v[2:3]
	scratch_load_b128 v[136:139], off, off offset:432
	s_waitcnt vmcnt(4)
	v_fma_f64 v[2:3], v[124:125], v[122:123], v[2:3]
	ds_load_2addr_b64 v[120:123], v1 offset0:103 offset1:104
	s_waitcnt lgkmcnt(0)
	v_fma_f64 v[2:3], v[126:127], v[120:121], v[2:3]
	s_waitcnt vmcnt(3)
	s_delay_alu instid0(VALU_DEP_1) | instskip(SKIP_4) | instid1(VALU_DEP_1)
	v_fma_f64 v[2:3], v[128:129], v[122:123], v[2:3]
	ds_load_2addr_b64 v[120:123], v1 offset0:105 offset1:106
	s_waitcnt lgkmcnt(0)
	v_fma_f64 v[2:3], v[130:131], v[120:121], v[2:3]
	s_waitcnt vmcnt(2)
	v_fma_f64 v[2:3], v[132:133], v[122:123], v[2:3]
	ds_load_2addr_b64 v[120:123], v1 offset0:107 offset1:108
	s_waitcnt lgkmcnt(0)
	v_fma_f64 v[2:3], v[134:135], v[120:121], v[2:3]
	s_waitcnt vmcnt(1)
	s_delay_alu instid0(VALU_DEP_1)
	v_fma_f64 v[2:3], v[140:141], v[122:123], v[2:3]
	ds_load_2addr_b64 v[120:123], v1 offset0:109 offset1:110
	s_waitcnt lgkmcnt(0)
	v_fma_f64 v[2:3], v[142:143], v[120:121], v[2:3]
	ds_load_b64 v[120:121], v1 offset:888
	s_waitcnt vmcnt(0)
	v_fma_f64 v[2:3], v[136:137], v[122:123], v[2:3]
	s_waitcnt lgkmcnt(0)
	s_delay_alu instid0(VALU_DEP_1) | instskip(NEXT) | instid1(VALU_DEP_1)
	v_fma_f64 v[2:3], v[138:139], v[120:121], v[2:3]
	v_add_f64 v[2:3], v[118:119], -v[2:3]
	scratch_store_b64 off, v[2:3], off offset:176
	v_cmpx_lt_u32_e32 21, v0
	s_cbranch_execz .LBB55_303
; %bb.302:
	scratch_load_b64 v[3:4], off, off offset:168
	v_mov_b32_e32 v2, v1
	scratch_store_b64 off, v[1:2], off offset:168
	s_waitcnt vmcnt(0)
	ds_store_b64 v5, v[3:4]
.LBB55_303:
	s_or_b32 exec_lo, exec_lo, s0
	s_waitcnt lgkmcnt(0)
	s_waitcnt_vscnt null, 0x0
	s_barrier
	buffer_gl0_inv
	s_clause 0x4
	scratch_load_b128 v[118:121], off, off offset:168
	scratch_load_b128 v[122:125], off, off offset:184
	;; [unrolled: 1-line block ×5, first 2 shown]
	ds_load_b128 v[138:141], v1 offset:624
	scratch_load_b128 v[142:145], off, off offset:248
	s_mov_b32 s0, exec_lo
	s_waitcnt vmcnt(5) lgkmcnt(0)
	v_fma_f64 v[2:3], v[120:121], v[138:139], 0
	s_waitcnt vmcnt(4)
	s_delay_alu instid0(VALU_DEP_1)
	v_fma_f64 v[2:3], v[122:123], v[140:141], v[2:3]
	scratch_load_b128 v[138:141], off, off offset:264
	ds_load_b128 v[120:123], v1 offset:640
	s_waitcnt lgkmcnt(0)
	v_fma_f64 v[2:3], v[124:125], v[120:121], v[2:3]
	s_waitcnt vmcnt(4)
	s_delay_alu instid0(VALU_DEP_1)
	v_fma_f64 v[2:3], v[126:127], v[122:123], v[2:3]
	ds_load_b128 v[120:123], v1 offset:656
	scratch_load_b128 v[124:127], off, off offset:280
	s_waitcnt lgkmcnt(0)
	v_fma_f64 v[2:3], v[128:129], v[120:121], v[2:3]
	s_waitcnt vmcnt(4)
	s_delay_alu instid0(VALU_DEP_1)
	v_fma_f64 v[2:3], v[130:131], v[122:123], v[2:3]
	scratch_load_b128 v[128:131], off, off offset:296
	ds_load_b128 v[120:123], v1 offset:672
	s_waitcnt lgkmcnt(0)
	v_fma_f64 v[2:3], v[132:133], v[120:121], v[2:3]
	s_waitcnt vmcnt(4)
	s_delay_alu instid0(VALU_DEP_1)
	v_fma_f64 v[2:3], v[134:135], v[122:123], v[2:3]
	ds_load_b128 v[120:123], v1 offset:688
	scratch_load_b128 v[132:135], off, off offset:312
	s_waitcnt lgkmcnt(0)
	v_fma_f64 v[2:3], v[136:137], v[120:121], v[2:3]
	s_waitcnt vmcnt(4)
	s_delay_alu instid0(VALU_DEP_1)
	v_fma_f64 v[2:3], v[142:143], v[122:123], v[2:3]
	ds_load_b128 v[120:123], v1 offset:704
	s_waitcnt lgkmcnt(0)
	v_fma_f64 v[2:3], v[144:145], v[120:121], v[2:3]
	scratch_load_b128 v[142:145], off, off offset:328
	s_waitcnt vmcnt(4)
	v_fma_f64 v[2:3], v[138:139], v[122:123], v[2:3]
	ds_load_b128 v[120:123], v1 offset:720
	scratch_load_b128 v[136:139], off, off offset:344
	s_waitcnt lgkmcnt(0)
	v_fma_f64 v[2:3], v[140:141], v[120:121], v[2:3]
	s_waitcnt vmcnt(4)
	s_delay_alu instid0(VALU_DEP_1)
	v_fma_f64 v[2:3], v[124:125], v[122:123], v[2:3]
	ds_load_b128 v[120:123], v1 offset:736
	s_waitcnt lgkmcnt(0)
	v_fma_f64 v[2:3], v[126:127], v[120:121], v[2:3]
	scratch_load_b128 v[124:127], off, off offset:360
	s_waitcnt vmcnt(4)
	v_fma_f64 v[2:3], v[128:129], v[122:123], v[2:3]
	ds_load_b128 v[120:123], v1 offset:752
	s_waitcnt lgkmcnt(0)
	v_fma_f64 v[2:3], v[130:131], v[120:121], v[2:3]
	scratch_load_b128 v[128:131], off, off offset:376
	s_waitcnt vmcnt(4)
	;; [unrolled: 6-line block ×3, first 2 shown]
	v_fma_f64 v[2:3], v[142:143], v[122:123], v[2:3]
	ds_load_b128 v[120:123], v1 offset:784
	scratch_load_b128 v[140:143], off, off offset:408
	s_waitcnt lgkmcnt(0)
	v_fma_f64 v[2:3], v[144:145], v[120:121], v[2:3]
	s_waitcnt vmcnt(4)
	s_delay_alu instid0(VALU_DEP_1)
	v_fma_f64 v[2:3], v[136:137], v[122:123], v[2:3]
	ds_load_b128 v[120:123], v1 offset:800
	s_waitcnt lgkmcnt(0)
	v_fma_f64 v[2:3], v[138:139], v[120:121], v[2:3]
	scratch_load_b128 v[136:139], off, off offset:424
	s_waitcnt vmcnt(4)
	v_fma_f64 v[2:3], v[124:125], v[122:123], v[2:3]
	ds_load_b128 v[120:123], v1 offset:816
	scratch_load_b64 v[124:125], off, off offset:440
	s_waitcnt lgkmcnt(0)
	v_fma_f64 v[2:3], v[126:127], v[120:121], v[2:3]
	s_waitcnt vmcnt(4)
	s_delay_alu instid0(VALU_DEP_1) | instskip(SKIP_4) | instid1(VALU_DEP_1)
	v_fma_f64 v[2:3], v[128:129], v[122:123], v[2:3]
	ds_load_b128 v[120:123], v1 offset:832
	s_waitcnt lgkmcnt(0)
	v_fma_f64 v[2:3], v[130:131], v[120:121], v[2:3]
	s_waitcnt vmcnt(3)
	v_fma_f64 v[2:3], v[132:133], v[122:123], v[2:3]
	ds_load_b128 v[120:123], v1 offset:848
	s_waitcnt lgkmcnt(0)
	v_fma_f64 v[2:3], v[134:135], v[120:121], v[2:3]
	s_waitcnt vmcnt(2)
	s_delay_alu instid0(VALU_DEP_1) | instskip(SKIP_4) | instid1(VALU_DEP_1)
	v_fma_f64 v[2:3], v[140:141], v[122:123], v[2:3]
	ds_load_b128 v[120:123], v1 offset:864
	s_waitcnt lgkmcnt(0)
	v_fma_f64 v[2:3], v[142:143], v[120:121], v[2:3]
	s_waitcnt vmcnt(1)
	v_fma_f64 v[120:121], v[136:137], v[122:123], v[2:3]
	ds_load_b128 v[1:4], v1 offset:880
	s_waitcnt lgkmcnt(0)
	v_fma_f64 v[1:2], v[138:139], v[1:2], v[120:121]
	s_waitcnt vmcnt(0)
	s_delay_alu instid0(VALU_DEP_1) | instskip(NEXT) | instid1(VALU_DEP_1)
	v_fma_f64 v[1:2], v[124:125], v[3:4], v[1:2]
	v_add_f64 v[1:2], v[118:119], -v[1:2]
	scratch_store_b64 off, v[1:2], off offset:168
	v_cmpx_lt_u32_e32 20, v0
	s_cbranch_execz .LBB55_305
; %bb.304:
	scratch_load_b64 v[1:2], off, off offset:160
	v_mov_b32_e32 v3, 0
	s_delay_alu instid0(VALU_DEP_1)
	v_mov_b32_e32 v4, v3
	scratch_store_b64 off, v[3:4], off offset:160
	s_waitcnt vmcnt(0)
	ds_store_b64 v5, v[1:2]
.LBB55_305:
	s_or_b32 exec_lo, exec_lo, s0
	s_waitcnt lgkmcnt(0)
	s_waitcnt_vscnt null, 0x0
	s_barrier
	buffer_gl0_inv
	s_clause 0x4
	scratch_load_b128 v[118:121], off, off offset:160
	scratch_load_b128 v[122:125], off, off offset:176
	scratch_load_b128 v[126:129], off, off offset:192
	scratch_load_b128 v[130:133], off, off offset:208
	scratch_load_b128 v[134:137], off, off offset:224
	v_mov_b32_e32 v1, 0
	scratch_load_b128 v[142:145], off, off offset:240
	s_mov_b32 s0, exec_lo
	ds_load_2addr_b64 v[138:141], v1 offset0:77 offset1:78
	s_waitcnt vmcnt(5) lgkmcnt(0)
	v_fma_f64 v[2:3], v[120:121], v[138:139], 0
	s_waitcnt vmcnt(4)
	s_delay_alu instid0(VALU_DEP_1)
	v_fma_f64 v[2:3], v[122:123], v[140:141], v[2:3]
	scratch_load_b128 v[138:141], off, off offset:256
	ds_load_2addr_b64 v[120:123], v1 offset0:79 offset1:80
	s_waitcnt lgkmcnt(0)
	v_fma_f64 v[2:3], v[124:125], v[120:121], v[2:3]
	s_waitcnt vmcnt(4)
	s_delay_alu instid0(VALU_DEP_1)
	v_fma_f64 v[2:3], v[126:127], v[122:123], v[2:3]
	ds_load_2addr_b64 v[120:123], v1 offset0:81 offset1:82
	scratch_load_b128 v[124:127], off, off offset:272
	s_waitcnt lgkmcnt(0)
	v_fma_f64 v[2:3], v[128:129], v[120:121], v[2:3]
	s_waitcnt vmcnt(4)
	s_delay_alu instid0(VALU_DEP_1)
	v_fma_f64 v[2:3], v[130:131], v[122:123], v[2:3]
	scratch_load_b128 v[128:131], off, off offset:288
	ds_load_2addr_b64 v[120:123], v1 offset0:83 offset1:84
	s_waitcnt lgkmcnt(0)
	v_fma_f64 v[2:3], v[132:133], v[120:121], v[2:3]
	s_waitcnt vmcnt(4)
	s_delay_alu instid0(VALU_DEP_1)
	v_fma_f64 v[2:3], v[134:135], v[122:123], v[2:3]
	ds_load_2addr_b64 v[120:123], v1 offset0:85 offset1:86
	scratch_load_b128 v[132:135], off, off offset:304
	s_waitcnt lgkmcnt(0)
	v_fma_f64 v[2:3], v[136:137], v[120:121], v[2:3]
	s_waitcnt vmcnt(4)
	s_delay_alu instid0(VALU_DEP_1)
	v_fma_f64 v[2:3], v[142:143], v[122:123], v[2:3]
	ds_load_2addr_b64 v[120:123], v1 offset0:87 offset1:88
	s_waitcnt lgkmcnt(0)
	v_fma_f64 v[2:3], v[144:145], v[120:121], v[2:3]
	scratch_load_b128 v[142:145], off, off offset:320
	s_waitcnt vmcnt(4)
	v_fma_f64 v[2:3], v[138:139], v[122:123], v[2:3]
	ds_load_2addr_b64 v[120:123], v1 offset0:89 offset1:90
	scratch_load_b128 v[136:139], off, off offset:336
	s_waitcnt lgkmcnt(0)
	v_fma_f64 v[2:3], v[140:141], v[120:121], v[2:3]
	s_waitcnt vmcnt(4)
	s_delay_alu instid0(VALU_DEP_1)
	v_fma_f64 v[2:3], v[124:125], v[122:123], v[2:3]
	ds_load_2addr_b64 v[120:123], v1 offset0:91 offset1:92
	s_waitcnt lgkmcnt(0)
	v_fma_f64 v[2:3], v[126:127], v[120:121], v[2:3]
	scratch_load_b128 v[124:127], off, off offset:352
	s_waitcnt vmcnt(4)
	v_fma_f64 v[2:3], v[128:129], v[122:123], v[2:3]
	ds_load_2addr_b64 v[120:123], v1 offset0:93 offset1:94
	s_waitcnt lgkmcnt(0)
	v_fma_f64 v[2:3], v[130:131], v[120:121], v[2:3]
	scratch_load_b128 v[128:131], off, off offset:368
	s_waitcnt vmcnt(4)
	;; [unrolled: 6-line block ×3, first 2 shown]
	v_fma_f64 v[2:3], v[142:143], v[122:123], v[2:3]
	ds_load_2addr_b64 v[120:123], v1 offset0:97 offset1:98
	scratch_load_b128 v[140:143], off, off offset:400
	s_waitcnt lgkmcnt(0)
	v_fma_f64 v[2:3], v[144:145], v[120:121], v[2:3]
	s_waitcnt vmcnt(4)
	s_delay_alu instid0(VALU_DEP_1)
	v_fma_f64 v[2:3], v[136:137], v[122:123], v[2:3]
	ds_load_2addr_b64 v[120:123], v1 offset0:99 offset1:100
	s_waitcnt lgkmcnt(0)
	v_fma_f64 v[2:3], v[138:139], v[120:121], v[2:3]
	scratch_load_b128 v[136:139], off, off offset:416
	s_waitcnt vmcnt(4)
	v_fma_f64 v[2:3], v[124:125], v[122:123], v[2:3]
	ds_load_2addr_b64 v[120:123], v1 offset0:101 offset1:102
	s_waitcnt lgkmcnt(0)
	v_fma_f64 v[2:3], v[126:127], v[120:121], v[2:3]
	scratch_load_b128 v[124:127], off, off offset:432
	s_waitcnt vmcnt(4)
	v_fma_f64 v[2:3], v[128:129], v[122:123], v[2:3]
	ds_load_2addr_b64 v[120:123], v1 offset0:103 offset1:104
	s_waitcnt lgkmcnt(0)
	v_fma_f64 v[2:3], v[130:131], v[120:121], v[2:3]
	s_waitcnt vmcnt(3)
	s_delay_alu instid0(VALU_DEP_1) | instskip(SKIP_4) | instid1(VALU_DEP_1)
	v_fma_f64 v[2:3], v[132:133], v[122:123], v[2:3]
	ds_load_2addr_b64 v[120:123], v1 offset0:105 offset1:106
	s_waitcnt lgkmcnt(0)
	v_fma_f64 v[2:3], v[134:135], v[120:121], v[2:3]
	s_waitcnt vmcnt(2)
	v_fma_f64 v[2:3], v[140:141], v[122:123], v[2:3]
	ds_load_2addr_b64 v[120:123], v1 offset0:107 offset1:108
	s_waitcnt lgkmcnt(0)
	v_fma_f64 v[2:3], v[142:143], v[120:121], v[2:3]
	s_waitcnt vmcnt(1)
	s_delay_alu instid0(VALU_DEP_1)
	v_fma_f64 v[2:3], v[136:137], v[122:123], v[2:3]
	ds_load_2addr_b64 v[120:123], v1 offset0:109 offset1:110
	s_waitcnt lgkmcnt(0)
	v_fma_f64 v[2:3], v[138:139], v[120:121], v[2:3]
	ds_load_b64 v[120:121], v1 offset:888
	s_waitcnt vmcnt(0)
	v_fma_f64 v[2:3], v[124:125], v[122:123], v[2:3]
	s_waitcnt lgkmcnt(0)
	s_delay_alu instid0(VALU_DEP_1) | instskip(NEXT) | instid1(VALU_DEP_1)
	v_fma_f64 v[2:3], v[126:127], v[120:121], v[2:3]
	v_add_f64 v[2:3], v[118:119], -v[2:3]
	scratch_store_b64 off, v[2:3], off offset:160
	v_cmpx_lt_u32_e32 19, v0
	s_cbranch_execz .LBB55_307
; %bb.306:
	scratch_load_b64 v[3:4], off, off offset:152
	v_mov_b32_e32 v2, v1
	scratch_store_b64 off, v[1:2], off offset:152
	s_waitcnt vmcnt(0)
	ds_store_b64 v5, v[3:4]
.LBB55_307:
	s_or_b32 exec_lo, exec_lo, s0
	s_waitcnt lgkmcnt(0)
	s_waitcnt_vscnt null, 0x0
	s_barrier
	buffer_gl0_inv
	s_clause 0x4
	scratch_load_b128 v[118:121], off, off offset:152
	scratch_load_b128 v[122:125], off, off offset:168
	;; [unrolled: 1-line block ×5, first 2 shown]
	ds_load_b128 v[138:141], v1 offset:608
	scratch_load_b128 v[142:145], off, off offset:232
	s_mov_b32 s0, exec_lo
	s_waitcnt vmcnt(5) lgkmcnt(0)
	v_fma_f64 v[2:3], v[120:121], v[138:139], 0
	s_waitcnt vmcnt(4)
	s_delay_alu instid0(VALU_DEP_1)
	v_fma_f64 v[2:3], v[122:123], v[140:141], v[2:3]
	scratch_load_b128 v[138:141], off, off offset:248
	ds_load_b128 v[120:123], v1 offset:624
	s_waitcnt lgkmcnt(0)
	v_fma_f64 v[2:3], v[124:125], v[120:121], v[2:3]
	s_waitcnt vmcnt(4)
	s_delay_alu instid0(VALU_DEP_1)
	v_fma_f64 v[2:3], v[126:127], v[122:123], v[2:3]
	ds_load_b128 v[120:123], v1 offset:640
	scratch_load_b128 v[124:127], off, off offset:264
	s_waitcnt lgkmcnt(0)
	v_fma_f64 v[2:3], v[128:129], v[120:121], v[2:3]
	s_waitcnt vmcnt(4)
	s_delay_alu instid0(VALU_DEP_1)
	v_fma_f64 v[2:3], v[130:131], v[122:123], v[2:3]
	scratch_load_b128 v[128:131], off, off offset:280
	ds_load_b128 v[120:123], v1 offset:656
	s_waitcnt lgkmcnt(0)
	v_fma_f64 v[2:3], v[132:133], v[120:121], v[2:3]
	s_waitcnt vmcnt(4)
	s_delay_alu instid0(VALU_DEP_1)
	v_fma_f64 v[2:3], v[134:135], v[122:123], v[2:3]
	ds_load_b128 v[120:123], v1 offset:672
	scratch_load_b128 v[132:135], off, off offset:296
	s_waitcnt lgkmcnt(0)
	v_fma_f64 v[2:3], v[136:137], v[120:121], v[2:3]
	s_waitcnt vmcnt(4)
	s_delay_alu instid0(VALU_DEP_1)
	v_fma_f64 v[2:3], v[142:143], v[122:123], v[2:3]
	ds_load_b128 v[120:123], v1 offset:688
	s_waitcnt lgkmcnt(0)
	v_fma_f64 v[2:3], v[144:145], v[120:121], v[2:3]
	scratch_load_b128 v[142:145], off, off offset:312
	s_waitcnt vmcnt(4)
	v_fma_f64 v[2:3], v[138:139], v[122:123], v[2:3]
	ds_load_b128 v[120:123], v1 offset:704
	scratch_load_b128 v[136:139], off, off offset:328
	s_waitcnt lgkmcnt(0)
	v_fma_f64 v[2:3], v[140:141], v[120:121], v[2:3]
	s_waitcnt vmcnt(4)
	s_delay_alu instid0(VALU_DEP_1)
	v_fma_f64 v[2:3], v[124:125], v[122:123], v[2:3]
	ds_load_b128 v[120:123], v1 offset:720
	s_waitcnt lgkmcnt(0)
	v_fma_f64 v[2:3], v[126:127], v[120:121], v[2:3]
	scratch_load_b128 v[124:127], off, off offset:344
	s_waitcnt vmcnt(4)
	v_fma_f64 v[2:3], v[128:129], v[122:123], v[2:3]
	ds_load_b128 v[120:123], v1 offset:736
	s_waitcnt lgkmcnt(0)
	v_fma_f64 v[2:3], v[130:131], v[120:121], v[2:3]
	scratch_load_b128 v[128:131], off, off offset:360
	s_waitcnt vmcnt(4)
	;; [unrolled: 6-line block ×3, first 2 shown]
	v_fma_f64 v[2:3], v[142:143], v[122:123], v[2:3]
	ds_load_b128 v[120:123], v1 offset:768
	scratch_load_b128 v[140:143], off, off offset:392
	s_waitcnt lgkmcnt(0)
	v_fma_f64 v[2:3], v[144:145], v[120:121], v[2:3]
	s_waitcnt vmcnt(4)
	s_delay_alu instid0(VALU_DEP_1)
	v_fma_f64 v[2:3], v[136:137], v[122:123], v[2:3]
	ds_load_b128 v[120:123], v1 offset:784
	s_waitcnt lgkmcnt(0)
	v_fma_f64 v[2:3], v[138:139], v[120:121], v[2:3]
	scratch_load_b128 v[136:139], off, off offset:408
	s_waitcnt vmcnt(4)
	v_fma_f64 v[2:3], v[124:125], v[122:123], v[2:3]
	ds_load_b128 v[120:123], v1 offset:800
	s_waitcnt lgkmcnt(0)
	v_fma_f64 v[2:3], v[126:127], v[120:121], v[2:3]
	scratch_load_b128 v[124:127], off, off offset:424
	s_waitcnt vmcnt(4)
	v_fma_f64 v[2:3], v[128:129], v[122:123], v[2:3]
	scratch_load_b64 v[128:129], off, off offset:440
	ds_load_b128 v[120:123], v1 offset:816
	s_waitcnt lgkmcnt(0)
	v_fma_f64 v[2:3], v[130:131], v[120:121], v[2:3]
	s_waitcnt vmcnt(4)
	s_delay_alu instid0(VALU_DEP_1) | instskip(SKIP_4) | instid1(VALU_DEP_1)
	v_fma_f64 v[2:3], v[132:133], v[122:123], v[2:3]
	ds_load_b128 v[120:123], v1 offset:832
	s_waitcnt lgkmcnt(0)
	v_fma_f64 v[2:3], v[134:135], v[120:121], v[2:3]
	s_waitcnt vmcnt(3)
	v_fma_f64 v[2:3], v[140:141], v[122:123], v[2:3]
	ds_load_b128 v[120:123], v1 offset:848
	s_waitcnt lgkmcnt(0)
	v_fma_f64 v[2:3], v[142:143], v[120:121], v[2:3]
	s_waitcnt vmcnt(2)
	s_delay_alu instid0(VALU_DEP_1) | instskip(SKIP_4) | instid1(VALU_DEP_1)
	v_fma_f64 v[2:3], v[136:137], v[122:123], v[2:3]
	ds_load_b128 v[120:123], v1 offset:864
	s_waitcnt lgkmcnt(0)
	v_fma_f64 v[2:3], v[138:139], v[120:121], v[2:3]
	s_waitcnt vmcnt(1)
	v_fma_f64 v[120:121], v[124:125], v[122:123], v[2:3]
	ds_load_b128 v[1:4], v1 offset:880
	s_waitcnt lgkmcnt(0)
	v_fma_f64 v[1:2], v[126:127], v[1:2], v[120:121]
	s_waitcnt vmcnt(0)
	s_delay_alu instid0(VALU_DEP_1) | instskip(NEXT) | instid1(VALU_DEP_1)
	v_fma_f64 v[1:2], v[128:129], v[3:4], v[1:2]
	v_add_f64 v[1:2], v[118:119], -v[1:2]
	scratch_store_b64 off, v[1:2], off offset:152
	v_cmpx_lt_u32_e32 18, v0
	s_cbranch_execz .LBB55_309
; %bb.308:
	scratch_load_b64 v[1:2], off, off offset:144
	v_mov_b32_e32 v3, 0
	s_delay_alu instid0(VALU_DEP_1)
	v_mov_b32_e32 v4, v3
	scratch_store_b64 off, v[3:4], off offset:144
	s_waitcnt vmcnt(0)
	ds_store_b64 v5, v[1:2]
.LBB55_309:
	s_or_b32 exec_lo, exec_lo, s0
	s_waitcnt lgkmcnt(0)
	s_waitcnt_vscnt null, 0x0
	s_barrier
	buffer_gl0_inv
	s_clause 0x4
	scratch_load_b128 v[118:121], off, off offset:144
	scratch_load_b128 v[122:125], off, off offset:160
	;; [unrolled: 1-line block ×5, first 2 shown]
	v_mov_b32_e32 v1, 0
	scratch_load_b128 v[142:145], off, off offset:224
	s_mov_b32 s0, exec_lo
	ds_load_2addr_b64 v[138:141], v1 offset0:75 offset1:76
	s_waitcnt vmcnt(5) lgkmcnt(0)
	v_fma_f64 v[2:3], v[120:121], v[138:139], 0
	s_waitcnt vmcnt(4)
	s_delay_alu instid0(VALU_DEP_1)
	v_fma_f64 v[2:3], v[122:123], v[140:141], v[2:3]
	scratch_load_b128 v[138:141], off, off offset:240
	ds_load_2addr_b64 v[120:123], v1 offset0:77 offset1:78
	s_waitcnt lgkmcnt(0)
	v_fma_f64 v[2:3], v[124:125], v[120:121], v[2:3]
	s_waitcnt vmcnt(4)
	s_delay_alu instid0(VALU_DEP_1)
	v_fma_f64 v[2:3], v[126:127], v[122:123], v[2:3]
	ds_load_2addr_b64 v[120:123], v1 offset0:79 offset1:80
	scratch_load_b128 v[124:127], off, off offset:256
	s_waitcnt lgkmcnt(0)
	v_fma_f64 v[2:3], v[128:129], v[120:121], v[2:3]
	s_waitcnt vmcnt(4)
	s_delay_alu instid0(VALU_DEP_1)
	v_fma_f64 v[2:3], v[130:131], v[122:123], v[2:3]
	scratch_load_b128 v[128:131], off, off offset:272
	ds_load_2addr_b64 v[120:123], v1 offset0:81 offset1:82
	s_waitcnt lgkmcnt(0)
	v_fma_f64 v[2:3], v[132:133], v[120:121], v[2:3]
	s_waitcnt vmcnt(4)
	s_delay_alu instid0(VALU_DEP_1)
	v_fma_f64 v[2:3], v[134:135], v[122:123], v[2:3]
	ds_load_2addr_b64 v[120:123], v1 offset0:83 offset1:84
	scratch_load_b128 v[132:135], off, off offset:288
	s_waitcnt lgkmcnt(0)
	v_fma_f64 v[2:3], v[136:137], v[120:121], v[2:3]
	s_waitcnt vmcnt(4)
	s_delay_alu instid0(VALU_DEP_1)
	v_fma_f64 v[2:3], v[142:143], v[122:123], v[2:3]
	ds_load_2addr_b64 v[120:123], v1 offset0:85 offset1:86
	s_waitcnt lgkmcnt(0)
	v_fma_f64 v[2:3], v[144:145], v[120:121], v[2:3]
	scratch_load_b128 v[142:145], off, off offset:304
	s_waitcnt vmcnt(4)
	v_fma_f64 v[2:3], v[138:139], v[122:123], v[2:3]
	ds_load_2addr_b64 v[120:123], v1 offset0:87 offset1:88
	scratch_load_b128 v[136:139], off, off offset:320
	s_waitcnt lgkmcnt(0)
	v_fma_f64 v[2:3], v[140:141], v[120:121], v[2:3]
	s_waitcnt vmcnt(4)
	s_delay_alu instid0(VALU_DEP_1)
	v_fma_f64 v[2:3], v[124:125], v[122:123], v[2:3]
	ds_load_2addr_b64 v[120:123], v1 offset0:89 offset1:90
	s_waitcnt lgkmcnt(0)
	v_fma_f64 v[2:3], v[126:127], v[120:121], v[2:3]
	scratch_load_b128 v[124:127], off, off offset:336
	s_waitcnt vmcnt(4)
	v_fma_f64 v[2:3], v[128:129], v[122:123], v[2:3]
	ds_load_2addr_b64 v[120:123], v1 offset0:91 offset1:92
	s_waitcnt lgkmcnt(0)
	v_fma_f64 v[2:3], v[130:131], v[120:121], v[2:3]
	scratch_load_b128 v[128:131], off, off offset:352
	s_waitcnt vmcnt(4)
	;; [unrolled: 6-line block ×3, first 2 shown]
	v_fma_f64 v[2:3], v[142:143], v[122:123], v[2:3]
	ds_load_2addr_b64 v[120:123], v1 offset0:95 offset1:96
	scratch_load_b128 v[140:143], off, off offset:384
	s_waitcnt lgkmcnt(0)
	v_fma_f64 v[2:3], v[144:145], v[120:121], v[2:3]
	s_waitcnt vmcnt(4)
	s_delay_alu instid0(VALU_DEP_1)
	v_fma_f64 v[2:3], v[136:137], v[122:123], v[2:3]
	ds_load_2addr_b64 v[120:123], v1 offset0:97 offset1:98
	s_waitcnt lgkmcnt(0)
	v_fma_f64 v[2:3], v[138:139], v[120:121], v[2:3]
	scratch_load_b128 v[136:139], off, off offset:400
	s_waitcnt vmcnt(4)
	v_fma_f64 v[2:3], v[124:125], v[122:123], v[2:3]
	ds_load_2addr_b64 v[120:123], v1 offset0:99 offset1:100
	s_waitcnt lgkmcnt(0)
	v_fma_f64 v[2:3], v[126:127], v[120:121], v[2:3]
	scratch_load_b128 v[124:127], off, off offset:416
	s_waitcnt vmcnt(4)
	;; [unrolled: 6-line block ×3, first 2 shown]
	v_fma_f64 v[2:3], v[132:133], v[122:123], v[2:3]
	ds_load_2addr_b64 v[120:123], v1 offset0:103 offset1:104
	s_waitcnt lgkmcnt(0)
	v_fma_f64 v[2:3], v[134:135], v[120:121], v[2:3]
	s_waitcnt vmcnt(3)
	s_delay_alu instid0(VALU_DEP_1) | instskip(SKIP_4) | instid1(VALU_DEP_1)
	v_fma_f64 v[2:3], v[140:141], v[122:123], v[2:3]
	ds_load_2addr_b64 v[120:123], v1 offset0:105 offset1:106
	s_waitcnt lgkmcnt(0)
	v_fma_f64 v[2:3], v[142:143], v[120:121], v[2:3]
	s_waitcnt vmcnt(2)
	v_fma_f64 v[2:3], v[136:137], v[122:123], v[2:3]
	ds_load_2addr_b64 v[120:123], v1 offset0:107 offset1:108
	s_waitcnt lgkmcnt(0)
	v_fma_f64 v[2:3], v[138:139], v[120:121], v[2:3]
	s_waitcnt vmcnt(1)
	s_delay_alu instid0(VALU_DEP_1)
	v_fma_f64 v[2:3], v[124:125], v[122:123], v[2:3]
	ds_load_2addr_b64 v[120:123], v1 offset0:109 offset1:110
	s_waitcnt lgkmcnt(0)
	v_fma_f64 v[2:3], v[126:127], v[120:121], v[2:3]
	ds_load_b64 v[120:121], v1 offset:888
	s_waitcnt vmcnt(0)
	v_fma_f64 v[2:3], v[128:129], v[122:123], v[2:3]
	s_waitcnt lgkmcnt(0)
	s_delay_alu instid0(VALU_DEP_1) | instskip(NEXT) | instid1(VALU_DEP_1)
	v_fma_f64 v[2:3], v[130:131], v[120:121], v[2:3]
	v_add_f64 v[2:3], v[118:119], -v[2:3]
	scratch_store_b64 off, v[2:3], off offset:144
	v_cmpx_lt_u32_e32 17, v0
	s_cbranch_execz .LBB55_311
; %bb.310:
	scratch_load_b64 v[3:4], off, off offset:136
	v_mov_b32_e32 v2, v1
	scratch_store_b64 off, v[1:2], off offset:136
	s_waitcnt vmcnt(0)
	ds_store_b64 v5, v[3:4]
.LBB55_311:
	s_or_b32 exec_lo, exec_lo, s0
	s_waitcnt lgkmcnt(0)
	s_waitcnt_vscnt null, 0x0
	s_barrier
	buffer_gl0_inv
	s_clause 0x4
	scratch_load_b128 v[118:121], off, off offset:136
	scratch_load_b128 v[122:125], off, off offset:152
	;; [unrolled: 1-line block ×5, first 2 shown]
	ds_load_b128 v[138:141], v1 offset:592
	scratch_load_b128 v[142:145], off, off offset:216
	s_mov_b32 s0, exec_lo
	s_waitcnt vmcnt(5) lgkmcnt(0)
	v_fma_f64 v[2:3], v[120:121], v[138:139], 0
	s_waitcnt vmcnt(4)
	s_delay_alu instid0(VALU_DEP_1)
	v_fma_f64 v[2:3], v[122:123], v[140:141], v[2:3]
	scratch_load_b128 v[138:141], off, off offset:232
	ds_load_b128 v[120:123], v1 offset:608
	s_waitcnt lgkmcnt(0)
	v_fma_f64 v[2:3], v[124:125], v[120:121], v[2:3]
	s_waitcnt vmcnt(4)
	s_delay_alu instid0(VALU_DEP_1)
	v_fma_f64 v[2:3], v[126:127], v[122:123], v[2:3]
	ds_load_b128 v[120:123], v1 offset:624
	scratch_load_b128 v[124:127], off, off offset:248
	s_waitcnt lgkmcnt(0)
	v_fma_f64 v[2:3], v[128:129], v[120:121], v[2:3]
	s_waitcnt vmcnt(4)
	s_delay_alu instid0(VALU_DEP_1)
	v_fma_f64 v[2:3], v[130:131], v[122:123], v[2:3]
	scratch_load_b128 v[128:131], off, off offset:264
	ds_load_b128 v[120:123], v1 offset:640
	s_waitcnt lgkmcnt(0)
	v_fma_f64 v[2:3], v[132:133], v[120:121], v[2:3]
	s_waitcnt vmcnt(4)
	s_delay_alu instid0(VALU_DEP_1)
	v_fma_f64 v[2:3], v[134:135], v[122:123], v[2:3]
	ds_load_b128 v[120:123], v1 offset:656
	scratch_load_b128 v[132:135], off, off offset:280
	s_waitcnt lgkmcnt(0)
	v_fma_f64 v[2:3], v[136:137], v[120:121], v[2:3]
	s_waitcnt vmcnt(4)
	s_delay_alu instid0(VALU_DEP_1)
	v_fma_f64 v[2:3], v[142:143], v[122:123], v[2:3]
	ds_load_b128 v[120:123], v1 offset:672
	s_waitcnt lgkmcnt(0)
	v_fma_f64 v[2:3], v[144:145], v[120:121], v[2:3]
	scratch_load_b128 v[142:145], off, off offset:296
	s_waitcnt vmcnt(4)
	v_fma_f64 v[2:3], v[138:139], v[122:123], v[2:3]
	ds_load_b128 v[120:123], v1 offset:688
	scratch_load_b128 v[136:139], off, off offset:312
	s_waitcnt lgkmcnt(0)
	v_fma_f64 v[2:3], v[140:141], v[120:121], v[2:3]
	s_waitcnt vmcnt(4)
	s_delay_alu instid0(VALU_DEP_1)
	v_fma_f64 v[2:3], v[124:125], v[122:123], v[2:3]
	ds_load_b128 v[120:123], v1 offset:704
	s_waitcnt lgkmcnt(0)
	v_fma_f64 v[2:3], v[126:127], v[120:121], v[2:3]
	scratch_load_b128 v[124:127], off, off offset:328
	s_waitcnt vmcnt(4)
	v_fma_f64 v[2:3], v[128:129], v[122:123], v[2:3]
	ds_load_b128 v[120:123], v1 offset:720
	s_waitcnt lgkmcnt(0)
	v_fma_f64 v[2:3], v[130:131], v[120:121], v[2:3]
	scratch_load_b128 v[128:131], off, off offset:344
	s_waitcnt vmcnt(4)
	;; [unrolled: 6-line block ×3, first 2 shown]
	v_fma_f64 v[2:3], v[142:143], v[122:123], v[2:3]
	ds_load_b128 v[120:123], v1 offset:752
	scratch_load_b128 v[140:143], off, off offset:376
	s_waitcnt lgkmcnt(0)
	v_fma_f64 v[2:3], v[144:145], v[120:121], v[2:3]
	s_waitcnt vmcnt(4)
	s_delay_alu instid0(VALU_DEP_1)
	v_fma_f64 v[2:3], v[136:137], v[122:123], v[2:3]
	ds_load_b128 v[120:123], v1 offset:768
	s_waitcnt lgkmcnt(0)
	v_fma_f64 v[2:3], v[138:139], v[120:121], v[2:3]
	scratch_load_b128 v[136:139], off, off offset:392
	s_waitcnt vmcnt(4)
	v_fma_f64 v[2:3], v[124:125], v[122:123], v[2:3]
	ds_load_b128 v[120:123], v1 offset:784
	s_waitcnt lgkmcnt(0)
	v_fma_f64 v[2:3], v[126:127], v[120:121], v[2:3]
	scratch_load_b128 v[124:127], off, off offset:408
	s_waitcnt vmcnt(4)
	;; [unrolled: 6-line block ×3, first 2 shown]
	v_fma_f64 v[2:3], v[132:133], v[122:123], v[2:3]
	ds_load_b128 v[120:123], v1 offset:816
	scratch_load_b64 v[132:133], off, off offset:440
	s_waitcnt lgkmcnt(0)
	v_fma_f64 v[2:3], v[134:135], v[120:121], v[2:3]
	s_waitcnt vmcnt(4)
	s_delay_alu instid0(VALU_DEP_1) | instskip(SKIP_4) | instid1(VALU_DEP_1)
	v_fma_f64 v[2:3], v[140:141], v[122:123], v[2:3]
	ds_load_b128 v[120:123], v1 offset:832
	s_waitcnt lgkmcnt(0)
	v_fma_f64 v[2:3], v[142:143], v[120:121], v[2:3]
	s_waitcnt vmcnt(3)
	v_fma_f64 v[2:3], v[136:137], v[122:123], v[2:3]
	ds_load_b128 v[120:123], v1 offset:848
	s_waitcnt lgkmcnt(0)
	v_fma_f64 v[2:3], v[138:139], v[120:121], v[2:3]
	s_waitcnt vmcnt(2)
	s_delay_alu instid0(VALU_DEP_1) | instskip(SKIP_4) | instid1(VALU_DEP_1)
	v_fma_f64 v[2:3], v[124:125], v[122:123], v[2:3]
	ds_load_b128 v[120:123], v1 offset:864
	s_waitcnt lgkmcnt(0)
	v_fma_f64 v[2:3], v[126:127], v[120:121], v[2:3]
	s_waitcnt vmcnt(1)
	v_fma_f64 v[120:121], v[128:129], v[122:123], v[2:3]
	ds_load_b128 v[1:4], v1 offset:880
	s_waitcnt lgkmcnt(0)
	v_fma_f64 v[1:2], v[130:131], v[1:2], v[120:121]
	s_waitcnt vmcnt(0)
	s_delay_alu instid0(VALU_DEP_1) | instskip(NEXT) | instid1(VALU_DEP_1)
	v_fma_f64 v[1:2], v[132:133], v[3:4], v[1:2]
	v_add_f64 v[1:2], v[118:119], -v[1:2]
	scratch_store_b64 off, v[1:2], off offset:136
	v_cmpx_lt_u32_e32 16, v0
	s_cbranch_execz .LBB55_313
; %bb.312:
	scratch_load_b64 v[1:2], off, off offset:128
	v_mov_b32_e32 v3, 0
	s_delay_alu instid0(VALU_DEP_1)
	v_mov_b32_e32 v4, v3
	scratch_store_b64 off, v[3:4], off offset:128
	s_waitcnt vmcnt(0)
	ds_store_b64 v5, v[1:2]
.LBB55_313:
	s_or_b32 exec_lo, exec_lo, s0
	s_waitcnt lgkmcnt(0)
	s_waitcnt_vscnt null, 0x0
	s_barrier
	buffer_gl0_inv
	s_clause 0x4
	scratch_load_b128 v[118:121], off, off offset:128
	scratch_load_b128 v[122:125], off, off offset:144
	;; [unrolled: 1-line block ×5, first 2 shown]
	v_mov_b32_e32 v1, 0
	scratch_load_b128 v[142:145], off, off offset:208
	s_mov_b32 s0, exec_lo
	ds_load_2addr_b64 v[138:141], v1 offset0:73 offset1:74
	s_waitcnt vmcnt(5) lgkmcnt(0)
	v_fma_f64 v[2:3], v[120:121], v[138:139], 0
	s_waitcnt vmcnt(4)
	s_delay_alu instid0(VALU_DEP_1)
	v_fma_f64 v[2:3], v[122:123], v[140:141], v[2:3]
	scratch_load_b128 v[138:141], off, off offset:224
	ds_load_2addr_b64 v[120:123], v1 offset0:75 offset1:76
	s_waitcnt lgkmcnt(0)
	v_fma_f64 v[2:3], v[124:125], v[120:121], v[2:3]
	s_waitcnt vmcnt(4)
	s_delay_alu instid0(VALU_DEP_1)
	v_fma_f64 v[2:3], v[126:127], v[122:123], v[2:3]
	ds_load_2addr_b64 v[120:123], v1 offset0:77 offset1:78
	scratch_load_b128 v[124:127], off, off offset:240
	s_waitcnt lgkmcnt(0)
	v_fma_f64 v[2:3], v[128:129], v[120:121], v[2:3]
	s_waitcnt vmcnt(4)
	s_delay_alu instid0(VALU_DEP_1)
	v_fma_f64 v[2:3], v[130:131], v[122:123], v[2:3]
	scratch_load_b128 v[128:131], off, off offset:256
	ds_load_2addr_b64 v[120:123], v1 offset0:79 offset1:80
	s_waitcnt lgkmcnt(0)
	v_fma_f64 v[2:3], v[132:133], v[120:121], v[2:3]
	s_waitcnt vmcnt(4)
	s_delay_alu instid0(VALU_DEP_1)
	v_fma_f64 v[2:3], v[134:135], v[122:123], v[2:3]
	ds_load_2addr_b64 v[120:123], v1 offset0:81 offset1:82
	scratch_load_b128 v[132:135], off, off offset:272
	s_waitcnt lgkmcnt(0)
	v_fma_f64 v[2:3], v[136:137], v[120:121], v[2:3]
	s_waitcnt vmcnt(4)
	s_delay_alu instid0(VALU_DEP_1)
	v_fma_f64 v[2:3], v[142:143], v[122:123], v[2:3]
	ds_load_2addr_b64 v[120:123], v1 offset0:83 offset1:84
	s_waitcnt lgkmcnt(0)
	v_fma_f64 v[2:3], v[144:145], v[120:121], v[2:3]
	scratch_load_b128 v[142:145], off, off offset:288
	s_waitcnt vmcnt(4)
	v_fma_f64 v[2:3], v[138:139], v[122:123], v[2:3]
	ds_load_2addr_b64 v[120:123], v1 offset0:85 offset1:86
	scratch_load_b128 v[136:139], off, off offset:304
	s_waitcnt lgkmcnt(0)
	v_fma_f64 v[2:3], v[140:141], v[120:121], v[2:3]
	s_waitcnt vmcnt(4)
	s_delay_alu instid0(VALU_DEP_1)
	v_fma_f64 v[2:3], v[124:125], v[122:123], v[2:3]
	ds_load_2addr_b64 v[120:123], v1 offset0:87 offset1:88
	s_waitcnt lgkmcnt(0)
	v_fma_f64 v[2:3], v[126:127], v[120:121], v[2:3]
	scratch_load_b128 v[124:127], off, off offset:320
	s_waitcnt vmcnt(4)
	v_fma_f64 v[2:3], v[128:129], v[122:123], v[2:3]
	ds_load_2addr_b64 v[120:123], v1 offset0:89 offset1:90
	s_waitcnt lgkmcnt(0)
	v_fma_f64 v[2:3], v[130:131], v[120:121], v[2:3]
	scratch_load_b128 v[128:131], off, off offset:336
	s_waitcnt vmcnt(4)
	;; [unrolled: 6-line block ×3, first 2 shown]
	v_fma_f64 v[2:3], v[142:143], v[122:123], v[2:3]
	ds_load_2addr_b64 v[120:123], v1 offset0:93 offset1:94
	scratch_load_b128 v[140:143], off, off offset:368
	s_waitcnt lgkmcnt(0)
	v_fma_f64 v[2:3], v[144:145], v[120:121], v[2:3]
	s_waitcnt vmcnt(4)
	s_delay_alu instid0(VALU_DEP_1)
	v_fma_f64 v[2:3], v[136:137], v[122:123], v[2:3]
	ds_load_2addr_b64 v[120:123], v1 offset0:95 offset1:96
	s_waitcnt lgkmcnt(0)
	v_fma_f64 v[2:3], v[138:139], v[120:121], v[2:3]
	scratch_load_b128 v[136:139], off, off offset:384
	s_waitcnt vmcnt(4)
	v_fma_f64 v[2:3], v[124:125], v[122:123], v[2:3]
	ds_load_2addr_b64 v[120:123], v1 offset0:97 offset1:98
	s_waitcnt lgkmcnt(0)
	v_fma_f64 v[2:3], v[126:127], v[120:121], v[2:3]
	scratch_load_b128 v[124:127], off, off offset:400
	s_waitcnt vmcnt(4)
	;; [unrolled: 6-line block ×4, first 2 shown]
	v_fma_f64 v[2:3], v[140:141], v[122:123], v[2:3]
	ds_load_2addr_b64 v[120:123], v1 offset0:103 offset1:104
	s_waitcnt lgkmcnt(0)
	v_fma_f64 v[2:3], v[142:143], v[120:121], v[2:3]
	s_waitcnt vmcnt(3)
	s_delay_alu instid0(VALU_DEP_1) | instskip(SKIP_4) | instid1(VALU_DEP_1)
	v_fma_f64 v[2:3], v[136:137], v[122:123], v[2:3]
	ds_load_2addr_b64 v[120:123], v1 offset0:105 offset1:106
	s_waitcnt lgkmcnt(0)
	v_fma_f64 v[2:3], v[138:139], v[120:121], v[2:3]
	s_waitcnt vmcnt(2)
	v_fma_f64 v[2:3], v[124:125], v[122:123], v[2:3]
	ds_load_2addr_b64 v[120:123], v1 offset0:107 offset1:108
	s_waitcnt lgkmcnt(0)
	v_fma_f64 v[2:3], v[126:127], v[120:121], v[2:3]
	s_waitcnt vmcnt(1)
	s_delay_alu instid0(VALU_DEP_1)
	v_fma_f64 v[2:3], v[128:129], v[122:123], v[2:3]
	ds_load_2addr_b64 v[120:123], v1 offset0:109 offset1:110
	s_waitcnt lgkmcnt(0)
	v_fma_f64 v[2:3], v[130:131], v[120:121], v[2:3]
	ds_load_b64 v[120:121], v1 offset:888
	s_waitcnt vmcnt(0)
	v_fma_f64 v[2:3], v[132:133], v[122:123], v[2:3]
	s_waitcnt lgkmcnt(0)
	s_delay_alu instid0(VALU_DEP_1) | instskip(NEXT) | instid1(VALU_DEP_1)
	v_fma_f64 v[2:3], v[134:135], v[120:121], v[2:3]
	v_add_f64 v[2:3], v[118:119], -v[2:3]
	scratch_store_b64 off, v[2:3], off offset:128
	v_cmpx_lt_u32_e32 15, v0
	s_cbranch_execz .LBB55_315
; %bb.314:
	scratch_load_b64 v[3:4], off, off offset:120
	v_mov_b32_e32 v2, v1
	scratch_store_b64 off, v[1:2], off offset:120
	s_waitcnt vmcnt(0)
	ds_store_b64 v5, v[3:4]
.LBB55_315:
	s_or_b32 exec_lo, exec_lo, s0
	s_waitcnt lgkmcnt(0)
	s_waitcnt_vscnt null, 0x0
	s_barrier
	buffer_gl0_inv
	s_clause 0x4
	scratch_load_b128 v[118:121], off, off offset:120
	scratch_load_b128 v[122:125], off, off offset:136
	;; [unrolled: 1-line block ×5, first 2 shown]
	ds_load_b128 v[138:141], v1 offset:576
	scratch_load_b128 v[142:145], off, off offset:200
	s_mov_b32 s0, exec_lo
	s_waitcnt vmcnt(5) lgkmcnt(0)
	v_fma_f64 v[2:3], v[120:121], v[138:139], 0
	s_waitcnt vmcnt(4)
	s_delay_alu instid0(VALU_DEP_1)
	v_fma_f64 v[2:3], v[122:123], v[140:141], v[2:3]
	scratch_load_b128 v[138:141], off, off offset:216
	ds_load_b128 v[120:123], v1 offset:592
	s_waitcnt lgkmcnt(0)
	v_fma_f64 v[2:3], v[124:125], v[120:121], v[2:3]
	s_waitcnt vmcnt(4)
	s_delay_alu instid0(VALU_DEP_1)
	v_fma_f64 v[2:3], v[126:127], v[122:123], v[2:3]
	ds_load_b128 v[120:123], v1 offset:608
	scratch_load_b128 v[124:127], off, off offset:232
	s_waitcnt lgkmcnt(0)
	v_fma_f64 v[2:3], v[128:129], v[120:121], v[2:3]
	s_waitcnt vmcnt(4)
	s_delay_alu instid0(VALU_DEP_1)
	v_fma_f64 v[2:3], v[130:131], v[122:123], v[2:3]
	scratch_load_b128 v[128:131], off, off offset:248
	ds_load_b128 v[120:123], v1 offset:624
	s_waitcnt lgkmcnt(0)
	v_fma_f64 v[2:3], v[132:133], v[120:121], v[2:3]
	s_waitcnt vmcnt(4)
	s_delay_alu instid0(VALU_DEP_1)
	v_fma_f64 v[2:3], v[134:135], v[122:123], v[2:3]
	ds_load_b128 v[120:123], v1 offset:640
	scratch_load_b128 v[132:135], off, off offset:264
	s_waitcnt lgkmcnt(0)
	v_fma_f64 v[2:3], v[136:137], v[120:121], v[2:3]
	s_waitcnt vmcnt(4)
	s_delay_alu instid0(VALU_DEP_1)
	v_fma_f64 v[2:3], v[142:143], v[122:123], v[2:3]
	ds_load_b128 v[120:123], v1 offset:656
	s_waitcnt lgkmcnt(0)
	v_fma_f64 v[2:3], v[144:145], v[120:121], v[2:3]
	scratch_load_b128 v[142:145], off, off offset:280
	s_waitcnt vmcnt(4)
	v_fma_f64 v[2:3], v[138:139], v[122:123], v[2:3]
	ds_load_b128 v[120:123], v1 offset:672
	scratch_load_b128 v[136:139], off, off offset:296
	s_waitcnt lgkmcnt(0)
	v_fma_f64 v[2:3], v[140:141], v[120:121], v[2:3]
	s_waitcnt vmcnt(4)
	s_delay_alu instid0(VALU_DEP_1)
	v_fma_f64 v[2:3], v[124:125], v[122:123], v[2:3]
	ds_load_b128 v[120:123], v1 offset:688
	s_waitcnt lgkmcnt(0)
	v_fma_f64 v[2:3], v[126:127], v[120:121], v[2:3]
	scratch_load_b128 v[124:127], off, off offset:312
	s_waitcnt vmcnt(4)
	v_fma_f64 v[2:3], v[128:129], v[122:123], v[2:3]
	ds_load_b128 v[120:123], v1 offset:704
	s_waitcnt lgkmcnt(0)
	v_fma_f64 v[2:3], v[130:131], v[120:121], v[2:3]
	scratch_load_b128 v[128:131], off, off offset:328
	s_waitcnt vmcnt(4)
	;; [unrolled: 6-line block ×3, first 2 shown]
	v_fma_f64 v[2:3], v[142:143], v[122:123], v[2:3]
	ds_load_b128 v[120:123], v1 offset:736
	scratch_load_b128 v[140:143], off, off offset:360
	s_waitcnt lgkmcnt(0)
	v_fma_f64 v[2:3], v[144:145], v[120:121], v[2:3]
	s_waitcnt vmcnt(4)
	s_delay_alu instid0(VALU_DEP_1)
	v_fma_f64 v[2:3], v[136:137], v[122:123], v[2:3]
	ds_load_b128 v[120:123], v1 offset:752
	s_waitcnt lgkmcnt(0)
	v_fma_f64 v[2:3], v[138:139], v[120:121], v[2:3]
	scratch_load_b128 v[136:139], off, off offset:376
	s_waitcnt vmcnt(4)
	v_fma_f64 v[2:3], v[124:125], v[122:123], v[2:3]
	ds_load_b128 v[120:123], v1 offset:768
	s_waitcnt lgkmcnt(0)
	v_fma_f64 v[2:3], v[126:127], v[120:121], v[2:3]
	scratch_load_b128 v[124:127], off, off offset:392
	s_waitcnt vmcnt(4)
	;; [unrolled: 6-line block ×4, first 2 shown]
	v_fma_f64 v[2:3], v[140:141], v[122:123], v[2:3]
	scratch_load_b64 v[140:141], off, off offset:440
	ds_load_b128 v[120:123], v1 offset:816
	s_waitcnt lgkmcnt(0)
	v_fma_f64 v[2:3], v[142:143], v[120:121], v[2:3]
	s_waitcnt vmcnt(4)
	s_delay_alu instid0(VALU_DEP_1) | instskip(SKIP_4) | instid1(VALU_DEP_1)
	v_fma_f64 v[2:3], v[136:137], v[122:123], v[2:3]
	ds_load_b128 v[120:123], v1 offset:832
	s_waitcnt lgkmcnt(0)
	v_fma_f64 v[2:3], v[138:139], v[120:121], v[2:3]
	s_waitcnt vmcnt(3)
	v_fma_f64 v[2:3], v[124:125], v[122:123], v[2:3]
	ds_load_b128 v[120:123], v1 offset:848
	s_waitcnt lgkmcnt(0)
	v_fma_f64 v[2:3], v[126:127], v[120:121], v[2:3]
	s_waitcnt vmcnt(2)
	s_delay_alu instid0(VALU_DEP_1) | instskip(SKIP_4) | instid1(VALU_DEP_1)
	v_fma_f64 v[2:3], v[128:129], v[122:123], v[2:3]
	ds_load_b128 v[120:123], v1 offset:864
	s_waitcnt lgkmcnt(0)
	v_fma_f64 v[2:3], v[130:131], v[120:121], v[2:3]
	s_waitcnt vmcnt(1)
	v_fma_f64 v[120:121], v[132:133], v[122:123], v[2:3]
	ds_load_b128 v[1:4], v1 offset:880
	s_waitcnt lgkmcnt(0)
	v_fma_f64 v[1:2], v[134:135], v[1:2], v[120:121]
	s_waitcnt vmcnt(0)
	s_delay_alu instid0(VALU_DEP_1) | instskip(NEXT) | instid1(VALU_DEP_1)
	v_fma_f64 v[1:2], v[140:141], v[3:4], v[1:2]
	v_add_f64 v[1:2], v[118:119], -v[1:2]
	scratch_store_b64 off, v[1:2], off offset:120
	v_cmpx_lt_u32_e32 14, v0
	s_cbranch_execz .LBB55_317
; %bb.316:
	scratch_load_b64 v[1:2], off, off offset:112
	v_mov_b32_e32 v3, 0
	s_delay_alu instid0(VALU_DEP_1)
	v_mov_b32_e32 v4, v3
	scratch_store_b64 off, v[3:4], off offset:112
	s_waitcnt vmcnt(0)
	ds_store_b64 v5, v[1:2]
.LBB55_317:
	s_or_b32 exec_lo, exec_lo, s0
	s_waitcnt lgkmcnt(0)
	s_waitcnt_vscnt null, 0x0
	s_barrier
	buffer_gl0_inv
	s_clause 0x4
	scratch_load_b128 v[118:121], off, off offset:112
	scratch_load_b128 v[122:125], off, off offset:128
	;; [unrolled: 1-line block ×5, first 2 shown]
	v_mov_b32_e32 v1, 0
	scratch_load_b128 v[142:145], off, off offset:192
	s_mov_b32 s0, exec_lo
	ds_load_2addr_b64 v[138:141], v1 offset0:71 offset1:72
	s_waitcnt vmcnt(5) lgkmcnt(0)
	v_fma_f64 v[2:3], v[120:121], v[138:139], 0
	s_waitcnt vmcnt(4)
	s_delay_alu instid0(VALU_DEP_1)
	v_fma_f64 v[2:3], v[122:123], v[140:141], v[2:3]
	scratch_load_b128 v[138:141], off, off offset:208
	ds_load_2addr_b64 v[120:123], v1 offset0:73 offset1:74
	s_waitcnt lgkmcnt(0)
	v_fma_f64 v[2:3], v[124:125], v[120:121], v[2:3]
	s_waitcnt vmcnt(4)
	s_delay_alu instid0(VALU_DEP_1)
	v_fma_f64 v[2:3], v[126:127], v[122:123], v[2:3]
	ds_load_2addr_b64 v[120:123], v1 offset0:75 offset1:76
	scratch_load_b128 v[124:127], off, off offset:224
	s_waitcnt lgkmcnt(0)
	v_fma_f64 v[2:3], v[128:129], v[120:121], v[2:3]
	s_waitcnt vmcnt(4)
	s_delay_alu instid0(VALU_DEP_1)
	v_fma_f64 v[2:3], v[130:131], v[122:123], v[2:3]
	scratch_load_b128 v[128:131], off, off offset:240
	ds_load_2addr_b64 v[120:123], v1 offset0:77 offset1:78
	s_waitcnt lgkmcnt(0)
	v_fma_f64 v[2:3], v[132:133], v[120:121], v[2:3]
	s_waitcnt vmcnt(4)
	s_delay_alu instid0(VALU_DEP_1)
	v_fma_f64 v[2:3], v[134:135], v[122:123], v[2:3]
	ds_load_2addr_b64 v[120:123], v1 offset0:79 offset1:80
	scratch_load_b128 v[132:135], off, off offset:256
	s_waitcnt lgkmcnt(0)
	v_fma_f64 v[2:3], v[136:137], v[120:121], v[2:3]
	s_waitcnt vmcnt(4)
	s_delay_alu instid0(VALU_DEP_1)
	v_fma_f64 v[2:3], v[142:143], v[122:123], v[2:3]
	ds_load_2addr_b64 v[120:123], v1 offset0:81 offset1:82
	s_waitcnt lgkmcnt(0)
	v_fma_f64 v[2:3], v[144:145], v[120:121], v[2:3]
	scratch_load_b128 v[142:145], off, off offset:272
	s_waitcnt vmcnt(4)
	v_fma_f64 v[2:3], v[138:139], v[122:123], v[2:3]
	ds_load_2addr_b64 v[120:123], v1 offset0:83 offset1:84
	scratch_load_b128 v[136:139], off, off offset:288
	s_waitcnt lgkmcnt(0)
	v_fma_f64 v[2:3], v[140:141], v[120:121], v[2:3]
	s_waitcnt vmcnt(4)
	s_delay_alu instid0(VALU_DEP_1)
	v_fma_f64 v[2:3], v[124:125], v[122:123], v[2:3]
	ds_load_2addr_b64 v[120:123], v1 offset0:85 offset1:86
	s_waitcnt lgkmcnt(0)
	v_fma_f64 v[2:3], v[126:127], v[120:121], v[2:3]
	scratch_load_b128 v[124:127], off, off offset:304
	s_waitcnt vmcnt(4)
	v_fma_f64 v[2:3], v[128:129], v[122:123], v[2:3]
	ds_load_2addr_b64 v[120:123], v1 offset0:87 offset1:88
	s_waitcnt lgkmcnt(0)
	v_fma_f64 v[2:3], v[130:131], v[120:121], v[2:3]
	scratch_load_b128 v[128:131], off, off offset:320
	s_waitcnt vmcnt(4)
	;; [unrolled: 6-line block ×3, first 2 shown]
	v_fma_f64 v[2:3], v[142:143], v[122:123], v[2:3]
	ds_load_2addr_b64 v[120:123], v1 offset0:91 offset1:92
	scratch_load_b128 v[140:143], off, off offset:352
	s_waitcnt lgkmcnt(0)
	v_fma_f64 v[2:3], v[144:145], v[120:121], v[2:3]
	s_waitcnt vmcnt(4)
	s_delay_alu instid0(VALU_DEP_1)
	v_fma_f64 v[2:3], v[136:137], v[122:123], v[2:3]
	ds_load_2addr_b64 v[120:123], v1 offset0:93 offset1:94
	s_waitcnt lgkmcnt(0)
	v_fma_f64 v[2:3], v[138:139], v[120:121], v[2:3]
	scratch_load_b128 v[136:139], off, off offset:368
	s_waitcnt vmcnt(4)
	v_fma_f64 v[2:3], v[124:125], v[122:123], v[2:3]
	ds_load_2addr_b64 v[120:123], v1 offset0:95 offset1:96
	s_waitcnt lgkmcnt(0)
	v_fma_f64 v[2:3], v[126:127], v[120:121], v[2:3]
	scratch_load_b128 v[124:127], off, off offset:384
	s_waitcnt vmcnt(4)
	;; [unrolled: 6-line block ×5, first 2 shown]
	v_fma_f64 v[2:3], v[136:137], v[122:123], v[2:3]
	ds_load_2addr_b64 v[120:123], v1 offset0:103 offset1:104
	s_waitcnt lgkmcnt(0)
	v_fma_f64 v[2:3], v[138:139], v[120:121], v[2:3]
	s_waitcnt vmcnt(3)
	s_delay_alu instid0(VALU_DEP_1) | instskip(SKIP_4) | instid1(VALU_DEP_1)
	v_fma_f64 v[2:3], v[124:125], v[122:123], v[2:3]
	ds_load_2addr_b64 v[120:123], v1 offset0:105 offset1:106
	s_waitcnt lgkmcnt(0)
	v_fma_f64 v[2:3], v[126:127], v[120:121], v[2:3]
	s_waitcnt vmcnt(2)
	v_fma_f64 v[2:3], v[128:129], v[122:123], v[2:3]
	ds_load_2addr_b64 v[120:123], v1 offset0:107 offset1:108
	s_waitcnt lgkmcnt(0)
	v_fma_f64 v[2:3], v[130:131], v[120:121], v[2:3]
	s_waitcnt vmcnt(1)
	s_delay_alu instid0(VALU_DEP_1)
	v_fma_f64 v[2:3], v[132:133], v[122:123], v[2:3]
	ds_load_2addr_b64 v[120:123], v1 offset0:109 offset1:110
	s_waitcnt lgkmcnt(0)
	v_fma_f64 v[2:3], v[134:135], v[120:121], v[2:3]
	ds_load_b64 v[120:121], v1 offset:888
	s_waitcnt vmcnt(0)
	v_fma_f64 v[2:3], v[140:141], v[122:123], v[2:3]
	s_waitcnt lgkmcnt(0)
	s_delay_alu instid0(VALU_DEP_1) | instskip(NEXT) | instid1(VALU_DEP_1)
	v_fma_f64 v[2:3], v[142:143], v[120:121], v[2:3]
	v_add_f64 v[2:3], v[118:119], -v[2:3]
	scratch_store_b64 off, v[2:3], off offset:112
	v_cmpx_lt_u32_e32 13, v0
	s_cbranch_execz .LBB55_319
; %bb.318:
	scratch_load_b64 v[3:4], off, off offset:104
	v_mov_b32_e32 v2, v1
	scratch_store_b64 off, v[1:2], off offset:104
	s_waitcnt vmcnt(0)
	ds_store_b64 v5, v[3:4]
.LBB55_319:
	s_or_b32 exec_lo, exec_lo, s0
	s_waitcnt lgkmcnt(0)
	s_waitcnt_vscnt null, 0x0
	s_barrier
	buffer_gl0_inv
	s_clause 0x4
	scratch_load_b128 v[118:121], off, off offset:104
	scratch_load_b128 v[122:125], off, off offset:120
	;; [unrolled: 1-line block ×5, first 2 shown]
	ds_load_b128 v[138:141], v1 offset:560
	scratch_load_b128 v[142:145], off, off offset:184
	s_mov_b32 s0, exec_lo
	s_waitcnt vmcnt(5) lgkmcnt(0)
	v_fma_f64 v[2:3], v[120:121], v[138:139], 0
	s_waitcnt vmcnt(4)
	s_delay_alu instid0(VALU_DEP_1)
	v_fma_f64 v[2:3], v[122:123], v[140:141], v[2:3]
	scratch_load_b128 v[138:141], off, off offset:200
	ds_load_b128 v[120:123], v1 offset:576
	s_waitcnt lgkmcnt(0)
	v_fma_f64 v[2:3], v[124:125], v[120:121], v[2:3]
	s_waitcnt vmcnt(4)
	s_delay_alu instid0(VALU_DEP_1)
	v_fma_f64 v[2:3], v[126:127], v[122:123], v[2:3]
	ds_load_b128 v[120:123], v1 offset:592
	scratch_load_b128 v[124:127], off, off offset:216
	s_waitcnt lgkmcnt(0)
	v_fma_f64 v[2:3], v[128:129], v[120:121], v[2:3]
	s_waitcnt vmcnt(4)
	s_delay_alu instid0(VALU_DEP_1)
	v_fma_f64 v[2:3], v[130:131], v[122:123], v[2:3]
	scratch_load_b128 v[128:131], off, off offset:232
	ds_load_b128 v[120:123], v1 offset:608
	s_waitcnt lgkmcnt(0)
	v_fma_f64 v[2:3], v[132:133], v[120:121], v[2:3]
	s_waitcnt vmcnt(4)
	s_delay_alu instid0(VALU_DEP_1)
	v_fma_f64 v[2:3], v[134:135], v[122:123], v[2:3]
	ds_load_b128 v[120:123], v1 offset:624
	scratch_load_b128 v[132:135], off, off offset:248
	s_waitcnt lgkmcnt(0)
	v_fma_f64 v[2:3], v[136:137], v[120:121], v[2:3]
	s_waitcnt vmcnt(4)
	s_delay_alu instid0(VALU_DEP_1)
	v_fma_f64 v[2:3], v[142:143], v[122:123], v[2:3]
	ds_load_b128 v[120:123], v1 offset:640
	s_waitcnt lgkmcnt(0)
	v_fma_f64 v[2:3], v[144:145], v[120:121], v[2:3]
	scratch_load_b128 v[142:145], off, off offset:264
	s_waitcnt vmcnt(4)
	v_fma_f64 v[2:3], v[138:139], v[122:123], v[2:3]
	ds_load_b128 v[120:123], v1 offset:656
	scratch_load_b128 v[136:139], off, off offset:280
	s_waitcnt lgkmcnt(0)
	v_fma_f64 v[2:3], v[140:141], v[120:121], v[2:3]
	s_waitcnt vmcnt(4)
	s_delay_alu instid0(VALU_DEP_1)
	v_fma_f64 v[2:3], v[124:125], v[122:123], v[2:3]
	ds_load_b128 v[120:123], v1 offset:672
	s_waitcnt lgkmcnt(0)
	v_fma_f64 v[2:3], v[126:127], v[120:121], v[2:3]
	scratch_load_b128 v[124:127], off, off offset:296
	s_waitcnt vmcnt(4)
	v_fma_f64 v[2:3], v[128:129], v[122:123], v[2:3]
	ds_load_b128 v[120:123], v1 offset:688
	s_waitcnt lgkmcnt(0)
	v_fma_f64 v[2:3], v[130:131], v[120:121], v[2:3]
	scratch_load_b128 v[128:131], off, off offset:312
	s_waitcnt vmcnt(4)
	;; [unrolled: 6-line block ×3, first 2 shown]
	v_fma_f64 v[2:3], v[142:143], v[122:123], v[2:3]
	ds_load_b128 v[120:123], v1 offset:720
	scratch_load_b128 v[140:143], off, off offset:344
	s_waitcnt lgkmcnt(0)
	v_fma_f64 v[2:3], v[144:145], v[120:121], v[2:3]
	s_waitcnt vmcnt(4)
	s_delay_alu instid0(VALU_DEP_1)
	v_fma_f64 v[2:3], v[136:137], v[122:123], v[2:3]
	ds_load_b128 v[120:123], v1 offset:736
	s_waitcnt lgkmcnt(0)
	v_fma_f64 v[2:3], v[138:139], v[120:121], v[2:3]
	scratch_load_b128 v[136:139], off, off offset:360
	s_waitcnt vmcnt(4)
	v_fma_f64 v[2:3], v[124:125], v[122:123], v[2:3]
	ds_load_b128 v[120:123], v1 offset:752
	s_waitcnt lgkmcnt(0)
	v_fma_f64 v[2:3], v[126:127], v[120:121], v[2:3]
	scratch_load_b128 v[124:127], off, off offset:376
	s_waitcnt vmcnt(4)
	;; [unrolled: 6-line block ×5, first 2 shown]
	v_fma_f64 v[2:3], v[136:137], v[122:123], v[2:3]
	ds_load_b128 v[120:123], v1 offset:816
	scratch_load_b64 v[136:137], off, off offset:440
	s_waitcnt lgkmcnt(0)
	v_fma_f64 v[2:3], v[138:139], v[120:121], v[2:3]
	s_waitcnt vmcnt(4)
	s_delay_alu instid0(VALU_DEP_1) | instskip(SKIP_4) | instid1(VALU_DEP_1)
	v_fma_f64 v[2:3], v[124:125], v[122:123], v[2:3]
	ds_load_b128 v[120:123], v1 offset:832
	s_waitcnt lgkmcnt(0)
	v_fma_f64 v[2:3], v[126:127], v[120:121], v[2:3]
	s_waitcnt vmcnt(3)
	v_fma_f64 v[2:3], v[128:129], v[122:123], v[2:3]
	ds_load_b128 v[120:123], v1 offset:848
	s_waitcnt lgkmcnt(0)
	v_fma_f64 v[2:3], v[130:131], v[120:121], v[2:3]
	s_waitcnt vmcnt(2)
	s_delay_alu instid0(VALU_DEP_1) | instskip(SKIP_4) | instid1(VALU_DEP_1)
	v_fma_f64 v[2:3], v[132:133], v[122:123], v[2:3]
	ds_load_b128 v[120:123], v1 offset:864
	s_waitcnt lgkmcnt(0)
	v_fma_f64 v[2:3], v[134:135], v[120:121], v[2:3]
	s_waitcnt vmcnt(1)
	v_fma_f64 v[120:121], v[140:141], v[122:123], v[2:3]
	ds_load_b128 v[1:4], v1 offset:880
	s_waitcnt lgkmcnt(0)
	v_fma_f64 v[1:2], v[142:143], v[1:2], v[120:121]
	s_waitcnt vmcnt(0)
	s_delay_alu instid0(VALU_DEP_1) | instskip(NEXT) | instid1(VALU_DEP_1)
	v_fma_f64 v[1:2], v[136:137], v[3:4], v[1:2]
	v_add_f64 v[1:2], v[118:119], -v[1:2]
	scratch_store_b64 off, v[1:2], off offset:104
	v_cmpx_lt_u32_e32 12, v0
	s_cbranch_execz .LBB55_321
; %bb.320:
	scratch_load_b64 v[1:2], off, off offset:96
	v_mov_b32_e32 v3, 0
	s_delay_alu instid0(VALU_DEP_1)
	v_mov_b32_e32 v4, v3
	scratch_store_b64 off, v[3:4], off offset:96
	s_waitcnt vmcnt(0)
	ds_store_b64 v5, v[1:2]
.LBB55_321:
	s_or_b32 exec_lo, exec_lo, s0
	s_waitcnt lgkmcnt(0)
	s_waitcnt_vscnt null, 0x0
	s_barrier
	buffer_gl0_inv
	s_clause 0x4
	scratch_load_b128 v[1:4], off, off offset:96
	scratch_load_b128 v[119:122], off, off offset:112
	;; [unrolled: 1-line block ×5, first 2 shown]
	v_mov_b32_e32 v118, 0
	scratch_load_b128 v[139:142], off, off offset:176
	s_mov_b32 s0, exec_lo
	ds_load_2addr_b64 v[135:138], v118 offset0:69 offset1:70
	s_waitcnt vmcnt(5) lgkmcnt(0)
	v_fma_f64 v[3:4], v[3:4], v[135:136], 0
	s_waitcnt vmcnt(4)
	s_delay_alu instid0(VALU_DEP_1)
	v_fma_f64 v[3:4], v[119:120], v[137:138], v[3:4]
	ds_load_2addr_b64 v[135:138], v118 offset0:71 offset1:72
	s_waitcnt lgkmcnt(0)
	v_fma_f64 v[3:4], v[121:122], v[135:136], v[3:4]
	scratch_load_b128 v[119:122], off, off offset:192
	s_waitcnt vmcnt(4)
	v_fma_f64 v[3:4], v[123:124], v[137:138], v[3:4]
	ds_load_2addr_b64 v[135:138], v118 offset0:73 offset1:74
	s_waitcnt lgkmcnt(0)
	v_fma_f64 v[3:4], v[125:126], v[135:136], v[3:4]
	scratch_load_b128 v[123:126], off, off offset:208
	s_waitcnt vmcnt(4)
	;; [unrolled: 6-line block ×16, first 2 shown]
	v_fma_f64 v[3:4], v[123:124], v[137:138], v[3:4]
	ds_load_2addr_b64 v[135:138], v118 offset0:103 offset1:104
	s_waitcnt lgkmcnt(0)
	v_fma_f64 v[3:4], v[125:126], v[135:136], v[3:4]
	ds_load_2addr_b64 v[123:126], v118 offset0:105 offset1:106
	s_waitcnt vmcnt(3)
	v_fma_f64 v[3:4], v[127:128], v[137:138], v[3:4]
	s_waitcnt lgkmcnt(0)
	s_delay_alu instid0(VALU_DEP_1) | instskip(SKIP_1) | instid1(VALU_DEP_1)
	v_fma_f64 v[3:4], v[129:130], v[123:124], v[3:4]
	s_waitcnt vmcnt(2)
	v_fma_f64 v[3:4], v[131:132], v[125:126], v[3:4]
	ds_load_2addr_b64 v[123:126], v118 offset0:107 offset1:108
	s_waitcnt lgkmcnt(0)
	v_fma_f64 v[3:4], v[133:134], v[123:124], v[3:4]
	s_waitcnt vmcnt(1)
	s_delay_alu instid0(VALU_DEP_1) | instskip(SKIP_4) | instid1(VALU_DEP_1)
	v_fma_f64 v[3:4], v[139:140], v[125:126], v[3:4]
	ds_load_2addr_b64 v[123:126], v118 offset0:109 offset1:110
	s_waitcnt lgkmcnt(0)
	v_fma_f64 v[3:4], v[141:142], v[123:124], v[3:4]
	s_waitcnt vmcnt(0)
	v_fma_f64 v[3:4], v[119:120], v[125:126], v[3:4]
	ds_load_b64 v[119:120], v118 offset:888
	s_waitcnt lgkmcnt(0)
	v_fma_f64 v[3:4], v[121:122], v[119:120], v[3:4]
	s_delay_alu instid0(VALU_DEP_1)
	v_add_f64 v[1:2], v[1:2], -v[3:4]
	scratch_store_b64 off, v[1:2], off offset:96
	v_cmpx_lt_u32_e32 11, v0
	s_cbranch_execz .LBB55_323
; %bb.322:
	scratch_load_b64 v[1:2], off, off offset:88
	v_mov_b32_e32 v119, v118
	scratch_store_b64 off, v[118:119], off offset:88
	s_waitcnt vmcnt(0)
	ds_store_b64 v5, v[1:2]
.LBB55_323:
	s_or_b32 exec_lo, exec_lo, s0
	s_waitcnt lgkmcnt(0)
	s_waitcnt_vscnt null, 0x0
	s_barrier
	buffer_gl0_inv
	s_clause 0x4
	scratch_load_b128 v[1:4], off, off offset:88
	scratch_load_b128 v[119:122], off, off offset:104
	;; [unrolled: 1-line block ×5, first 2 shown]
	ds_load_b128 v[135:138], v118 offset:544
	scratch_load_b128 v[139:142], off, off offset:168
	s_mov_b32 s0, exec_lo
	s_waitcnt vmcnt(5) lgkmcnt(0)
	v_fma_f64 v[3:4], v[3:4], v[135:136], 0
	s_waitcnt vmcnt(4)
	s_delay_alu instid0(VALU_DEP_1)
	v_fma_f64 v[3:4], v[119:120], v[137:138], v[3:4]
	ds_load_b128 v[135:138], v118 offset:560
	s_waitcnt lgkmcnt(0)
	v_fma_f64 v[3:4], v[121:122], v[135:136], v[3:4]
	scratch_load_b128 v[119:122], off, off offset:184
	s_waitcnt vmcnt(4)
	v_fma_f64 v[3:4], v[123:124], v[137:138], v[3:4]
	ds_load_b128 v[135:138], v118 offset:576
	s_waitcnt lgkmcnt(0)
	v_fma_f64 v[3:4], v[125:126], v[135:136], v[3:4]
	scratch_load_b128 v[123:126], off, off offset:200
	s_waitcnt vmcnt(4)
	;; [unrolled: 6-line block ×16, first 2 shown]
	v_fma_f64 v[3:4], v[123:124], v[137:138], v[3:4]
	ds_load_b128 v[135:138], v118 offset:816
	s_waitcnt lgkmcnt(0)
	v_fma_f64 v[3:4], v[125:126], v[135:136], v[3:4]
	scratch_load_b64 v[135:136], off, off offset:440
	ds_load_b128 v[123:126], v118 offset:832
	s_waitcnt vmcnt(4)
	v_fma_f64 v[3:4], v[127:128], v[137:138], v[3:4]
	s_waitcnt lgkmcnt(0)
	s_delay_alu instid0(VALU_DEP_1) | instskip(SKIP_1) | instid1(VALU_DEP_1)
	v_fma_f64 v[3:4], v[129:130], v[123:124], v[3:4]
	s_waitcnt vmcnt(3)
	v_fma_f64 v[3:4], v[131:132], v[125:126], v[3:4]
	ds_load_b128 v[123:126], v118 offset:848
	s_waitcnt lgkmcnt(0)
	v_fma_f64 v[3:4], v[133:134], v[123:124], v[3:4]
	s_waitcnt vmcnt(2)
	s_delay_alu instid0(VALU_DEP_1) | instskip(SKIP_4) | instid1(VALU_DEP_1)
	v_fma_f64 v[3:4], v[139:140], v[125:126], v[3:4]
	ds_load_b128 v[123:126], v118 offset:864
	s_waitcnt lgkmcnt(0)
	v_fma_f64 v[3:4], v[141:142], v[123:124], v[3:4]
	s_waitcnt vmcnt(1)
	v_fma_f64 v[3:4], v[119:120], v[125:126], v[3:4]
	ds_load_b128 v[123:126], v118 offset:880
	s_waitcnt lgkmcnt(0)
	v_fma_f64 v[3:4], v[121:122], v[123:124], v[3:4]
	s_waitcnt vmcnt(0)
	s_delay_alu instid0(VALU_DEP_1) | instskip(NEXT) | instid1(VALU_DEP_1)
	v_fma_f64 v[3:4], v[135:136], v[125:126], v[3:4]
	v_add_f64 v[1:2], v[1:2], -v[3:4]
	scratch_store_b64 off, v[1:2], off offset:88
	v_cmpx_lt_u32_e32 10, v0
	s_cbranch_execz .LBB55_325
; %bb.324:
	scratch_load_b64 v[1:2], off, off offset:80
	v_mov_b32_e32 v3, 0
	s_delay_alu instid0(VALU_DEP_1)
	v_mov_b32_e32 v4, v3
	scratch_store_b64 off, v[3:4], off offset:80
	s_waitcnt vmcnt(0)
	ds_store_b64 v5, v[1:2]
.LBB55_325:
	s_or_b32 exec_lo, exec_lo, s0
	s_waitcnt lgkmcnt(0)
	s_waitcnt_vscnt null, 0x0
	s_barrier
	buffer_gl0_inv
	s_clause 0x4
	scratch_load_b128 v[1:4], off, off offset:80
	scratch_load_b128 v[119:122], off, off offset:96
	;; [unrolled: 1-line block ×5, first 2 shown]
	v_mov_b32_e32 v118, 0
	scratch_load_b128 v[139:142], off, off offset:160
	s_mov_b32 s0, exec_lo
	ds_load_2addr_b64 v[135:138], v118 offset0:67 offset1:68
	s_waitcnt vmcnt(5) lgkmcnt(0)
	v_fma_f64 v[3:4], v[3:4], v[135:136], 0
	s_waitcnt vmcnt(4)
	s_delay_alu instid0(VALU_DEP_1)
	v_fma_f64 v[3:4], v[119:120], v[137:138], v[3:4]
	ds_load_2addr_b64 v[135:138], v118 offset0:69 offset1:70
	s_waitcnt lgkmcnt(0)
	v_fma_f64 v[3:4], v[121:122], v[135:136], v[3:4]
	scratch_load_b128 v[119:122], off, off offset:176
	s_waitcnt vmcnt(4)
	v_fma_f64 v[3:4], v[123:124], v[137:138], v[3:4]
	ds_load_2addr_b64 v[135:138], v118 offset0:71 offset1:72
	s_waitcnt lgkmcnt(0)
	v_fma_f64 v[3:4], v[125:126], v[135:136], v[3:4]
	scratch_load_b128 v[123:126], off, off offset:192
	s_waitcnt vmcnt(4)
	v_fma_f64 v[3:4], v[127:128], v[137:138], v[3:4]
	ds_load_2addr_b64 v[135:138], v118 offset0:73 offset1:74
	s_waitcnt lgkmcnt(0)
	v_fma_f64 v[3:4], v[129:130], v[135:136], v[3:4]
	scratch_load_b128 v[127:130], off, off offset:208
	s_waitcnt vmcnt(4)
	v_fma_f64 v[3:4], v[131:132], v[137:138], v[3:4]
	ds_load_2addr_b64 v[135:138], v118 offset0:75 offset1:76
	s_waitcnt lgkmcnt(0)
	v_fma_f64 v[3:4], v[133:134], v[135:136], v[3:4]
	scratch_load_b128 v[131:134], off, off offset:224
	s_waitcnt vmcnt(4)
	v_fma_f64 v[3:4], v[139:140], v[137:138], v[3:4]
	ds_load_2addr_b64 v[135:138], v118 offset0:77 offset1:78
	s_waitcnt lgkmcnt(0)
	v_fma_f64 v[3:4], v[141:142], v[135:136], v[3:4]
	scratch_load_b128 v[139:142], off, off offset:240
	s_waitcnt vmcnt(4)
	v_fma_f64 v[3:4], v[119:120], v[137:138], v[3:4]
	ds_load_2addr_b64 v[135:138], v118 offset0:79 offset1:80
	s_waitcnt lgkmcnt(0)
	v_fma_f64 v[3:4], v[121:122], v[135:136], v[3:4]
	scratch_load_b128 v[119:122], off, off offset:256
	s_waitcnt vmcnt(4)
	v_fma_f64 v[3:4], v[123:124], v[137:138], v[3:4]
	ds_load_2addr_b64 v[135:138], v118 offset0:81 offset1:82
	s_waitcnt lgkmcnt(0)
	v_fma_f64 v[3:4], v[125:126], v[135:136], v[3:4]
	scratch_load_b128 v[123:126], off, off offset:272
	s_waitcnt vmcnt(4)
	v_fma_f64 v[3:4], v[127:128], v[137:138], v[3:4]
	ds_load_2addr_b64 v[135:138], v118 offset0:83 offset1:84
	s_waitcnt lgkmcnt(0)
	v_fma_f64 v[3:4], v[129:130], v[135:136], v[3:4]
	scratch_load_b128 v[127:130], off, off offset:288
	s_waitcnt vmcnt(4)
	v_fma_f64 v[3:4], v[131:132], v[137:138], v[3:4]
	ds_load_2addr_b64 v[135:138], v118 offset0:85 offset1:86
	s_waitcnt lgkmcnt(0)
	v_fma_f64 v[3:4], v[133:134], v[135:136], v[3:4]
	scratch_load_b128 v[131:134], off, off offset:304
	s_waitcnt vmcnt(4)
	v_fma_f64 v[3:4], v[139:140], v[137:138], v[3:4]
	ds_load_2addr_b64 v[135:138], v118 offset0:87 offset1:88
	s_waitcnt lgkmcnt(0)
	v_fma_f64 v[3:4], v[141:142], v[135:136], v[3:4]
	scratch_load_b128 v[139:142], off, off offset:320
	s_waitcnt vmcnt(4)
	v_fma_f64 v[3:4], v[119:120], v[137:138], v[3:4]
	ds_load_2addr_b64 v[135:138], v118 offset0:89 offset1:90
	s_waitcnt lgkmcnt(0)
	v_fma_f64 v[3:4], v[121:122], v[135:136], v[3:4]
	scratch_load_b128 v[119:122], off, off offset:336
	s_waitcnt vmcnt(4)
	v_fma_f64 v[3:4], v[123:124], v[137:138], v[3:4]
	ds_load_2addr_b64 v[135:138], v118 offset0:91 offset1:92
	s_waitcnt lgkmcnt(0)
	v_fma_f64 v[3:4], v[125:126], v[135:136], v[3:4]
	scratch_load_b128 v[123:126], off, off offset:352
	s_waitcnt vmcnt(4)
	v_fma_f64 v[3:4], v[127:128], v[137:138], v[3:4]
	ds_load_2addr_b64 v[135:138], v118 offset0:93 offset1:94
	s_waitcnt lgkmcnt(0)
	v_fma_f64 v[3:4], v[129:130], v[135:136], v[3:4]
	scratch_load_b128 v[127:130], off, off offset:368
	s_waitcnt vmcnt(4)
	v_fma_f64 v[3:4], v[131:132], v[137:138], v[3:4]
	ds_load_2addr_b64 v[135:138], v118 offset0:95 offset1:96
	s_waitcnt lgkmcnt(0)
	v_fma_f64 v[3:4], v[133:134], v[135:136], v[3:4]
	scratch_load_b128 v[131:134], off, off offset:384
	s_waitcnt vmcnt(4)
	v_fma_f64 v[3:4], v[139:140], v[137:138], v[3:4]
	ds_load_2addr_b64 v[135:138], v118 offset0:97 offset1:98
	s_waitcnt lgkmcnt(0)
	v_fma_f64 v[3:4], v[141:142], v[135:136], v[3:4]
	scratch_load_b128 v[139:142], off, off offset:400
	s_waitcnt vmcnt(4)
	v_fma_f64 v[3:4], v[119:120], v[137:138], v[3:4]
	ds_load_2addr_b64 v[135:138], v118 offset0:99 offset1:100
	s_waitcnt lgkmcnt(0)
	v_fma_f64 v[3:4], v[121:122], v[135:136], v[3:4]
	scratch_load_b128 v[119:122], off, off offset:416
	s_waitcnt vmcnt(4)
	v_fma_f64 v[3:4], v[123:124], v[137:138], v[3:4]
	ds_load_2addr_b64 v[135:138], v118 offset0:101 offset1:102
	s_waitcnt lgkmcnt(0)
	v_fma_f64 v[3:4], v[125:126], v[135:136], v[3:4]
	scratch_load_b128 v[123:126], off, off offset:432
	s_waitcnt vmcnt(4)
	v_fma_f64 v[3:4], v[127:128], v[137:138], v[3:4]
	ds_load_2addr_b64 v[135:138], v118 offset0:103 offset1:104
	s_waitcnt lgkmcnt(0)
	v_fma_f64 v[3:4], v[129:130], v[135:136], v[3:4]
	ds_load_2addr_b64 v[127:130], v118 offset0:105 offset1:106
	s_waitcnt vmcnt(3)
	v_fma_f64 v[3:4], v[131:132], v[137:138], v[3:4]
	s_waitcnt lgkmcnt(0)
	s_delay_alu instid0(VALU_DEP_1) | instskip(SKIP_1) | instid1(VALU_DEP_1)
	v_fma_f64 v[3:4], v[133:134], v[127:128], v[3:4]
	s_waitcnt vmcnt(2)
	v_fma_f64 v[3:4], v[139:140], v[129:130], v[3:4]
	ds_load_2addr_b64 v[127:130], v118 offset0:107 offset1:108
	s_waitcnt lgkmcnt(0)
	v_fma_f64 v[3:4], v[141:142], v[127:128], v[3:4]
	s_waitcnt vmcnt(1)
	s_delay_alu instid0(VALU_DEP_1)
	v_fma_f64 v[3:4], v[119:120], v[129:130], v[3:4]
	ds_load_2addr_b64 v[127:130], v118 offset0:109 offset1:110
	ds_load_b64 v[119:120], v118 offset:888
	s_waitcnt lgkmcnt(1)
	v_fma_f64 v[3:4], v[121:122], v[127:128], v[3:4]
	s_waitcnt vmcnt(0)
	s_delay_alu instid0(VALU_DEP_1) | instskip(SKIP_1) | instid1(VALU_DEP_1)
	v_fma_f64 v[3:4], v[123:124], v[129:130], v[3:4]
	s_waitcnt lgkmcnt(0)
	v_fma_f64 v[3:4], v[125:126], v[119:120], v[3:4]
	s_delay_alu instid0(VALU_DEP_1)
	v_add_f64 v[1:2], v[1:2], -v[3:4]
	scratch_store_b64 off, v[1:2], off offset:80
	v_cmpx_lt_u32_e32 9, v0
	s_cbranch_execz .LBB55_327
; %bb.326:
	scratch_load_b64 v[1:2], off, off offset:72
	v_mov_b32_e32 v119, v118
	scratch_store_b64 off, v[118:119], off offset:72
	s_waitcnt vmcnt(0)
	ds_store_b64 v5, v[1:2]
.LBB55_327:
	s_or_b32 exec_lo, exec_lo, s0
	s_waitcnt lgkmcnt(0)
	s_waitcnt_vscnt null, 0x0
	s_barrier
	buffer_gl0_inv
	s_clause 0x4
	scratch_load_b128 v[1:4], off, off offset:72
	scratch_load_b128 v[119:122], off, off offset:88
	;; [unrolled: 1-line block ×5, first 2 shown]
	ds_load_b128 v[135:138], v118 offset:528
	scratch_load_b128 v[139:142], off, off offset:152
	s_mov_b32 s0, exec_lo
	s_waitcnt vmcnt(5) lgkmcnt(0)
	v_fma_f64 v[3:4], v[3:4], v[135:136], 0
	s_waitcnt vmcnt(4)
	s_delay_alu instid0(VALU_DEP_1)
	v_fma_f64 v[3:4], v[119:120], v[137:138], v[3:4]
	ds_load_b128 v[135:138], v118 offset:544
	s_waitcnt lgkmcnt(0)
	v_fma_f64 v[3:4], v[121:122], v[135:136], v[3:4]
	scratch_load_b128 v[119:122], off, off offset:168
	s_waitcnt vmcnt(4)
	v_fma_f64 v[3:4], v[123:124], v[137:138], v[3:4]
	ds_load_b128 v[135:138], v118 offset:560
	s_waitcnt lgkmcnt(0)
	v_fma_f64 v[3:4], v[125:126], v[135:136], v[3:4]
	scratch_load_b128 v[123:126], off, off offset:184
	s_waitcnt vmcnt(4)
	;; [unrolled: 6-line block ×17, first 2 shown]
	v_fma_f64 v[3:4], v[127:128], v[137:138], v[3:4]
	ds_load_b128 v[135:138], v118 offset:816
	s_waitcnt lgkmcnt(0)
	v_fma_f64 v[3:4], v[129:130], v[135:136], v[3:4]
	scratch_load_b64 v[135:136], off, off offset:440
	ds_load_b128 v[127:130], v118 offset:832
	s_waitcnt vmcnt(4)
	v_fma_f64 v[3:4], v[131:132], v[137:138], v[3:4]
	s_waitcnt lgkmcnt(0)
	s_delay_alu instid0(VALU_DEP_1) | instskip(SKIP_1) | instid1(VALU_DEP_1)
	v_fma_f64 v[3:4], v[133:134], v[127:128], v[3:4]
	s_waitcnt vmcnt(3)
	v_fma_f64 v[3:4], v[139:140], v[129:130], v[3:4]
	ds_load_b128 v[127:130], v118 offset:848
	s_waitcnt lgkmcnt(0)
	v_fma_f64 v[3:4], v[141:142], v[127:128], v[3:4]
	s_waitcnt vmcnt(2)
	s_delay_alu instid0(VALU_DEP_1)
	v_fma_f64 v[3:4], v[119:120], v[129:130], v[3:4]
	ds_load_b128 v[127:130], v118 offset:864
	s_waitcnt lgkmcnt(0)
	v_fma_f64 v[3:4], v[121:122], v[127:128], v[3:4]
	ds_load_b128 v[118:121], v118 offset:880
	s_waitcnt vmcnt(1)
	v_fma_f64 v[3:4], v[123:124], v[129:130], v[3:4]
	s_waitcnt lgkmcnt(0)
	s_delay_alu instid0(VALU_DEP_1) | instskip(SKIP_1) | instid1(VALU_DEP_1)
	v_fma_f64 v[3:4], v[125:126], v[118:119], v[3:4]
	s_waitcnt vmcnt(0)
	v_fma_f64 v[3:4], v[135:136], v[120:121], v[3:4]
	s_delay_alu instid0(VALU_DEP_1)
	v_add_f64 v[1:2], v[1:2], -v[3:4]
	scratch_store_b64 off, v[1:2], off offset:72
	v_cmpx_lt_u32_e32 8, v0
	s_cbranch_execz .LBB55_329
; %bb.328:
	scratch_load_b64 v[1:2], off, off offset:64
	v_mov_b32_e32 v3, 0
	s_delay_alu instid0(VALU_DEP_1)
	v_mov_b32_e32 v4, v3
	scratch_store_b64 off, v[3:4], off offset:64
	s_waitcnt vmcnt(0)
	ds_store_b64 v5, v[1:2]
.LBB55_329:
	s_or_b32 exec_lo, exec_lo, s0
	s_waitcnt lgkmcnt(0)
	s_waitcnt_vscnt null, 0x0
	s_barrier
	buffer_gl0_inv
	s_clause 0x4
	scratch_load_b128 v[1:4], off, off offset:64
	scratch_load_b128 v[119:122], off, off offset:80
	;; [unrolled: 1-line block ×5, first 2 shown]
	v_mov_b32_e32 v118, 0
	scratch_load_b128 v[139:142], off, off offset:144
	s_mov_b32 s0, exec_lo
	ds_load_2addr_b64 v[135:138], v118 offset0:65 offset1:66
	s_waitcnt vmcnt(5) lgkmcnt(0)
	v_fma_f64 v[3:4], v[3:4], v[135:136], 0
	s_waitcnt vmcnt(4)
	s_delay_alu instid0(VALU_DEP_1)
	v_fma_f64 v[3:4], v[119:120], v[137:138], v[3:4]
	ds_load_2addr_b64 v[135:138], v118 offset0:67 offset1:68
	s_waitcnt lgkmcnt(0)
	v_fma_f64 v[3:4], v[121:122], v[135:136], v[3:4]
	scratch_load_b128 v[119:122], off, off offset:160
	s_waitcnt vmcnt(4)
	v_fma_f64 v[3:4], v[123:124], v[137:138], v[3:4]
	ds_load_2addr_b64 v[135:138], v118 offset0:69 offset1:70
	s_waitcnt lgkmcnt(0)
	v_fma_f64 v[3:4], v[125:126], v[135:136], v[3:4]
	scratch_load_b128 v[123:126], off, off offset:176
	s_waitcnt vmcnt(4)
	;; [unrolled: 6-line block ×18, first 2 shown]
	v_fma_f64 v[3:4], v[131:132], v[137:138], v[3:4]
	ds_load_2addr_b64 v[135:138], v118 offset0:103 offset1:104
	s_waitcnt lgkmcnt(0)
	v_fma_f64 v[3:4], v[133:134], v[135:136], v[3:4]
	ds_load_2addr_b64 v[131:134], v118 offset0:105 offset1:106
	s_waitcnt vmcnt(3)
	v_fma_f64 v[3:4], v[139:140], v[137:138], v[3:4]
	s_waitcnt lgkmcnt(0)
	s_delay_alu instid0(VALU_DEP_1) | instskip(SKIP_1) | instid1(VALU_DEP_1)
	v_fma_f64 v[3:4], v[141:142], v[131:132], v[3:4]
	s_waitcnt vmcnt(2)
	v_fma_f64 v[3:4], v[119:120], v[133:134], v[3:4]
	ds_load_2addr_b64 v[131:134], v118 offset0:107 offset1:108
	s_waitcnt lgkmcnt(0)
	v_fma_f64 v[3:4], v[121:122], v[131:132], v[3:4]
	ds_load_2addr_b64 v[119:122], v118 offset0:109 offset1:110
	s_waitcnt vmcnt(1)
	v_fma_f64 v[3:4], v[123:124], v[133:134], v[3:4]
	s_waitcnt lgkmcnt(0)
	s_delay_alu instid0(VALU_DEP_1) | instskip(SKIP_4) | instid1(VALU_DEP_1)
	v_fma_f64 v[3:4], v[125:126], v[119:120], v[3:4]
	ds_load_b64 v[119:120], v118 offset:888
	s_waitcnt vmcnt(0)
	v_fma_f64 v[3:4], v[127:128], v[121:122], v[3:4]
	s_waitcnt lgkmcnt(0)
	v_fma_f64 v[3:4], v[129:130], v[119:120], v[3:4]
	s_delay_alu instid0(VALU_DEP_1)
	v_add_f64 v[1:2], v[1:2], -v[3:4]
	scratch_store_b64 off, v[1:2], off offset:64
	v_cmpx_lt_u32_e32 7, v0
	s_cbranch_execz .LBB55_331
; %bb.330:
	scratch_load_b64 v[1:2], off, off offset:56
	v_mov_b32_e32 v119, v118
	scratch_store_b64 off, v[118:119], off offset:56
	s_waitcnt vmcnt(0)
	ds_store_b64 v5, v[1:2]
.LBB55_331:
	s_or_b32 exec_lo, exec_lo, s0
	s_waitcnt lgkmcnt(0)
	s_waitcnt_vscnt null, 0x0
	s_barrier
	buffer_gl0_inv
	s_clause 0x4
	scratch_load_b128 v[1:4], off, off offset:56
	scratch_load_b128 v[119:122], off, off offset:72
	;; [unrolled: 1-line block ×5, first 2 shown]
	ds_load_b128 v[135:138], v118 offset:512
	scratch_load_b128 v[139:142], off, off offset:136
	s_mov_b32 s0, exec_lo
	s_waitcnt vmcnt(5) lgkmcnt(0)
	v_fma_f64 v[3:4], v[3:4], v[135:136], 0
	s_waitcnt vmcnt(4)
	s_delay_alu instid0(VALU_DEP_1)
	v_fma_f64 v[3:4], v[119:120], v[137:138], v[3:4]
	ds_load_b128 v[135:138], v118 offset:528
	s_waitcnt lgkmcnt(0)
	v_fma_f64 v[3:4], v[121:122], v[135:136], v[3:4]
	scratch_load_b128 v[119:122], off, off offset:152
	s_waitcnt vmcnt(4)
	v_fma_f64 v[3:4], v[123:124], v[137:138], v[3:4]
	ds_load_b128 v[135:138], v118 offset:544
	s_waitcnt lgkmcnt(0)
	v_fma_f64 v[3:4], v[125:126], v[135:136], v[3:4]
	scratch_load_b128 v[123:126], off, off offset:168
	s_waitcnt vmcnt(4)
	;; [unrolled: 6-line block ×18, first 2 shown]
	v_fma_f64 v[3:4], v[131:132], v[137:138], v[3:4]
	ds_load_b128 v[135:138], v118 offset:816
	s_waitcnt lgkmcnt(0)
	v_fma_f64 v[3:4], v[133:134], v[135:136], v[3:4]
	scratch_load_b64 v[135:136], off, off offset:440
	ds_load_b128 v[131:134], v118 offset:832
	s_waitcnt vmcnt(4)
	v_fma_f64 v[3:4], v[139:140], v[137:138], v[3:4]
	s_waitcnt lgkmcnt(0)
	s_delay_alu instid0(VALU_DEP_1) | instskip(SKIP_1) | instid1(VALU_DEP_1)
	v_fma_f64 v[3:4], v[141:142], v[131:132], v[3:4]
	s_waitcnt vmcnt(3)
	v_fma_f64 v[3:4], v[119:120], v[133:134], v[3:4]
	ds_load_b128 v[131:134], v118 offset:848
	s_waitcnt lgkmcnt(0)
	v_fma_f64 v[3:4], v[121:122], v[131:132], v[3:4]
	ds_load_b128 v[119:122], v118 offset:864
	s_waitcnt vmcnt(2)
	v_fma_f64 v[3:4], v[123:124], v[133:134], v[3:4]
	s_waitcnt lgkmcnt(0)
	s_delay_alu instid0(VALU_DEP_1) | instskip(SKIP_1) | instid1(VALU_DEP_1)
	v_fma_f64 v[3:4], v[125:126], v[119:120], v[3:4]
	s_waitcnt vmcnt(1)
	v_fma_f64 v[3:4], v[127:128], v[121:122], v[3:4]
	ds_load_b128 v[118:121], v118 offset:880
	s_waitcnt lgkmcnt(0)
	v_fma_f64 v[3:4], v[129:130], v[118:119], v[3:4]
	s_waitcnt vmcnt(0)
	s_delay_alu instid0(VALU_DEP_1) | instskip(NEXT) | instid1(VALU_DEP_1)
	v_fma_f64 v[3:4], v[135:136], v[120:121], v[3:4]
	v_add_f64 v[1:2], v[1:2], -v[3:4]
	scratch_store_b64 off, v[1:2], off offset:56
	v_cmpx_lt_u32_e32 6, v0
	s_cbranch_execz .LBB55_333
; %bb.332:
	scratch_load_b64 v[1:2], off, off offset:48
	v_mov_b32_e32 v3, 0
	s_delay_alu instid0(VALU_DEP_1)
	v_mov_b32_e32 v4, v3
	scratch_store_b64 off, v[3:4], off offset:48
	s_waitcnt vmcnt(0)
	ds_store_b64 v5, v[1:2]
.LBB55_333:
	s_or_b32 exec_lo, exec_lo, s0
	s_waitcnt lgkmcnt(0)
	s_waitcnt_vscnt null, 0x0
	s_barrier
	buffer_gl0_inv
	s_clause 0x4
	scratch_load_b128 v[1:4], off, off offset:48
	scratch_load_b128 v[119:122], off, off offset:64
	;; [unrolled: 1-line block ×5, first 2 shown]
	v_mov_b32_e32 v118, 0
	scratch_load_b128 v[139:142], off, off offset:128
	s_mov_b32 s0, exec_lo
	ds_load_2addr_b64 v[135:138], v118 offset0:63 offset1:64
	s_waitcnt vmcnt(5) lgkmcnt(0)
	v_fma_f64 v[3:4], v[3:4], v[135:136], 0
	s_waitcnt vmcnt(4)
	s_delay_alu instid0(VALU_DEP_1)
	v_fma_f64 v[3:4], v[119:120], v[137:138], v[3:4]
	ds_load_2addr_b64 v[135:138], v118 offset0:65 offset1:66
	s_waitcnt lgkmcnt(0)
	v_fma_f64 v[3:4], v[121:122], v[135:136], v[3:4]
	scratch_load_b128 v[119:122], off, off offset:144
	s_waitcnt vmcnt(4)
	v_fma_f64 v[3:4], v[123:124], v[137:138], v[3:4]
	ds_load_2addr_b64 v[135:138], v118 offset0:67 offset1:68
	s_waitcnt lgkmcnt(0)
	v_fma_f64 v[3:4], v[125:126], v[135:136], v[3:4]
	scratch_load_b128 v[123:126], off, off offset:160
	s_waitcnt vmcnt(4)
	;; [unrolled: 6-line block ×19, first 2 shown]
	v_fma_f64 v[3:4], v[139:140], v[137:138], v[3:4]
	ds_load_2addr_b64 v[135:138], v118 offset0:103 offset1:104
	s_waitcnt lgkmcnt(0)
	v_fma_f64 v[3:4], v[141:142], v[135:136], v[3:4]
	s_waitcnt vmcnt(3)
	s_delay_alu instid0(VALU_DEP_1)
	v_fma_f64 v[3:4], v[119:120], v[137:138], v[3:4]
	ds_load_2addr_b64 v[135:138], v118 offset0:105 offset1:106
	s_waitcnt lgkmcnt(0)
	v_fma_f64 v[3:4], v[121:122], v[135:136], v[3:4]
	ds_load_2addr_b64 v[119:122], v118 offset0:107 offset1:108
	s_waitcnt vmcnt(2)
	v_fma_f64 v[3:4], v[123:124], v[137:138], v[3:4]
	s_waitcnt lgkmcnt(0)
	s_delay_alu instid0(VALU_DEP_1) | instskip(SKIP_1) | instid1(VALU_DEP_1)
	v_fma_f64 v[3:4], v[125:126], v[119:120], v[3:4]
	s_waitcnt vmcnt(1)
	v_fma_f64 v[3:4], v[127:128], v[121:122], v[3:4]
	ds_load_2addr_b64 v[119:122], v118 offset0:109 offset1:110
	s_waitcnt lgkmcnt(0)
	v_fma_f64 v[3:4], v[129:130], v[119:120], v[3:4]
	ds_load_b64 v[119:120], v118 offset:888
	s_waitcnt vmcnt(0)
	v_fma_f64 v[3:4], v[131:132], v[121:122], v[3:4]
	s_waitcnt lgkmcnt(0)
	s_delay_alu instid0(VALU_DEP_1) | instskip(NEXT) | instid1(VALU_DEP_1)
	v_fma_f64 v[3:4], v[133:134], v[119:120], v[3:4]
	v_add_f64 v[1:2], v[1:2], -v[3:4]
	scratch_store_b64 off, v[1:2], off offset:48
	v_cmpx_lt_u32_e32 5, v0
	s_cbranch_execz .LBB55_335
; %bb.334:
	scratch_load_b64 v[1:2], off, off offset:40
	v_mov_b32_e32 v119, v118
	scratch_store_b64 off, v[118:119], off offset:40
	s_waitcnt vmcnt(0)
	ds_store_b64 v5, v[1:2]
.LBB55_335:
	s_or_b32 exec_lo, exec_lo, s0
	s_waitcnt lgkmcnt(0)
	s_waitcnt_vscnt null, 0x0
	s_barrier
	buffer_gl0_inv
	s_clause 0x4
	scratch_load_b128 v[1:4], off, off offset:40
	scratch_load_b128 v[119:122], off, off offset:56
	;; [unrolled: 1-line block ×5, first 2 shown]
	ds_load_b128 v[135:138], v118 offset:496
	scratch_load_b128 v[139:142], off, off offset:120
	s_mov_b32 s0, exec_lo
	s_waitcnt vmcnt(5) lgkmcnt(0)
	v_fma_f64 v[3:4], v[3:4], v[135:136], 0
	s_waitcnt vmcnt(4)
	s_delay_alu instid0(VALU_DEP_1)
	v_fma_f64 v[3:4], v[119:120], v[137:138], v[3:4]
	ds_load_b128 v[135:138], v118 offset:512
	s_waitcnt lgkmcnt(0)
	v_fma_f64 v[3:4], v[121:122], v[135:136], v[3:4]
	scratch_load_b128 v[119:122], off, off offset:136
	s_waitcnt vmcnt(4)
	v_fma_f64 v[3:4], v[123:124], v[137:138], v[3:4]
	ds_load_b128 v[135:138], v118 offset:528
	s_waitcnt lgkmcnt(0)
	v_fma_f64 v[3:4], v[125:126], v[135:136], v[3:4]
	scratch_load_b128 v[123:126], off, off offset:152
	s_waitcnt vmcnt(4)
	;; [unrolled: 6-line block ×19, first 2 shown]
	v_fma_f64 v[3:4], v[139:140], v[137:138], v[3:4]
	ds_load_b128 v[135:138], v118 offset:816
	scratch_load_b64 v[139:140], off, off offset:440
	s_waitcnt lgkmcnt(0)
	v_fma_f64 v[3:4], v[141:142], v[135:136], v[3:4]
	s_waitcnt vmcnt(4)
	s_delay_alu instid0(VALU_DEP_1)
	v_fma_f64 v[3:4], v[119:120], v[137:138], v[3:4]
	ds_load_b128 v[135:138], v118 offset:832
	s_waitcnt lgkmcnt(0)
	v_fma_f64 v[3:4], v[121:122], v[135:136], v[3:4]
	ds_load_b128 v[119:122], v118 offset:848
	s_waitcnt vmcnt(3)
	v_fma_f64 v[3:4], v[123:124], v[137:138], v[3:4]
	s_waitcnt lgkmcnt(0)
	s_delay_alu instid0(VALU_DEP_1) | instskip(SKIP_1) | instid1(VALU_DEP_1)
	v_fma_f64 v[3:4], v[125:126], v[119:120], v[3:4]
	s_waitcnt vmcnt(2)
	v_fma_f64 v[3:4], v[127:128], v[121:122], v[3:4]
	ds_load_b128 v[119:122], v118 offset:864
	s_waitcnt lgkmcnt(0)
	v_fma_f64 v[3:4], v[129:130], v[119:120], v[3:4]
	s_waitcnt vmcnt(1)
	s_delay_alu instid0(VALU_DEP_1) | instskip(SKIP_4) | instid1(VALU_DEP_1)
	v_fma_f64 v[3:4], v[131:132], v[121:122], v[3:4]
	ds_load_b128 v[118:121], v118 offset:880
	s_waitcnt lgkmcnt(0)
	v_fma_f64 v[3:4], v[133:134], v[118:119], v[3:4]
	s_waitcnt vmcnt(0)
	v_fma_f64 v[3:4], v[139:140], v[120:121], v[3:4]
	s_delay_alu instid0(VALU_DEP_1)
	v_add_f64 v[1:2], v[1:2], -v[3:4]
	scratch_store_b64 off, v[1:2], off offset:40
	v_cmpx_lt_u32_e32 4, v0
	s_cbranch_execz .LBB55_337
; %bb.336:
	scratch_load_b64 v[1:2], off, off offset:32
	v_mov_b32_e32 v3, 0
	s_delay_alu instid0(VALU_DEP_1)
	v_mov_b32_e32 v4, v3
	scratch_store_b64 off, v[3:4], off offset:32
	s_waitcnt vmcnt(0)
	ds_store_b64 v5, v[1:2]
.LBB55_337:
	s_or_b32 exec_lo, exec_lo, s0
	s_waitcnt lgkmcnt(0)
	s_waitcnt_vscnt null, 0x0
	s_barrier
	buffer_gl0_inv
	s_clause 0x4
	scratch_load_b128 v[1:4], off, off offset:32
	scratch_load_b128 v[119:122], off, off offset:48
	;; [unrolled: 1-line block ×5, first 2 shown]
	v_mov_b32_e32 v118, 0
	scratch_load_b128 v[139:142], off, off offset:112
	s_mov_b32 s0, exec_lo
	ds_load_2addr_b64 v[135:138], v118 offset0:61 offset1:62
	s_waitcnt vmcnt(5) lgkmcnt(0)
	v_fma_f64 v[3:4], v[3:4], v[135:136], 0
	s_waitcnt vmcnt(4)
	s_delay_alu instid0(VALU_DEP_1)
	v_fma_f64 v[3:4], v[119:120], v[137:138], v[3:4]
	ds_load_2addr_b64 v[135:138], v118 offset0:63 offset1:64
	s_waitcnt lgkmcnt(0)
	v_fma_f64 v[3:4], v[121:122], v[135:136], v[3:4]
	scratch_load_b128 v[119:122], off, off offset:128
	s_waitcnt vmcnt(4)
	v_fma_f64 v[3:4], v[123:124], v[137:138], v[3:4]
	ds_load_2addr_b64 v[135:138], v118 offset0:65 offset1:66
	s_waitcnt lgkmcnt(0)
	v_fma_f64 v[3:4], v[125:126], v[135:136], v[3:4]
	scratch_load_b128 v[123:126], off, off offset:144
	s_waitcnt vmcnt(4)
	;; [unrolled: 6-line block ×20, first 2 shown]
	v_fma_f64 v[3:4], v[119:120], v[137:138], v[3:4]
	ds_load_2addr_b64 v[135:138], v118 offset0:103 offset1:104
	s_waitcnt lgkmcnt(0)
	v_fma_f64 v[3:4], v[121:122], v[135:136], v[3:4]
	ds_load_2addr_b64 v[119:122], v118 offset0:105 offset1:106
	s_waitcnt vmcnt(3)
	v_fma_f64 v[3:4], v[123:124], v[137:138], v[3:4]
	s_waitcnt lgkmcnt(0)
	s_delay_alu instid0(VALU_DEP_1) | instskip(SKIP_1) | instid1(VALU_DEP_1)
	v_fma_f64 v[3:4], v[125:126], v[119:120], v[3:4]
	s_waitcnt vmcnt(2)
	v_fma_f64 v[3:4], v[127:128], v[121:122], v[3:4]
	ds_load_2addr_b64 v[119:122], v118 offset0:107 offset1:108
	s_waitcnt lgkmcnt(0)
	v_fma_f64 v[3:4], v[129:130], v[119:120], v[3:4]
	s_waitcnt vmcnt(1)
	s_delay_alu instid0(VALU_DEP_1)
	v_fma_f64 v[3:4], v[131:132], v[121:122], v[3:4]
	ds_load_2addr_b64 v[119:122], v118 offset0:109 offset1:110
	s_waitcnt lgkmcnt(0)
	v_fma_f64 v[3:4], v[133:134], v[119:120], v[3:4]
	ds_load_b64 v[119:120], v118 offset:888
	s_waitcnt vmcnt(0)
	v_fma_f64 v[3:4], v[139:140], v[121:122], v[3:4]
	s_waitcnt lgkmcnt(0)
	s_delay_alu instid0(VALU_DEP_1) | instskip(NEXT) | instid1(VALU_DEP_1)
	v_fma_f64 v[3:4], v[141:142], v[119:120], v[3:4]
	v_add_f64 v[1:2], v[1:2], -v[3:4]
	scratch_store_b64 off, v[1:2], off offset:32
	v_cmpx_lt_u32_e32 3, v0
	s_cbranch_execz .LBB55_339
; %bb.338:
	scratch_load_b64 v[1:2], off, off offset:24
	v_mov_b32_e32 v119, v118
	scratch_store_b64 off, v[118:119], off offset:24
	s_waitcnt vmcnt(0)
	ds_store_b64 v5, v[1:2]
.LBB55_339:
	s_or_b32 exec_lo, exec_lo, s0
	s_waitcnt lgkmcnt(0)
	s_waitcnt_vscnt null, 0x0
	s_barrier
	buffer_gl0_inv
	s_clause 0x4
	scratch_load_b128 v[1:4], off, off offset:24
	scratch_load_b128 v[119:122], off, off offset:40
	;; [unrolled: 1-line block ×5, first 2 shown]
	ds_load_b128 v[135:138], v118 offset:480
	scratch_load_b128 v[139:142], off, off offset:104
	s_mov_b32 s0, exec_lo
	s_waitcnt vmcnt(5) lgkmcnt(0)
	v_fma_f64 v[3:4], v[3:4], v[135:136], 0
	s_waitcnt vmcnt(4)
	s_delay_alu instid0(VALU_DEP_1)
	v_fma_f64 v[3:4], v[119:120], v[137:138], v[3:4]
	ds_load_b128 v[135:138], v118 offset:496
	s_waitcnt lgkmcnt(0)
	v_fma_f64 v[3:4], v[121:122], v[135:136], v[3:4]
	scratch_load_b128 v[119:122], off, off offset:120
	s_waitcnt vmcnt(4)
	v_fma_f64 v[3:4], v[123:124], v[137:138], v[3:4]
	ds_load_b128 v[135:138], v118 offset:512
	s_waitcnt lgkmcnt(0)
	v_fma_f64 v[3:4], v[125:126], v[135:136], v[3:4]
	scratch_load_b128 v[123:126], off, off offset:136
	s_waitcnt vmcnt(4)
	;; [unrolled: 6-line block ×20, first 2 shown]
	v_fma_f64 v[3:4], v[119:120], v[137:138], v[3:4]
	ds_load_b128 v[135:138], v118 offset:816
	s_waitcnt lgkmcnt(0)
	v_fma_f64 v[3:4], v[121:122], v[135:136], v[3:4]
	scratch_load_b64 v[135:136], off, off offset:440
	ds_load_b128 v[119:122], v118 offset:832
	s_waitcnt vmcnt(4)
	v_fma_f64 v[3:4], v[123:124], v[137:138], v[3:4]
	s_waitcnt lgkmcnt(0)
	s_delay_alu instid0(VALU_DEP_1) | instskip(SKIP_1) | instid1(VALU_DEP_1)
	v_fma_f64 v[3:4], v[125:126], v[119:120], v[3:4]
	s_waitcnt vmcnt(3)
	v_fma_f64 v[3:4], v[127:128], v[121:122], v[3:4]
	ds_load_b128 v[119:122], v118 offset:848
	s_waitcnt lgkmcnt(0)
	v_fma_f64 v[3:4], v[129:130], v[119:120], v[3:4]
	s_waitcnt vmcnt(2)
	s_delay_alu instid0(VALU_DEP_1) | instskip(SKIP_4) | instid1(VALU_DEP_1)
	v_fma_f64 v[3:4], v[131:132], v[121:122], v[3:4]
	ds_load_b128 v[119:122], v118 offset:864
	s_waitcnt lgkmcnt(0)
	v_fma_f64 v[3:4], v[133:134], v[119:120], v[3:4]
	s_waitcnt vmcnt(1)
	v_fma_f64 v[3:4], v[139:140], v[121:122], v[3:4]
	ds_load_b128 v[118:121], v118 offset:880
	s_waitcnt lgkmcnt(0)
	v_fma_f64 v[3:4], v[141:142], v[118:119], v[3:4]
	s_waitcnt vmcnt(0)
	s_delay_alu instid0(VALU_DEP_1) | instskip(NEXT) | instid1(VALU_DEP_1)
	v_fma_f64 v[3:4], v[135:136], v[120:121], v[3:4]
	v_add_f64 v[1:2], v[1:2], -v[3:4]
	scratch_store_b64 off, v[1:2], off offset:24
	v_cmpx_lt_u32_e32 2, v0
	s_cbranch_execz .LBB55_341
; %bb.340:
	scratch_load_b64 v[1:2], off, off offset:16
	v_mov_b32_e32 v3, 0
	s_delay_alu instid0(VALU_DEP_1)
	v_mov_b32_e32 v4, v3
	scratch_store_b64 off, v[3:4], off offset:16
	s_waitcnt vmcnt(0)
	ds_store_b64 v5, v[1:2]
.LBB55_341:
	s_or_b32 exec_lo, exec_lo, s0
	s_waitcnt lgkmcnt(0)
	s_waitcnt_vscnt null, 0x0
	s_barrier
	buffer_gl0_inv
	s_clause 0x4
	scratch_load_b128 v[1:4], off, off offset:16
	scratch_load_b128 v[119:122], off, off offset:32
	;; [unrolled: 1-line block ×5, first 2 shown]
	v_mov_b32_e32 v118, 0
	scratch_load_b128 v[139:142], off, off offset:96
	s_mov_b32 s0, exec_lo
	ds_load_2addr_b64 v[135:138], v118 offset0:59 offset1:60
	s_waitcnt vmcnt(5) lgkmcnt(0)
	v_fma_f64 v[3:4], v[3:4], v[135:136], 0
	s_waitcnt vmcnt(4)
	s_delay_alu instid0(VALU_DEP_1)
	v_fma_f64 v[3:4], v[119:120], v[137:138], v[3:4]
	ds_load_2addr_b64 v[135:138], v118 offset0:61 offset1:62
	s_waitcnt lgkmcnt(0)
	v_fma_f64 v[3:4], v[121:122], v[135:136], v[3:4]
	scratch_load_b128 v[119:122], off, off offset:112
	s_waitcnt vmcnt(4)
	v_fma_f64 v[3:4], v[123:124], v[137:138], v[3:4]
	ds_load_2addr_b64 v[135:138], v118 offset0:63 offset1:64
	s_waitcnt lgkmcnt(0)
	v_fma_f64 v[3:4], v[125:126], v[135:136], v[3:4]
	scratch_load_b128 v[123:126], off, off offset:128
	s_waitcnt vmcnt(4)
	;; [unrolled: 6-line block ×21, first 2 shown]
	v_fma_f64 v[3:4], v[123:124], v[137:138], v[3:4]
	ds_load_2addr_b64 v[135:138], v118 offset0:103 offset1:104
	s_waitcnt lgkmcnt(0)
	v_fma_f64 v[3:4], v[125:126], v[135:136], v[3:4]
	ds_load_2addr_b64 v[123:126], v118 offset0:105 offset1:106
	s_waitcnt vmcnt(3)
	v_fma_f64 v[3:4], v[127:128], v[137:138], v[3:4]
	s_waitcnt lgkmcnt(0)
	s_delay_alu instid0(VALU_DEP_1) | instskip(SKIP_1) | instid1(VALU_DEP_1)
	v_fma_f64 v[3:4], v[129:130], v[123:124], v[3:4]
	s_waitcnt vmcnt(2)
	v_fma_f64 v[3:4], v[131:132], v[125:126], v[3:4]
	ds_load_2addr_b64 v[123:126], v118 offset0:107 offset1:108
	s_waitcnt lgkmcnt(0)
	v_fma_f64 v[3:4], v[133:134], v[123:124], v[3:4]
	s_waitcnt vmcnt(1)
	s_delay_alu instid0(VALU_DEP_1) | instskip(SKIP_4) | instid1(VALU_DEP_1)
	v_fma_f64 v[3:4], v[139:140], v[125:126], v[3:4]
	ds_load_2addr_b64 v[123:126], v118 offset0:109 offset1:110
	s_waitcnt lgkmcnt(0)
	v_fma_f64 v[3:4], v[141:142], v[123:124], v[3:4]
	s_waitcnt vmcnt(0)
	v_fma_f64 v[3:4], v[119:120], v[125:126], v[3:4]
	ds_load_b64 v[119:120], v118 offset:888
	s_waitcnt lgkmcnt(0)
	v_fma_f64 v[3:4], v[121:122], v[119:120], v[3:4]
	s_delay_alu instid0(VALU_DEP_1)
	v_add_f64 v[1:2], v[1:2], -v[3:4]
	scratch_store_b64 off, v[1:2], off offset:16
	v_cmpx_lt_u32_e32 1, v0
	s_cbranch_execz .LBB55_343
; %bb.342:
	scratch_load_b64 v[1:2], off, off offset:8
	v_mov_b32_e32 v119, v118
	scratch_store_b64 off, v[118:119], off offset:8
	s_waitcnt vmcnt(0)
	ds_store_b64 v5, v[1:2]
.LBB55_343:
	s_or_b32 exec_lo, exec_lo, s0
	s_waitcnt lgkmcnt(0)
	s_waitcnt_vscnt null, 0x0
	s_barrier
	buffer_gl0_inv
	s_clause 0x4
	scratch_load_b128 v[1:4], off, off offset:8
	scratch_load_b128 v[119:122], off, off offset:24
	;; [unrolled: 1-line block ×5, first 2 shown]
	ds_load_b128 v[135:138], v118 offset:464
	scratch_load_b128 v[139:142], off, off offset:88
	s_mov_b32 s0, exec_lo
	s_waitcnt vmcnt(5) lgkmcnt(0)
	v_fma_f64 v[3:4], v[3:4], v[135:136], 0
	s_waitcnt vmcnt(4)
	s_delay_alu instid0(VALU_DEP_1)
	v_fma_f64 v[3:4], v[119:120], v[137:138], v[3:4]
	ds_load_b128 v[135:138], v118 offset:480
	s_waitcnt lgkmcnt(0)
	v_fma_f64 v[3:4], v[121:122], v[135:136], v[3:4]
	scratch_load_b128 v[119:122], off, off offset:104
	s_waitcnt vmcnt(4)
	v_fma_f64 v[3:4], v[123:124], v[137:138], v[3:4]
	ds_load_b128 v[135:138], v118 offset:496
	s_waitcnt lgkmcnt(0)
	v_fma_f64 v[3:4], v[125:126], v[135:136], v[3:4]
	scratch_load_b128 v[123:126], off, off offset:120
	s_waitcnt vmcnt(4)
	;; [unrolled: 6-line block ×21, first 2 shown]
	v_fma_f64 v[3:4], v[123:124], v[137:138], v[3:4]
	ds_load_b128 v[135:138], v118 offset:816
	s_waitcnt lgkmcnt(0)
	v_fma_f64 v[3:4], v[125:126], v[135:136], v[3:4]
	scratch_load_b64 v[135:136], off, off offset:440
	ds_load_b128 v[123:126], v118 offset:832
	s_waitcnt vmcnt(4)
	v_fma_f64 v[3:4], v[127:128], v[137:138], v[3:4]
	s_waitcnt lgkmcnt(0)
	s_delay_alu instid0(VALU_DEP_1) | instskip(SKIP_1) | instid1(VALU_DEP_1)
	v_fma_f64 v[3:4], v[129:130], v[123:124], v[3:4]
	s_waitcnt vmcnt(3)
	v_fma_f64 v[3:4], v[131:132], v[125:126], v[3:4]
	ds_load_b128 v[123:126], v118 offset:848
	s_waitcnt lgkmcnt(0)
	v_fma_f64 v[3:4], v[133:134], v[123:124], v[3:4]
	s_waitcnt vmcnt(2)
	s_delay_alu instid0(VALU_DEP_1) | instskip(SKIP_4) | instid1(VALU_DEP_1)
	v_fma_f64 v[3:4], v[139:140], v[125:126], v[3:4]
	ds_load_b128 v[123:126], v118 offset:864
	s_waitcnt lgkmcnt(0)
	v_fma_f64 v[3:4], v[141:142], v[123:124], v[3:4]
	s_waitcnt vmcnt(1)
	v_fma_f64 v[3:4], v[119:120], v[125:126], v[3:4]
	ds_load_b128 v[123:126], v118 offset:880
	s_waitcnt lgkmcnt(0)
	v_fma_f64 v[3:4], v[121:122], v[123:124], v[3:4]
	s_waitcnt vmcnt(0)
	s_delay_alu instid0(VALU_DEP_1) | instskip(NEXT) | instid1(VALU_DEP_1)
	v_fma_f64 v[3:4], v[135:136], v[125:126], v[3:4]
	v_add_f64 v[1:2], v[1:2], -v[3:4]
	scratch_store_b64 off, v[1:2], off offset:8
	v_cmpx_ne_u32_e32 0, v0
	s_cbranch_execz .LBB55_345
; %bb.344:
	scratch_load_b64 v[0:1], off, off
	v_mov_b32_e32 v2, 0
	s_delay_alu instid0(VALU_DEP_1)
	v_mov_b32_e32 v3, v2
	scratch_store_b64 off, v[2:3], off
	s_waitcnt vmcnt(0)
	ds_store_b64 v5, v[0:1]
.LBB55_345:
	s_or_b32 exec_lo, exec_lo, s0
	s_waitcnt lgkmcnt(0)
	s_waitcnt_vscnt null, 0x0
	s_barrier
	buffer_gl0_inv
	s_clause 0x4
	scratch_load_b128 v[0:3], off, off
	scratch_load_b128 v[119:122], off, off offset:16
	scratch_load_b128 v[123:126], off, off offset:32
	;; [unrolled: 1-line block ×4, first 2 shown]
	v_mov_b32_e32 v118, 0
	scratch_load_b128 v[139:142], off, off offset:400
	s_and_b32 vcc_lo, exec_lo, s16
	ds_load_2addr_b64 v[135:138], v118 offset0:57 offset1:58
	s_waitcnt vmcnt(5) lgkmcnt(0)
	v_fma_f64 v[135:136], v[2:3], v[135:136], 0
	scratch_load_b128 v[2:5], off, off offset:80
	s_waitcnt vmcnt(5)
	v_fma_f64 v[119:120], v[119:120], v[137:138], v[135:136]
	ds_load_2addr_b64 v[135:138], v118 offset0:59 offset1:60
	s_waitcnt lgkmcnt(0)
	v_fma_f64 v[135:136], v[121:122], v[135:136], v[119:120]
	scratch_load_b128 v[119:122], off, off offset:96
	s_waitcnt vmcnt(5)
	v_fma_f64 v[123:124], v[123:124], v[137:138], v[135:136]
	ds_load_2addr_b64 v[135:138], v118 offset0:61 offset1:62
	s_waitcnt lgkmcnt(0)
	v_fma_f64 v[135:136], v[125:126], v[135:136], v[123:124]
	scratch_load_b128 v[123:126], off, off offset:112
	s_waitcnt vmcnt(5)
	v_fma_f64 v[127:128], v[127:128], v[137:138], v[135:136]
	ds_load_2addr_b64 v[135:138], v118 offset0:63 offset1:64
	s_waitcnt lgkmcnt(0)
	v_fma_f64 v[135:136], v[129:130], v[135:136], v[127:128]
	scratch_load_b128 v[127:130], off, off offset:128
	s_waitcnt vmcnt(5)
	v_fma_f64 v[131:132], v[131:132], v[137:138], v[135:136]
	ds_load_2addr_b64 v[135:138], v118 offset0:65 offset1:66
	s_waitcnt lgkmcnt(0)
	v_fma_f64 v[135:136], v[133:134], v[135:136], v[131:132]
	scratch_load_b128 v[131:134], off, off offset:144
	s_waitcnt vmcnt(4)
	v_fma_f64 v[2:3], v[2:3], v[137:138], v[135:136]
	ds_load_2addr_b64 v[135:138], v118 offset0:67 offset1:68
	s_waitcnt lgkmcnt(0)
	v_fma_f64 v[135:136], v[4:5], v[135:136], v[2:3]
	scratch_load_b128 v[2:5], off, off offset:160
	s_waitcnt vmcnt(4)
	v_fma_f64 v[119:120], v[119:120], v[137:138], v[135:136]
	ds_load_2addr_b64 v[135:138], v118 offset0:69 offset1:70
	s_waitcnt lgkmcnt(0)
	v_fma_f64 v[135:136], v[121:122], v[135:136], v[119:120]
	scratch_load_b128 v[119:122], off, off offset:176
	s_waitcnt vmcnt(4)
	v_fma_f64 v[123:124], v[123:124], v[137:138], v[135:136]
	ds_load_2addr_b64 v[135:138], v118 offset0:71 offset1:72
	s_waitcnt lgkmcnt(0)
	v_fma_f64 v[135:136], v[125:126], v[135:136], v[123:124]
	scratch_load_b128 v[123:126], off, off offset:192
	s_waitcnt vmcnt(4)
	v_fma_f64 v[127:128], v[127:128], v[137:138], v[135:136]
	ds_load_2addr_b64 v[135:138], v118 offset0:73 offset1:74
	s_waitcnt lgkmcnt(0)
	v_fma_f64 v[135:136], v[129:130], v[135:136], v[127:128]
	scratch_load_b128 v[127:130], off, off offset:208
	s_waitcnt vmcnt(4)
	v_fma_f64 v[131:132], v[131:132], v[137:138], v[135:136]
	ds_load_2addr_b64 v[135:138], v118 offset0:75 offset1:76
	s_waitcnt lgkmcnt(0)
	v_fma_f64 v[135:136], v[133:134], v[135:136], v[131:132]
	scratch_load_b128 v[131:134], off, off offset:224
	s_waitcnt vmcnt(4)
	v_fma_f64 v[2:3], v[2:3], v[137:138], v[135:136]
	ds_load_2addr_b64 v[135:138], v118 offset0:77 offset1:78
	s_waitcnt lgkmcnt(0)
	v_fma_f64 v[135:136], v[4:5], v[135:136], v[2:3]
	scratch_load_b128 v[2:5], off, off offset:240
	s_waitcnt vmcnt(4)
	v_fma_f64 v[119:120], v[119:120], v[137:138], v[135:136]
	ds_load_2addr_b64 v[135:138], v118 offset0:79 offset1:80
	s_waitcnt lgkmcnt(0)
	v_fma_f64 v[135:136], v[121:122], v[135:136], v[119:120]
	scratch_load_b128 v[119:122], off, off offset:256
	s_waitcnt vmcnt(4)
	v_fma_f64 v[123:124], v[123:124], v[137:138], v[135:136]
	ds_load_2addr_b64 v[135:138], v118 offset0:81 offset1:82
	s_waitcnt lgkmcnt(0)
	v_fma_f64 v[135:136], v[125:126], v[135:136], v[123:124]
	scratch_load_b128 v[123:126], off, off offset:272
	s_waitcnt vmcnt(4)
	v_fma_f64 v[127:128], v[127:128], v[137:138], v[135:136]
	ds_load_2addr_b64 v[135:138], v118 offset0:83 offset1:84
	s_waitcnt lgkmcnt(0)
	v_fma_f64 v[135:136], v[129:130], v[135:136], v[127:128]
	scratch_load_b128 v[127:130], off, off offset:288
	s_waitcnt vmcnt(4)
	v_fma_f64 v[131:132], v[131:132], v[137:138], v[135:136]
	ds_load_2addr_b64 v[135:138], v118 offset0:85 offset1:86
	s_waitcnt lgkmcnt(0)
	v_fma_f64 v[135:136], v[133:134], v[135:136], v[131:132]
	scratch_load_b128 v[131:134], off, off offset:304
	s_waitcnt vmcnt(4)
	v_fma_f64 v[2:3], v[2:3], v[137:138], v[135:136]
	ds_load_2addr_b64 v[135:138], v118 offset0:87 offset1:88
	s_waitcnt lgkmcnt(0)
	v_fma_f64 v[135:136], v[4:5], v[135:136], v[2:3]
	scratch_load_b128 v[2:5], off, off offset:320
	s_waitcnt vmcnt(4)
	v_fma_f64 v[119:120], v[119:120], v[137:138], v[135:136]
	ds_load_2addr_b64 v[135:138], v118 offset0:89 offset1:90
	s_waitcnt lgkmcnt(0)
	v_fma_f64 v[135:136], v[121:122], v[135:136], v[119:120]
	scratch_load_b128 v[119:122], off, off offset:336
	s_waitcnt vmcnt(4)
	v_fma_f64 v[123:124], v[123:124], v[137:138], v[135:136]
	ds_load_2addr_b64 v[135:138], v118 offset0:91 offset1:92
	s_waitcnt lgkmcnt(0)
	v_fma_f64 v[135:136], v[125:126], v[135:136], v[123:124]
	scratch_load_b128 v[123:126], off, off offset:352
	s_waitcnt vmcnt(4)
	v_fma_f64 v[127:128], v[127:128], v[137:138], v[135:136]
	ds_load_2addr_b64 v[135:138], v118 offset0:93 offset1:94
	s_waitcnt lgkmcnt(0)
	v_fma_f64 v[135:136], v[129:130], v[135:136], v[127:128]
	scratch_load_b128 v[127:130], off, off offset:368
	s_waitcnt vmcnt(4)
	v_fma_f64 v[131:132], v[131:132], v[137:138], v[135:136]
	ds_load_2addr_b64 v[135:138], v118 offset0:95 offset1:96
	s_waitcnt lgkmcnt(0)
	v_fma_f64 v[135:136], v[133:134], v[135:136], v[131:132]
	scratch_load_b128 v[131:134], off, off offset:384
	s_waitcnt vmcnt(4)
	v_fma_f64 v[2:3], v[2:3], v[137:138], v[135:136]
	ds_load_2addr_b64 v[135:138], v118 offset0:97 offset1:98
	s_waitcnt lgkmcnt(0)
	v_fma_f64 v[2:3], v[4:5], v[135:136], v[2:3]
	s_waitcnt vmcnt(3)
	s_delay_alu instid0(VALU_DEP_1)
	v_fma_f64 v[119:120], v[119:120], v[137:138], v[2:3]
	ds_load_2addr_b64 v[2:5], v118 offset0:99 offset1:100
	ds_load_2addr_b64 v[135:138], v118 offset0:101 offset1:102
	s_waitcnt lgkmcnt(1)
	v_fma_f64 v[2:3], v[121:122], v[2:3], v[119:120]
	scratch_load_b128 v[119:122], off, off offset:416
	s_waitcnt vmcnt(3)
	v_fma_f64 v[2:3], v[123:124], v[4:5], v[2:3]
	s_waitcnt lgkmcnt(0)
	s_delay_alu instid0(VALU_DEP_1)
	v_fma_f64 v[123:124], v[125:126], v[135:136], v[2:3]
	scratch_load_b128 v[2:5], off, off offset:432
	s_waitcnt vmcnt(3)
	v_fma_f64 v[127:128], v[127:128], v[137:138], v[123:124]
	ds_load_2addr_b64 v[123:126], v118 offset0:103 offset1:104
	s_waitcnt lgkmcnt(0)
	v_fma_f64 v[123:124], v[129:130], v[123:124], v[127:128]
	s_waitcnt vmcnt(2)
	s_delay_alu instid0(VALU_DEP_1) | instskip(SKIP_3) | instid1(VALU_DEP_1)
	v_fma_f64 v[127:128], v[131:132], v[125:126], v[123:124]
	ds_load_2addr_b64 v[123:126], v118 offset0:105 offset1:106
	s_waitcnt lgkmcnt(0)
	v_fma_f64 v[123:124], v[133:134], v[123:124], v[127:128]
	v_fma_f64 v[127:128], v[139:140], v[125:126], v[123:124]
	ds_load_2addr_b64 v[123:126], v118 offset0:107 offset1:108
	s_waitcnt lgkmcnt(0)
	v_fma_f64 v[123:124], v[141:142], v[123:124], v[127:128]
	s_waitcnt vmcnt(1)
	s_delay_alu instid0(VALU_DEP_1)
	v_fma_f64 v[119:120], v[119:120], v[125:126], v[123:124]
	ds_load_2addr_b64 v[123:126], v118 offset0:109 offset1:110
	s_waitcnt lgkmcnt(0)
	v_fma_f64 v[119:120], v[121:122], v[123:124], v[119:120]
	ds_load_b64 v[121:122], v118 offset:888
	s_waitcnt vmcnt(0)
	v_fma_f64 v[119:120], v[2:3], v[125:126], v[119:120]
	s_waitcnt lgkmcnt(0)
	s_delay_alu instid0(VALU_DEP_1) | instskip(NEXT) | instid1(VALU_DEP_1)
	v_fma_f64 v[4:5], v[4:5], v[121:122], v[119:120]
	v_add_f64 v[0:1], v[0:1], -v[4:5]
	scratch_store_b64 off, v[0:1], off
	s_cbranch_vccz .LBB55_457
; %bb.346:
	v_dual_mov_b32 v0, s12 :: v_dual_mov_b32 v1, s13
	s_mov_b32 s0, exec_lo
	flat_load_b32 v0, v[0:1] offset:216
	s_waitcnt vmcnt(0) lgkmcnt(0)
	v_cmpx_ne_u32_e32 55, v0
	s_cbranch_execz .LBB55_348
; %bb.347:
	v_lshl_add_u32 v4, v0, 3, 0
	scratch_load_b64 v[0:1], v4, off offset:-8
	s_waitcnt vmcnt(0)
	scratch_store_b64 off, v[0:1], off offset:432
	scratch_store_b64 v4, v[2:3], off offset:-8
.LBB55_348:
	s_or_b32 exec_lo, exec_lo, s0
	v_dual_mov_b32 v0, s12 :: v_dual_mov_b32 v1, s13
	s_mov_b32 s0, exec_lo
	flat_load_b32 v0, v[0:1] offset:212
	s_waitcnt vmcnt(0) lgkmcnt(0)
	v_cmpx_ne_u32_e32 54, v0
	s_cbranch_execz .LBB55_350
; %bb.349:
	v_lshl_add_u32 v4, v0, 3, 0
	scratch_load_b64 v[0:1], v4, off offset:-8
	scratch_load_b64 v[2:3], off, off offset:424
	s_waitcnt vmcnt(1)
	scratch_store_b64 off, v[0:1], off offset:424
	s_waitcnt vmcnt(0)
	scratch_store_b64 v4, v[2:3], off offset:-8
.LBB55_350:
	s_or_b32 exec_lo, exec_lo, s0
	v_dual_mov_b32 v0, s12 :: v_dual_mov_b32 v1, s13
	s_mov_b32 s0, exec_lo
	flat_load_b32 v0, v[0:1] offset:208
	s_waitcnt vmcnt(0) lgkmcnt(0)
	v_cmpx_ne_u32_e32 53, v0
	s_cbranch_execz .LBB55_352
; %bb.351:
	v_lshl_add_u32 v4, v0, 3, 0
	scratch_load_b64 v[0:1], v4, off offset:-8
	scratch_load_b64 v[2:3], off, off offset:416
	s_waitcnt vmcnt(1)
	scratch_store_b64 off, v[0:1], off offset:416
	s_waitcnt vmcnt(0)
	scratch_store_b64 v4, v[2:3], off offset:-8
.LBB55_352:
	;; [unrolled: 16-line block ×53, first 2 shown]
	s_or_b32 exec_lo, exec_lo, s0
	v_dual_mov_b32 v0, s12 :: v_dual_mov_b32 v1, s13
	s_mov_b32 s0, exec_lo
	flat_load_b32 v2, v[0:1]
	scratch_load_b64 v[0:1], off, off
	s_waitcnt vmcnt(1) lgkmcnt(0)
	v_cmpx_ne_u32_e32 1, v2
	s_cbranch_execz .LBB55_456
; %bb.455:
	v_lshl_add_u32 v4, v2, 3, 0
	scratch_load_b64 v[2:3], v4, off offset:-8
	s_waitcnt vmcnt(0)
	scratch_store_b64 off, v[2:3], off
	scratch_store_b64 v4, v[0:1], off offset:-8
	scratch_load_b64 v[0:1], off, off
.LBB55_456:
	s_or_b32 exec_lo, exec_lo, s0
.LBB55_457:
	s_clause 0x5
	scratch_load_b128 v[2:5], off, off offset:8
	scratch_load_b128 v[118:121], off, off offset:24
	;; [unrolled: 1-line block ×6, first 2 shown]
	s_waitcnt vmcnt(6)
	global_store_b64 v[36:37], v[0:1], off
	s_clause 0x2
	scratch_load_b128 v[138:141], off, off offset:104
	scratch_load_b128 v[142:145], off, off offset:136
	;; [unrolled: 1-line block ×3, first 2 shown]
	s_waitcnt vmcnt(8)
	global_store_b64 v[22:23], v[2:3], off
	scratch_load_b128 v[0:3], off, off offset:120
	global_store_b64 v[16:17], v[4:5], off
	s_waitcnt vmcnt(8)
	s_clause 0x1
	global_store_b64 v[8:9], v[118:119], off
	global_store_b64 v[50:51], v[120:121], off
	s_waitcnt vmcnt(7)
	s_clause 0x1
	global_store_b64 v[48:49], v[122:123], off
	;; [unrolled: 4-line block ×6, first 2 shown]
	global_store_b64 v[10:11], v[140:141], off
	s_clause 0xb
	scratch_load_b128 v[118:121], off, off offset:168
	scratch_load_b128 v[48:51], off, off offset:184
	;; [unrolled: 1-line block ×12, first 2 shown]
	s_waitcnt vmcnt(12)
	global_store_b64 v[14:15], v[0:1], off
	scratch_load_b128 v[12:15], off, off offset:344
	s_clause 0x4
	global_store_b64 v[18:19], v[2:3], off
	global_store_b64 v[28:29], v[142:143], off
	;; [unrolled: 1-line block ×5, first 2 shown]
	s_clause 0x4
	scratch_load_b128 v[0:3], off, off offset:360
	scratch_load_b128 v[16:19], off, off offset:376
	scratch_load_b128 v[26:29], off, off offset:392
	scratch_load_b128 v[142:145], off, off offset:424
	scratch_load_b64 v[4:5], off, off offset:440
	s_waitcnt vmcnt(17)
	s_clause 0x1
	global_store_b64 v[40:41], v[118:119], off
	global_store_b64 v[52:53], v[120:121], off
	s_waitcnt vmcnt(16)
	s_clause 0x1
	global_store_b64 v[54:55], v[48:49], off
	global_store_b64 v[56:57], v[50:51], off
	;; [unrolled: 4-line block ×15, first 2 shown]
	global_store_b64 v[110:111], v[138:139], off
	global_store_b64 v[112:113], v[140:141], off
	s_waitcnt vmcnt(1)
	s_clause 0x1
	global_store_b64 v[114:115], v[142:143], off
	global_store_b64 v[116:117], v[144:145], off
	s_waitcnt vmcnt(0)
	global_store_b64 v[6:7], v[4:5], off
	s_endpgm
	.section	.rodata,"a",@progbits
	.p2align	6, 0x0
	.amdhsa_kernel _ZN9rocsolver6v33100L18getri_kernel_smallILi56EdPdEEvT1_iilPiilS4_bb
		.amdhsa_group_segment_fixed_size 904
		.amdhsa_private_segment_fixed_size 464
		.amdhsa_kernarg_size 60
		.amdhsa_user_sgpr_count 15
		.amdhsa_user_sgpr_dispatch_ptr 0
		.amdhsa_user_sgpr_queue_ptr 0
		.amdhsa_user_sgpr_kernarg_segment_ptr 1
		.amdhsa_user_sgpr_dispatch_id 0
		.amdhsa_user_sgpr_private_segment_size 0
		.amdhsa_wavefront_size32 1
		.amdhsa_uses_dynamic_stack 0
		.amdhsa_enable_private_segment 1
		.amdhsa_system_sgpr_workgroup_id_x 1
		.amdhsa_system_sgpr_workgroup_id_y 0
		.amdhsa_system_sgpr_workgroup_id_z 0
		.amdhsa_system_sgpr_workgroup_info 0
		.amdhsa_system_vgpr_workitem_id 0
		.amdhsa_next_free_vgpr 150
		.amdhsa_next_free_sgpr 18
		.amdhsa_reserve_vcc 1
		.amdhsa_float_round_mode_32 0
		.amdhsa_float_round_mode_16_64 0
		.amdhsa_float_denorm_mode_32 3
		.amdhsa_float_denorm_mode_16_64 3
		.amdhsa_dx10_clamp 1
		.amdhsa_ieee_mode 1
		.amdhsa_fp16_overflow 0
		.amdhsa_workgroup_processor_mode 1
		.amdhsa_memory_ordered 1
		.amdhsa_forward_progress 0
		.amdhsa_shared_vgpr_count 0
		.amdhsa_exception_fp_ieee_invalid_op 0
		.amdhsa_exception_fp_denorm_src 0
		.amdhsa_exception_fp_ieee_div_zero 0
		.amdhsa_exception_fp_ieee_overflow 0
		.amdhsa_exception_fp_ieee_underflow 0
		.amdhsa_exception_fp_ieee_inexact 0
		.amdhsa_exception_int_div_zero 0
	.end_amdhsa_kernel
	.section	.text._ZN9rocsolver6v33100L18getri_kernel_smallILi56EdPdEEvT1_iilPiilS4_bb,"axG",@progbits,_ZN9rocsolver6v33100L18getri_kernel_smallILi56EdPdEEvT1_iilPiilS4_bb,comdat
.Lfunc_end55:
	.size	_ZN9rocsolver6v33100L18getri_kernel_smallILi56EdPdEEvT1_iilPiilS4_bb, .Lfunc_end55-_ZN9rocsolver6v33100L18getri_kernel_smallILi56EdPdEEvT1_iilPiilS4_bb
                                        ; -- End function
	.section	.AMDGPU.csdata,"",@progbits
; Kernel info:
; codeLenInByte = 57024
; NumSgprs: 20
; NumVgprs: 150
; ScratchSize: 464
; MemoryBound: 0
; FloatMode: 240
; IeeeMode: 1
; LDSByteSize: 904 bytes/workgroup (compile time only)
; SGPRBlocks: 2
; VGPRBlocks: 18
; NumSGPRsForWavesPerEU: 20
; NumVGPRsForWavesPerEU: 150
; Occupancy: 9
; WaveLimiterHint : 1
; COMPUTE_PGM_RSRC2:SCRATCH_EN: 1
; COMPUTE_PGM_RSRC2:USER_SGPR: 15
; COMPUTE_PGM_RSRC2:TRAP_HANDLER: 0
; COMPUTE_PGM_RSRC2:TGID_X_EN: 1
; COMPUTE_PGM_RSRC2:TGID_Y_EN: 0
; COMPUTE_PGM_RSRC2:TGID_Z_EN: 0
; COMPUTE_PGM_RSRC2:TIDIG_COMP_CNT: 0
	.section	.text._ZN9rocsolver6v33100L18getri_kernel_smallILi57EdPdEEvT1_iilPiilS4_bb,"axG",@progbits,_ZN9rocsolver6v33100L18getri_kernel_smallILi57EdPdEEvT1_iilPiilS4_bb,comdat
	.globl	_ZN9rocsolver6v33100L18getri_kernel_smallILi57EdPdEEvT1_iilPiilS4_bb ; -- Begin function _ZN9rocsolver6v33100L18getri_kernel_smallILi57EdPdEEvT1_iilPiilS4_bb
	.p2align	8
	.type	_ZN9rocsolver6v33100L18getri_kernel_smallILi57EdPdEEvT1_iilPiilS4_bb,@function
_ZN9rocsolver6v33100L18getri_kernel_smallILi57EdPdEEvT1_iilPiilS4_bb: ; @_ZN9rocsolver6v33100L18getri_kernel_smallILi57EdPdEEvT1_iilPiilS4_bb
; %bb.0:
	s_mov_b32 s2, exec_lo
	v_cmpx_gt_u32_e32 57, v0
	s_cbranch_execz .LBB56_238
; %bb.1:
	s_clause 0x2
	s_load_b32 s17, s[0:1], 0x38
	s_load_b128 s[8:11], s[0:1], 0x10
	s_load_b128 s[4:7], s[0:1], 0x28
	s_mov_b32 s14, s15
                                        ; implicit-def: $sgpr12_sgpr13
	s_waitcnt lgkmcnt(0)
	s_bitcmp1_b32 s17, 8
	s_cselect_b32 s16, -1, 0
	s_bfe_u32 s2, s17, 0x10008
	s_ashr_i32 s15, s15, 31
	s_cmp_eq_u32 s2, 0
	s_cbranch_scc1 .LBB56_3
; %bb.2:
	s_load_b32 s2, s[0:1], 0x20
	s_mul_i32 s3, s14, s5
	s_mul_hi_u32 s5, s14, s4
	s_mul_i32 s12, s15, s4
	s_add_i32 s3, s5, s3
	s_mul_i32 s4, s14, s4
	s_add_i32 s5, s3, s12
	s_delay_alu instid0(SALU_CYCLE_1)
	s_lshl_b64 s[4:5], s[4:5], 2
	s_waitcnt lgkmcnt(0)
	s_ashr_i32 s3, s2, 31
	s_add_u32 s4, s10, s4
	s_addc_u32 s5, s11, s5
	s_lshl_b64 s[2:3], s[2:3], 2
	s_delay_alu instid0(SALU_CYCLE_1)
	s_add_u32 s12, s4, s2
	s_addc_u32 s13, s5, s3
.LBB56_3:
	s_load_b128 s[0:3], s[0:1], 0x0
	s_mul_i32 s4, s14, s9
	s_mul_hi_u32 s5, s14, s8
	s_mul_i32 s9, s15, s8
	s_add_i32 s5, s5, s4
	s_mul_i32 s4, s14, s8
	s_add_i32 s5, s5, s9
	v_lshlrev_b32_e32 v145, 3, v0
	s_lshl_b64 s[4:5], s[4:5], 3
	s_waitcnt lgkmcnt(0)
	v_add3_u32 v3, s3, s3, v0
	s_ashr_i32 s9, s2, 31
	s_mov_b32 s8, s2
	s_add_u32 s2, s0, s4
	s_addc_u32 s5, s1, s5
	v_add_nc_u32_e32 v5, s3, v3
	s_lshl_b64 s[0:1], s[8:9], 3
	v_ashrrev_i32_e32 v4, 31, v3
	s_add_u32 s0, s2, s0
	s_addc_u32 s1, s5, s1
	v_add_nc_u32_e32 v7, s3, v5
	v_add_co_u32 v37, s2, s0, v145
	s_mov_b32 s4, s3
	s_ashr_i32 s5, s3, 31
	v_add_co_ci_u32_e64 v38, null, s1, 0, s2
	v_lshlrev_b64 v[3:4], 3, v[3:4]
	s_lshl_b64 s[4:5], s[4:5], 3
	v_add_nc_u32_e32 v9, s3, v7
	v_add_co_u32 v39, vcc_lo, v37, s4
	v_ashrrev_i32_e32 v6, 31, v5
	v_add_co_ci_u32_e32 v40, vcc_lo, s5, v38, vcc_lo
	v_add_co_u32 v41, vcc_lo, s0, v3
	v_add_nc_u32_e32 v3, s3, v9
	v_ashrrev_i32_e32 v8, 31, v7
	v_lshlrev_b64 v[5:6], 3, v[5:6]
	v_ashrrev_i32_e32 v10, 31, v9
	v_add_co_ci_u32_e32 v42, vcc_lo, s1, v4, vcc_lo
	v_add_nc_u32_e32 v13, s3, v3
	v_lshlrev_b64 v[7:8], 3, v[7:8]
	v_add_co_u32 v43, vcc_lo, s0, v5
	v_ashrrev_i32_e32 v4, 31, v3
	s_delay_alu instid0(VALU_DEP_4)
	v_add_nc_u32_e32 v15, s3, v13
	v_add_co_ci_u32_e32 v44, vcc_lo, s1, v6, vcc_lo
	v_lshlrev_b64 v[5:6], 3, v[9:10]
	v_add_co_u32 v45, vcc_lo, s0, v7
	v_ashrrev_i32_e32 v14, 31, v13
	v_add_co_ci_u32_e32 v46, vcc_lo, s1, v8, vcc_lo
	v_lshlrev_b64 v[7:8], 3, v[3:4]
	v_add_nc_u32_e32 v17, s3, v15
	v_add_co_u32 v47, vcc_lo, s0, v5
	v_lshlrev_b64 v[13:14], 3, v[13:14]
	v_ashrrev_i32_e32 v16, 31, v15
	v_add_co_ci_u32_e32 v48, vcc_lo, s1, v6, vcc_lo
	v_add_co_u32 v49, vcc_lo, s0, v7
	v_ashrrev_i32_e32 v18, 31, v17
	v_add_co_ci_u32_e32 v50, vcc_lo, s1, v8, vcc_lo
	v_lshlrev_b64 v[7:8], 3, v[15:16]
	v_add_co_u32 v51, vcc_lo, s0, v13
	v_add_co_ci_u32_e32 v52, vcc_lo, s1, v14, vcc_lo
	v_lshlrev_b64 v[13:14], 3, v[17:18]
	global_load_b64 v[1:2], v145, s[0:1]
	v_add_co_u32 v53, vcc_lo, s0, v7
	s_clause 0x3
	global_load_b64 v[3:4], v[39:40], off
	global_load_b64 v[9:10], v[41:42], off
	;; [unrolled: 1-line block ×4, first 2 shown]
	v_add_co_ci_u32_e32 v54, vcc_lo, s1, v8, vcc_lo
	v_add_co_u32 v55, vcc_lo, s0, v13
	v_add_co_ci_u32_e32 v56, vcc_lo, s1, v14, vcc_lo
	s_clause 0x4
	global_load_b64 v[7:8], v[47:48], off
	global_load_b64 v[133:134], v[49:50], off
	;; [unrolled: 1-line block ×5, first 2 shown]
	v_add_nc_u32_e32 v13, s3, v17
	s_bitcmp0_b32 s17, 0
	s_delay_alu instid0(VALU_DEP_1) | instskip(SKIP_1) | instid1(VALU_DEP_2)
	v_add_nc_u32_e32 v15, s3, v13
	v_ashrrev_i32_e32 v14, 31, v13
	v_add_nc_u32_e32 v17, s3, v15
	v_ashrrev_i32_e32 v16, 31, v15
	s_delay_alu instid0(VALU_DEP_3) | instskip(NEXT) | instid1(VALU_DEP_3)
	v_lshlrev_b64 v[13:14], 3, v[13:14]
	v_ashrrev_i32_e32 v18, 31, v17
	v_add_nc_u32_e32 v19, s3, v17
	s_delay_alu instid0(VALU_DEP_4) | instskip(NEXT) | instid1(VALU_DEP_4)
	v_lshlrev_b64 v[15:16], 3, v[15:16]
	v_add_co_u32 v85, vcc_lo, s0, v13
	v_add_co_ci_u32_e32 v86, vcc_lo, s1, v14, vcc_lo
	v_lshlrev_b64 v[13:14], 3, v[17:18]
	v_ashrrev_i32_e32 v20, 31, v19
	v_add_nc_u32_e32 v17, s3, v19
	v_add_co_u32 v81, vcc_lo, s0, v15
	v_add_co_ci_u32_e32 v82, vcc_lo, s1, v16, vcc_lo
	s_delay_alu instid0(VALU_DEP_4) | instskip(NEXT) | instid1(VALU_DEP_4)
	v_lshlrev_b64 v[15:16], 3, v[19:20]
	v_add_nc_u32_e32 v19, s3, v17
	v_ashrrev_i32_e32 v18, 31, v17
	v_add_co_u32 v75, vcc_lo, s0, v13
	v_add_co_ci_u32_e32 v76, vcc_lo, s1, v14, vcc_lo
	s_delay_alu instid0(VALU_DEP_4) | instskip(NEXT) | instid1(VALU_DEP_4)
	v_add_nc_u32_e32 v23, s3, v19
	v_lshlrev_b64 v[21:22], 3, v[17:18]
	v_add_co_u32 v73, vcc_lo, s0, v15
	v_ashrrev_i32_e32 v20, 31, v19
	s_delay_alu instid0(VALU_DEP_4)
	v_ashrrev_i32_e32 v24, 31, v23
	v_add_nc_u32_e32 v25, s3, v23
	v_add_co_ci_u32_e32 v74, vcc_lo, s1, v16, vcc_lo
	v_add_co_u32 v69, vcc_lo, s0, v21
	v_add_co_ci_u32_e32 v70, vcc_lo, s1, v22, vcc_lo
	v_lshlrev_b64 v[21:22], 3, v[23:24]
	v_add_nc_u32_e32 v23, s3, v25
	v_lshlrev_b64 v[19:20], 3, v[19:20]
	v_ashrrev_i32_e32 v26, 31, v25
	s_clause 0x2
	global_load_b64 v[13:14], v[85:86], off
	global_load_b64 v[15:16], v[81:82], off
	;; [unrolled: 1-line block ×3, first 2 shown]
	v_add_nc_u32_e32 v27, s3, v23
	v_ashrrev_i32_e32 v24, 31, v23
	v_add_co_u32 v63, vcc_lo, s0, v19
	v_add_co_ci_u32_e32 v64, vcc_lo, s1, v20, vcc_lo
	v_lshlrev_b64 v[19:20], 3, v[25:26]
	v_add_nc_u32_e32 v31, s3, v27
	v_add_co_u32 v59, vcc_lo, s0, v21
	v_lshlrev_b64 v[29:30], 3, v[23:24]
	v_add_co_ci_u32_e32 v60, vcc_lo, s1, v22, vcc_lo
	v_add_co_u32 v57, vcc_lo, s0, v19
	v_ashrrev_i32_e32 v32, 31, v31
	v_add_nc_u32_e32 v33, s3, v31
	v_add_co_ci_u32_e32 v58, vcc_lo, s1, v20, vcc_lo
	v_add_co_u32 v61, vcc_lo, s0, v29
	v_add_co_ci_u32_e32 v62, vcc_lo, s1, v30, vcc_lo
	v_lshlrev_b64 v[29:30], 3, v[31:32]
	v_add_nc_u32_e32 v31, s3, v33
	v_ashrrev_i32_e32 v28, 31, v27
	v_ashrrev_i32_e32 v34, 31, v33
	s_clause 0x3
	global_load_b64 v[19:20], v[73:74], off
	global_load_b64 v[21:22], v[69:70], off
	;; [unrolled: 1-line block ×4, first 2 shown]
	v_add_nc_u32_e32 v35, s3, v31
	v_lshlrev_b64 v[27:28], 3, v[27:28]
	v_ashrrev_i32_e32 v32, 31, v31
	s_delay_alu instid0(VALU_DEP_3) | instskip(SKIP_1) | instid1(VALU_DEP_4)
	v_add_nc_u32_e32 v79, s3, v35
	v_ashrrev_i32_e32 v36, 31, v35
	v_add_co_u32 v65, vcc_lo, s0, v27
	v_add_co_ci_u32_e32 v66, vcc_lo, s1, v28, vcc_lo
	s_delay_alu instid0(VALU_DEP_4) | instskip(SKIP_3) | instid1(VALU_DEP_4)
	v_add_nc_u32_e32 v83, s3, v79
	v_lshlrev_b64 v[27:28], 3, v[33:34]
	v_add_co_u32 v67, vcc_lo, s0, v29
	v_lshlrev_b64 v[77:78], 3, v[31:32]
	v_add_nc_u32_e32 v89, s3, v83
	v_add_co_ci_u32_e32 v68, vcc_lo, s1, v30, vcc_lo
	v_add_co_u32 v71, vcc_lo, s0, v27
	s_delay_alu instid0(VALU_DEP_3) | instskip(SKIP_3) | instid1(VALU_DEP_4)
	v_add_nc_u32_e32 v91, s3, v89
	v_lshlrev_b64 v[35:36], 3, v[35:36]
	v_ashrrev_i32_e32 v80, 31, v79
	v_add_co_ci_u32_e32 v72, vcc_lo, s1, v28, vcc_lo
	v_add_nc_u32_e32 v93, s3, v91
	v_add_co_u32 v77, vcc_lo, s0, v77
	v_ashrrev_i32_e32 v84, 31, v83
	v_add_co_ci_u32_e32 v78, vcc_lo, s1, v78, vcc_lo
	s_delay_alu instid0(VALU_DEP_4) | instskip(SKIP_3) | instid1(VALU_DEP_4)
	v_add_nc_u32_e32 v95, s3, v93
	v_lshlrev_b64 v[87:88], 3, v[79:80]
	v_add_co_u32 v79, vcc_lo, s0, v35
	v_ashrrev_i32_e32 v90, 31, v89
	v_add_nc_u32_e32 v97, s3, v95
	v_add_co_ci_u32_e32 v80, vcc_lo, s1, v36, vcc_lo
	v_lshlrev_b64 v[35:36], 3, v[83:84]
	v_ashrrev_i32_e32 v92, 31, v91
	s_delay_alu instid0(VALU_DEP_4) | instskip(SKIP_3) | instid1(VALU_DEP_4)
	v_add_nc_u32_e32 v99, s3, v97
	v_add_co_u32 v83, vcc_lo, s0, v87
	v_lshlrev_b64 v[89:90], 3, v[89:90]
	v_ashrrev_i32_e32 v94, 31, v93
	v_add_nc_u32_e32 v101, s3, v99
	v_add_co_ci_u32_e32 v84, vcc_lo, s1, v88, vcc_lo
	v_add_co_u32 v87, vcc_lo, s0, v35
	s_delay_alu instid0(VALU_DEP_3) | instskip(SKIP_3) | instid1(VALU_DEP_4)
	v_add_nc_u32_e32 v103, s3, v101
	v_lshlrev_b64 v[91:92], 3, v[91:92]
	v_ashrrev_i32_e32 v96, 31, v95
	v_add_co_ci_u32_e32 v88, vcc_lo, s1, v36, vcc_lo
	v_add_nc_u32_e32 v105, s3, v103
	v_add_co_u32 v89, vcc_lo, s0, v89
	v_lshlrev_b64 v[93:94], 3, v[93:94]
	v_ashrrev_i32_e32 v98, 31, v97
	s_delay_alu instid0(VALU_DEP_4) | instskip(SKIP_2) | instid1(VALU_DEP_3)
	v_add_nc_u32_e32 v107, s3, v105
	v_add_co_ci_u32_e32 v90, vcc_lo, s1, v90, vcc_lo
	v_add_co_u32 v91, vcc_lo, s0, v91
	v_add_nc_u32_e32 v109, s3, v107
	v_lshlrev_b64 v[95:96], 3, v[95:96]
	v_ashrrev_i32_e32 v100, 31, v99
	v_add_co_ci_u32_e32 v92, vcc_lo, s1, v92, vcc_lo
	s_delay_alu instid0(VALU_DEP_4) | instskip(SKIP_3) | instid1(VALU_DEP_4)
	v_add_nc_u32_e32 v111, s3, v109
	v_add_co_u32 v93, vcc_lo, s0, v93
	v_lshlrev_b64 v[97:98], 3, v[97:98]
	v_ashrrev_i32_e32 v102, 31, v101
	v_add_nc_u32_e32 v113, s3, v111
	v_add_co_ci_u32_e32 v94, vcc_lo, s1, v94, vcc_lo
	v_add_co_u32 v95, vcc_lo, s0, v95
	s_delay_alu instid0(VALU_DEP_3) | instskip(SKIP_3) | instid1(VALU_DEP_4)
	v_add_nc_u32_e32 v115, s3, v113
	v_lshlrev_b64 v[99:100], 3, v[99:100]
	v_ashrrev_i32_e32 v104, 31, v103
	v_add_co_ci_u32_e32 v96, vcc_lo, s1, v96, vcc_lo
	v_add_nc_u32_e32 v117, s3, v115
	v_add_co_u32 v97, vcc_lo, s0, v97
	v_lshlrev_b64 v[101:102], 3, v[101:102]
	v_ashrrev_i32_e32 v106, 31, v105
	s_delay_alu instid0(VALU_DEP_4) | instskip(SKIP_2) | instid1(VALU_DEP_3)
	v_add_nc_u32_e32 v119, s3, v117
	v_add_co_ci_u32_e32 v98, vcc_lo, s1, v98, vcc_lo
	v_add_co_u32 v99, vcc_lo, s0, v99
	v_add_nc_u32_e32 v121, s3, v119
	v_lshlrev_b64 v[103:104], 3, v[103:104]
	v_ashrrev_i32_e32 v108, 31, v107
	v_add_co_ci_u32_e32 v100, vcc_lo, s1, v100, vcc_lo
	s_delay_alu instid0(VALU_DEP_4) | instskip(SKIP_3) | instid1(VALU_DEP_4)
	v_add_nc_u32_e32 v123, s3, v121
	v_add_co_u32 v101, vcc_lo, s0, v101
	v_lshlrev_b64 v[105:106], 3, v[105:106]
	v_ashrrev_i32_e32 v110, 31, v109
	v_add_nc_u32_e32 v125, s3, v123
	v_add_co_ci_u32_e32 v102, vcc_lo, s1, v102, vcc_lo
	v_add_co_u32 v103, vcc_lo, s0, v103
	v_lshlrev_b64 v[107:108], 3, v[107:108]
	v_ashrrev_i32_e32 v112, 31, v111
	v_add_co_ci_u32_e32 v104, vcc_lo, s1, v104, vcc_lo
	v_add_nc_u32_e32 v127, s3, v125
	v_add_co_u32 v105, vcc_lo, s0, v105
	v_lshlrev_b64 v[109:110], 3, v[109:110]
	v_ashrrev_i32_e32 v114, 31, v113
	v_add_co_ci_u32_e32 v106, vcc_lo, s1, v106, vcc_lo
	v_add_co_u32 v107, vcc_lo, s0, v107
	v_lshlrev_b64 v[111:112], 3, v[111:112]
	v_ashrrev_i32_e32 v116, 31, v115
	v_add_nc_u32_e32 v129, s3, v127
	v_add_co_ci_u32_e32 v108, vcc_lo, s1, v108, vcc_lo
	v_add_co_u32 v109, vcc_lo, s0, v109
	v_lshlrev_b64 v[113:114], 3, v[113:114]
	v_ashrrev_i32_e32 v118, 31, v117
	v_add_co_ci_u32_e32 v110, vcc_lo, s1, v110, vcc_lo
	v_add_co_u32 v111, vcc_lo, s0, v111
	v_lshlrev_b64 v[115:116], 3, v[115:116]
	v_add_nc_u32_e32 v131, s3, v129
	v_ashrrev_i32_e32 v120, 31, v119
	v_add_co_ci_u32_e32 v112, vcc_lo, s1, v112, vcc_lo
	v_add_co_u32 v113, vcc_lo, s0, v113
	v_lshlrev_b64 v[117:118], 3, v[117:118]
	v_ashrrev_i32_e32 v122, 31, v121
	v_add_co_ci_u32_e32 v114, vcc_lo, s1, v114, vcc_lo
	v_add_nc_u32_e32 v141, s3, v131
	v_add_co_u32 v115, vcc_lo, s0, v115
	v_lshlrev_b64 v[119:120], 3, v[119:120]
	v_ashrrev_i32_e32 v124, 31, v123
	v_add_co_ci_u32_e32 v116, vcc_lo, s1, v116, vcc_lo
	v_add_co_u32 v117, vcc_lo, s0, v117
	v_lshlrev_b64 v[121:122], 3, v[121:122]
	v_ashrrev_i32_e32 v126, 31, v125
	v_add_nc_u32_e32 v143, s3, v141
	v_add_co_ci_u32_e32 v118, vcc_lo, s1, v118, vcc_lo
	v_add_co_u32 v119, vcc_lo, s0, v119
	v_lshlrev_b64 v[123:124], 3, v[123:124]
	v_ashrrev_i32_e32 v128, 31, v127
	v_add_co_ci_u32_e32 v120, vcc_lo, s1, v120, vcc_lo
	v_add_co_u32 v121, vcc_lo, s0, v121
	v_lshlrev_b64 v[125:126], 3, v[125:126]
	v_add_nc_u32_e32 v162, s3, v143
	v_ashrrev_i32_e32 v130, 31, v129
	v_add_co_ci_u32_e32 v122, vcc_lo, s1, v122, vcc_lo
	v_add_co_u32 v123, vcc_lo, s0, v123
	v_lshlrev_b64 v[127:128], 3, v[127:128]
	s_clause 0xb
	global_load_b64 v[27:28], v[57:58], off
	global_load_b64 v[29:30], v[61:62], off
	;; [unrolled: 1-line block ×12, first 2 shown]
	v_ashrrev_i32_e32 v132, 31, v131
	v_add_co_ci_u32_e32 v124, vcc_lo, s1, v124, vcc_lo
	v_add_co_u32 v125, vcc_lo, s0, v125
	v_lshlrev_b64 v[129:130], 3, v[129:130]
	v_ashrrev_i32_e32 v142, 31, v141
	v_add_co_ci_u32_e32 v126, vcc_lo, s1, v126, vcc_lo
	v_add_co_u32 v127, vcc_lo, s0, v127
	v_lshlrev_b64 v[131:132], 3, v[131:132]
	;; [unrolled: 4-line block ×4, first 2 shown]
	v_add_co_ci_u32_e32 v132, vcc_lo, s1, v132, vcc_lo
	s_waitcnt vmcnt(27)
	scratch_store_b128 off, v[1:4], off
	s_clause 0x2
	global_load_b64 v[160:161], v[95:96], off
	global_load_b64 v[1:2], v[97:98], off
	global_load_b64 v[3:4], v[99:100], off
	s_waitcnt vmcnt(28)
	scratch_store_b128 off, v[9:12], off offset:16
	v_add_nc_u32_e32 v10, s3, v162
	s_waitcnt vmcnt(26)
	scratch_store_b128 off, v[5:8], off offset:32
	s_waitcnt vmcnt(24)
	scratch_store_b128 off, v[133:136], off offset:48
	;; [unrolled: 2-line block ×3, first 2 shown]
	v_add_nc_u32_e32 v135, s3, v10
	v_ashrrev_i32_e32 v11, 31, v10
	v_add_co_u32 v6, vcc_lo, s0, v141
	v_lshlrev_b64 v[133:134], 3, v[162:163]
	s_delay_alu instid0(VALU_DEP_4) | instskip(SKIP_2) | instid1(VALU_DEP_3)
	v_add_nc_u32_e32 v139, s3, v135
	v_add_co_ci_u32_e32 v7, vcc_lo, s1, v142, vcc_lo
	v_add_co_u32 v8, vcc_lo, s0, v143
	v_add_nc_u32_e32 v141, s3, v139
	v_lshlrev_b64 v[137:138], 3, v[10:11]
	v_ashrrev_i32_e32 v136, 31, v135
	v_add_co_ci_u32_e32 v9, vcc_lo, s1, v144, vcc_lo
	v_add_co_u32 v10, vcc_lo, s0, v133
	v_ashrrev_i32_e32 v140, 31, v139
	v_add_nc_u32_e32 v143, s3, v141
	v_add_co_ci_u32_e32 v11, vcc_lo, s1, v134, vcc_lo
	v_lshlrev_b64 v[135:136], 3, v[135:136]
	v_add_co_u32 v133, vcc_lo, s0, v137
	v_ashrrev_i32_e32 v142, 31, v141
	v_add_co_ci_u32_e32 v134, vcc_lo, s1, v138, vcc_lo
	v_lshlrev_b64 v[137:138], 3, v[139:140]
	v_add_nc_u32_e32 v162, s3, v143
	v_add_co_u32 v135, vcc_lo, s0, v135
	v_lshlrev_b64 v[141:142], 3, v[141:142]
	v_ashrrev_i32_e32 v144, 31, v143
	v_add_co_ci_u32_e32 v136, vcc_lo, s1, v136, vcc_lo
	v_add_co_u32 v139, vcc_lo, s0, v137
	v_ashrrev_i32_e32 v163, 31, v162
	v_add_co_ci_u32_e32 v140, vcc_lo, s1, v138, vcc_lo
	v_lshlrev_b64 v[137:138], 3, v[143:144]
	v_add_co_u32 v143, vcc_lo, s0, v141
	v_add_co_ci_u32_e32 v144, vcc_lo, s1, v142, vcc_lo
	v_lshlrev_b64 v[141:142], 3, v[162:163]
	s_clause 0x1
	global_load_b64 v[162:163], v[101:102], off
	global_load_b64 v[164:165], v[103:104], off
	v_add_co_u32 v137, vcc_lo, s0, v137
	v_add_co_ci_u32_e32 v138, vcc_lo, s1, v138, vcc_lo
	v_add_co_u32 v141, vcc_lo, s0, v141
	s_waitcnt vmcnt(22)
	scratch_store_b128 off, v[13:16], off offset:80
	s_waitcnt vmcnt(20)
	scratch_store_b128 off, v[17:20], off offset:96
	v_add_co_ci_u32_e32 v142, vcc_lo, s1, v142, vcc_lo
	s_clause 0x2
	global_load_b64 v[12:13], v[105:106], off
	global_load_b64 v[14:15], v[107:108], off
	global_load_b64 v[16:17], v[109:110], off
	s_waitcnt vmcnt(21)
	scratch_store_b128 off, v[21:24], off offset:112
	s_waitcnt vmcnt(19)
	scratch_store_b128 off, v[25:28], off offset:128
	s_clause 0x3
	global_load_b64 v[18:19], v[111:112], off
	global_load_b64 v[20:21], v[113:114], off
	global_load_b64 v[22:23], v[115:116], off
	global_load_b64 v[24:25], v[117:118], off
	s_waitcnt vmcnt(21)
	scratch_store_b128 off, v[29:32], off offset:144
	s_waitcnt vmcnt(19)
	scratch_store_b128 off, v[33:36], off offset:160
	s_clause 0x3
	global_load_b64 v[26:27], v[119:120], off
	global_load_b64 v[28:29], v[121:122], off
	global_load_b64 v[30:31], v[123:124], off
	global_load_b64 v[32:33], v[125:126], off
	s_waitcnt vmcnt(21)
	scratch_store_b128 off, v[146:149], off offset:176
	s_waitcnt vmcnt(19)
	scratch_store_b128 off, v[150:153], off offset:192
	s_clause 0x3
	global_load_b64 v[34:35], v[127:128], off
	global_load_b64 v[146:147], v[129:130], off
	global_load_b64 v[148:149], v[131:132], off
	;; [unrolled: 1-line block ×3, first 2 shown]
	s_mov_b32 s1, -1
	s_waitcnt vmcnt(21)
	scratch_store_b128 off, v[154:157], off offset:208
	s_waitcnt vmcnt(19)
	scratch_store_b128 off, v[158:161], off offset:224
	s_clause 0x3
	global_load_b64 v[152:153], v[8:9], off
	global_load_b64 v[154:155], v[10:11], off
	;; [unrolled: 1-line block ×4, first 2 shown]
	s_waitcnt vmcnt(21)
	scratch_store_b128 off, v[1:4], off offset:240
	s_clause 0x2
	global_load_b64 v[160:161], v[139:140], off
	global_load_b64 v[1:2], v[143:144], off
	;; [unrolled: 1-line block ×3, first 2 shown]
	s_waitcnt vmcnt(22)
	scratch_store_b128 off, v[162:165], off offset:256
	global_load_b64 v[162:163], v[141:142], off
	s_waitcnt vmcnt(21)
	scratch_store_b128 off, v[12:15], off offset:272
	s_waitcnt vmcnt(19)
	scratch_store_b128 off, v[16:19], off offset:288
	s_waitcnt vmcnt(17)
	scratch_store_b128 off, v[20:23], off offset:304
	s_waitcnt vmcnt(15)
	scratch_store_b128 off, v[24:27], off offset:320
	s_waitcnt vmcnt(13)
	scratch_store_b128 off, v[28:31], off offset:336
	s_waitcnt vmcnt(11)
	scratch_store_b128 off, v[32:35], off offset:352
	s_waitcnt vmcnt(9)
	scratch_store_b128 off, v[146:149], off offset:368
	s_waitcnt vmcnt(7)
	scratch_store_b128 off, v[150:153], off offset:384
	s_waitcnt vmcnt(5)
	scratch_store_b128 off, v[154:157], off offset:400
	s_waitcnt vmcnt(3)
	scratch_store_b128 off, v[158:161], off offset:416
	s_waitcnt vmcnt(1)
	scratch_store_b128 off, v[1:4], off offset:432
	s_waitcnt vmcnt(0)
	scratch_store_b64 off, v[162:163], off offset:448
	s_cbranch_scc1 .LBB56_236
; %bb.4:
	v_cmp_eq_u32_e64 s0, 0, v0
	s_delay_alu instid0(VALU_DEP_1)
	s_and_saveexec_b32 s1, s0
	s_cbranch_execz .LBB56_6
; %bb.5:
	v_mov_b32_e32 v1, 0
	ds_store_b32 v1, v1 offset:456
.LBB56_6:
	s_or_b32 exec_lo, exec_lo, s1
	s_waitcnt lgkmcnt(0)
	s_waitcnt_vscnt null, 0x0
	s_barrier
	buffer_gl0_inv
	scratch_load_b64 v[1:2], v145, off
	s_mov_b32 s2, exec_lo
	s_waitcnt vmcnt(0)
	v_cmpx_eq_f64_e32 0, v[1:2]
	s_cbranch_execz .LBB56_10
; %bb.7:
	v_mov_b32_e32 v1, 0
	s_mov_b32 s3, 0
	ds_load_b32 v2, v1 offset:456
	s_waitcnt lgkmcnt(0)
	v_readfirstlane_b32 s1, v2
	v_add_nc_u32_e32 v2, 1, v0
	s_delay_alu instid0(VALU_DEP_2) | instskip(NEXT) | instid1(VALU_DEP_1)
	s_cmp_eq_u32 s1, 0
	v_cmp_gt_i32_e32 vcc_lo, s1, v2
	s_cselect_b32 s4, -1, 0
	s_delay_alu instid0(SALU_CYCLE_1) | instskip(NEXT) | instid1(SALU_CYCLE_1)
	s_or_b32 s4, s4, vcc_lo
	s_and_b32 exec_lo, exec_lo, s4
	s_cbranch_execz .LBB56_10
; %bb.8:
	v_mov_b32_e32 v3, s1
.LBB56_9:                               ; =>This Inner Loop Header: Depth=1
	ds_cmpstore_rtn_b32 v3, v1, v2, v3 offset:456
	s_waitcnt lgkmcnt(0)
	v_cmp_ne_u32_e32 vcc_lo, 0, v3
	v_cmp_le_i32_e64 s1, v3, v2
	s_delay_alu instid0(VALU_DEP_1) | instskip(NEXT) | instid1(SALU_CYCLE_1)
	s_and_b32 s1, vcc_lo, s1
	s_and_b32 s1, exec_lo, s1
	s_delay_alu instid0(SALU_CYCLE_1) | instskip(NEXT) | instid1(SALU_CYCLE_1)
	s_or_b32 s3, s1, s3
	s_and_not1_b32 exec_lo, exec_lo, s3
	s_cbranch_execnz .LBB56_9
.LBB56_10:
	s_or_b32 exec_lo, exec_lo, s2
	v_mov_b32_e32 v1, 0
	s_barrier
	buffer_gl0_inv
	ds_load_b32 v2, v1 offset:456
	s_and_saveexec_b32 s1, s0
	s_cbranch_execz .LBB56_12
; %bb.11:
	s_lshl_b64 s[2:3], s[14:15], 2
	s_delay_alu instid0(SALU_CYCLE_1)
	s_add_u32 s2, s6, s2
	s_addc_u32 s3, s7, s3
	s_waitcnt lgkmcnt(0)
	global_store_b32 v1, v2, s[2:3]
.LBB56_12:
	s_or_b32 exec_lo, exec_lo, s1
	s_waitcnt lgkmcnt(0)
	v_cmp_ne_u32_e32 vcc_lo, 0, v2
	s_mov_b32 s1, 0
	s_cbranch_vccnz .LBB56_236
; %bb.13:
	v_add_nc_u32_e32 v3, 0, v145
	scratch_load_b64 v[1:2], v3, off
	s_waitcnt vmcnt(0)
	v_div_scale_f64 v[4:5], null, v[1:2], v[1:2], 1.0
	v_div_scale_f64 v[16:17], vcc_lo, 1.0, v[1:2], 1.0
	s_delay_alu instid0(VALU_DEP_2) | instskip(SKIP_2) | instid1(VALU_DEP_1)
	v_rcp_f64_e32 v[12:13], v[4:5]
	s_waitcnt_depctr 0xfff
	v_fma_f64 v[14:15], -v[4:5], v[12:13], 1.0
	v_fma_f64 v[12:13], v[12:13], v[14:15], v[12:13]
	s_delay_alu instid0(VALU_DEP_1) | instskip(NEXT) | instid1(VALU_DEP_1)
	v_fma_f64 v[14:15], -v[4:5], v[12:13], 1.0
	v_fma_f64 v[12:13], v[12:13], v[14:15], v[12:13]
	s_delay_alu instid0(VALU_DEP_1) | instskip(NEXT) | instid1(VALU_DEP_1)
	v_mul_f64 v[14:15], v[16:17], v[12:13]
	v_fma_f64 v[4:5], -v[4:5], v[14:15], v[16:17]
	s_delay_alu instid0(VALU_DEP_1) | instskip(NEXT) | instid1(VALU_DEP_1)
	v_div_fmas_f64 v[4:5], v[4:5], v[12:13], v[14:15]
	v_div_fixup_f64 v[1:2], v[4:5], v[1:2], 1.0
	v_add_nc_u32_e32 v4, 0x1d0, v145
	scratch_store_b64 v3, v[1:2], off
	scratch_load_b64 v[12:13], off, off offset:8
	v_xor_b32_e32 v2, 0x80000000, v2
	s_waitcnt vmcnt(0)
	ds_store_2addr_b64 v145, v[1:2], v[12:13] offset1:58
	s_waitcnt lgkmcnt(0)
	s_waitcnt_vscnt null, 0x0
	s_barrier
	buffer_gl0_inv
	s_and_saveexec_b32 s1, s0
	s_cbranch_execz .LBB56_15
; %bb.14:
	scratch_load_b64 v[1:2], v3, off
	ds_load_b64 v[12:13], v4
	v_mov_b32_e32 v5, 0
	s_waitcnt vmcnt(0) lgkmcnt(0)
	v_fma_f64 v[1:2], v[1:2], v[12:13], 0
	ds_load_b64 v[12:13], v5 offset:8
	s_waitcnt lgkmcnt(0)
	v_mul_f64 v[1:2], v[1:2], v[12:13]
	scratch_store_b64 off, v[1:2], off offset:8
.LBB56_15:
	s_or_b32 exec_lo, exec_lo, s1
	s_waitcnt_vscnt null, 0x0
	s_barrier
	buffer_gl0_inv
	scratch_load_b64 v[1:2], off, off offset:16
	s_mov_b32 s1, exec_lo
	s_waitcnt vmcnt(0)
	ds_store_b64 v4, v[1:2]
	s_waitcnt lgkmcnt(0)
	s_barrier
	buffer_gl0_inv
	v_cmpx_gt_u32_e32 2, v0
	s_cbranch_execz .LBB56_19
; %bb.16:
	scratch_load_b64 v[1:2], v3, off
	ds_load_b64 v[12:13], v4
	s_waitcnt vmcnt(0) lgkmcnt(0)
	v_fma_f64 v[1:2], v[1:2], v[12:13], 0
	s_and_saveexec_b32 s2, s0
	s_cbranch_execz .LBB56_18
; %bb.17:
	scratch_load_b64 v[12:13], off, off offset:8
	v_mov_b32_e32 v5, 0
	ds_load_b64 v[14:15], v5 offset:472
	s_waitcnt vmcnt(0) lgkmcnt(0)
	v_fma_f64 v[1:2], v[12:13], v[14:15], v[1:2]
.LBB56_18:
	s_or_b32 exec_lo, exec_lo, s2
	v_mov_b32_e32 v5, 0
	ds_load_b64 v[12:13], v5 offset:16
	s_waitcnt lgkmcnt(0)
	v_mul_f64 v[1:2], v[1:2], v[12:13]
	scratch_store_b64 off, v[1:2], off offset:16
.LBB56_19:
	s_or_b32 exec_lo, exec_lo, s1
	s_waitcnt_vscnt null, 0x0
	s_barrier
	buffer_gl0_inv
	scratch_load_b64 v[1:2], off, off offset:24
	v_add_nc_u32_e32 v5, -1, v0
	s_mov_b32 s0, exec_lo
	s_waitcnt vmcnt(0)
	ds_store_b64 v4, v[1:2]
	s_waitcnt lgkmcnt(0)
	s_barrier
	buffer_gl0_inv
	v_cmpx_gt_u32_e32 3, v0
	s_cbranch_execz .LBB56_23
; %bb.20:
	v_dual_mov_b32 v1, 0 :: v_dual_add_nc_u32 v12, -1, v0
	v_dual_mov_b32 v2, 0 :: v_dual_add_nc_u32 v13, 0x1d0, v145
	v_add_nc_u32_e32 v14, 0, v145
	s_mov_b32 s1, 0
.LBB56_21:                              ; =>This Inner Loop Header: Depth=1
	scratch_load_b64 v[15:16], v14, off
	ds_load_b64 v[17:18], v13
	v_add_nc_u32_e32 v12, 1, v12
	v_add_nc_u32_e32 v13, 8, v13
	v_add_nc_u32_e32 v14, 8, v14
	s_delay_alu instid0(VALU_DEP_3)
	v_cmp_lt_u32_e32 vcc_lo, 1, v12
	s_or_b32 s1, vcc_lo, s1
	s_waitcnt vmcnt(0) lgkmcnt(0)
	v_fma_f64 v[1:2], v[15:16], v[17:18], v[1:2]
	s_and_not1_b32 exec_lo, exec_lo, s1
	s_cbranch_execnz .LBB56_21
; %bb.22:
	s_or_b32 exec_lo, exec_lo, s1
	v_mov_b32_e32 v12, 0
	ds_load_b64 v[12:13], v12 offset:24
	s_waitcnt lgkmcnt(0)
	v_mul_f64 v[1:2], v[1:2], v[12:13]
	scratch_store_b64 off, v[1:2], off offset:24
.LBB56_23:
	s_or_b32 exec_lo, exec_lo, s0
	s_waitcnt_vscnt null, 0x0
	s_barrier
	buffer_gl0_inv
	scratch_load_b64 v[1:2], off, off offset:32
	s_mov_b32 s0, exec_lo
	s_waitcnt vmcnt(0)
	ds_store_b64 v4, v[1:2]
	s_waitcnt lgkmcnt(0)
	s_barrier
	buffer_gl0_inv
	v_cmpx_gt_u32_e32 4, v0
	s_cbranch_execz .LBB56_27
; %bb.24:
	v_dual_mov_b32 v1, 0 :: v_dual_add_nc_u32 v12, -1, v0
	v_dual_mov_b32 v2, 0 :: v_dual_add_nc_u32 v13, 0x1d0, v145
	v_add_nc_u32_e32 v14, 0, v145
	s_mov_b32 s1, 0
.LBB56_25:                              ; =>This Inner Loop Header: Depth=1
	scratch_load_b64 v[15:16], v14, off
	ds_load_b64 v[17:18], v13
	v_add_nc_u32_e32 v12, 1, v12
	v_add_nc_u32_e32 v13, 8, v13
	v_add_nc_u32_e32 v14, 8, v14
	s_delay_alu instid0(VALU_DEP_3)
	v_cmp_lt_u32_e32 vcc_lo, 2, v12
	s_or_b32 s1, vcc_lo, s1
	s_waitcnt vmcnt(0) lgkmcnt(0)
	v_fma_f64 v[1:2], v[15:16], v[17:18], v[1:2]
	s_and_not1_b32 exec_lo, exec_lo, s1
	s_cbranch_execnz .LBB56_25
; %bb.26:
	s_or_b32 exec_lo, exec_lo, s1
	v_mov_b32_e32 v12, 0
	ds_load_b64 v[12:13], v12 offset:32
	s_waitcnt lgkmcnt(0)
	v_mul_f64 v[1:2], v[1:2], v[12:13]
	scratch_store_b64 off, v[1:2], off offset:32
.LBB56_27:
	s_or_b32 exec_lo, exec_lo, s0
	s_waitcnt_vscnt null, 0x0
	s_barrier
	buffer_gl0_inv
	scratch_load_b64 v[1:2], off, off offset:40
	s_mov_b32 s0, exec_lo
	s_waitcnt vmcnt(0)
	ds_store_b64 v4, v[1:2]
	s_waitcnt lgkmcnt(0)
	s_barrier
	buffer_gl0_inv
	v_cmpx_gt_u32_e32 5, v0
	s_cbranch_execz .LBB56_31
; %bb.28:
	v_dual_mov_b32 v1, 0 :: v_dual_add_nc_u32 v12, -1, v0
	v_dual_mov_b32 v2, 0 :: v_dual_add_nc_u32 v13, 0x1d0, v145
	v_add_nc_u32_e32 v14, 0, v145
	s_mov_b32 s1, 0
.LBB56_29:                              ; =>This Inner Loop Header: Depth=1
	scratch_load_b64 v[15:16], v14, off
	ds_load_b64 v[17:18], v13
	v_add_nc_u32_e32 v12, 1, v12
	v_add_nc_u32_e32 v13, 8, v13
	v_add_nc_u32_e32 v14, 8, v14
	s_delay_alu instid0(VALU_DEP_3)
	v_cmp_lt_u32_e32 vcc_lo, 3, v12
	s_or_b32 s1, vcc_lo, s1
	s_waitcnt vmcnt(0) lgkmcnt(0)
	v_fma_f64 v[1:2], v[15:16], v[17:18], v[1:2]
	s_and_not1_b32 exec_lo, exec_lo, s1
	s_cbranch_execnz .LBB56_29
; %bb.30:
	s_or_b32 exec_lo, exec_lo, s1
	v_mov_b32_e32 v12, 0
	ds_load_b64 v[12:13], v12 offset:40
	s_waitcnt lgkmcnt(0)
	v_mul_f64 v[1:2], v[1:2], v[12:13]
	scratch_store_b64 off, v[1:2], off offset:40
.LBB56_31:
	s_or_b32 exec_lo, exec_lo, s0
	s_waitcnt_vscnt null, 0x0
	s_barrier
	buffer_gl0_inv
	scratch_load_b64 v[1:2], off, off offset:48
	s_mov_b32 s0, exec_lo
	s_waitcnt vmcnt(0)
	ds_store_b64 v4, v[1:2]
	s_waitcnt lgkmcnt(0)
	s_barrier
	buffer_gl0_inv
	v_cmpx_gt_u32_e32 6, v0
	s_cbranch_execz .LBB56_35
; %bb.32:
	v_dual_mov_b32 v1, 0 :: v_dual_add_nc_u32 v12, -1, v0
	v_dual_mov_b32 v2, 0 :: v_dual_add_nc_u32 v13, 0x1d0, v145
	v_add_nc_u32_e32 v14, 0, v145
	s_mov_b32 s1, 0
.LBB56_33:                              ; =>This Inner Loop Header: Depth=1
	scratch_load_b64 v[15:16], v14, off
	ds_load_b64 v[17:18], v13
	v_add_nc_u32_e32 v12, 1, v12
	v_add_nc_u32_e32 v13, 8, v13
	v_add_nc_u32_e32 v14, 8, v14
	s_delay_alu instid0(VALU_DEP_3)
	v_cmp_lt_u32_e32 vcc_lo, 4, v12
	s_or_b32 s1, vcc_lo, s1
	s_waitcnt vmcnt(0) lgkmcnt(0)
	v_fma_f64 v[1:2], v[15:16], v[17:18], v[1:2]
	s_and_not1_b32 exec_lo, exec_lo, s1
	s_cbranch_execnz .LBB56_33
; %bb.34:
	s_or_b32 exec_lo, exec_lo, s1
	v_mov_b32_e32 v12, 0
	ds_load_b64 v[12:13], v12 offset:48
	s_waitcnt lgkmcnt(0)
	v_mul_f64 v[1:2], v[1:2], v[12:13]
	scratch_store_b64 off, v[1:2], off offset:48
.LBB56_35:
	s_or_b32 exec_lo, exec_lo, s0
	s_waitcnt_vscnt null, 0x0
	s_barrier
	buffer_gl0_inv
	scratch_load_b64 v[1:2], off, off offset:56
	s_mov_b32 s0, exec_lo
	s_waitcnt vmcnt(0)
	ds_store_b64 v4, v[1:2]
	s_waitcnt lgkmcnt(0)
	s_barrier
	buffer_gl0_inv
	v_cmpx_gt_u32_e32 7, v0
	s_cbranch_execz .LBB56_39
; %bb.36:
	v_dual_mov_b32 v1, 0 :: v_dual_add_nc_u32 v12, -1, v0
	v_dual_mov_b32 v2, 0 :: v_dual_add_nc_u32 v13, 0x1d0, v145
	v_add_nc_u32_e32 v14, 0, v145
	s_mov_b32 s1, 0
.LBB56_37:                              ; =>This Inner Loop Header: Depth=1
	scratch_load_b64 v[15:16], v14, off
	ds_load_b64 v[17:18], v13
	v_add_nc_u32_e32 v12, 1, v12
	v_add_nc_u32_e32 v13, 8, v13
	v_add_nc_u32_e32 v14, 8, v14
	s_delay_alu instid0(VALU_DEP_3)
	v_cmp_lt_u32_e32 vcc_lo, 5, v12
	s_or_b32 s1, vcc_lo, s1
	s_waitcnt vmcnt(0) lgkmcnt(0)
	v_fma_f64 v[1:2], v[15:16], v[17:18], v[1:2]
	s_and_not1_b32 exec_lo, exec_lo, s1
	s_cbranch_execnz .LBB56_37
; %bb.38:
	s_or_b32 exec_lo, exec_lo, s1
	v_mov_b32_e32 v12, 0
	ds_load_b64 v[12:13], v12 offset:56
	s_waitcnt lgkmcnt(0)
	v_mul_f64 v[1:2], v[1:2], v[12:13]
	scratch_store_b64 off, v[1:2], off offset:56
.LBB56_39:
	s_or_b32 exec_lo, exec_lo, s0
	s_waitcnt_vscnt null, 0x0
	s_barrier
	buffer_gl0_inv
	scratch_load_b64 v[1:2], off, off offset:64
	s_mov_b32 s0, exec_lo
	s_waitcnt vmcnt(0)
	ds_store_b64 v4, v[1:2]
	s_waitcnt lgkmcnt(0)
	s_barrier
	buffer_gl0_inv
	v_cmpx_gt_u32_e32 8, v0
	s_cbranch_execz .LBB56_43
; %bb.40:
	v_dual_mov_b32 v1, 0 :: v_dual_add_nc_u32 v12, -1, v0
	v_dual_mov_b32 v2, 0 :: v_dual_add_nc_u32 v13, 0x1d0, v145
	v_add_nc_u32_e32 v14, 0, v145
	s_mov_b32 s1, 0
.LBB56_41:                              ; =>This Inner Loop Header: Depth=1
	scratch_load_b64 v[15:16], v14, off
	ds_load_b64 v[17:18], v13
	v_add_nc_u32_e32 v12, 1, v12
	v_add_nc_u32_e32 v13, 8, v13
	v_add_nc_u32_e32 v14, 8, v14
	s_delay_alu instid0(VALU_DEP_3)
	v_cmp_lt_u32_e32 vcc_lo, 6, v12
	s_or_b32 s1, vcc_lo, s1
	s_waitcnt vmcnt(0) lgkmcnt(0)
	v_fma_f64 v[1:2], v[15:16], v[17:18], v[1:2]
	s_and_not1_b32 exec_lo, exec_lo, s1
	s_cbranch_execnz .LBB56_41
; %bb.42:
	s_or_b32 exec_lo, exec_lo, s1
	v_mov_b32_e32 v12, 0
	ds_load_b64 v[12:13], v12 offset:64
	s_waitcnt lgkmcnt(0)
	v_mul_f64 v[1:2], v[1:2], v[12:13]
	scratch_store_b64 off, v[1:2], off offset:64
.LBB56_43:
	s_or_b32 exec_lo, exec_lo, s0
	s_waitcnt_vscnt null, 0x0
	s_barrier
	buffer_gl0_inv
	scratch_load_b64 v[1:2], off, off offset:72
	s_mov_b32 s0, exec_lo
	s_waitcnt vmcnt(0)
	ds_store_b64 v4, v[1:2]
	s_waitcnt lgkmcnt(0)
	s_barrier
	buffer_gl0_inv
	v_cmpx_gt_u32_e32 9, v0
	s_cbranch_execz .LBB56_47
; %bb.44:
	v_dual_mov_b32 v1, 0 :: v_dual_add_nc_u32 v12, -1, v0
	v_dual_mov_b32 v2, 0 :: v_dual_add_nc_u32 v13, 0x1d0, v145
	v_add_nc_u32_e32 v14, 0, v145
	s_mov_b32 s1, 0
.LBB56_45:                              ; =>This Inner Loop Header: Depth=1
	scratch_load_b64 v[15:16], v14, off
	ds_load_b64 v[17:18], v13
	v_add_nc_u32_e32 v12, 1, v12
	v_add_nc_u32_e32 v13, 8, v13
	v_add_nc_u32_e32 v14, 8, v14
	s_delay_alu instid0(VALU_DEP_3)
	v_cmp_lt_u32_e32 vcc_lo, 7, v12
	s_or_b32 s1, vcc_lo, s1
	s_waitcnt vmcnt(0) lgkmcnt(0)
	v_fma_f64 v[1:2], v[15:16], v[17:18], v[1:2]
	s_and_not1_b32 exec_lo, exec_lo, s1
	s_cbranch_execnz .LBB56_45
; %bb.46:
	s_or_b32 exec_lo, exec_lo, s1
	v_mov_b32_e32 v12, 0
	ds_load_b64 v[12:13], v12 offset:72
	s_waitcnt lgkmcnt(0)
	v_mul_f64 v[1:2], v[1:2], v[12:13]
	scratch_store_b64 off, v[1:2], off offset:72
.LBB56_47:
	s_or_b32 exec_lo, exec_lo, s0
	s_waitcnt_vscnt null, 0x0
	s_barrier
	buffer_gl0_inv
	scratch_load_b64 v[1:2], off, off offset:80
	s_mov_b32 s0, exec_lo
	s_waitcnt vmcnt(0)
	ds_store_b64 v4, v[1:2]
	s_waitcnt lgkmcnt(0)
	s_barrier
	buffer_gl0_inv
	v_cmpx_gt_u32_e32 10, v0
	s_cbranch_execz .LBB56_51
; %bb.48:
	v_dual_mov_b32 v1, 0 :: v_dual_add_nc_u32 v12, -1, v0
	v_dual_mov_b32 v2, 0 :: v_dual_add_nc_u32 v13, 0x1d0, v145
	v_add_nc_u32_e32 v14, 0, v145
	s_mov_b32 s1, 0
.LBB56_49:                              ; =>This Inner Loop Header: Depth=1
	scratch_load_b64 v[15:16], v14, off
	ds_load_b64 v[17:18], v13
	v_add_nc_u32_e32 v12, 1, v12
	v_add_nc_u32_e32 v13, 8, v13
	v_add_nc_u32_e32 v14, 8, v14
	s_delay_alu instid0(VALU_DEP_3)
	v_cmp_lt_u32_e32 vcc_lo, 8, v12
	s_or_b32 s1, vcc_lo, s1
	s_waitcnt vmcnt(0) lgkmcnt(0)
	v_fma_f64 v[1:2], v[15:16], v[17:18], v[1:2]
	s_and_not1_b32 exec_lo, exec_lo, s1
	s_cbranch_execnz .LBB56_49
; %bb.50:
	s_or_b32 exec_lo, exec_lo, s1
	v_mov_b32_e32 v12, 0
	ds_load_b64 v[12:13], v12 offset:80
	s_waitcnt lgkmcnt(0)
	v_mul_f64 v[1:2], v[1:2], v[12:13]
	scratch_store_b64 off, v[1:2], off offset:80
.LBB56_51:
	s_or_b32 exec_lo, exec_lo, s0
	s_waitcnt_vscnt null, 0x0
	s_barrier
	buffer_gl0_inv
	scratch_load_b64 v[1:2], off, off offset:88
	s_mov_b32 s0, exec_lo
	s_waitcnt vmcnt(0)
	ds_store_b64 v4, v[1:2]
	s_waitcnt lgkmcnt(0)
	s_barrier
	buffer_gl0_inv
	v_cmpx_gt_u32_e32 11, v0
	s_cbranch_execz .LBB56_55
; %bb.52:
	v_dual_mov_b32 v1, 0 :: v_dual_add_nc_u32 v12, -1, v0
	v_dual_mov_b32 v2, 0 :: v_dual_add_nc_u32 v13, 0x1d0, v145
	v_add_nc_u32_e32 v14, 0, v145
	s_mov_b32 s1, 0
.LBB56_53:                              ; =>This Inner Loop Header: Depth=1
	scratch_load_b64 v[15:16], v14, off
	ds_load_b64 v[17:18], v13
	v_add_nc_u32_e32 v12, 1, v12
	v_add_nc_u32_e32 v13, 8, v13
	v_add_nc_u32_e32 v14, 8, v14
	s_delay_alu instid0(VALU_DEP_3)
	v_cmp_lt_u32_e32 vcc_lo, 9, v12
	s_or_b32 s1, vcc_lo, s1
	s_waitcnt vmcnt(0) lgkmcnt(0)
	v_fma_f64 v[1:2], v[15:16], v[17:18], v[1:2]
	s_and_not1_b32 exec_lo, exec_lo, s1
	s_cbranch_execnz .LBB56_53
; %bb.54:
	s_or_b32 exec_lo, exec_lo, s1
	v_mov_b32_e32 v12, 0
	ds_load_b64 v[12:13], v12 offset:88
	s_waitcnt lgkmcnt(0)
	v_mul_f64 v[1:2], v[1:2], v[12:13]
	scratch_store_b64 off, v[1:2], off offset:88
.LBB56_55:
	s_or_b32 exec_lo, exec_lo, s0
	s_waitcnt_vscnt null, 0x0
	s_barrier
	buffer_gl0_inv
	scratch_load_b64 v[1:2], off, off offset:96
	s_mov_b32 s0, exec_lo
	s_waitcnt vmcnt(0)
	ds_store_b64 v4, v[1:2]
	s_waitcnt lgkmcnt(0)
	s_barrier
	buffer_gl0_inv
	v_cmpx_gt_u32_e32 12, v0
	s_cbranch_execz .LBB56_59
; %bb.56:
	v_dual_mov_b32 v1, 0 :: v_dual_add_nc_u32 v12, -1, v0
	v_dual_mov_b32 v2, 0 :: v_dual_add_nc_u32 v13, 0x1d0, v145
	v_add_nc_u32_e32 v14, 0, v145
	s_mov_b32 s1, 0
.LBB56_57:                              ; =>This Inner Loop Header: Depth=1
	scratch_load_b64 v[15:16], v14, off
	ds_load_b64 v[17:18], v13
	v_add_nc_u32_e32 v12, 1, v12
	v_add_nc_u32_e32 v13, 8, v13
	v_add_nc_u32_e32 v14, 8, v14
	s_delay_alu instid0(VALU_DEP_3)
	v_cmp_lt_u32_e32 vcc_lo, 10, v12
	s_or_b32 s1, vcc_lo, s1
	s_waitcnt vmcnt(0) lgkmcnt(0)
	v_fma_f64 v[1:2], v[15:16], v[17:18], v[1:2]
	s_and_not1_b32 exec_lo, exec_lo, s1
	s_cbranch_execnz .LBB56_57
; %bb.58:
	s_or_b32 exec_lo, exec_lo, s1
	v_mov_b32_e32 v12, 0
	ds_load_b64 v[12:13], v12 offset:96
	s_waitcnt lgkmcnt(0)
	v_mul_f64 v[1:2], v[1:2], v[12:13]
	scratch_store_b64 off, v[1:2], off offset:96
.LBB56_59:
	s_or_b32 exec_lo, exec_lo, s0
	s_waitcnt_vscnt null, 0x0
	s_barrier
	buffer_gl0_inv
	scratch_load_b64 v[1:2], off, off offset:104
	s_mov_b32 s0, exec_lo
	s_waitcnt vmcnt(0)
	ds_store_b64 v4, v[1:2]
	s_waitcnt lgkmcnt(0)
	s_barrier
	buffer_gl0_inv
	v_cmpx_gt_u32_e32 13, v0
	s_cbranch_execz .LBB56_63
; %bb.60:
	v_dual_mov_b32 v1, 0 :: v_dual_add_nc_u32 v12, -1, v0
	v_dual_mov_b32 v2, 0 :: v_dual_add_nc_u32 v13, 0x1d0, v145
	v_add_nc_u32_e32 v14, 0, v145
	s_mov_b32 s1, 0
.LBB56_61:                              ; =>This Inner Loop Header: Depth=1
	scratch_load_b64 v[15:16], v14, off
	ds_load_b64 v[17:18], v13
	v_add_nc_u32_e32 v12, 1, v12
	v_add_nc_u32_e32 v13, 8, v13
	v_add_nc_u32_e32 v14, 8, v14
	s_delay_alu instid0(VALU_DEP_3)
	v_cmp_lt_u32_e32 vcc_lo, 11, v12
	s_or_b32 s1, vcc_lo, s1
	s_waitcnt vmcnt(0) lgkmcnt(0)
	v_fma_f64 v[1:2], v[15:16], v[17:18], v[1:2]
	s_and_not1_b32 exec_lo, exec_lo, s1
	s_cbranch_execnz .LBB56_61
; %bb.62:
	s_or_b32 exec_lo, exec_lo, s1
	v_mov_b32_e32 v12, 0
	ds_load_b64 v[12:13], v12 offset:104
	s_waitcnt lgkmcnt(0)
	v_mul_f64 v[1:2], v[1:2], v[12:13]
	scratch_store_b64 off, v[1:2], off offset:104
.LBB56_63:
	s_or_b32 exec_lo, exec_lo, s0
	s_waitcnt_vscnt null, 0x0
	s_barrier
	buffer_gl0_inv
	scratch_load_b64 v[1:2], off, off offset:112
	s_mov_b32 s0, exec_lo
	s_waitcnt vmcnt(0)
	ds_store_b64 v4, v[1:2]
	s_waitcnt lgkmcnt(0)
	s_barrier
	buffer_gl0_inv
	v_cmpx_gt_u32_e32 14, v0
	s_cbranch_execz .LBB56_67
; %bb.64:
	v_dual_mov_b32 v1, 0 :: v_dual_add_nc_u32 v12, -1, v0
	v_dual_mov_b32 v2, 0 :: v_dual_add_nc_u32 v13, 0x1d0, v145
	v_add_nc_u32_e32 v14, 0, v145
	s_mov_b32 s1, 0
.LBB56_65:                              ; =>This Inner Loop Header: Depth=1
	scratch_load_b64 v[15:16], v14, off
	ds_load_b64 v[17:18], v13
	v_add_nc_u32_e32 v12, 1, v12
	v_add_nc_u32_e32 v13, 8, v13
	v_add_nc_u32_e32 v14, 8, v14
	s_delay_alu instid0(VALU_DEP_3)
	v_cmp_lt_u32_e32 vcc_lo, 12, v12
	s_or_b32 s1, vcc_lo, s1
	s_waitcnt vmcnt(0) lgkmcnt(0)
	v_fma_f64 v[1:2], v[15:16], v[17:18], v[1:2]
	s_and_not1_b32 exec_lo, exec_lo, s1
	s_cbranch_execnz .LBB56_65
; %bb.66:
	s_or_b32 exec_lo, exec_lo, s1
	v_mov_b32_e32 v12, 0
	ds_load_b64 v[12:13], v12 offset:112
	s_waitcnt lgkmcnt(0)
	v_mul_f64 v[1:2], v[1:2], v[12:13]
	scratch_store_b64 off, v[1:2], off offset:112
.LBB56_67:
	s_or_b32 exec_lo, exec_lo, s0
	s_waitcnt_vscnt null, 0x0
	s_barrier
	buffer_gl0_inv
	scratch_load_b64 v[1:2], off, off offset:120
	s_mov_b32 s0, exec_lo
	s_waitcnt vmcnt(0)
	ds_store_b64 v4, v[1:2]
	s_waitcnt lgkmcnt(0)
	s_barrier
	buffer_gl0_inv
	v_cmpx_gt_u32_e32 15, v0
	s_cbranch_execz .LBB56_71
; %bb.68:
	v_dual_mov_b32 v1, 0 :: v_dual_add_nc_u32 v12, -1, v0
	v_dual_mov_b32 v2, 0 :: v_dual_add_nc_u32 v13, 0x1d0, v145
	v_add_nc_u32_e32 v14, 0, v145
	s_mov_b32 s1, 0
.LBB56_69:                              ; =>This Inner Loop Header: Depth=1
	scratch_load_b64 v[15:16], v14, off
	ds_load_b64 v[17:18], v13
	v_add_nc_u32_e32 v12, 1, v12
	v_add_nc_u32_e32 v13, 8, v13
	v_add_nc_u32_e32 v14, 8, v14
	s_delay_alu instid0(VALU_DEP_3)
	v_cmp_lt_u32_e32 vcc_lo, 13, v12
	s_or_b32 s1, vcc_lo, s1
	s_waitcnt vmcnt(0) lgkmcnt(0)
	v_fma_f64 v[1:2], v[15:16], v[17:18], v[1:2]
	s_and_not1_b32 exec_lo, exec_lo, s1
	s_cbranch_execnz .LBB56_69
; %bb.70:
	s_or_b32 exec_lo, exec_lo, s1
	v_mov_b32_e32 v12, 0
	ds_load_b64 v[12:13], v12 offset:120
	s_waitcnt lgkmcnt(0)
	v_mul_f64 v[1:2], v[1:2], v[12:13]
	scratch_store_b64 off, v[1:2], off offset:120
.LBB56_71:
	s_or_b32 exec_lo, exec_lo, s0
	s_waitcnt_vscnt null, 0x0
	s_barrier
	buffer_gl0_inv
	scratch_load_b64 v[1:2], off, off offset:128
	s_mov_b32 s0, exec_lo
	s_waitcnt vmcnt(0)
	ds_store_b64 v4, v[1:2]
	s_waitcnt lgkmcnt(0)
	s_barrier
	buffer_gl0_inv
	v_cmpx_gt_u32_e32 16, v0
	s_cbranch_execz .LBB56_75
; %bb.72:
	v_dual_mov_b32 v1, 0 :: v_dual_add_nc_u32 v12, -1, v0
	v_dual_mov_b32 v2, 0 :: v_dual_add_nc_u32 v13, 0x1d0, v145
	v_add_nc_u32_e32 v14, 0, v145
	s_mov_b32 s1, 0
.LBB56_73:                              ; =>This Inner Loop Header: Depth=1
	scratch_load_b64 v[15:16], v14, off
	ds_load_b64 v[17:18], v13
	v_add_nc_u32_e32 v12, 1, v12
	v_add_nc_u32_e32 v13, 8, v13
	v_add_nc_u32_e32 v14, 8, v14
	s_delay_alu instid0(VALU_DEP_3)
	v_cmp_lt_u32_e32 vcc_lo, 14, v12
	s_or_b32 s1, vcc_lo, s1
	s_waitcnt vmcnt(0) lgkmcnt(0)
	v_fma_f64 v[1:2], v[15:16], v[17:18], v[1:2]
	s_and_not1_b32 exec_lo, exec_lo, s1
	s_cbranch_execnz .LBB56_73
; %bb.74:
	s_or_b32 exec_lo, exec_lo, s1
	v_mov_b32_e32 v12, 0
	ds_load_b64 v[12:13], v12 offset:128
	s_waitcnt lgkmcnt(0)
	v_mul_f64 v[1:2], v[1:2], v[12:13]
	scratch_store_b64 off, v[1:2], off offset:128
.LBB56_75:
	s_or_b32 exec_lo, exec_lo, s0
	s_waitcnt_vscnt null, 0x0
	s_barrier
	buffer_gl0_inv
	scratch_load_b64 v[1:2], off, off offset:136
	s_mov_b32 s0, exec_lo
	s_waitcnt vmcnt(0)
	ds_store_b64 v4, v[1:2]
	s_waitcnt lgkmcnt(0)
	s_barrier
	buffer_gl0_inv
	v_cmpx_gt_u32_e32 17, v0
	s_cbranch_execz .LBB56_79
; %bb.76:
	v_dual_mov_b32 v1, 0 :: v_dual_add_nc_u32 v12, -1, v0
	v_dual_mov_b32 v2, 0 :: v_dual_add_nc_u32 v13, 0x1d0, v145
	v_add_nc_u32_e32 v14, 0, v145
	s_mov_b32 s1, 0
.LBB56_77:                              ; =>This Inner Loop Header: Depth=1
	scratch_load_b64 v[15:16], v14, off
	ds_load_b64 v[17:18], v13
	v_add_nc_u32_e32 v12, 1, v12
	v_add_nc_u32_e32 v13, 8, v13
	v_add_nc_u32_e32 v14, 8, v14
	s_delay_alu instid0(VALU_DEP_3)
	v_cmp_lt_u32_e32 vcc_lo, 15, v12
	s_or_b32 s1, vcc_lo, s1
	s_waitcnt vmcnt(0) lgkmcnt(0)
	v_fma_f64 v[1:2], v[15:16], v[17:18], v[1:2]
	s_and_not1_b32 exec_lo, exec_lo, s1
	s_cbranch_execnz .LBB56_77
; %bb.78:
	s_or_b32 exec_lo, exec_lo, s1
	v_mov_b32_e32 v12, 0
	ds_load_b64 v[12:13], v12 offset:136
	s_waitcnt lgkmcnt(0)
	v_mul_f64 v[1:2], v[1:2], v[12:13]
	scratch_store_b64 off, v[1:2], off offset:136
.LBB56_79:
	s_or_b32 exec_lo, exec_lo, s0
	s_waitcnt_vscnt null, 0x0
	s_barrier
	buffer_gl0_inv
	scratch_load_b64 v[1:2], off, off offset:144
	s_mov_b32 s0, exec_lo
	s_waitcnt vmcnt(0)
	ds_store_b64 v4, v[1:2]
	s_waitcnt lgkmcnt(0)
	s_barrier
	buffer_gl0_inv
	v_cmpx_gt_u32_e32 18, v0
	s_cbranch_execz .LBB56_83
; %bb.80:
	v_dual_mov_b32 v1, 0 :: v_dual_add_nc_u32 v12, -1, v0
	v_dual_mov_b32 v2, 0 :: v_dual_add_nc_u32 v13, 0x1d0, v145
	v_add_nc_u32_e32 v14, 0, v145
	s_mov_b32 s1, 0
.LBB56_81:                              ; =>This Inner Loop Header: Depth=1
	scratch_load_b64 v[15:16], v14, off
	ds_load_b64 v[17:18], v13
	v_add_nc_u32_e32 v12, 1, v12
	v_add_nc_u32_e32 v13, 8, v13
	v_add_nc_u32_e32 v14, 8, v14
	s_delay_alu instid0(VALU_DEP_3)
	v_cmp_lt_u32_e32 vcc_lo, 16, v12
	s_or_b32 s1, vcc_lo, s1
	s_waitcnt vmcnt(0) lgkmcnt(0)
	v_fma_f64 v[1:2], v[15:16], v[17:18], v[1:2]
	s_and_not1_b32 exec_lo, exec_lo, s1
	s_cbranch_execnz .LBB56_81
; %bb.82:
	s_or_b32 exec_lo, exec_lo, s1
	v_mov_b32_e32 v12, 0
	ds_load_b64 v[12:13], v12 offset:144
	s_waitcnt lgkmcnt(0)
	v_mul_f64 v[1:2], v[1:2], v[12:13]
	scratch_store_b64 off, v[1:2], off offset:144
.LBB56_83:
	s_or_b32 exec_lo, exec_lo, s0
	s_waitcnt_vscnt null, 0x0
	s_barrier
	buffer_gl0_inv
	scratch_load_b64 v[1:2], off, off offset:152
	s_mov_b32 s0, exec_lo
	s_waitcnt vmcnt(0)
	ds_store_b64 v4, v[1:2]
	s_waitcnt lgkmcnt(0)
	s_barrier
	buffer_gl0_inv
	v_cmpx_gt_u32_e32 19, v0
	s_cbranch_execz .LBB56_87
; %bb.84:
	v_dual_mov_b32 v1, 0 :: v_dual_add_nc_u32 v12, -1, v0
	v_dual_mov_b32 v2, 0 :: v_dual_add_nc_u32 v13, 0x1d0, v145
	v_add_nc_u32_e32 v14, 0, v145
	s_mov_b32 s1, 0
.LBB56_85:                              ; =>This Inner Loop Header: Depth=1
	scratch_load_b64 v[15:16], v14, off
	ds_load_b64 v[17:18], v13
	v_add_nc_u32_e32 v12, 1, v12
	v_add_nc_u32_e32 v13, 8, v13
	v_add_nc_u32_e32 v14, 8, v14
	s_delay_alu instid0(VALU_DEP_3)
	v_cmp_lt_u32_e32 vcc_lo, 17, v12
	s_or_b32 s1, vcc_lo, s1
	s_waitcnt vmcnt(0) lgkmcnt(0)
	v_fma_f64 v[1:2], v[15:16], v[17:18], v[1:2]
	s_and_not1_b32 exec_lo, exec_lo, s1
	s_cbranch_execnz .LBB56_85
; %bb.86:
	s_or_b32 exec_lo, exec_lo, s1
	v_mov_b32_e32 v12, 0
	ds_load_b64 v[12:13], v12 offset:152
	s_waitcnt lgkmcnt(0)
	v_mul_f64 v[1:2], v[1:2], v[12:13]
	scratch_store_b64 off, v[1:2], off offset:152
.LBB56_87:
	s_or_b32 exec_lo, exec_lo, s0
	s_waitcnt_vscnt null, 0x0
	s_barrier
	buffer_gl0_inv
	scratch_load_b64 v[1:2], off, off offset:160
	s_mov_b32 s0, exec_lo
	s_waitcnt vmcnt(0)
	ds_store_b64 v4, v[1:2]
	s_waitcnt lgkmcnt(0)
	s_barrier
	buffer_gl0_inv
	v_cmpx_gt_u32_e32 20, v0
	s_cbranch_execz .LBB56_91
; %bb.88:
	v_dual_mov_b32 v1, 0 :: v_dual_add_nc_u32 v12, -1, v0
	v_dual_mov_b32 v2, 0 :: v_dual_add_nc_u32 v13, 0x1d0, v145
	v_add_nc_u32_e32 v14, 0, v145
	s_mov_b32 s1, 0
.LBB56_89:                              ; =>This Inner Loop Header: Depth=1
	scratch_load_b64 v[15:16], v14, off
	ds_load_b64 v[17:18], v13
	v_add_nc_u32_e32 v12, 1, v12
	v_add_nc_u32_e32 v13, 8, v13
	v_add_nc_u32_e32 v14, 8, v14
	s_delay_alu instid0(VALU_DEP_3)
	v_cmp_lt_u32_e32 vcc_lo, 18, v12
	s_or_b32 s1, vcc_lo, s1
	s_waitcnt vmcnt(0) lgkmcnt(0)
	v_fma_f64 v[1:2], v[15:16], v[17:18], v[1:2]
	s_and_not1_b32 exec_lo, exec_lo, s1
	s_cbranch_execnz .LBB56_89
; %bb.90:
	s_or_b32 exec_lo, exec_lo, s1
	v_mov_b32_e32 v12, 0
	ds_load_b64 v[12:13], v12 offset:160
	s_waitcnt lgkmcnt(0)
	v_mul_f64 v[1:2], v[1:2], v[12:13]
	scratch_store_b64 off, v[1:2], off offset:160
.LBB56_91:
	s_or_b32 exec_lo, exec_lo, s0
	s_waitcnt_vscnt null, 0x0
	s_barrier
	buffer_gl0_inv
	scratch_load_b64 v[1:2], off, off offset:168
	s_mov_b32 s0, exec_lo
	s_waitcnt vmcnt(0)
	ds_store_b64 v4, v[1:2]
	s_waitcnt lgkmcnt(0)
	s_barrier
	buffer_gl0_inv
	v_cmpx_gt_u32_e32 21, v0
	s_cbranch_execz .LBB56_95
; %bb.92:
	v_dual_mov_b32 v1, 0 :: v_dual_add_nc_u32 v12, -1, v0
	v_dual_mov_b32 v2, 0 :: v_dual_add_nc_u32 v13, 0x1d0, v145
	v_add_nc_u32_e32 v14, 0, v145
	s_mov_b32 s1, 0
.LBB56_93:                              ; =>This Inner Loop Header: Depth=1
	scratch_load_b64 v[15:16], v14, off
	ds_load_b64 v[17:18], v13
	v_add_nc_u32_e32 v12, 1, v12
	v_add_nc_u32_e32 v13, 8, v13
	v_add_nc_u32_e32 v14, 8, v14
	s_delay_alu instid0(VALU_DEP_3)
	v_cmp_lt_u32_e32 vcc_lo, 19, v12
	s_or_b32 s1, vcc_lo, s1
	s_waitcnt vmcnt(0) lgkmcnt(0)
	v_fma_f64 v[1:2], v[15:16], v[17:18], v[1:2]
	s_and_not1_b32 exec_lo, exec_lo, s1
	s_cbranch_execnz .LBB56_93
; %bb.94:
	s_or_b32 exec_lo, exec_lo, s1
	v_mov_b32_e32 v12, 0
	ds_load_b64 v[12:13], v12 offset:168
	s_waitcnt lgkmcnt(0)
	v_mul_f64 v[1:2], v[1:2], v[12:13]
	scratch_store_b64 off, v[1:2], off offset:168
.LBB56_95:
	s_or_b32 exec_lo, exec_lo, s0
	s_waitcnt_vscnt null, 0x0
	s_barrier
	buffer_gl0_inv
	scratch_load_b64 v[1:2], off, off offset:176
	s_mov_b32 s0, exec_lo
	s_waitcnt vmcnt(0)
	ds_store_b64 v4, v[1:2]
	s_waitcnt lgkmcnt(0)
	s_barrier
	buffer_gl0_inv
	v_cmpx_gt_u32_e32 22, v0
	s_cbranch_execz .LBB56_99
; %bb.96:
	v_dual_mov_b32 v1, 0 :: v_dual_add_nc_u32 v12, -1, v0
	v_dual_mov_b32 v2, 0 :: v_dual_add_nc_u32 v13, 0x1d0, v145
	v_add_nc_u32_e32 v14, 0, v145
	s_mov_b32 s1, 0
.LBB56_97:                              ; =>This Inner Loop Header: Depth=1
	scratch_load_b64 v[15:16], v14, off
	ds_load_b64 v[17:18], v13
	v_add_nc_u32_e32 v12, 1, v12
	v_add_nc_u32_e32 v13, 8, v13
	v_add_nc_u32_e32 v14, 8, v14
	s_delay_alu instid0(VALU_DEP_3)
	v_cmp_lt_u32_e32 vcc_lo, 20, v12
	s_or_b32 s1, vcc_lo, s1
	s_waitcnt vmcnt(0) lgkmcnt(0)
	v_fma_f64 v[1:2], v[15:16], v[17:18], v[1:2]
	s_and_not1_b32 exec_lo, exec_lo, s1
	s_cbranch_execnz .LBB56_97
; %bb.98:
	s_or_b32 exec_lo, exec_lo, s1
	v_mov_b32_e32 v12, 0
	ds_load_b64 v[12:13], v12 offset:176
	s_waitcnt lgkmcnt(0)
	v_mul_f64 v[1:2], v[1:2], v[12:13]
	scratch_store_b64 off, v[1:2], off offset:176
.LBB56_99:
	s_or_b32 exec_lo, exec_lo, s0
	s_waitcnt_vscnt null, 0x0
	s_barrier
	buffer_gl0_inv
	scratch_load_b64 v[1:2], off, off offset:184
	s_mov_b32 s0, exec_lo
	s_waitcnt vmcnt(0)
	ds_store_b64 v4, v[1:2]
	s_waitcnt lgkmcnt(0)
	s_barrier
	buffer_gl0_inv
	v_cmpx_gt_u32_e32 23, v0
	s_cbranch_execz .LBB56_103
; %bb.100:
	v_dual_mov_b32 v1, 0 :: v_dual_add_nc_u32 v12, -1, v0
	v_dual_mov_b32 v2, 0 :: v_dual_add_nc_u32 v13, 0x1d0, v145
	v_add_nc_u32_e32 v14, 0, v145
	s_mov_b32 s1, 0
.LBB56_101:                             ; =>This Inner Loop Header: Depth=1
	scratch_load_b64 v[15:16], v14, off
	ds_load_b64 v[17:18], v13
	v_add_nc_u32_e32 v12, 1, v12
	v_add_nc_u32_e32 v13, 8, v13
	v_add_nc_u32_e32 v14, 8, v14
	s_delay_alu instid0(VALU_DEP_3)
	v_cmp_lt_u32_e32 vcc_lo, 21, v12
	s_or_b32 s1, vcc_lo, s1
	s_waitcnt vmcnt(0) lgkmcnt(0)
	v_fma_f64 v[1:2], v[15:16], v[17:18], v[1:2]
	s_and_not1_b32 exec_lo, exec_lo, s1
	s_cbranch_execnz .LBB56_101
; %bb.102:
	s_or_b32 exec_lo, exec_lo, s1
	v_mov_b32_e32 v12, 0
	ds_load_b64 v[12:13], v12 offset:184
	s_waitcnt lgkmcnt(0)
	v_mul_f64 v[1:2], v[1:2], v[12:13]
	scratch_store_b64 off, v[1:2], off offset:184
.LBB56_103:
	s_or_b32 exec_lo, exec_lo, s0
	s_waitcnt_vscnt null, 0x0
	s_barrier
	buffer_gl0_inv
	scratch_load_b64 v[1:2], off, off offset:192
	s_mov_b32 s0, exec_lo
	s_waitcnt vmcnt(0)
	ds_store_b64 v4, v[1:2]
	s_waitcnt lgkmcnt(0)
	s_barrier
	buffer_gl0_inv
	v_cmpx_gt_u32_e32 24, v0
	s_cbranch_execz .LBB56_107
; %bb.104:
	v_dual_mov_b32 v1, 0 :: v_dual_add_nc_u32 v12, -1, v0
	v_dual_mov_b32 v2, 0 :: v_dual_add_nc_u32 v13, 0x1d0, v145
	v_add_nc_u32_e32 v14, 0, v145
	s_mov_b32 s1, 0
.LBB56_105:                             ; =>This Inner Loop Header: Depth=1
	scratch_load_b64 v[15:16], v14, off
	ds_load_b64 v[17:18], v13
	v_add_nc_u32_e32 v12, 1, v12
	v_add_nc_u32_e32 v13, 8, v13
	v_add_nc_u32_e32 v14, 8, v14
	s_delay_alu instid0(VALU_DEP_3)
	v_cmp_lt_u32_e32 vcc_lo, 22, v12
	s_or_b32 s1, vcc_lo, s1
	s_waitcnt vmcnt(0) lgkmcnt(0)
	v_fma_f64 v[1:2], v[15:16], v[17:18], v[1:2]
	s_and_not1_b32 exec_lo, exec_lo, s1
	s_cbranch_execnz .LBB56_105
; %bb.106:
	s_or_b32 exec_lo, exec_lo, s1
	v_mov_b32_e32 v12, 0
	ds_load_b64 v[12:13], v12 offset:192
	s_waitcnt lgkmcnt(0)
	v_mul_f64 v[1:2], v[1:2], v[12:13]
	scratch_store_b64 off, v[1:2], off offset:192
.LBB56_107:
	s_or_b32 exec_lo, exec_lo, s0
	s_waitcnt_vscnt null, 0x0
	s_barrier
	buffer_gl0_inv
	scratch_load_b64 v[1:2], off, off offset:200
	;; [unrolled: 39-line block ×33, first 2 shown]
	s_mov_b32 s0, exec_lo
	s_waitcnt vmcnt(0)
	ds_store_b64 v4, v[1:2]
	s_waitcnt lgkmcnt(0)
	s_barrier
	buffer_gl0_inv
	v_cmpx_ne_u32_e32 56, v0
	s_cbranch_execz .LBB56_235
; %bb.232:
	v_mov_b32_e32 v1, 0
	v_mov_b32_e32 v2, 0
	s_mov_b32 s1, 0
.LBB56_233:                             ; =>This Inner Loop Header: Depth=1
	scratch_load_b64 v[12:13], v3, off
	ds_load_b64 v[14:15], v4
	v_add_nc_u32_e32 v5, 1, v5
	v_add_nc_u32_e32 v4, 8, v4
	;; [unrolled: 1-line block ×3, first 2 shown]
	s_delay_alu instid0(VALU_DEP_3)
	v_cmp_lt_u32_e32 vcc_lo, 54, v5
	s_or_b32 s1, vcc_lo, s1
	s_waitcnt vmcnt(0) lgkmcnt(0)
	v_fma_f64 v[1:2], v[12:13], v[14:15], v[1:2]
	s_and_not1_b32 exec_lo, exec_lo, s1
	s_cbranch_execnz .LBB56_233
; %bb.234:
	s_or_b32 exec_lo, exec_lo, s1
	v_mov_b32_e32 v3, 0
	ds_load_b64 v[3:4], v3 offset:448
	s_waitcnt lgkmcnt(0)
	v_mul_f64 v[1:2], v[1:2], v[3:4]
	scratch_store_b64 off, v[1:2], off offset:448
.LBB56_235:
	s_or_b32 exec_lo, exec_lo, s0
	s_mov_b32 s1, -1
	s_waitcnt_vscnt null, 0x0
	s_barrier
	buffer_gl0_inv
.LBB56_236:
	s_and_b32 vcc_lo, exec_lo, s1
	s_cbranch_vccz .LBB56_238
; %bb.237:
	s_lshl_b64 s[0:1], s[14:15], 2
	v_mov_b32_e32 v1, 0
	s_add_u32 s0, s6, s0
	s_addc_u32 s1, s7, s1
	global_load_b32 v1, v1, s[0:1]
	s_waitcnt vmcnt(0)
	v_cmp_ne_u32_e32 vcc_lo, 0, v1
	s_cbranch_vccz .LBB56_239
.LBB56_238:
	s_endpgm
.LBB56_239:
	v_lshl_add_u32 v5, v0, 3, 0x1d0
	s_mov_b32 s0, exec_lo
	v_cmpx_eq_u32_e32 56, v0
	s_cbranch_execz .LBB56_241
; %bb.240:
	scratch_load_b64 v[1:2], off, off offset:440
	v_mov_b32_e32 v3, 0
	s_delay_alu instid0(VALU_DEP_1)
	v_mov_b32_e32 v4, v3
	scratch_store_b64 off, v[3:4], off offset:440
	s_waitcnt vmcnt(0)
	ds_store_b64 v5, v[1:2]
.LBB56_241:
	s_or_b32 exec_lo, exec_lo, s0
	s_waitcnt lgkmcnt(0)
	s_waitcnt_vscnt null, 0x0
	s_barrier
	buffer_gl0_inv
	scratch_load_b128 v[12:15], off, off offset:440
	v_mov_b32_e32 v1, 0
	s_mov_b32 s0, exec_lo
	ds_load_b64 v[2:3], v1 offset:912
	s_waitcnt vmcnt(0) lgkmcnt(0)
	v_fma_f64 v[2:3], v[14:15], v[2:3], 0
	s_delay_alu instid0(VALU_DEP_1)
	v_add_f64 v[2:3], v[12:13], -v[2:3]
	scratch_store_b64 off, v[2:3], off offset:440
	v_cmpx_lt_u32_e32 54, v0
	s_cbranch_execz .LBB56_243
; %bb.242:
	scratch_load_b64 v[3:4], off, off offset:432
	v_mov_b32_e32 v2, v1
	scratch_store_b64 off, v[1:2], off offset:432
	s_waitcnt vmcnt(0)
	ds_store_b64 v5, v[3:4]
.LBB56_243:
	s_or_b32 exec_lo, exec_lo, s0
	s_waitcnt lgkmcnt(0)
	s_waitcnt_vscnt null, 0x0
	s_barrier
	buffer_gl0_inv
	s_clause 0x1
	scratch_load_b128 v[12:15], off, off offset:432
	scratch_load_b64 v[16:17], off, off offset:448
	ds_load_2addr_b64 v[1:4], v1 offset0:113 offset1:114
	s_mov_b32 s0, exec_lo
	s_waitcnt vmcnt(1) lgkmcnt(0)
	v_fma_f64 v[1:2], v[14:15], v[1:2], 0
	s_waitcnt vmcnt(0)
	s_delay_alu instid0(VALU_DEP_1) | instskip(NEXT) | instid1(VALU_DEP_1)
	v_fma_f64 v[1:2], v[16:17], v[3:4], v[1:2]
	v_add_f64 v[1:2], v[12:13], -v[1:2]
	scratch_store_b64 off, v[1:2], off offset:432
	v_cmpx_lt_u32_e32 53, v0
	s_cbranch_execz .LBB56_245
; %bb.244:
	scratch_load_b64 v[1:2], off, off offset:424
	v_mov_b32_e32 v3, 0
	s_delay_alu instid0(VALU_DEP_1)
	v_mov_b32_e32 v4, v3
	scratch_store_b64 off, v[3:4], off offset:424
	s_waitcnt vmcnt(0)
	ds_store_b64 v5, v[1:2]
.LBB56_245:
	s_or_b32 exec_lo, exec_lo, s0
	s_waitcnt lgkmcnt(0)
	s_waitcnt_vscnt null, 0x0
	s_barrier
	buffer_gl0_inv
	s_clause 0x1
	scratch_load_b128 v[12:15], off, off offset:424
	scratch_load_b128 v[16:19], off, off offset:440
	v_mov_b32_e32 v1, 0
	ds_load_b128 v[20:23], v1 offset:896
	ds_load_b64 v[2:3], v1 offset:912
	s_mov_b32 s0, exec_lo
	s_waitcnt vmcnt(1) lgkmcnt(1)
	v_fma_f64 v[14:15], v[14:15], v[20:21], 0
	s_waitcnt vmcnt(0)
	s_delay_alu instid0(VALU_DEP_1) | instskip(SKIP_1) | instid1(VALU_DEP_1)
	v_fma_f64 v[14:15], v[16:17], v[22:23], v[14:15]
	s_waitcnt lgkmcnt(0)
	v_fma_f64 v[2:3], v[18:19], v[2:3], v[14:15]
	s_delay_alu instid0(VALU_DEP_1)
	v_add_f64 v[2:3], v[12:13], -v[2:3]
	scratch_store_b64 off, v[2:3], off offset:424
	v_cmpx_lt_u32_e32 52, v0
	s_cbranch_execz .LBB56_247
; %bb.246:
	scratch_load_b64 v[3:4], off, off offset:416
	v_mov_b32_e32 v2, v1
	scratch_store_b64 off, v[1:2], off offset:416
	s_waitcnt vmcnt(0)
	ds_store_b64 v5, v[3:4]
.LBB56_247:
	s_or_b32 exec_lo, exec_lo, s0
	s_waitcnt lgkmcnt(0)
	s_waitcnt_vscnt null, 0x0
	s_barrier
	buffer_gl0_inv
	s_clause 0x2
	scratch_load_b128 v[12:15], off, off offset:416
	scratch_load_b128 v[16:19], off, off offset:432
	scratch_load_b64 v[24:25], off, off offset:448
	ds_load_2addr_b64 v[20:23], v1 offset0:111 offset1:112
	ds_load_2addr_b64 v[1:4], v1 offset0:113 offset1:114
	s_mov_b32 s0, exec_lo
	s_waitcnt vmcnt(2) lgkmcnt(1)
	v_fma_f64 v[14:15], v[14:15], v[20:21], 0
	s_waitcnt vmcnt(1)
	s_delay_alu instid0(VALU_DEP_1) | instskip(SKIP_1) | instid1(VALU_DEP_1)
	v_fma_f64 v[14:15], v[16:17], v[22:23], v[14:15]
	s_waitcnt lgkmcnt(0)
	v_fma_f64 v[1:2], v[18:19], v[1:2], v[14:15]
	s_waitcnt vmcnt(0)
	s_delay_alu instid0(VALU_DEP_1) | instskip(NEXT) | instid1(VALU_DEP_1)
	v_fma_f64 v[1:2], v[24:25], v[3:4], v[1:2]
	v_add_f64 v[1:2], v[12:13], -v[1:2]
	scratch_store_b64 off, v[1:2], off offset:416
	v_cmpx_lt_u32_e32 51, v0
	s_cbranch_execz .LBB56_249
; %bb.248:
	scratch_load_b64 v[1:2], off, off offset:408
	v_mov_b32_e32 v3, 0
	s_delay_alu instid0(VALU_DEP_1)
	v_mov_b32_e32 v4, v3
	scratch_store_b64 off, v[3:4], off offset:408
	s_waitcnt vmcnt(0)
	ds_store_b64 v5, v[1:2]
.LBB56_249:
	s_or_b32 exec_lo, exec_lo, s0
	s_waitcnt lgkmcnt(0)
	s_waitcnt_vscnt null, 0x0
	s_barrier
	buffer_gl0_inv
	s_clause 0x2
	scratch_load_b128 v[12:15], off, off offset:408
	scratch_load_b128 v[16:19], off, off offset:424
	;; [unrolled: 1-line block ×3, first 2 shown]
	v_mov_b32_e32 v1, 0
	ds_load_b128 v[24:27], v1 offset:880
	ds_load_b128 v[28:31], v1 offset:896
	s_mov_b32 s0, exec_lo
	s_waitcnt vmcnt(2) lgkmcnt(1)
	v_fma_f64 v[2:3], v[14:15], v[24:25], 0
	ds_load_b64 v[14:15], v1 offset:912
	s_waitcnt vmcnt(1)
	v_fma_f64 v[2:3], v[16:17], v[26:27], v[2:3]
	s_waitcnt lgkmcnt(1)
	s_delay_alu instid0(VALU_DEP_1) | instskip(SKIP_1) | instid1(VALU_DEP_1)
	v_fma_f64 v[2:3], v[18:19], v[28:29], v[2:3]
	s_waitcnt vmcnt(0)
	v_fma_f64 v[2:3], v[20:21], v[30:31], v[2:3]
	s_waitcnt lgkmcnt(0)
	s_delay_alu instid0(VALU_DEP_1) | instskip(NEXT) | instid1(VALU_DEP_1)
	v_fma_f64 v[2:3], v[22:23], v[14:15], v[2:3]
	v_add_f64 v[2:3], v[12:13], -v[2:3]
	scratch_store_b64 off, v[2:3], off offset:408
	v_cmpx_lt_u32_e32 50, v0
	s_cbranch_execz .LBB56_251
; %bb.250:
	scratch_load_b64 v[3:4], off, off offset:400
	v_mov_b32_e32 v2, v1
	scratch_store_b64 off, v[1:2], off offset:400
	s_waitcnt vmcnt(0)
	ds_store_b64 v5, v[3:4]
.LBB56_251:
	s_or_b32 exec_lo, exec_lo, s0
	s_waitcnt lgkmcnt(0)
	s_waitcnt_vscnt null, 0x0
	s_barrier
	buffer_gl0_inv
	s_clause 0x3
	scratch_load_b128 v[12:15], off, off offset:400
	scratch_load_b128 v[16:19], off, off offset:416
	;; [unrolled: 1-line block ×3, first 2 shown]
	scratch_load_b64 v[32:33], off, off offset:448
	ds_load_2addr_b64 v[24:27], v1 offset0:109 offset1:110
	ds_load_2addr_b64 v[28:31], v1 offset0:111 offset1:112
	s_mov_b32 s0, exec_lo
	s_waitcnt vmcnt(3) lgkmcnt(1)
	v_fma_f64 v[2:3], v[14:15], v[24:25], 0
	s_waitcnt vmcnt(2)
	s_delay_alu instid0(VALU_DEP_1) | instskip(SKIP_1) | instid1(VALU_DEP_1)
	v_fma_f64 v[2:3], v[16:17], v[26:27], v[2:3]
	s_waitcnt lgkmcnt(0)
	v_fma_f64 v[2:3], v[18:19], v[28:29], v[2:3]
	s_waitcnt vmcnt(1)
	s_delay_alu instid0(VALU_DEP_1) | instskip(SKIP_4) | instid1(VALU_DEP_1)
	v_fma_f64 v[14:15], v[20:21], v[30:31], v[2:3]
	ds_load_2addr_b64 v[1:4], v1 offset0:113 offset1:114
	s_waitcnt lgkmcnt(0)
	v_fma_f64 v[1:2], v[22:23], v[1:2], v[14:15]
	s_waitcnt vmcnt(0)
	v_fma_f64 v[1:2], v[32:33], v[3:4], v[1:2]
	s_delay_alu instid0(VALU_DEP_1)
	v_add_f64 v[1:2], v[12:13], -v[1:2]
	scratch_store_b64 off, v[1:2], off offset:400
	v_cmpx_lt_u32_e32 49, v0
	s_cbranch_execz .LBB56_253
; %bb.252:
	scratch_load_b64 v[1:2], off, off offset:392
	v_mov_b32_e32 v3, 0
	s_delay_alu instid0(VALU_DEP_1)
	v_mov_b32_e32 v4, v3
	scratch_store_b64 off, v[3:4], off offset:392
	s_waitcnt vmcnt(0)
	ds_store_b64 v5, v[1:2]
.LBB56_253:
	s_or_b32 exec_lo, exec_lo, s0
	s_waitcnt lgkmcnt(0)
	s_waitcnt_vscnt null, 0x0
	s_barrier
	buffer_gl0_inv
	s_clause 0x3
	scratch_load_b128 v[12:15], off, off offset:392
	scratch_load_b128 v[16:19], off, off offset:408
	;; [unrolled: 1-line block ×4, first 2 shown]
	v_mov_b32_e32 v1, 0
	ds_load_b128 v[28:31], v1 offset:864
	ds_load_b128 v[32:35], v1 offset:880
	s_mov_b32 s0, exec_lo
	s_waitcnt vmcnt(3) lgkmcnt(1)
	v_fma_f64 v[2:3], v[14:15], v[28:29], 0
	s_waitcnt vmcnt(2)
	s_delay_alu instid0(VALU_DEP_1) | instskip(SKIP_1) | instid1(VALU_DEP_1)
	v_fma_f64 v[2:3], v[16:17], v[30:31], v[2:3]
	s_waitcnt lgkmcnt(0)
	v_fma_f64 v[2:3], v[18:19], v[32:33], v[2:3]
	ds_load_b128 v[14:17], v1 offset:896
	ds_load_b64 v[18:19], v1 offset:912
	s_waitcnt vmcnt(1)
	v_fma_f64 v[2:3], v[20:21], v[34:35], v[2:3]
	s_waitcnt lgkmcnt(1)
	s_delay_alu instid0(VALU_DEP_1) | instskip(SKIP_1) | instid1(VALU_DEP_1)
	v_fma_f64 v[2:3], v[22:23], v[14:15], v[2:3]
	s_waitcnt vmcnt(0)
	v_fma_f64 v[2:3], v[24:25], v[16:17], v[2:3]
	s_waitcnt lgkmcnt(0)
	s_delay_alu instid0(VALU_DEP_1) | instskip(NEXT) | instid1(VALU_DEP_1)
	v_fma_f64 v[2:3], v[26:27], v[18:19], v[2:3]
	v_add_f64 v[2:3], v[12:13], -v[2:3]
	scratch_store_b64 off, v[2:3], off offset:392
	v_cmpx_lt_u32_e32 48, v0
	s_cbranch_execz .LBB56_255
; %bb.254:
	scratch_load_b64 v[3:4], off, off offset:384
	v_mov_b32_e32 v2, v1
	scratch_store_b64 off, v[1:2], off offset:384
	s_waitcnt vmcnt(0)
	ds_store_b64 v5, v[3:4]
.LBB56_255:
	s_or_b32 exec_lo, exec_lo, s0
	s_waitcnt lgkmcnt(0)
	s_waitcnt_vscnt null, 0x0
	s_barrier
	buffer_gl0_inv
	s_clause 0x4
	scratch_load_b128 v[12:15], off, off offset:384
	scratch_load_b128 v[16:19], off, off offset:400
	;; [unrolled: 1-line block ×4, first 2 shown]
	scratch_load_b64 v[32:33], off, off offset:448
	ds_load_2addr_b64 v[28:31], v1 offset0:107 offset1:108
	s_mov_b32 s0, exec_lo
	s_waitcnt vmcnt(4) lgkmcnt(0)
	v_fma_f64 v[2:3], v[14:15], v[28:29], 0
	s_waitcnt vmcnt(3)
	s_delay_alu instid0(VALU_DEP_1) | instskip(SKIP_4) | instid1(VALU_DEP_1)
	v_fma_f64 v[2:3], v[16:17], v[30:31], v[2:3]
	ds_load_2addr_b64 v[14:17], v1 offset0:109 offset1:110
	s_waitcnt lgkmcnt(0)
	v_fma_f64 v[2:3], v[18:19], v[14:15], v[2:3]
	s_waitcnt vmcnt(2)
	v_fma_f64 v[2:3], v[20:21], v[16:17], v[2:3]
	ds_load_2addr_b64 v[14:17], v1 offset0:111 offset1:112
	s_waitcnt lgkmcnt(0)
	v_fma_f64 v[2:3], v[22:23], v[14:15], v[2:3]
	s_waitcnt vmcnt(1)
	s_delay_alu instid0(VALU_DEP_1) | instskip(SKIP_4) | instid1(VALU_DEP_1)
	v_fma_f64 v[14:15], v[24:25], v[16:17], v[2:3]
	ds_load_2addr_b64 v[1:4], v1 offset0:113 offset1:114
	s_waitcnt lgkmcnt(0)
	v_fma_f64 v[1:2], v[26:27], v[1:2], v[14:15]
	s_waitcnt vmcnt(0)
	v_fma_f64 v[1:2], v[32:33], v[3:4], v[1:2]
	s_delay_alu instid0(VALU_DEP_1)
	v_add_f64 v[1:2], v[12:13], -v[1:2]
	scratch_store_b64 off, v[1:2], off offset:384
	v_cmpx_lt_u32_e32 47, v0
	s_cbranch_execz .LBB56_257
; %bb.256:
	scratch_load_b64 v[1:2], off, off offset:376
	v_mov_b32_e32 v3, 0
	s_delay_alu instid0(VALU_DEP_1)
	v_mov_b32_e32 v4, v3
	scratch_store_b64 off, v[3:4], off offset:376
	s_waitcnt vmcnt(0)
	ds_store_b64 v5, v[1:2]
.LBB56_257:
	s_or_b32 exec_lo, exec_lo, s0
	s_waitcnt lgkmcnt(0)
	s_waitcnt_vscnt null, 0x0
	s_barrier
	buffer_gl0_inv
	s_clause 0x4
	scratch_load_b128 v[12:15], off, off offset:376
	scratch_load_b128 v[16:19], off, off offset:392
	;; [unrolled: 1-line block ×5, first 2 shown]
	v_mov_b32_e32 v1, 0
	s_mov_b32 s0, exec_lo
	ds_load_b128 v[32:35], v1 offset:848
	s_waitcnt vmcnt(4) lgkmcnt(0)
	v_fma_f64 v[2:3], v[14:15], v[32:33], 0
	s_waitcnt vmcnt(3)
	s_delay_alu instid0(VALU_DEP_1) | instskip(SKIP_4) | instid1(VALU_DEP_1)
	v_fma_f64 v[2:3], v[16:17], v[34:35], v[2:3]
	ds_load_b128 v[14:17], v1 offset:864
	s_waitcnt lgkmcnt(0)
	v_fma_f64 v[2:3], v[18:19], v[14:15], v[2:3]
	s_waitcnt vmcnt(2)
	v_fma_f64 v[2:3], v[20:21], v[16:17], v[2:3]
	ds_load_b128 v[14:17], v1 offset:880
	s_waitcnt lgkmcnt(0)
	v_fma_f64 v[2:3], v[22:23], v[14:15], v[2:3]
	s_waitcnt vmcnt(1)
	s_delay_alu instid0(VALU_DEP_1)
	v_fma_f64 v[2:3], v[24:25], v[16:17], v[2:3]
	ds_load_b128 v[14:17], v1 offset:896
	s_waitcnt lgkmcnt(0)
	v_fma_f64 v[2:3], v[26:27], v[14:15], v[2:3]
	ds_load_b64 v[14:15], v1 offset:912
	s_waitcnt vmcnt(0)
	v_fma_f64 v[2:3], v[28:29], v[16:17], v[2:3]
	s_waitcnt lgkmcnt(0)
	s_delay_alu instid0(VALU_DEP_1) | instskip(NEXT) | instid1(VALU_DEP_1)
	v_fma_f64 v[2:3], v[30:31], v[14:15], v[2:3]
	v_add_f64 v[2:3], v[12:13], -v[2:3]
	scratch_store_b64 off, v[2:3], off offset:376
	v_cmpx_lt_u32_e32 46, v0
	s_cbranch_execz .LBB56_259
; %bb.258:
	scratch_load_b64 v[3:4], off, off offset:368
	v_mov_b32_e32 v2, v1
	scratch_store_b64 off, v[1:2], off offset:368
	s_waitcnt vmcnt(0)
	ds_store_b64 v5, v[3:4]
.LBB56_259:
	s_or_b32 exec_lo, exec_lo, s0
	s_waitcnt lgkmcnt(0)
	s_waitcnt_vscnt null, 0x0
	s_barrier
	buffer_gl0_inv
	s_clause 0x4
	scratch_load_b128 v[12:15], off, off offset:368
	scratch_load_b128 v[16:19], off, off offset:384
	;; [unrolled: 1-line block ×5, first 2 shown]
	ds_load_2addr_b64 v[32:35], v1 offset0:105 offset1:106
	s_mov_b32 s0, exec_lo
	s_waitcnt vmcnt(4) lgkmcnt(0)
	v_fma_f64 v[2:3], v[14:15], v[32:33], 0
	scratch_load_b64 v[32:33], off, off offset:448
	s_waitcnt vmcnt(4)
	v_fma_f64 v[2:3], v[16:17], v[34:35], v[2:3]
	ds_load_2addr_b64 v[14:17], v1 offset0:107 offset1:108
	s_waitcnt lgkmcnt(0)
	v_fma_f64 v[2:3], v[18:19], v[14:15], v[2:3]
	s_waitcnt vmcnt(3)
	s_delay_alu instid0(VALU_DEP_1) | instskip(SKIP_4) | instid1(VALU_DEP_1)
	v_fma_f64 v[2:3], v[20:21], v[16:17], v[2:3]
	ds_load_2addr_b64 v[14:17], v1 offset0:109 offset1:110
	s_waitcnt lgkmcnt(0)
	v_fma_f64 v[2:3], v[22:23], v[14:15], v[2:3]
	s_waitcnt vmcnt(2)
	v_fma_f64 v[2:3], v[24:25], v[16:17], v[2:3]
	ds_load_2addr_b64 v[14:17], v1 offset0:111 offset1:112
	s_waitcnt lgkmcnt(0)
	v_fma_f64 v[2:3], v[26:27], v[14:15], v[2:3]
	s_waitcnt vmcnt(1)
	s_delay_alu instid0(VALU_DEP_1) | instskip(SKIP_4) | instid1(VALU_DEP_1)
	v_fma_f64 v[14:15], v[28:29], v[16:17], v[2:3]
	ds_load_2addr_b64 v[1:4], v1 offset0:113 offset1:114
	s_waitcnt lgkmcnt(0)
	v_fma_f64 v[1:2], v[30:31], v[1:2], v[14:15]
	s_waitcnt vmcnt(0)
	v_fma_f64 v[1:2], v[32:33], v[3:4], v[1:2]
	s_delay_alu instid0(VALU_DEP_1)
	v_add_f64 v[1:2], v[12:13], -v[1:2]
	scratch_store_b64 off, v[1:2], off offset:368
	v_cmpx_lt_u32_e32 45, v0
	s_cbranch_execz .LBB56_261
; %bb.260:
	scratch_load_b64 v[1:2], off, off offset:360
	v_mov_b32_e32 v3, 0
	s_delay_alu instid0(VALU_DEP_1)
	v_mov_b32_e32 v4, v3
	scratch_store_b64 off, v[3:4], off offset:360
	s_waitcnt vmcnt(0)
	ds_store_b64 v5, v[1:2]
.LBB56_261:
	s_or_b32 exec_lo, exec_lo, s0
	s_waitcnt lgkmcnt(0)
	s_waitcnt_vscnt null, 0x0
	s_barrier
	buffer_gl0_inv
	s_clause 0x4
	scratch_load_b128 v[12:15], off, off offset:360
	scratch_load_b128 v[16:19], off, off offset:376
	;; [unrolled: 1-line block ×5, first 2 shown]
	v_mov_b32_e32 v1, 0
	scratch_load_b128 v[145:148], off, off offset:440
	s_mov_b32 s0, exec_lo
	ds_load_b128 v[32:35], v1 offset:832
	s_waitcnt vmcnt(5) lgkmcnt(0)
	v_fma_f64 v[2:3], v[14:15], v[32:33], 0
	s_waitcnt vmcnt(4)
	s_delay_alu instid0(VALU_DEP_1) | instskip(SKIP_4) | instid1(VALU_DEP_1)
	v_fma_f64 v[2:3], v[16:17], v[34:35], v[2:3]
	ds_load_b128 v[14:17], v1 offset:848
	s_waitcnt lgkmcnt(0)
	v_fma_f64 v[2:3], v[18:19], v[14:15], v[2:3]
	s_waitcnt vmcnt(3)
	v_fma_f64 v[2:3], v[20:21], v[16:17], v[2:3]
	ds_load_b128 v[14:17], v1 offset:864
	s_waitcnt lgkmcnt(0)
	v_fma_f64 v[2:3], v[22:23], v[14:15], v[2:3]
	s_waitcnt vmcnt(2)
	s_delay_alu instid0(VALU_DEP_1) | instskip(SKIP_4) | instid1(VALU_DEP_1)
	v_fma_f64 v[2:3], v[24:25], v[16:17], v[2:3]
	ds_load_b128 v[14:17], v1 offset:880
	s_waitcnt lgkmcnt(0)
	v_fma_f64 v[2:3], v[26:27], v[14:15], v[2:3]
	s_waitcnt vmcnt(1)
	v_fma_f64 v[2:3], v[28:29], v[16:17], v[2:3]
	ds_load_b128 v[14:17], v1 offset:896
	s_waitcnt lgkmcnt(0)
	v_fma_f64 v[2:3], v[30:31], v[14:15], v[2:3]
	ds_load_b64 v[14:15], v1 offset:912
	s_waitcnt vmcnt(0)
	v_fma_f64 v[2:3], v[145:146], v[16:17], v[2:3]
	s_waitcnt lgkmcnt(0)
	s_delay_alu instid0(VALU_DEP_1) | instskip(NEXT) | instid1(VALU_DEP_1)
	v_fma_f64 v[2:3], v[147:148], v[14:15], v[2:3]
	v_add_f64 v[2:3], v[12:13], -v[2:3]
	scratch_store_b64 off, v[2:3], off offset:360
	v_cmpx_lt_u32_e32 44, v0
	s_cbranch_execz .LBB56_263
; %bb.262:
	scratch_load_b64 v[3:4], off, off offset:352
	v_mov_b32_e32 v2, v1
	scratch_store_b64 off, v[1:2], off offset:352
	s_waitcnt vmcnt(0)
	ds_store_b64 v5, v[3:4]
.LBB56_263:
	s_or_b32 exec_lo, exec_lo, s0
	s_waitcnt lgkmcnt(0)
	s_waitcnt_vscnt null, 0x0
	s_barrier
	buffer_gl0_inv
	s_clause 0x4
	scratch_load_b128 v[12:15], off, off offset:352
	scratch_load_b128 v[16:19], off, off offset:368
	;; [unrolled: 1-line block ×5, first 2 shown]
	ds_load_2addr_b64 v[32:35], v1 offset0:103 offset1:104
	ds_load_2addr_b64 v[145:148], v1 offset0:105 offset1:106
	scratch_load_b128 v[149:152], off, off offset:432
	s_mov_b32 s0, exec_lo
	s_waitcnt vmcnt(5) lgkmcnt(1)
	v_fma_f64 v[2:3], v[14:15], v[32:33], 0
	scratch_load_b64 v[32:33], off, off offset:448
	s_waitcnt vmcnt(5)
	v_fma_f64 v[2:3], v[16:17], v[34:35], v[2:3]
	s_waitcnt lgkmcnt(0)
	s_delay_alu instid0(VALU_DEP_1) | instskip(SKIP_1) | instid1(VALU_DEP_1)
	v_fma_f64 v[2:3], v[18:19], v[145:146], v[2:3]
	s_waitcnt vmcnt(4)
	v_fma_f64 v[2:3], v[20:21], v[147:148], v[2:3]
	ds_load_2addr_b64 v[14:17], v1 offset0:107 offset1:108
	ds_load_2addr_b64 v[18:21], v1 offset0:109 offset1:110
	s_waitcnt lgkmcnt(1)
	v_fma_f64 v[2:3], v[22:23], v[14:15], v[2:3]
	s_waitcnt vmcnt(3)
	s_delay_alu instid0(VALU_DEP_1) | instskip(SKIP_1) | instid1(VALU_DEP_1)
	v_fma_f64 v[2:3], v[24:25], v[16:17], v[2:3]
	s_waitcnt lgkmcnt(0)
	v_fma_f64 v[2:3], v[26:27], v[18:19], v[2:3]
	s_waitcnt vmcnt(2)
	s_delay_alu instid0(VALU_DEP_1)
	v_fma_f64 v[18:19], v[28:29], v[20:21], v[2:3]
	ds_load_2addr_b64 v[14:17], v1 offset0:111 offset1:112
	ds_load_2addr_b64 v[1:4], v1 offset0:113 offset1:114
	s_waitcnt lgkmcnt(1)
	v_fma_f64 v[14:15], v[30:31], v[14:15], v[18:19]
	s_waitcnt vmcnt(1)
	s_delay_alu instid0(VALU_DEP_1) | instskip(SKIP_1) | instid1(VALU_DEP_1)
	v_fma_f64 v[14:15], v[149:150], v[16:17], v[14:15]
	s_waitcnt lgkmcnt(0)
	v_fma_f64 v[1:2], v[151:152], v[1:2], v[14:15]
	s_waitcnt vmcnt(0)
	s_delay_alu instid0(VALU_DEP_1) | instskip(NEXT) | instid1(VALU_DEP_1)
	v_fma_f64 v[1:2], v[32:33], v[3:4], v[1:2]
	v_add_f64 v[1:2], v[12:13], -v[1:2]
	scratch_store_b64 off, v[1:2], off offset:352
	v_cmpx_lt_u32_e32 43, v0
	s_cbranch_execz .LBB56_265
; %bb.264:
	scratch_load_b64 v[1:2], off, off offset:344
	v_mov_b32_e32 v3, 0
	s_delay_alu instid0(VALU_DEP_1)
	v_mov_b32_e32 v4, v3
	scratch_store_b64 off, v[3:4], off offset:344
	s_waitcnt vmcnt(0)
	ds_store_b64 v5, v[1:2]
.LBB56_265:
	s_or_b32 exec_lo, exec_lo, s0
	s_waitcnt lgkmcnt(0)
	s_waitcnt_vscnt null, 0x0
	s_barrier
	buffer_gl0_inv
	s_clause 0x4
	scratch_load_b128 v[12:15], off, off offset:344
	scratch_load_b128 v[16:19], off, off offset:360
	;; [unrolled: 1-line block ×5, first 2 shown]
	v_mov_b32_e32 v1, 0
	ds_load_b128 v[32:35], v1 offset:816
	ds_load_b128 v[145:148], v1 offset:832
	scratch_load_b128 v[149:152], off, off offset:424
	s_mov_b32 s0, exec_lo
	s_waitcnt vmcnt(5) lgkmcnt(1)
	v_fma_f64 v[2:3], v[14:15], v[32:33], 0
	s_waitcnt vmcnt(4)
	s_delay_alu instid0(VALU_DEP_1) | instskip(SKIP_4) | instid1(VALU_DEP_1)
	v_fma_f64 v[2:3], v[16:17], v[34:35], v[2:3]
	scratch_load_b128 v[14:17], off, off offset:440
	s_waitcnt lgkmcnt(0)
	v_fma_f64 v[2:3], v[18:19], v[145:146], v[2:3]
	s_waitcnt vmcnt(4)
	v_fma_f64 v[2:3], v[20:21], v[147:148], v[2:3]
	ds_load_b128 v[18:21], v1 offset:848
	ds_load_b128 v[32:35], v1 offset:864
	s_waitcnt lgkmcnt(1)
	v_fma_f64 v[2:3], v[22:23], v[18:19], v[2:3]
	s_waitcnt vmcnt(3)
	s_delay_alu instid0(VALU_DEP_1)
	v_fma_f64 v[2:3], v[24:25], v[20:21], v[2:3]
	ds_load_b128 v[18:21], v1 offset:880
	ds_load_b128 v[22:25], v1 offset:896
	s_waitcnt lgkmcnt(2)
	v_fma_f64 v[2:3], v[26:27], v[32:33], v[2:3]
	s_waitcnt vmcnt(2)
	s_delay_alu instid0(VALU_DEP_1) | instskip(SKIP_1) | instid1(VALU_DEP_1)
	v_fma_f64 v[2:3], v[28:29], v[34:35], v[2:3]
	s_waitcnt lgkmcnt(1)
	v_fma_f64 v[2:3], v[30:31], v[18:19], v[2:3]
	s_waitcnt vmcnt(1)
	s_delay_alu instid0(VALU_DEP_1) | instskip(SKIP_1) | instid1(VALU_DEP_1)
	v_fma_f64 v[2:3], v[149:150], v[20:21], v[2:3]
	s_waitcnt lgkmcnt(0)
	v_fma_f64 v[2:3], v[151:152], v[22:23], v[2:3]
	s_waitcnt vmcnt(0)
	s_delay_alu instid0(VALU_DEP_1) | instskip(SKIP_3) | instid1(VALU_DEP_1)
	v_fma_f64 v[2:3], v[14:15], v[24:25], v[2:3]
	ds_load_b64 v[14:15], v1 offset:912
	s_waitcnt lgkmcnt(0)
	v_fma_f64 v[2:3], v[16:17], v[14:15], v[2:3]
	v_add_f64 v[2:3], v[12:13], -v[2:3]
	scratch_store_b64 off, v[2:3], off offset:344
	v_cmpx_lt_u32_e32 42, v0
	s_cbranch_execz .LBB56_267
; %bb.266:
	scratch_load_b64 v[3:4], off, off offset:336
	v_mov_b32_e32 v2, v1
	scratch_store_b64 off, v[1:2], off offset:336
	s_waitcnt vmcnt(0)
	ds_store_b64 v5, v[3:4]
.LBB56_267:
	s_or_b32 exec_lo, exec_lo, s0
	s_waitcnt lgkmcnt(0)
	s_waitcnt_vscnt null, 0x0
	s_barrier
	buffer_gl0_inv
	s_clause 0x4
	scratch_load_b128 v[12:15], off, off offset:336
	scratch_load_b128 v[16:19], off, off offset:352
	;; [unrolled: 1-line block ×5, first 2 shown]
	ds_load_2addr_b64 v[32:35], v1 offset0:101 offset1:102
	ds_load_2addr_b64 v[145:148], v1 offset0:103 offset1:104
	scratch_load_b128 v[149:152], off, off offset:416
	s_mov_b32 s0, exec_lo
	s_waitcnt vmcnt(5) lgkmcnt(1)
	v_fma_f64 v[2:3], v[14:15], v[32:33], 0
	s_waitcnt vmcnt(4)
	s_delay_alu instid0(VALU_DEP_1) | instskip(SKIP_4) | instid1(VALU_DEP_1)
	v_fma_f64 v[2:3], v[16:17], v[34:35], v[2:3]
	scratch_load_b128 v[14:17], off, off offset:432
	s_waitcnt lgkmcnt(0)
	v_fma_f64 v[2:3], v[18:19], v[145:146], v[2:3]
	s_waitcnt vmcnt(4)
	v_fma_f64 v[2:3], v[20:21], v[147:148], v[2:3]
	ds_load_2addr_b64 v[18:21], v1 offset0:105 offset1:106
	ds_load_2addr_b64 v[32:35], v1 offset0:107 offset1:108
	scratch_load_b64 v[145:146], off, off offset:448
	s_waitcnt lgkmcnt(1)
	v_fma_f64 v[2:3], v[22:23], v[18:19], v[2:3]
	s_waitcnt vmcnt(4)
	s_delay_alu instid0(VALU_DEP_1)
	v_fma_f64 v[2:3], v[24:25], v[20:21], v[2:3]
	ds_load_2addr_b64 v[18:21], v1 offset0:109 offset1:110
	ds_load_2addr_b64 v[22:25], v1 offset0:111 offset1:112
	s_waitcnt lgkmcnt(2)
	v_fma_f64 v[2:3], v[26:27], v[32:33], v[2:3]
	s_waitcnt vmcnt(3)
	s_delay_alu instid0(VALU_DEP_1) | instskip(SKIP_1) | instid1(VALU_DEP_1)
	v_fma_f64 v[2:3], v[28:29], v[34:35], v[2:3]
	s_waitcnt lgkmcnt(1)
	v_fma_f64 v[2:3], v[30:31], v[18:19], v[2:3]
	s_waitcnt vmcnt(2)
	s_delay_alu instid0(VALU_DEP_1) | instskip(SKIP_1) | instid1(VALU_DEP_1)
	v_fma_f64 v[2:3], v[149:150], v[20:21], v[2:3]
	s_waitcnt lgkmcnt(0)
	v_fma_f64 v[2:3], v[151:152], v[22:23], v[2:3]
	s_waitcnt vmcnt(1)
	s_delay_alu instid0(VALU_DEP_1) | instskip(SKIP_4) | instid1(VALU_DEP_1)
	v_fma_f64 v[14:15], v[14:15], v[24:25], v[2:3]
	ds_load_2addr_b64 v[1:4], v1 offset0:113 offset1:114
	s_waitcnt lgkmcnt(0)
	v_fma_f64 v[1:2], v[16:17], v[1:2], v[14:15]
	s_waitcnt vmcnt(0)
	v_fma_f64 v[1:2], v[145:146], v[3:4], v[1:2]
	s_delay_alu instid0(VALU_DEP_1)
	v_add_f64 v[1:2], v[12:13], -v[1:2]
	scratch_store_b64 off, v[1:2], off offset:336
	v_cmpx_lt_u32_e32 41, v0
	s_cbranch_execz .LBB56_269
; %bb.268:
	scratch_load_b64 v[1:2], off, off offset:328
	v_mov_b32_e32 v3, 0
	s_delay_alu instid0(VALU_DEP_1)
	v_mov_b32_e32 v4, v3
	scratch_store_b64 off, v[3:4], off offset:328
	s_waitcnt vmcnt(0)
	ds_store_b64 v5, v[1:2]
.LBB56_269:
	s_or_b32 exec_lo, exec_lo, s0
	s_waitcnt lgkmcnt(0)
	s_waitcnt_vscnt null, 0x0
	s_barrier
	buffer_gl0_inv
	s_clause 0x4
	scratch_load_b128 v[12:15], off, off offset:328
	scratch_load_b128 v[16:19], off, off offset:344
	scratch_load_b128 v[20:23], off, off offset:360
	scratch_load_b128 v[24:27], off, off offset:376
	scratch_load_b128 v[28:31], off, off offset:392
	v_mov_b32_e32 v1, 0
	ds_load_b128 v[32:35], v1 offset:800
	ds_load_b128 v[145:148], v1 offset:816
	scratch_load_b128 v[149:152], off, off offset:408
	s_mov_b32 s0, exec_lo
	s_waitcnt vmcnt(5) lgkmcnt(1)
	v_fma_f64 v[2:3], v[14:15], v[32:33], 0
	s_waitcnt vmcnt(4)
	s_delay_alu instid0(VALU_DEP_1) | instskip(SKIP_4) | instid1(VALU_DEP_1)
	v_fma_f64 v[2:3], v[16:17], v[34:35], v[2:3]
	scratch_load_b128 v[14:17], off, off offset:424
	s_waitcnt lgkmcnt(0)
	v_fma_f64 v[2:3], v[18:19], v[145:146], v[2:3]
	s_waitcnt vmcnt(4)
	v_fma_f64 v[2:3], v[20:21], v[147:148], v[2:3]
	ds_load_b128 v[18:21], v1 offset:832
	ds_load_b128 v[32:35], v1 offset:848
	scratch_load_b128 v[145:148], off, off offset:440
	s_waitcnt lgkmcnt(1)
	v_fma_f64 v[2:3], v[22:23], v[18:19], v[2:3]
	s_waitcnt vmcnt(4)
	s_delay_alu instid0(VALU_DEP_1)
	v_fma_f64 v[2:3], v[24:25], v[20:21], v[2:3]
	ds_load_b128 v[18:21], v1 offset:864
	ds_load_b128 v[22:25], v1 offset:880
	s_waitcnt lgkmcnt(2)
	v_fma_f64 v[2:3], v[26:27], v[32:33], v[2:3]
	s_waitcnt vmcnt(3)
	s_delay_alu instid0(VALU_DEP_1) | instskip(SKIP_1) | instid1(VALU_DEP_1)
	v_fma_f64 v[2:3], v[28:29], v[34:35], v[2:3]
	s_waitcnt lgkmcnt(1)
	v_fma_f64 v[2:3], v[30:31], v[18:19], v[2:3]
	s_waitcnt vmcnt(2)
	s_delay_alu instid0(VALU_DEP_1) | instskip(SKIP_1) | instid1(VALU_DEP_1)
	v_fma_f64 v[2:3], v[149:150], v[20:21], v[2:3]
	s_waitcnt lgkmcnt(0)
	v_fma_f64 v[2:3], v[151:152], v[22:23], v[2:3]
	s_waitcnt vmcnt(1)
	s_delay_alu instid0(VALU_DEP_1)
	v_fma_f64 v[2:3], v[14:15], v[24:25], v[2:3]
	ds_load_b128 v[18:21], v1 offset:896
	ds_load_b64 v[14:15], v1 offset:912
	s_waitcnt lgkmcnt(1)
	v_fma_f64 v[2:3], v[16:17], v[18:19], v[2:3]
	s_waitcnt vmcnt(0)
	s_delay_alu instid0(VALU_DEP_1) | instskip(SKIP_1) | instid1(VALU_DEP_1)
	v_fma_f64 v[2:3], v[145:146], v[20:21], v[2:3]
	s_waitcnt lgkmcnt(0)
	v_fma_f64 v[2:3], v[147:148], v[14:15], v[2:3]
	s_delay_alu instid0(VALU_DEP_1)
	v_add_f64 v[2:3], v[12:13], -v[2:3]
	scratch_store_b64 off, v[2:3], off offset:328
	v_cmpx_lt_u32_e32 40, v0
	s_cbranch_execz .LBB56_271
; %bb.270:
	scratch_load_b64 v[3:4], off, off offset:320
	v_mov_b32_e32 v2, v1
	scratch_store_b64 off, v[1:2], off offset:320
	s_waitcnt vmcnt(0)
	ds_store_b64 v5, v[3:4]
.LBB56_271:
	s_or_b32 exec_lo, exec_lo, s0
	s_waitcnt lgkmcnt(0)
	s_waitcnt_vscnt null, 0x0
	s_barrier
	buffer_gl0_inv
	s_clause 0x4
	scratch_load_b128 v[12:15], off, off offset:320
	scratch_load_b128 v[16:19], off, off offset:336
	;; [unrolled: 1-line block ×5, first 2 shown]
	ds_load_2addr_b64 v[32:35], v1 offset0:99 offset1:100
	ds_load_2addr_b64 v[145:148], v1 offset0:101 offset1:102
	scratch_load_b128 v[149:152], off, off offset:400
	s_mov_b32 s0, exec_lo
	s_waitcnt vmcnt(5) lgkmcnt(1)
	v_fma_f64 v[2:3], v[14:15], v[32:33], 0
	s_waitcnt vmcnt(4)
	s_delay_alu instid0(VALU_DEP_1) | instskip(SKIP_4) | instid1(VALU_DEP_1)
	v_fma_f64 v[2:3], v[16:17], v[34:35], v[2:3]
	scratch_load_b128 v[14:17], off, off offset:416
	s_waitcnt lgkmcnt(0)
	v_fma_f64 v[2:3], v[18:19], v[145:146], v[2:3]
	s_waitcnt vmcnt(4)
	v_fma_f64 v[2:3], v[20:21], v[147:148], v[2:3]
	ds_load_2addr_b64 v[18:21], v1 offset0:103 offset1:104
	ds_load_2addr_b64 v[32:35], v1 offset0:105 offset1:106
	scratch_load_b128 v[145:148], off, off offset:432
	s_waitcnt lgkmcnt(1)
	v_fma_f64 v[2:3], v[22:23], v[18:19], v[2:3]
	s_waitcnt vmcnt(4)
	s_delay_alu instid0(VALU_DEP_1) | instskip(SKIP_1) | instid1(VALU_DEP_1)
	v_fma_f64 v[2:3], v[24:25], v[20:21], v[2:3]
	s_waitcnt lgkmcnt(0)
	v_fma_f64 v[2:3], v[26:27], v[32:33], v[2:3]
	scratch_load_b64 v[26:27], off, off offset:448
	ds_load_2addr_b64 v[18:21], v1 offset0:107 offset1:108
	ds_load_2addr_b64 v[22:25], v1 offset0:109 offset1:110
	s_waitcnt vmcnt(4)
	v_fma_f64 v[2:3], v[28:29], v[34:35], v[2:3]
	s_waitcnt lgkmcnt(1)
	s_delay_alu instid0(VALU_DEP_1) | instskip(SKIP_1) | instid1(VALU_DEP_1)
	v_fma_f64 v[2:3], v[30:31], v[18:19], v[2:3]
	s_waitcnt vmcnt(3)
	v_fma_f64 v[2:3], v[149:150], v[20:21], v[2:3]
	s_waitcnt lgkmcnt(0)
	s_delay_alu instid0(VALU_DEP_1) | instskip(SKIP_1) | instid1(VALU_DEP_1)
	v_fma_f64 v[2:3], v[151:152], v[22:23], v[2:3]
	s_waitcnt vmcnt(2)
	v_fma_f64 v[14:15], v[14:15], v[24:25], v[2:3]
	ds_load_2addr_b64 v[18:21], v1 offset0:111 offset1:112
	ds_load_2addr_b64 v[1:4], v1 offset0:113 offset1:114
	s_waitcnt lgkmcnt(1)
	v_fma_f64 v[14:15], v[16:17], v[18:19], v[14:15]
	s_waitcnt vmcnt(1)
	s_delay_alu instid0(VALU_DEP_1) | instskip(SKIP_1) | instid1(VALU_DEP_1)
	v_fma_f64 v[14:15], v[145:146], v[20:21], v[14:15]
	s_waitcnt lgkmcnt(0)
	v_fma_f64 v[1:2], v[147:148], v[1:2], v[14:15]
	s_waitcnt vmcnt(0)
	s_delay_alu instid0(VALU_DEP_1) | instskip(NEXT) | instid1(VALU_DEP_1)
	v_fma_f64 v[1:2], v[26:27], v[3:4], v[1:2]
	v_add_f64 v[1:2], v[12:13], -v[1:2]
	scratch_store_b64 off, v[1:2], off offset:320
	v_cmpx_lt_u32_e32 39, v0
	s_cbranch_execz .LBB56_273
; %bb.272:
	scratch_load_b64 v[1:2], off, off offset:312
	v_mov_b32_e32 v3, 0
	s_delay_alu instid0(VALU_DEP_1)
	v_mov_b32_e32 v4, v3
	scratch_store_b64 off, v[3:4], off offset:312
	s_waitcnt vmcnt(0)
	ds_store_b64 v5, v[1:2]
.LBB56_273:
	s_or_b32 exec_lo, exec_lo, s0
	s_waitcnt lgkmcnt(0)
	s_waitcnt_vscnt null, 0x0
	s_barrier
	buffer_gl0_inv
	s_clause 0x4
	scratch_load_b128 v[12:15], off, off offset:312
	scratch_load_b128 v[16:19], off, off offset:328
	;; [unrolled: 1-line block ×5, first 2 shown]
	v_mov_b32_e32 v1, 0
	ds_load_b128 v[32:35], v1 offset:784
	ds_load_b128 v[145:148], v1 offset:800
	scratch_load_b128 v[149:152], off, off offset:392
	s_mov_b32 s0, exec_lo
	s_waitcnt vmcnt(5) lgkmcnt(1)
	v_fma_f64 v[2:3], v[14:15], v[32:33], 0
	s_waitcnt vmcnt(4)
	s_delay_alu instid0(VALU_DEP_1) | instskip(SKIP_4) | instid1(VALU_DEP_1)
	v_fma_f64 v[2:3], v[16:17], v[34:35], v[2:3]
	scratch_load_b128 v[14:17], off, off offset:408
	s_waitcnt lgkmcnt(0)
	v_fma_f64 v[2:3], v[18:19], v[145:146], v[2:3]
	s_waitcnt vmcnt(4)
	v_fma_f64 v[2:3], v[20:21], v[147:148], v[2:3]
	ds_load_b128 v[18:21], v1 offset:816
	ds_load_b128 v[32:35], v1 offset:832
	scratch_load_b128 v[145:148], off, off offset:424
	s_waitcnt lgkmcnt(1)
	v_fma_f64 v[2:3], v[22:23], v[18:19], v[2:3]
	s_waitcnt vmcnt(4)
	s_delay_alu instid0(VALU_DEP_1) | instskip(SKIP_4) | instid1(VALU_DEP_1)
	v_fma_f64 v[2:3], v[24:25], v[20:21], v[2:3]
	scratch_load_b128 v[18:21], off, off offset:440
	s_waitcnt lgkmcnt(0)
	v_fma_f64 v[2:3], v[26:27], v[32:33], v[2:3]
	s_waitcnt vmcnt(4)
	v_fma_f64 v[2:3], v[28:29], v[34:35], v[2:3]
	ds_load_b128 v[22:25], v1 offset:848
	ds_load_b128 v[26:29], v1 offset:864
	s_waitcnt lgkmcnt(1)
	v_fma_f64 v[2:3], v[30:31], v[22:23], v[2:3]
	s_waitcnt vmcnt(3)
	s_delay_alu instid0(VALU_DEP_1) | instskip(SKIP_1) | instid1(VALU_DEP_1)
	v_fma_f64 v[2:3], v[149:150], v[24:25], v[2:3]
	s_waitcnt lgkmcnt(0)
	v_fma_f64 v[2:3], v[151:152], v[26:27], v[2:3]
	s_waitcnt vmcnt(2)
	s_delay_alu instid0(VALU_DEP_1)
	v_fma_f64 v[2:3], v[14:15], v[28:29], v[2:3]
	ds_load_b128 v[22:25], v1 offset:880
	ds_load_b128 v[26:29], v1 offset:896
	ds_load_b64 v[14:15], v1 offset:912
	s_waitcnt lgkmcnt(2)
	v_fma_f64 v[2:3], v[16:17], v[22:23], v[2:3]
	s_waitcnt vmcnt(1)
	s_delay_alu instid0(VALU_DEP_1) | instskip(SKIP_1) | instid1(VALU_DEP_1)
	v_fma_f64 v[2:3], v[145:146], v[24:25], v[2:3]
	s_waitcnt lgkmcnt(1)
	v_fma_f64 v[2:3], v[147:148], v[26:27], v[2:3]
	s_waitcnt vmcnt(0)
	s_delay_alu instid0(VALU_DEP_1) | instskip(SKIP_1) | instid1(VALU_DEP_1)
	v_fma_f64 v[2:3], v[18:19], v[28:29], v[2:3]
	s_waitcnt lgkmcnt(0)
	v_fma_f64 v[2:3], v[20:21], v[14:15], v[2:3]
	s_delay_alu instid0(VALU_DEP_1)
	v_add_f64 v[2:3], v[12:13], -v[2:3]
	scratch_store_b64 off, v[2:3], off offset:312
	v_cmpx_lt_u32_e32 38, v0
	s_cbranch_execz .LBB56_275
; %bb.274:
	scratch_load_b64 v[3:4], off, off offset:304
	v_mov_b32_e32 v2, v1
	scratch_store_b64 off, v[1:2], off offset:304
	s_waitcnt vmcnt(0)
	ds_store_b64 v5, v[3:4]
.LBB56_275:
	s_or_b32 exec_lo, exec_lo, s0
	s_waitcnt lgkmcnt(0)
	s_waitcnt_vscnt null, 0x0
	s_barrier
	buffer_gl0_inv
	s_clause 0x4
	scratch_load_b128 v[12:15], off, off offset:304
	scratch_load_b128 v[16:19], off, off offset:320
	;; [unrolled: 1-line block ×5, first 2 shown]
	ds_load_2addr_b64 v[32:35], v1 offset0:97 offset1:98
	ds_load_2addr_b64 v[145:148], v1 offset0:99 offset1:100
	scratch_load_b128 v[149:152], off, off offset:384
	s_mov_b32 s0, exec_lo
	s_waitcnt vmcnt(5) lgkmcnt(1)
	v_fma_f64 v[2:3], v[14:15], v[32:33], 0
	s_waitcnt vmcnt(4)
	s_delay_alu instid0(VALU_DEP_1) | instskip(SKIP_4) | instid1(VALU_DEP_1)
	v_fma_f64 v[2:3], v[16:17], v[34:35], v[2:3]
	scratch_load_b128 v[14:17], off, off offset:400
	s_waitcnt lgkmcnt(0)
	v_fma_f64 v[2:3], v[18:19], v[145:146], v[2:3]
	s_waitcnt vmcnt(4)
	v_fma_f64 v[2:3], v[20:21], v[147:148], v[2:3]
	ds_load_2addr_b64 v[18:21], v1 offset0:101 offset1:102
	ds_load_2addr_b64 v[32:35], v1 offset0:103 offset1:104
	scratch_load_b128 v[145:148], off, off offset:416
	s_waitcnt lgkmcnt(1)
	v_fma_f64 v[2:3], v[22:23], v[18:19], v[2:3]
	s_waitcnt vmcnt(4)
	s_delay_alu instid0(VALU_DEP_1) | instskip(SKIP_4) | instid1(VALU_DEP_1)
	v_fma_f64 v[2:3], v[24:25], v[20:21], v[2:3]
	scratch_load_b128 v[18:21], off, off offset:432
	s_waitcnt lgkmcnt(0)
	v_fma_f64 v[2:3], v[26:27], v[32:33], v[2:3]
	s_waitcnt vmcnt(4)
	v_fma_f64 v[2:3], v[28:29], v[34:35], v[2:3]
	ds_load_2addr_b64 v[22:25], v1 offset0:105 offset1:106
	ds_load_2addr_b64 v[26:29], v1 offset0:107 offset1:108
	s_waitcnt lgkmcnt(1)
	v_fma_f64 v[2:3], v[30:31], v[22:23], v[2:3]
	scratch_load_b64 v[30:31], off, off offset:448
	s_waitcnt vmcnt(4)
	v_fma_f64 v[2:3], v[149:150], v[24:25], v[2:3]
	s_waitcnt lgkmcnt(0)
	s_delay_alu instid0(VALU_DEP_1) | instskip(SKIP_1) | instid1(VALU_DEP_1)
	v_fma_f64 v[2:3], v[151:152], v[26:27], v[2:3]
	s_waitcnt vmcnt(3)
	v_fma_f64 v[2:3], v[14:15], v[28:29], v[2:3]
	ds_load_2addr_b64 v[22:25], v1 offset0:109 offset1:110
	ds_load_2addr_b64 v[26:29], v1 offset0:111 offset1:112
	s_waitcnt lgkmcnt(1)
	v_fma_f64 v[2:3], v[16:17], v[22:23], v[2:3]
	s_waitcnt vmcnt(2)
	s_delay_alu instid0(VALU_DEP_1) | instskip(SKIP_1) | instid1(VALU_DEP_1)
	v_fma_f64 v[2:3], v[145:146], v[24:25], v[2:3]
	s_waitcnt lgkmcnt(0)
	v_fma_f64 v[2:3], v[147:148], v[26:27], v[2:3]
	s_waitcnt vmcnt(1)
	s_delay_alu instid0(VALU_DEP_1) | instskip(SKIP_4) | instid1(VALU_DEP_1)
	v_fma_f64 v[14:15], v[18:19], v[28:29], v[2:3]
	ds_load_2addr_b64 v[1:4], v1 offset0:113 offset1:114
	s_waitcnt lgkmcnt(0)
	v_fma_f64 v[1:2], v[20:21], v[1:2], v[14:15]
	s_waitcnt vmcnt(0)
	v_fma_f64 v[1:2], v[30:31], v[3:4], v[1:2]
	s_delay_alu instid0(VALU_DEP_1)
	v_add_f64 v[1:2], v[12:13], -v[1:2]
	scratch_store_b64 off, v[1:2], off offset:304
	v_cmpx_lt_u32_e32 37, v0
	s_cbranch_execz .LBB56_277
; %bb.276:
	scratch_load_b64 v[1:2], off, off offset:296
	v_mov_b32_e32 v3, 0
	s_delay_alu instid0(VALU_DEP_1)
	v_mov_b32_e32 v4, v3
	scratch_store_b64 off, v[3:4], off offset:296
	s_waitcnt vmcnt(0)
	ds_store_b64 v5, v[1:2]
.LBB56_277:
	s_or_b32 exec_lo, exec_lo, s0
	s_waitcnt lgkmcnt(0)
	s_waitcnt_vscnt null, 0x0
	s_barrier
	buffer_gl0_inv
	s_clause 0x4
	scratch_load_b128 v[12:15], off, off offset:296
	scratch_load_b128 v[16:19], off, off offset:312
	;; [unrolled: 1-line block ×5, first 2 shown]
	v_mov_b32_e32 v1, 0
	ds_load_b128 v[32:35], v1 offset:768
	ds_load_b128 v[145:148], v1 offset:784
	scratch_load_b128 v[149:152], off, off offset:376
	s_mov_b32 s0, exec_lo
	s_waitcnt vmcnt(5) lgkmcnt(1)
	v_fma_f64 v[2:3], v[14:15], v[32:33], 0
	s_waitcnt vmcnt(4)
	s_delay_alu instid0(VALU_DEP_1) | instskip(SKIP_4) | instid1(VALU_DEP_1)
	v_fma_f64 v[2:3], v[16:17], v[34:35], v[2:3]
	scratch_load_b128 v[14:17], off, off offset:392
	s_waitcnt lgkmcnt(0)
	v_fma_f64 v[2:3], v[18:19], v[145:146], v[2:3]
	s_waitcnt vmcnt(4)
	v_fma_f64 v[2:3], v[20:21], v[147:148], v[2:3]
	ds_load_b128 v[18:21], v1 offset:800
	ds_load_b128 v[32:35], v1 offset:816
	scratch_load_b128 v[145:148], off, off offset:408
	s_waitcnt lgkmcnt(1)
	v_fma_f64 v[2:3], v[22:23], v[18:19], v[2:3]
	s_waitcnt vmcnt(4)
	s_delay_alu instid0(VALU_DEP_1) | instskip(SKIP_4) | instid1(VALU_DEP_1)
	v_fma_f64 v[2:3], v[24:25], v[20:21], v[2:3]
	scratch_load_b128 v[18:21], off, off offset:424
	s_waitcnt lgkmcnt(0)
	v_fma_f64 v[2:3], v[26:27], v[32:33], v[2:3]
	s_waitcnt vmcnt(4)
	v_fma_f64 v[2:3], v[28:29], v[34:35], v[2:3]
	ds_load_b128 v[22:25], v1 offset:832
	ds_load_b128 v[26:29], v1 offset:848
	s_waitcnt lgkmcnt(1)
	v_fma_f64 v[2:3], v[30:31], v[22:23], v[2:3]
	scratch_load_b128 v[30:33], off, off offset:440
	s_waitcnt vmcnt(4)
	v_fma_f64 v[2:3], v[149:150], v[24:25], v[2:3]
	s_waitcnt lgkmcnt(0)
	s_delay_alu instid0(VALU_DEP_1) | instskip(SKIP_1) | instid1(VALU_DEP_1)
	v_fma_f64 v[2:3], v[151:152], v[26:27], v[2:3]
	s_waitcnt vmcnt(3)
	v_fma_f64 v[2:3], v[14:15], v[28:29], v[2:3]
	ds_load_b128 v[22:25], v1 offset:864
	ds_load_b128 v[26:29], v1 offset:880
	s_waitcnt lgkmcnt(1)
	v_fma_f64 v[2:3], v[16:17], v[22:23], v[2:3]
	s_waitcnt vmcnt(2)
	s_delay_alu instid0(VALU_DEP_1) | instskip(SKIP_1) | instid1(VALU_DEP_1)
	v_fma_f64 v[2:3], v[145:146], v[24:25], v[2:3]
	s_waitcnt lgkmcnt(0)
	v_fma_f64 v[2:3], v[147:148], v[26:27], v[2:3]
	s_waitcnt vmcnt(1)
	s_delay_alu instid0(VALU_DEP_1)
	v_fma_f64 v[2:3], v[18:19], v[28:29], v[2:3]
	ds_load_b128 v[14:17], v1 offset:896
	ds_load_b64 v[18:19], v1 offset:912
	s_waitcnt lgkmcnt(1)
	v_fma_f64 v[2:3], v[20:21], v[14:15], v[2:3]
	s_waitcnt vmcnt(0)
	s_delay_alu instid0(VALU_DEP_1) | instskip(SKIP_1) | instid1(VALU_DEP_1)
	v_fma_f64 v[2:3], v[30:31], v[16:17], v[2:3]
	s_waitcnt lgkmcnt(0)
	v_fma_f64 v[2:3], v[32:33], v[18:19], v[2:3]
	s_delay_alu instid0(VALU_DEP_1)
	v_add_f64 v[2:3], v[12:13], -v[2:3]
	scratch_store_b64 off, v[2:3], off offset:296
	v_cmpx_lt_u32_e32 36, v0
	s_cbranch_execz .LBB56_279
; %bb.278:
	scratch_load_b64 v[3:4], off, off offset:288
	v_mov_b32_e32 v2, v1
	scratch_store_b64 off, v[1:2], off offset:288
	s_waitcnt vmcnt(0)
	ds_store_b64 v5, v[3:4]
.LBB56_279:
	s_or_b32 exec_lo, exec_lo, s0
	s_waitcnt lgkmcnt(0)
	s_waitcnt_vscnt null, 0x0
	s_barrier
	buffer_gl0_inv
	s_clause 0x4
	scratch_load_b128 v[12:15], off, off offset:288
	scratch_load_b128 v[16:19], off, off offset:304
	;; [unrolled: 1-line block ×5, first 2 shown]
	ds_load_2addr_b64 v[32:35], v1 offset0:95 offset1:96
	ds_load_2addr_b64 v[145:148], v1 offset0:97 offset1:98
	scratch_load_b128 v[149:152], off, off offset:368
	s_mov_b32 s0, exec_lo
	s_waitcnt vmcnt(5) lgkmcnt(1)
	v_fma_f64 v[2:3], v[14:15], v[32:33], 0
	s_waitcnt vmcnt(4)
	s_delay_alu instid0(VALU_DEP_1) | instskip(SKIP_4) | instid1(VALU_DEP_1)
	v_fma_f64 v[2:3], v[16:17], v[34:35], v[2:3]
	scratch_load_b128 v[14:17], off, off offset:384
	s_waitcnt lgkmcnt(0)
	v_fma_f64 v[2:3], v[18:19], v[145:146], v[2:3]
	s_waitcnt vmcnt(4)
	v_fma_f64 v[2:3], v[20:21], v[147:148], v[2:3]
	ds_load_2addr_b64 v[18:21], v1 offset0:99 offset1:100
	ds_load_2addr_b64 v[32:35], v1 offset0:101 offset1:102
	scratch_load_b128 v[145:148], off, off offset:400
	s_waitcnt lgkmcnt(1)
	v_fma_f64 v[2:3], v[22:23], v[18:19], v[2:3]
	s_waitcnt vmcnt(4)
	s_delay_alu instid0(VALU_DEP_1) | instskip(SKIP_4) | instid1(VALU_DEP_1)
	v_fma_f64 v[2:3], v[24:25], v[20:21], v[2:3]
	scratch_load_b128 v[18:21], off, off offset:416
	s_waitcnt lgkmcnt(0)
	v_fma_f64 v[2:3], v[26:27], v[32:33], v[2:3]
	s_waitcnt vmcnt(4)
	v_fma_f64 v[2:3], v[28:29], v[34:35], v[2:3]
	ds_load_2addr_b64 v[22:25], v1 offset0:103 offset1:104
	ds_load_2addr_b64 v[26:29], v1 offset0:105 offset1:106
	scratch_load_b64 v[34:35], off, off offset:448
	s_waitcnt lgkmcnt(1)
	v_fma_f64 v[2:3], v[30:31], v[22:23], v[2:3]
	scratch_load_b128 v[30:33], off, off offset:432
	s_waitcnt vmcnt(5)
	v_fma_f64 v[2:3], v[149:150], v[24:25], v[2:3]
	s_waitcnt lgkmcnt(0)
	s_delay_alu instid0(VALU_DEP_1) | instskip(SKIP_1) | instid1(VALU_DEP_1)
	v_fma_f64 v[2:3], v[151:152], v[26:27], v[2:3]
	s_waitcnt vmcnt(4)
	v_fma_f64 v[2:3], v[14:15], v[28:29], v[2:3]
	ds_load_2addr_b64 v[22:25], v1 offset0:107 offset1:108
	ds_load_2addr_b64 v[26:29], v1 offset0:109 offset1:110
	s_waitcnt lgkmcnt(1)
	v_fma_f64 v[2:3], v[16:17], v[22:23], v[2:3]
	s_waitcnt vmcnt(3)
	s_delay_alu instid0(VALU_DEP_1) | instskip(SKIP_1) | instid1(VALU_DEP_1)
	v_fma_f64 v[2:3], v[145:146], v[24:25], v[2:3]
	s_waitcnt lgkmcnt(0)
	v_fma_f64 v[2:3], v[147:148], v[26:27], v[2:3]
	s_waitcnt vmcnt(2)
	s_delay_alu instid0(VALU_DEP_1)
	v_fma_f64 v[18:19], v[18:19], v[28:29], v[2:3]
	ds_load_2addr_b64 v[14:17], v1 offset0:111 offset1:112
	ds_load_2addr_b64 v[1:4], v1 offset0:113 offset1:114
	s_waitcnt lgkmcnt(1)
	v_fma_f64 v[14:15], v[20:21], v[14:15], v[18:19]
	s_waitcnt vmcnt(0)
	s_delay_alu instid0(VALU_DEP_1) | instskip(SKIP_1) | instid1(VALU_DEP_1)
	v_fma_f64 v[14:15], v[30:31], v[16:17], v[14:15]
	s_waitcnt lgkmcnt(0)
	v_fma_f64 v[1:2], v[32:33], v[1:2], v[14:15]
	s_delay_alu instid0(VALU_DEP_1) | instskip(NEXT) | instid1(VALU_DEP_1)
	v_fma_f64 v[1:2], v[34:35], v[3:4], v[1:2]
	v_add_f64 v[1:2], v[12:13], -v[1:2]
	scratch_store_b64 off, v[1:2], off offset:288
	v_cmpx_lt_u32_e32 35, v0
	s_cbranch_execz .LBB56_281
; %bb.280:
	scratch_load_b64 v[1:2], off, off offset:280
	v_mov_b32_e32 v3, 0
	s_delay_alu instid0(VALU_DEP_1)
	v_mov_b32_e32 v4, v3
	scratch_store_b64 off, v[3:4], off offset:280
	s_waitcnt vmcnt(0)
	ds_store_b64 v5, v[1:2]
.LBB56_281:
	s_or_b32 exec_lo, exec_lo, s0
	s_waitcnt lgkmcnt(0)
	s_waitcnt_vscnt null, 0x0
	s_barrier
	buffer_gl0_inv
	s_clause 0x4
	scratch_load_b128 v[12:15], off, off offset:280
	scratch_load_b128 v[16:19], off, off offset:296
	;; [unrolled: 1-line block ×5, first 2 shown]
	v_mov_b32_e32 v1, 0
	ds_load_b128 v[32:35], v1 offset:752
	ds_load_b128 v[145:148], v1 offset:768
	scratch_load_b128 v[149:152], off, off offset:360
	s_mov_b32 s0, exec_lo
	s_waitcnt vmcnt(5) lgkmcnt(1)
	v_fma_f64 v[2:3], v[14:15], v[32:33], 0
	s_waitcnt vmcnt(4)
	s_delay_alu instid0(VALU_DEP_1) | instskip(SKIP_4) | instid1(VALU_DEP_1)
	v_fma_f64 v[2:3], v[16:17], v[34:35], v[2:3]
	scratch_load_b128 v[14:17], off, off offset:376
	s_waitcnt lgkmcnt(0)
	v_fma_f64 v[2:3], v[18:19], v[145:146], v[2:3]
	s_waitcnt vmcnt(4)
	v_fma_f64 v[2:3], v[20:21], v[147:148], v[2:3]
	ds_load_b128 v[18:21], v1 offset:784
	ds_load_b128 v[32:35], v1 offset:800
	scratch_load_b128 v[145:148], off, off offset:392
	s_waitcnt lgkmcnt(1)
	v_fma_f64 v[2:3], v[22:23], v[18:19], v[2:3]
	s_waitcnt vmcnt(4)
	s_delay_alu instid0(VALU_DEP_1) | instskip(SKIP_4) | instid1(VALU_DEP_1)
	v_fma_f64 v[2:3], v[24:25], v[20:21], v[2:3]
	scratch_load_b128 v[18:21], off, off offset:408
	s_waitcnt lgkmcnt(0)
	v_fma_f64 v[2:3], v[26:27], v[32:33], v[2:3]
	s_waitcnt vmcnt(4)
	v_fma_f64 v[2:3], v[28:29], v[34:35], v[2:3]
	ds_load_b128 v[22:25], v1 offset:816
	ds_load_b128 v[26:29], v1 offset:832
	s_waitcnt lgkmcnt(1)
	v_fma_f64 v[2:3], v[30:31], v[22:23], v[2:3]
	scratch_load_b128 v[30:33], off, off offset:424
	s_waitcnt vmcnt(4)
	v_fma_f64 v[2:3], v[149:150], v[24:25], v[2:3]
	scratch_load_b128 v[22:25], off, off offset:440
	s_waitcnt lgkmcnt(0)
	v_fma_f64 v[2:3], v[151:152], v[26:27], v[2:3]
	s_waitcnt vmcnt(4)
	s_delay_alu instid0(VALU_DEP_1)
	v_fma_f64 v[2:3], v[14:15], v[28:29], v[2:3]
	ds_load_b128 v[26:29], v1 offset:848
	ds_load_b128 v[149:152], v1 offset:864
	s_waitcnt lgkmcnt(1)
	v_fma_f64 v[2:3], v[16:17], v[26:27], v[2:3]
	s_waitcnt vmcnt(3)
	s_delay_alu instid0(VALU_DEP_1)
	v_fma_f64 v[2:3], v[145:146], v[28:29], v[2:3]
	ds_load_b128 v[14:17], v1 offset:880
	ds_load_b128 v[26:29], v1 offset:896
	s_waitcnt lgkmcnt(2)
	v_fma_f64 v[2:3], v[147:148], v[149:150], v[2:3]
	s_waitcnt vmcnt(2)
	s_delay_alu instid0(VALU_DEP_1) | instskip(SKIP_1) | instid1(VALU_DEP_1)
	v_fma_f64 v[2:3], v[18:19], v[151:152], v[2:3]
	s_waitcnt lgkmcnt(1)
	v_fma_f64 v[2:3], v[20:21], v[14:15], v[2:3]
	ds_load_b64 v[14:15], v1 offset:912
	s_waitcnt vmcnt(1)
	v_fma_f64 v[2:3], v[30:31], v[16:17], v[2:3]
	s_waitcnt lgkmcnt(1)
	s_delay_alu instid0(VALU_DEP_1) | instskip(SKIP_1) | instid1(VALU_DEP_1)
	v_fma_f64 v[2:3], v[32:33], v[26:27], v[2:3]
	s_waitcnt vmcnt(0)
	v_fma_f64 v[2:3], v[22:23], v[28:29], v[2:3]
	s_waitcnt lgkmcnt(0)
	s_delay_alu instid0(VALU_DEP_1) | instskip(NEXT) | instid1(VALU_DEP_1)
	v_fma_f64 v[2:3], v[24:25], v[14:15], v[2:3]
	v_add_f64 v[2:3], v[12:13], -v[2:3]
	scratch_store_b64 off, v[2:3], off offset:280
	v_cmpx_lt_u32_e32 34, v0
	s_cbranch_execz .LBB56_283
; %bb.282:
	scratch_load_b64 v[3:4], off, off offset:272
	v_mov_b32_e32 v2, v1
	scratch_store_b64 off, v[1:2], off offset:272
	s_waitcnt vmcnt(0)
	ds_store_b64 v5, v[3:4]
.LBB56_283:
	s_or_b32 exec_lo, exec_lo, s0
	s_waitcnt lgkmcnt(0)
	s_waitcnt_vscnt null, 0x0
	s_barrier
	buffer_gl0_inv
	s_clause 0x4
	scratch_load_b128 v[12:15], off, off offset:272
	scratch_load_b128 v[16:19], off, off offset:288
	scratch_load_b128 v[20:23], off, off offset:304
	scratch_load_b128 v[24:27], off, off offset:320
	scratch_load_b128 v[28:31], off, off offset:336
	ds_load_2addr_b64 v[32:35], v1 offset0:93 offset1:94
	ds_load_2addr_b64 v[145:148], v1 offset0:95 offset1:96
	scratch_load_b128 v[149:152], off, off offset:352
	s_mov_b32 s0, exec_lo
	s_waitcnt vmcnt(5) lgkmcnt(1)
	v_fma_f64 v[2:3], v[14:15], v[32:33], 0
	s_waitcnt vmcnt(4)
	s_delay_alu instid0(VALU_DEP_1) | instskip(SKIP_4) | instid1(VALU_DEP_1)
	v_fma_f64 v[2:3], v[16:17], v[34:35], v[2:3]
	scratch_load_b128 v[14:17], off, off offset:368
	s_waitcnt lgkmcnt(0)
	v_fma_f64 v[2:3], v[18:19], v[145:146], v[2:3]
	s_waitcnt vmcnt(4)
	v_fma_f64 v[2:3], v[20:21], v[147:148], v[2:3]
	ds_load_2addr_b64 v[18:21], v1 offset0:97 offset1:98
	ds_load_2addr_b64 v[32:35], v1 offset0:99 offset1:100
	scratch_load_b128 v[145:148], off, off offset:384
	s_waitcnt lgkmcnt(1)
	v_fma_f64 v[2:3], v[22:23], v[18:19], v[2:3]
	s_waitcnt vmcnt(4)
	s_delay_alu instid0(VALU_DEP_1) | instskip(SKIP_4) | instid1(VALU_DEP_1)
	v_fma_f64 v[2:3], v[24:25], v[20:21], v[2:3]
	scratch_load_b128 v[18:21], off, off offset:400
	s_waitcnt lgkmcnt(0)
	v_fma_f64 v[2:3], v[26:27], v[32:33], v[2:3]
	s_waitcnt vmcnt(4)
	v_fma_f64 v[2:3], v[28:29], v[34:35], v[2:3]
	ds_load_2addr_b64 v[22:25], v1 offset0:101 offset1:102
	ds_load_2addr_b64 v[26:29], v1 offset0:103 offset1:104
	s_waitcnt lgkmcnt(1)
	v_fma_f64 v[2:3], v[30:31], v[22:23], v[2:3]
	scratch_load_b128 v[30:33], off, off offset:416
	s_waitcnt vmcnt(4)
	v_fma_f64 v[2:3], v[149:150], v[24:25], v[2:3]
	scratch_load_b128 v[22:25], off, off offset:432
	s_waitcnt lgkmcnt(0)
	v_fma_f64 v[2:3], v[151:152], v[26:27], v[2:3]
	s_waitcnt vmcnt(4)
	s_delay_alu instid0(VALU_DEP_1)
	v_fma_f64 v[2:3], v[14:15], v[28:29], v[2:3]
	ds_load_2addr_b64 v[26:29], v1 offset0:105 offset1:106
	ds_load_2addr_b64 v[149:152], v1 offset0:107 offset1:108
	scratch_load_b64 v[34:35], off, off offset:448
	s_waitcnt lgkmcnt(1)
	v_fma_f64 v[2:3], v[16:17], v[26:27], v[2:3]
	s_waitcnt vmcnt(4)
	s_delay_alu instid0(VALU_DEP_1)
	v_fma_f64 v[2:3], v[145:146], v[28:29], v[2:3]
	ds_load_2addr_b64 v[14:17], v1 offset0:109 offset1:110
	ds_load_2addr_b64 v[26:29], v1 offset0:111 offset1:112
	s_waitcnt lgkmcnt(2)
	v_fma_f64 v[2:3], v[147:148], v[149:150], v[2:3]
	s_waitcnt vmcnt(3)
	s_delay_alu instid0(VALU_DEP_1) | instskip(SKIP_1) | instid1(VALU_DEP_1)
	v_fma_f64 v[2:3], v[18:19], v[151:152], v[2:3]
	s_waitcnt lgkmcnt(1)
	v_fma_f64 v[2:3], v[20:21], v[14:15], v[2:3]
	s_waitcnt vmcnt(2)
	s_delay_alu instid0(VALU_DEP_1) | instskip(SKIP_1) | instid1(VALU_DEP_1)
	v_fma_f64 v[2:3], v[30:31], v[16:17], v[2:3]
	s_waitcnt lgkmcnt(0)
	v_fma_f64 v[2:3], v[32:33], v[26:27], v[2:3]
	s_waitcnt vmcnt(1)
	s_delay_alu instid0(VALU_DEP_1) | instskip(SKIP_4) | instid1(VALU_DEP_1)
	v_fma_f64 v[14:15], v[22:23], v[28:29], v[2:3]
	ds_load_2addr_b64 v[1:4], v1 offset0:113 offset1:114
	s_waitcnt lgkmcnt(0)
	v_fma_f64 v[1:2], v[24:25], v[1:2], v[14:15]
	s_waitcnt vmcnt(0)
	v_fma_f64 v[1:2], v[34:35], v[3:4], v[1:2]
	s_delay_alu instid0(VALU_DEP_1)
	v_add_f64 v[1:2], v[12:13], -v[1:2]
	scratch_store_b64 off, v[1:2], off offset:272
	v_cmpx_lt_u32_e32 33, v0
	s_cbranch_execz .LBB56_285
; %bb.284:
	scratch_load_b64 v[1:2], off, off offset:264
	v_mov_b32_e32 v3, 0
	s_delay_alu instid0(VALU_DEP_1)
	v_mov_b32_e32 v4, v3
	scratch_store_b64 off, v[3:4], off offset:264
	s_waitcnt vmcnt(0)
	ds_store_b64 v5, v[1:2]
.LBB56_285:
	s_or_b32 exec_lo, exec_lo, s0
	s_waitcnt lgkmcnt(0)
	s_waitcnt_vscnt null, 0x0
	s_barrier
	buffer_gl0_inv
	s_clause 0x4
	scratch_load_b128 v[12:15], off, off offset:264
	scratch_load_b128 v[16:19], off, off offset:280
	scratch_load_b128 v[20:23], off, off offset:296
	scratch_load_b128 v[24:27], off, off offset:312
	scratch_load_b128 v[28:31], off, off offset:328
	v_mov_b32_e32 v1, 0
	ds_load_b128 v[32:35], v1 offset:736
	ds_load_b128 v[145:148], v1 offset:752
	scratch_load_b128 v[149:152], off, off offset:344
	s_mov_b32 s0, exec_lo
	s_waitcnt vmcnt(5) lgkmcnt(1)
	v_fma_f64 v[2:3], v[14:15], v[32:33], 0
	s_waitcnt vmcnt(4)
	s_delay_alu instid0(VALU_DEP_1) | instskip(SKIP_4) | instid1(VALU_DEP_1)
	v_fma_f64 v[2:3], v[16:17], v[34:35], v[2:3]
	scratch_load_b128 v[14:17], off, off offset:360
	s_waitcnt lgkmcnt(0)
	v_fma_f64 v[2:3], v[18:19], v[145:146], v[2:3]
	s_waitcnt vmcnt(4)
	v_fma_f64 v[2:3], v[20:21], v[147:148], v[2:3]
	ds_load_b128 v[18:21], v1 offset:768
	ds_load_b128 v[32:35], v1 offset:784
	scratch_load_b128 v[145:148], off, off offset:376
	s_waitcnt lgkmcnt(1)
	v_fma_f64 v[2:3], v[22:23], v[18:19], v[2:3]
	s_waitcnt vmcnt(4)
	s_delay_alu instid0(VALU_DEP_1) | instskip(SKIP_4) | instid1(VALU_DEP_1)
	v_fma_f64 v[2:3], v[24:25], v[20:21], v[2:3]
	scratch_load_b128 v[18:21], off, off offset:392
	s_waitcnt lgkmcnt(0)
	v_fma_f64 v[2:3], v[26:27], v[32:33], v[2:3]
	s_waitcnt vmcnt(4)
	v_fma_f64 v[2:3], v[28:29], v[34:35], v[2:3]
	ds_load_b128 v[22:25], v1 offset:800
	ds_load_b128 v[26:29], v1 offset:816
	s_waitcnt lgkmcnt(1)
	v_fma_f64 v[2:3], v[30:31], v[22:23], v[2:3]
	scratch_load_b128 v[30:33], off, off offset:408
	s_waitcnt vmcnt(4)
	v_fma_f64 v[2:3], v[149:150], v[24:25], v[2:3]
	scratch_load_b128 v[22:25], off, off offset:424
	s_waitcnt lgkmcnt(0)
	v_fma_f64 v[2:3], v[151:152], v[26:27], v[2:3]
	s_waitcnt vmcnt(4)
	s_delay_alu instid0(VALU_DEP_1)
	v_fma_f64 v[2:3], v[14:15], v[28:29], v[2:3]
	ds_load_b128 v[26:29], v1 offset:832
	ds_load_b128 v[149:152], v1 offset:848
	s_waitcnt lgkmcnt(1)
	v_fma_f64 v[2:3], v[16:17], v[26:27], v[2:3]
	scratch_load_b128 v[14:17], off, off offset:440
	s_waitcnt vmcnt(4)
	v_fma_f64 v[2:3], v[145:146], v[28:29], v[2:3]
	s_waitcnt lgkmcnt(0)
	s_delay_alu instid0(VALU_DEP_1)
	v_fma_f64 v[2:3], v[147:148], v[149:150], v[2:3]
	ds_load_b128 v[26:29], v1 offset:864
	ds_load_b128 v[145:148], v1 offset:880
	s_waitcnt vmcnt(3)
	v_fma_f64 v[2:3], v[18:19], v[151:152], v[2:3]
	s_waitcnt lgkmcnt(1)
	s_delay_alu instid0(VALU_DEP_1) | instskip(SKIP_1) | instid1(VALU_DEP_1)
	v_fma_f64 v[2:3], v[20:21], v[26:27], v[2:3]
	s_waitcnt vmcnt(2)
	v_fma_f64 v[2:3], v[30:31], v[28:29], v[2:3]
	s_waitcnt lgkmcnt(0)
	s_delay_alu instid0(VALU_DEP_1) | instskip(SKIP_1) | instid1(VALU_DEP_1)
	v_fma_f64 v[2:3], v[32:33], v[145:146], v[2:3]
	s_waitcnt vmcnt(1)
	v_fma_f64 v[2:3], v[22:23], v[147:148], v[2:3]
	ds_load_b128 v[18:21], v1 offset:896
	ds_load_b64 v[22:23], v1 offset:912
	s_waitcnt lgkmcnt(1)
	v_fma_f64 v[2:3], v[24:25], v[18:19], v[2:3]
	s_waitcnt vmcnt(0)
	s_delay_alu instid0(VALU_DEP_1) | instskip(SKIP_1) | instid1(VALU_DEP_1)
	v_fma_f64 v[2:3], v[14:15], v[20:21], v[2:3]
	s_waitcnt lgkmcnt(0)
	v_fma_f64 v[2:3], v[16:17], v[22:23], v[2:3]
	s_delay_alu instid0(VALU_DEP_1)
	v_add_f64 v[2:3], v[12:13], -v[2:3]
	scratch_store_b64 off, v[2:3], off offset:264
	v_cmpx_lt_u32_e32 32, v0
	s_cbranch_execz .LBB56_287
; %bb.286:
	scratch_load_b64 v[3:4], off, off offset:256
	v_mov_b32_e32 v2, v1
	scratch_store_b64 off, v[1:2], off offset:256
	s_waitcnt vmcnt(0)
	ds_store_b64 v5, v[3:4]
.LBB56_287:
	s_or_b32 exec_lo, exec_lo, s0
	s_waitcnt lgkmcnt(0)
	s_waitcnt_vscnt null, 0x0
	s_barrier
	buffer_gl0_inv
	s_clause 0x4
	scratch_load_b128 v[12:15], off, off offset:256
	scratch_load_b128 v[16:19], off, off offset:272
	;; [unrolled: 1-line block ×5, first 2 shown]
	ds_load_2addr_b64 v[32:35], v1 offset0:91 offset1:92
	ds_load_2addr_b64 v[145:148], v1 offset0:93 offset1:94
	scratch_load_b128 v[149:152], off, off offset:336
	s_mov_b32 s0, exec_lo
	s_waitcnt vmcnt(5) lgkmcnt(1)
	v_fma_f64 v[2:3], v[14:15], v[32:33], 0
	s_waitcnt vmcnt(4)
	s_delay_alu instid0(VALU_DEP_1) | instskip(SKIP_4) | instid1(VALU_DEP_1)
	v_fma_f64 v[2:3], v[16:17], v[34:35], v[2:3]
	scratch_load_b128 v[14:17], off, off offset:352
	s_waitcnt lgkmcnt(0)
	v_fma_f64 v[2:3], v[18:19], v[145:146], v[2:3]
	s_waitcnt vmcnt(4)
	v_fma_f64 v[2:3], v[20:21], v[147:148], v[2:3]
	ds_load_2addr_b64 v[18:21], v1 offset0:95 offset1:96
	ds_load_2addr_b64 v[32:35], v1 offset0:97 offset1:98
	scratch_load_b128 v[145:148], off, off offset:368
	s_waitcnt lgkmcnt(1)
	v_fma_f64 v[2:3], v[22:23], v[18:19], v[2:3]
	s_waitcnt vmcnt(4)
	s_delay_alu instid0(VALU_DEP_1) | instskip(SKIP_4) | instid1(VALU_DEP_1)
	v_fma_f64 v[2:3], v[24:25], v[20:21], v[2:3]
	scratch_load_b128 v[18:21], off, off offset:384
	s_waitcnt lgkmcnt(0)
	v_fma_f64 v[2:3], v[26:27], v[32:33], v[2:3]
	s_waitcnt vmcnt(4)
	v_fma_f64 v[2:3], v[28:29], v[34:35], v[2:3]
	ds_load_2addr_b64 v[22:25], v1 offset0:99 offset1:100
	ds_load_2addr_b64 v[26:29], v1 offset0:101 offset1:102
	s_waitcnt lgkmcnt(1)
	v_fma_f64 v[2:3], v[30:31], v[22:23], v[2:3]
	scratch_load_b128 v[30:33], off, off offset:400
	s_waitcnt vmcnt(4)
	v_fma_f64 v[2:3], v[149:150], v[24:25], v[2:3]
	scratch_load_b128 v[22:25], off, off offset:416
	s_waitcnt lgkmcnt(0)
	v_fma_f64 v[2:3], v[151:152], v[26:27], v[2:3]
	s_waitcnt vmcnt(4)
	s_delay_alu instid0(VALU_DEP_1)
	v_fma_f64 v[2:3], v[14:15], v[28:29], v[2:3]
	ds_load_2addr_b64 v[26:29], v1 offset0:103 offset1:104
	ds_load_2addr_b64 v[149:152], v1 offset0:105 offset1:106
	scratch_load_b64 v[34:35], off, off offset:448
	s_waitcnt lgkmcnt(1)
	v_fma_f64 v[2:3], v[16:17], v[26:27], v[2:3]
	scratch_load_b128 v[14:17], off, off offset:432
	s_waitcnt vmcnt(5)
	v_fma_f64 v[2:3], v[145:146], v[28:29], v[2:3]
	s_waitcnt lgkmcnt(0)
	s_delay_alu instid0(VALU_DEP_1)
	v_fma_f64 v[2:3], v[147:148], v[149:150], v[2:3]
	ds_load_2addr_b64 v[26:29], v1 offset0:107 offset1:108
	ds_load_2addr_b64 v[145:148], v1 offset0:109 offset1:110
	s_waitcnt vmcnt(4)
	v_fma_f64 v[2:3], v[18:19], v[151:152], v[2:3]
	s_waitcnt lgkmcnt(1)
	s_delay_alu instid0(VALU_DEP_1) | instskip(SKIP_1) | instid1(VALU_DEP_1)
	v_fma_f64 v[2:3], v[20:21], v[26:27], v[2:3]
	s_waitcnt vmcnt(3)
	v_fma_f64 v[2:3], v[30:31], v[28:29], v[2:3]
	s_waitcnt lgkmcnt(0)
	s_delay_alu instid0(VALU_DEP_1) | instskip(SKIP_1) | instid1(VALU_DEP_1)
	v_fma_f64 v[2:3], v[32:33], v[145:146], v[2:3]
	s_waitcnt vmcnt(2)
	v_fma_f64 v[22:23], v[22:23], v[147:148], v[2:3]
	ds_load_2addr_b64 v[18:21], v1 offset0:111 offset1:112
	ds_load_2addr_b64 v[1:4], v1 offset0:113 offset1:114
	s_waitcnt lgkmcnt(1)
	v_fma_f64 v[18:19], v[24:25], v[18:19], v[22:23]
	s_waitcnt vmcnt(0)
	s_delay_alu instid0(VALU_DEP_1) | instskip(SKIP_1) | instid1(VALU_DEP_1)
	v_fma_f64 v[14:15], v[14:15], v[20:21], v[18:19]
	s_waitcnt lgkmcnt(0)
	v_fma_f64 v[1:2], v[16:17], v[1:2], v[14:15]
	s_delay_alu instid0(VALU_DEP_1) | instskip(NEXT) | instid1(VALU_DEP_1)
	v_fma_f64 v[1:2], v[34:35], v[3:4], v[1:2]
	v_add_f64 v[1:2], v[12:13], -v[1:2]
	scratch_store_b64 off, v[1:2], off offset:256
	v_cmpx_lt_u32_e32 31, v0
	s_cbranch_execz .LBB56_289
; %bb.288:
	scratch_load_b64 v[1:2], off, off offset:248
	v_mov_b32_e32 v3, 0
	s_delay_alu instid0(VALU_DEP_1)
	v_mov_b32_e32 v4, v3
	scratch_store_b64 off, v[3:4], off offset:248
	s_waitcnt vmcnt(0)
	ds_store_b64 v5, v[1:2]
.LBB56_289:
	s_or_b32 exec_lo, exec_lo, s0
	s_waitcnt lgkmcnt(0)
	s_waitcnt_vscnt null, 0x0
	s_barrier
	buffer_gl0_inv
	s_clause 0x4
	scratch_load_b128 v[12:15], off, off offset:248
	scratch_load_b128 v[16:19], off, off offset:264
	;; [unrolled: 1-line block ×5, first 2 shown]
	v_mov_b32_e32 v1, 0
	ds_load_b128 v[32:35], v1 offset:720
	ds_load_b128 v[145:148], v1 offset:736
	scratch_load_b128 v[149:152], off, off offset:328
	s_mov_b32 s0, exec_lo
	s_waitcnt vmcnt(5) lgkmcnt(1)
	v_fma_f64 v[2:3], v[14:15], v[32:33], 0
	s_waitcnt vmcnt(4)
	s_delay_alu instid0(VALU_DEP_1) | instskip(SKIP_4) | instid1(VALU_DEP_1)
	v_fma_f64 v[2:3], v[16:17], v[34:35], v[2:3]
	scratch_load_b128 v[14:17], off, off offset:344
	s_waitcnt lgkmcnt(0)
	v_fma_f64 v[2:3], v[18:19], v[145:146], v[2:3]
	s_waitcnt vmcnt(4)
	v_fma_f64 v[2:3], v[20:21], v[147:148], v[2:3]
	ds_load_b128 v[18:21], v1 offset:752
	ds_load_b128 v[32:35], v1 offset:768
	scratch_load_b128 v[145:148], off, off offset:360
	s_waitcnt lgkmcnt(1)
	v_fma_f64 v[2:3], v[22:23], v[18:19], v[2:3]
	s_waitcnt vmcnt(4)
	s_delay_alu instid0(VALU_DEP_1) | instskip(SKIP_4) | instid1(VALU_DEP_1)
	v_fma_f64 v[2:3], v[24:25], v[20:21], v[2:3]
	scratch_load_b128 v[18:21], off, off offset:376
	s_waitcnt lgkmcnt(0)
	v_fma_f64 v[2:3], v[26:27], v[32:33], v[2:3]
	s_waitcnt vmcnt(4)
	v_fma_f64 v[2:3], v[28:29], v[34:35], v[2:3]
	ds_load_b128 v[22:25], v1 offset:784
	ds_load_b128 v[26:29], v1 offset:800
	s_waitcnt lgkmcnt(1)
	v_fma_f64 v[2:3], v[30:31], v[22:23], v[2:3]
	scratch_load_b128 v[30:33], off, off offset:392
	s_waitcnt vmcnt(4)
	v_fma_f64 v[2:3], v[149:150], v[24:25], v[2:3]
	scratch_load_b128 v[22:25], off, off offset:408
	s_waitcnt lgkmcnt(0)
	v_fma_f64 v[2:3], v[151:152], v[26:27], v[2:3]
	s_waitcnt vmcnt(4)
	s_delay_alu instid0(VALU_DEP_1)
	v_fma_f64 v[2:3], v[14:15], v[28:29], v[2:3]
	ds_load_b128 v[26:29], v1 offset:816
	ds_load_b128 v[149:152], v1 offset:832
	s_waitcnt lgkmcnt(1)
	v_fma_f64 v[2:3], v[16:17], v[26:27], v[2:3]
	scratch_load_b128 v[14:17], off, off offset:424
	s_waitcnt vmcnt(4)
	v_fma_f64 v[2:3], v[145:146], v[28:29], v[2:3]
	scratch_load_b128 v[26:29], off, off offset:440
	s_waitcnt lgkmcnt(0)
	v_fma_f64 v[2:3], v[147:148], v[149:150], v[2:3]
	s_waitcnt vmcnt(4)
	s_delay_alu instid0(VALU_DEP_1)
	v_fma_f64 v[2:3], v[18:19], v[151:152], v[2:3]
	ds_load_b128 v[145:148], v1 offset:848
	ds_load_b128 v[149:152], v1 offset:864
	s_waitcnt lgkmcnt(1)
	v_fma_f64 v[2:3], v[20:21], v[145:146], v[2:3]
	s_waitcnt vmcnt(3)
	s_delay_alu instid0(VALU_DEP_1) | instskip(SKIP_1) | instid1(VALU_DEP_1)
	v_fma_f64 v[2:3], v[30:31], v[147:148], v[2:3]
	s_waitcnt lgkmcnt(0)
	v_fma_f64 v[2:3], v[32:33], v[149:150], v[2:3]
	ds_load_b128 v[18:21], v1 offset:880
	ds_load_b128 v[30:33], v1 offset:896
	s_waitcnt vmcnt(2)
	v_fma_f64 v[2:3], v[22:23], v[151:152], v[2:3]
	s_waitcnt lgkmcnt(1)
	s_delay_alu instid0(VALU_DEP_1) | instskip(SKIP_1) | instid1(VALU_DEP_1)
	v_fma_f64 v[2:3], v[24:25], v[18:19], v[2:3]
	s_waitcnt vmcnt(1)
	v_fma_f64 v[2:3], v[14:15], v[20:21], v[2:3]
	ds_load_b64 v[14:15], v1 offset:912
	s_waitcnt lgkmcnt(1)
	v_fma_f64 v[2:3], v[16:17], v[30:31], v[2:3]
	s_waitcnt vmcnt(0)
	s_delay_alu instid0(VALU_DEP_1) | instskip(SKIP_1) | instid1(VALU_DEP_1)
	v_fma_f64 v[2:3], v[26:27], v[32:33], v[2:3]
	s_waitcnt lgkmcnt(0)
	v_fma_f64 v[2:3], v[28:29], v[14:15], v[2:3]
	s_delay_alu instid0(VALU_DEP_1)
	v_add_f64 v[2:3], v[12:13], -v[2:3]
	scratch_store_b64 off, v[2:3], off offset:248
	v_cmpx_lt_u32_e32 30, v0
	s_cbranch_execz .LBB56_291
; %bb.290:
	scratch_load_b64 v[3:4], off, off offset:240
	v_mov_b32_e32 v2, v1
	scratch_store_b64 off, v[1:2], off offset:240
	s_waitcnt vmcnt(0)
	ds_store_b64 v5, v[3:4]
.LBB56_291:
	s_or_b32 exec_lo, exec_lo, s0
	s_waitcnt lgkmcnt(0)
	s_waitcnt_vscnt null, 0x0
	s_barrier
	buffer_gl0_inv
	s_clause 0x4
	scratch_load_b128 v[12:15], off, off offset:240
	scratch_load_b128 v[16:19], off, off offset:256
	;; [unrolled: 1-line block ×5, first 2 shown]
	ds_load_2addr_b64 v[32:35], v1 offset0:89 offset1:90
	ds_load_2addr_b64 v[145:148], v1 offset0:91 offset1:92
	scratch_load_b128 v[149:152], off, off offset:320
	s_mov_b32 s0, exec_lo
	s_waitcnt vmcnt(5) lgkmcnt(1)
	v_fma_f64 v[2:3], v[14:15], v[32:33], 0
	s_waitcnt vmcnt(4)
	s_delay_alu instid0(VALU_DEP_1) | instskip(SKIP_4) | instid1(VALU_DEP_1)
	v_fma_f64 v[2:3], v[16:17], v[34:35], v[2:3]
	scratch_load_b128 v[14:17], off, off offset:336
	s_waitcnt lgkmcnt(0)
	v_fma_f64 v[2:3], v[18:19], v[145:146], v[2:3]
	s_waitcnt vmcnt(4)
	v_fma_f64 v[2:3], v[20:21], v[147:148], v[2:3]
	ds_load_2addr_b64 v[18:21], v1 offset0:93 offset1:94
	ds_load_2addr_b64 v[32:35], v1 offset0:95 offset1:96
	scratch_load_b128 v[145:148], off, off offset:352
	s_waitcnt lgkmcnt(1)
	v_fma_f64 v[2:3], v[22:23], v[18:19], v[2:3]
	s_waitcnt vmcnt(4)
	s_delay_alu instid0(VALU_DEP_1) | instskip(SKIP_4) | instid1(VALU_DEP_1)
	v_fma_f64 v[2:3], v[24:25], v[20:21], v[2:3]
	scratch_load_b128 v[18:21], off, off offset:368
	s_waitcnt lgkmcnt(0)
	v_fma_f64 v[2:3], v[26:27], v[32:33], v[2:3]
	s_waitcnt vmcnt(4)
	v_fma_f64 v[2:3], v[28:29], v[34:35], v[2:3]
	ds_load_2addr_b64 v[22:25], v1 offset0:97 offset1:98
	ds_load_2addr_b64 v[26:29], v1 offset0:99 offset1:100
	s_waitcnt lgkmcnt(1)
	v_fma_f64 v[2:3], v[30:31], v[22:23], v[2:3]
	scratch_load_b128 v[30:33], off, off offset:384
	s_waitcnt vmcnt(4)
	v_fma_f64 v[2:3], v[149:150], v[24:25], v[2:3]
	scratch_load_b128 v[22:25], off, off offset:400
	s_waitcnt lgkmcnt(0)
	v_fma_f64 v[2:3], v[151:152], v[26:27], v[2:3]
	s_waitcnt vmcnt(4)
	s_delay_alu instid0(VALU_DEP_1)
	v_fma_f64 v[2:3], v[14:15], v[28:29], v[2:3]
	ds_load_2addr_b64 v[26:29], v1 offset0:101 offset1:102
	ds_load_2addr_b64 v[149:152], v1 offset0:103 offset1:104
	s_waitcnt lgkmcnt(1)
	v_fma_f64 v[2:3], v[16:17], v[26:27], v[2:3]
	scratch_load_b128 v[14:17], off, off offset:416
	s_waitcnt vmcnt(4)
	v_fma_f64 v[2:3], v[145:146], v[28:29], v[2:3]
	scratch_load_b128 v[26:29], off, off offset:432
	s_waitcnt lgkmcnt(0)
	v_fma_f64 v[2:3], v[147:148], v[149:150], v[2:3]
	s_waitcnt vmcnt(4)
	s_delay_alu instid0(VALU_DEP_1)
	v_fma_f64 v[2:3], v[18:19], v[151:152], v[2:3]
	ds_load_2addr_b64 v[145:148], v1 offset0:105 offset1:106
	ds_load_2addr_b64 v[149:152], v1 offset0:107 offset1:108
	scratch_load_b64 v[34:35], off, off offset:448
	s_waitcnt lgkmcnt(1)
	v_fma_f64 v[2:3], v[20:21], v[145:146], v[2:3]
	s_waitcnt vmcnt(4)
	s_delay_alu instid0(VALU_DEP_1) | instskip(SKIP_1) | instid1(VALU_DEP_1)
	v_fma_f64 v[2:3], v[30:31], v[147:148], v[2:3]
	s_waitcnt lgkmcnt(0)
	v_fma_f64 v[2:3], v[32:33], v[149:150], v[2:3]
	ds_load_2addr_b64 v[18:21], v1 offset0:109 offset1:110
	ds_load_2addr_b64 v[30:33], v1 offset0:111 offset1:112
	s_waitcnt vmcnt(3)
	v_fma_f64 v[2:3], v[22:23], v[151:152], v[2:3]
	s_waitcnt lgkmcnt(1)
	s_delay_alu instid0(VALU_DEP_1) | instskip(SKIP_1) | instid1(VALU_DEP_1)
	v_fma_f64 v[2:3], v[24:25], v[18:19], v[2:3]
	s_waitcnt vmcnt(2)
	v_fma_f64 v[2:3], v[14:15], v[20:21], v[2:3]
	s_waitcnt lgkmcnt(0)
	s_delay_alu instid0(VALU_DEP_1) | instskip(SKIP_1) | instid1(VALU_DEP_1)
	v_fma_f64 v[2:3], v[16:17], v[30:31], v[2:3]
	s_waitcnt vmcnt(1)
	v_fma_f64 v[14:15], v[26:27], v[32:33], v[2:3]
	ds_load_2addr_b64 v[1:4], v1 offset0:113 offset1:114
	s_waitcnt lgkmcnt(0)
	v_fma_f64 v[1:2], v[28:29], v[1:2], v[14:15]
	s_waitcnt vmcnt(0)
	s_delay_alu instid0(VALU_DEP_1) | instskip(NEXT) | instid1(VALU_DEP_1)
	v_fma_f64 v[1:2], v[34:35], v[3:4], v[1:2]
	v_add_f64 v[1:2], v[12:13], -v[1:2]
	scratch_store_b64 off, v[1:2], off offset:240
	v_cmpx_lt_u32_e32 29, v0
	s_cbranch_execz .LBB56_293
; %bb.292:
	scratch_load_b64 v[1:2], off, off offset:232
	v_mov_b32_e32 v3, 0
	s_delay_alu instid0(VALU_DEP_1)
	v_mov_b32_e32 v4, v3
	scratch_store_b64 off, v[3:4], off offset:232
	s_waitcnt vmcnt(0)
	ds_store_b64 v5, v[1:2]
.LBB56_293:
	s_or_b32 exec_lo, exec_lo, s0
	s_waitcnt lgkmcnt(0)
	s_waitcnt_vscnt null, 0x0
	s_barrier
	buffer_gl0_inv
	s_clause 0x4
	scratch_load_b128 v[12:15], off, off offset:232
	scratch_load_b128 v[16:19], off, off offset:248
	scratch_load_b128 v[20:23], off, off offset:264
	scratch_load_b128 v[24:27], off, off offset:280
	scratch_load_b128 v[28:31], off, off offset:296
	v_mov_b32_e32 v1, 0
	ds_load_b128 v[32:35], v1 offset:704
	ds_load_b128 v[145:148], v1 offset:720
	scratch_load_b128 v[149:152], off, off offset:312
	s_mov_b32 s0, exec_lo
	s_waitcnt vmcnt(5) lgkmcnt(1)
	v_fma_f64 v[2:3], v[14:15], v[32:33], 0
	s_waitcnt vmcnt(4)
	s_delay_alu instid0(VALU_DEP_1) | instskip(SKIP_4) | instid1(VALU_DEP_1)
	v_fma_f64 v[2:3], v[16:17], v[34:35], v[2:3]
	scratch_load_b128 v[14:17], off, off offset:328
	s_waitcnt lgkmcnt(0)
	v_fma_f64 v[2:3], v[18:19], v[145:146], v[2:3]
	s_waitcnt vmcnt(4)
	v_fma_f64 v[2:3], v[20:21], v[147:148], v[2:3]
	ds_load_b128 v[18:21], v1 offset:736
	ds_load_b128 v[32:35], v1 offset:752
	scratch_load_b128 v[145:148], off, off offset:344
	s_waitcnt lgkmcnt(1)
	v_fma_f64 v[2:3], v[22:23], v[18:19], v[2:3]
	s_waitcnt vmcnt(4)
	s_delay_alu instid0(VALU_DEP_1) | instskip(SKIP_4) | instid1(VALU_DEP_1)
	v_fma_f64 v[2:3], v[24:25], v[20:21], v[2:3]
	scratch_load_b128 v[18:21], off, off offset:360
	s_waitcnt lgkmcnt(0)
	v_fma_f64 v[2:3], v[26:27], v[32:33], v[2:3]
	s_waitcnt vmcnt(4)
	v_fma_f64 v[2:3], v[28:29], v[34:35], v[2:3]
	ds_load_b128 v[22:25], v1 offset:768
	ds_load_b128 v[26:29], v1 offset:784
	s_waitcnt lgkmcnt(1)
	v_fma_f64 v[2:3], v[30:31], v[22:23], v[2:3]
	scratch_load_b128 v[30:33], off, off offset:376
	s_waitcnt vmcnt(4)
	v_fma_f64 v[2:3], v[149:150], v[24:25], v[2:3]
	scratch_load_b128 v[22:25], off, off offset:392
	s_waitcnt lgkmcnt(0)
	v_fma_f64 v[2:3], v[151:152], v[26:27], v[2:3]
	s_waitcnt vmcnt(4)
	s_delay_alu instid0(VALU_DEP_1)
	v_fma_f64 v[2:3], v[14:15], v[28:29], v[2:3]
	ds_load_b128 v[26:29], v1 offset:800
	ds_load_b128 v[149:152], v1 offset:816
	s_waitcnt lgkmcnt(1)
	v_fma_f64 v[2:3], v[16:17], v[26:27], v[2:3]
	scratch_load_b128 v[14:17], off, off offset:408
	s_waitcnt vmcnt(4)
	v_fma_f64 v[2:3], v[145:146], v[28:29], v[2:3]
	scratch_load_b128 v[26:29], off, off offset:424
	s_waitcnt lgkmcnt(0)
	v_fma_f64 v[2:3], v[147:148], v[149:150], v[2:3]
	s_waitcnt vmcnt(4)
	s_delay_alu instid0(VALU_DEP_1)
	v_fma_f64 v[2:3], v[18:19], v[151:152], v[2:3]
	ds_load_b128 v[145:148], v1 offset:832
	ds_load_b128 v[149:152], v1 offset:848
	s_waitcnt lgkmcnt(1)
	v_fma_f64 v[2:3], v[20:21], v[145:146], v[2:3]
	scratch_load_b128 v[18:21], off, off offset:440
	s_waitcnt vmcnt(4)
	v_fma_f64 v[2:3], v[30:31], v[147:148], v[2:3]
	s_waitcnt lgkmcnt(0)
	s_delay_alu instid0(VALU_DEP_1)
	v_fma_f64 v[2:3], v[32:33], v[149:150], v[2:3]
	ds_load_b128 v[30:33], v1 offset:864
	ds_load_b128 v[145:148], v1 offset:880
	s_waitcnt vmcnt(3)
	v_fma_f64 v[2:3], v[22:23], v[151:152], v[2:3]
	s_waitcnt lgkmcnt(1)
	s_delay_alu instid0(VALU_DEP_1) | instskip(SKIP_1) | instid1(VALU_DEP_1)
	v_fma_f64 v[2:3], v[24:25], v[30:31], v[2:3]
	s_waitcnt vmcnt(2)
	v_fma_f64 v[2:3], v[14:15], v[32:33], v[2:3]
	s_waitcnt lgkmcnt(0)
	s_delay_alu instid0(VALU_DEP_1)
	v_fma_f64 v[2:3], v[16:17], v[145:146], v[2:3]
	ds_load_b128 v[14:17], v1 offset:896
	ds_load_b64 v[22:23], v1 offset:912
	s_waitcnt vmcnt(1)
	v_fma_f64 v[2:3], v[26:27], v[147:148], v[2:3]
	s_waitcnt lgkmcnt(1)
	s_delay_alu instid0(VALU_DEP_1) | instskip(SKIP_1) | instid1(VALU_DEP_1)
	v_fma_f64 v[2:3], v[28:29], v[14:15], v[2:3]
	s_waitcnt vmcnt(0)
	v_fma_f64 v[2:3], v[18:19], v[16:17], v[2:3]
	s_waitcnt lgkmcnt(0)
	s_delay_alu instid0(VALU_DEP_1) | instskip(NEXT) | instid1(VALU_DEP_1)
	v_fma_f64 v[2:3], v[20:21], v[22:23], v[2:3]
	v_add_f64 v[2:3], v[12:13], -v[2:3]
	scratch_store_b64 off, v[2:3], off offset:232
	v_cmpx_lt_u32_e32 28, v0
	s_cbranch_execz .LBB56_295
; %bb.294:
	scratch_load_b64 v[3:4], off, off offset:224
	v_mov_b32_e32 v2, v1
	scratch_store_b64 off, v[1:2], off offset:224
	s_waitcnt vmcnt(0)
	ds_store_b64 v5, v[3:4]
.LBB56_295:
	s_or_b32 exec_lo, exec_lo, s0
	s_waitcnt lgkmcnt(0)
	s_waitcnt_vscnt null, 0x0
	s_barrier
	buffer_gl0_inv
	s_clause 0x4
	scratch_load_b128 v[12:15], off, off offset:224
	scratch_load_b128 v[16:19], off, off offset:240
	;; [unrolled: 1-line block ×5, first 2 shown]
	ds_load_2addr_b64 v[32:35], v1 offset0:87 offset1:88
	ds_load_2addr_b64 v[145:148], v1 offset0:89 offset1:90
	scratch_load_b128 v[149:152], off, off offset:304
	s_mov_b32 s0, exec_lo
	s_waitcnt vmcnt(5) lgkmcnt(1)
	v_fma_f64 v[2:3], v[14:15], v[32:33], 0
	s_waitcnt vmcnt(4)
	s_delay_alu instid0(VALU_DEP_1) | instskip(SKIP_4) | instid1(VALU_DEP_1)
	v_fma_f64 v[2:3], v[16:17], v[34:35], v[2:3]
	scratch_load_b128 v[14:17], off, off offset:320
	s_waitcnt lgkmcnt(0)
	v_fma_f64 v[2:3], v[18:19], v[145:146], v[2:3]
	s_waitcnt vmcnt(4)
	v_fma_f64 v[2:3], v[20:21], v[147:148], v[2:3]
	ds_load_2addr_b64 v[18:21], v1 offset0:91 offset1:92
	ds_load_2addr_b64 v[32:35], v1 offset0:93 offset1:94
	scratch_load_b128 v[145:148], off, off offset:336
	s_waitcnt lgkmcnt(1)
	v_fma_f64 v[2:3], v[22:23], v[18:19], v[2:3]
	s_waitcnt vmcnt(4)
	s_delay_alu instid0(VALU_DEP_1) | instskip(SKIP_4) | instid1(VALU_DEP_1)
	v_fma_f64 v[2:3], v[24:25], v[20:21], v[2:3]
	scratch_load_b128 v[18:21], off, off offset:352
	s_waitcnt lgkmcnt(0)
	v_fma_f64 v[2:3], v[26:27], v[32:33], v[2:3]
	s_waitcnt vmcnt(4)
	v_fma_f64 v[2:3], v[28:29], v[34:35], v[2:3]
	ds_load_2addr_b64 v[22:25], v1 offset0:95 offset1:96
	ds_load_2addr_b64 v[26:29], v1 offset0:97 offset1:98
	s_waitcnt lgkmcnt(1)
	v_fma_f64 v[2:3], v[30:31], v[22:23], v[2:3]
	scratch_load_b128 v[30:33], off, off offset:368
	s_waitcnt vmcnt(4)
	v_fma_f64 v[2:3], v[149:150], v[24:25], v[2:3]
	scratch_load_b128 v[22:25], off, off offset:384
	s_waitcnt lgkmcnt(0)
	v_fma_f64 v[2:3], v[151:152], v[26:27], v[2:3]
	s_waitcnt vmcnt(4)
	s_delay_alu instid0(VALU_DEP_1)
	v_fma_f64 v[2:3], v[14:15], v[28:29], v[2:3]
	ds_load_2addr_b64 v[26:29], v1 offset0:99 offset1:100
	ds_load_2addr_b64 v[149:152], v1 offset0:101 offset1:102
	s_waitcnt lgkmcnt(1)
	v_fma_f64 v[2:3], v[16:17], v[26:27], v[2:3]
	scratch_load_b128 v[14:17], off, off offset:400
	s_waitcnt vmcnt(4)
	v_fma_f64 v[2:3], v[145:146], v[28:29], v[2:3]
	scratch_load_b128 v[26:29], off, off offset:416
	s_waitcnt lgkmcnt(0)
	v_fma_f64 v[2:3], v[147:148], v[149:150], v[2:3]
	s_waitcnt vmcnt(4)
	s_delay_alu instid0(VALU_DEP_1)
	v_fma_f64 v[2:3], v[18:19], v[151:152], v[2:3]
	ds_load_2addr_b64 v[145:148], v1 offset0:103 offset1:104
	ds_load_2addr_b64 v[149:152], v1 offset0:105 offset1:106
	scratch_load_b64 v[34:35], off, off offset:448
	s_waitcnt lgkmcnt(1)
	v_fma_f64 v[2:3], v[20:21], v[145:146], v[2:3]
	scratch_load_b128 v[18:21], off, off offset:432
	s_waitcnt vmcnt(5)
	v_fma_f64 v[2:3], v[30:31], v[147:148], v[2:3]
	s_waitcnt lgkmcnt(0)
	s_delay_alu instid0(VALU_DEP_1)
	v_fma_f64 v[2:3], v[32:33], v[149:150], v[2:3]
	ds_load_2addr_b64 v[30:33], v1 offset0:107 offset1:108
	ds_load_2addr_b64 v[145:148], v1 offset0:109 offset1:110
	s_waitcnt vmcnt(4)
	v_fma_f64 v[2:3], v[22:23], v[151:152], v[2:3]
	s_waitcnt lgkmcnt(1)
	s_delay_alu instid0(VALU_DEP_1) | instskip(SKIP_1) | instid1(VALU_DEP_1)
	v_fma_f64 v[2:3], v[24:25], v[30:31], v[2:3]
	s_waitcnt vmcnt(3)
	v_fma_f64 v[2:3], v[14:15], v[32:33], v[2:3]
	s_waitcnt lgkmcnt(0)
	s_delay_alu instid0(VALU_DEP_1) | instskip(SKIP_1) | instid1(VALU_DEP_1)
	v_fma_f64 v[2:3], v[16:17], v[145:146], v[2:3]
	s_waitcnt vmcnt(2)
	v_fma_f64 v[22:23], v[26:27], v[147:148], v[2:3]
	ds_load_2addr_b64 v[14:17], v1 offset0:111 offset1:112
	ds_load_2addr_b64 v[1:4], v1 offset0:113 offset1:114
	s_waitcnt lgkmcnt(1)
	v_fma_f64 v[14:15], v[28:29], v[14:15], v[22:23]
	s_waitcnt vmcnt(0)
	s_delay_alu instid0(VALU_DEP_1) | instskip(SKIP_1) | instid1(VALU_DEP_1)
	v_fma_f64 v[14:15], v[18:19], v[16:17], v[14:15]
	s_waitcnt lgkmcnt(0)
	v_fma_f64 v[1:2], v[20:21], v[1:2], v[14:15]
	s_delay_alu instid0(VALU_DEP_1) | instskip(NEXT) | instid1(VALU_DEP_1)
	v_fma_f64 v[1:2], v[34:35], v[3:4], v[1:2]
	v_add_f64 v[1:2], v[12:13], -v[1:2]
	scratch_store_b64 off, v[1:2], off offset:224
	v_cmpx_lt_u32_e32 27, v0
	s_cbranch_execz .LBB56_297
; %bb.296:
	scratch_load_b64 v[1:2], off, off offset:216
	v_mov_b32_e32 v3, 0
	s_delay_alu instid0(VALU_DEP_1)
	v_mov_b32_e32 v4, v3
	scratch_store_b64 off, v[3:4], off offset:216
	s_waitcnt vmcnt(0)
	ds_store_b64 v5, v[1:2]
.LBB56_297:
	s_or_b32 exec_lo, exec_lo, s0
	s_waitcnt lgkmcnt(0)
	s_waitcnt_vscnt null, 0x0
	s_barrier
	buffer_gl0_inv
	s_clause 0x4
	scratch_load_b128 v[12:15], off, off offset:216
	scratch_load_b128 v[16:19], off, off offset:232
	;; [unrolled: 1-line block ×5, first 2 shown]
	v_mov_b32_e32 v1, 0
	ds_load_b128 v[32:35], v1 offset:688
	ds_load_b128 v[145:148], v1 offset:704
	scratch_load_b128 v[149:152], off, off offset:296
	s_mov_b32 s0, exec_lo
	s_waitcnt vmcnt(5) lgkmcnt(1)
	v_fma_f64 v[2:3], v[14:15], v[32:33], 0
	s_waitcnt vmcnt(4)
	s_delay_alu instid0(VALU_DEP_1) | instskip(SKIP_4) | instid1(VALU_DEP_1)
	v_fma_f64 v[2:3], v[16:17], v[34:35], v[2:3]
	scratch_load_b128 v[14:17], off, off offset:312
	s_waitcnt lgkmcnt(0)
	v_fma_f64 v[2:3], v[18:19], v[145:146], v[2:3]
	s_waitcnt vmcnt(4)
	v_fma_f64 v[2:3], v[20:21], v[147:148], v[2:3]
	ds_load_b128 v[18:21], v1 offset:720
	ds_load_b128 v[32:35], v1 offset:736
	scratch_load_b128 v[145:148], off, off offset:328
	s_waitcnt lgkmcnt(1)
	v_fma_f64 v[2:3], v[22:23], v[18:19], v[2:3]
	s_waitcnt vmcnt(4)
	s_delay_alu instid0(VALU_DEP_1) | instskip(SKIP_4) | instid1(VALU_DEP_1)
	v_fma_f64 v[2:3], v[24:25], v[20:21], v[2:3]
	scratch_load_b128 v[18:21], off, off offset:344
	s_waitcnt lgkmcnt(0)
	v_fma_f64 v[2:3], v[26:27], v[32:33], v[2:3]
	s_waitcnt vmcnt(4)
	v_fma_f64 v[2:3], v[28:29], v[34:35], v[2:3]
	ds_load_b128 v[22:25], v1 offset:752
	ds_load_b128 v[26:29], v1 offset:768
	s_waitcnt lgkmcnt(1)
	v_fma_f64 v[2:3], v[30:31], v[22:23], v[2:3]
	scratch_load_b128 v[30:33], off, off offset:360
	s_waitcnt vmcnt(4)
	v_fma_f64 v[2:3], v[149:150], v[24:25], v[2:3]
	scratch_load_b128 v[22:25], off, off offset:376
	s_waitcnt lgkmcnt(0)
	v_fma_f64 v[2:3], v[151:152], v[26:27], v[2:3]
	s_waitcnt vmcnt(4)
	s_delay_alu instid0(VALU_DEP_1)
	v_fma_f64 v[2:3], v[14:15], v[28:29], v[2:3]
	ds_load_b128 v[26:29], v1 offset:784
	ds_load_b128 v[149:152], v1 offset:800
	s_waitcnt lgkmcnt(1)
	v_fma_f64 v[2:3], v[16:17], v[26:27], v[2:3]
	scratch_load_b128 v[14:17], off, off offset:392
	s_waitcnt vmcnt(4)
	v_fma_f64 v[2:3], v[145:146], v[28:29], v[2:3]
	scratch_load_b128 v[26:29], off, off offset:408
	s_waitcnt lgkmcnt(0)
	v_fma_f64 v[2:3], v[147:148], v[149:150], v[2:3]
	s_waitcnt vmcnt(4)
	s_delay_alu instid0(VALU_DEP_1)
	v_fma_f64 v[2:3], v[18:19], v[151:152], v[2:3]
	ds_load_b128 v[145:148], v1 offset:816
	ds_load_b128 v[149:152], v1 offset:832
	s_waitcnt lgkmcnt(1)
	v_fma_f64 v[2:3], v[20:21], v[145:146], v[2:3]
	scratch_load_b128 v[18:21], off, off offset:424
	s_waitcnt vmcnt(4)
	v_fma_f64 v[2:3], v[30:31], v[147:148], v[2:3]
	s_waitcnt lgkmcnt(0)
	s_delay_alu instid0(VALU_DEP_1)
	v_fma_f64 v[2:3], v[32:33], v[149:150], v[2:3]
	scratch_load_b128 v[30:33], off, off offset:440
	s_waitcnt vmcnt(4)
	v_fma_f64 v[2:3], v[22:23], v[151:152], v[2:3]
	ds_load_b128 v[145:148], v1 offset:848
	ds_load_b128 v[149:152], v1 offset:864
	s_waitcnt lgkmcnt(1)
	v_fma_f64 v[2:3], v[24:25], v[145:146], v[2:3]
	s_waitcnt vmcnt(3)
	s_delay_alu instid0(VALU_DEP_1) | instskip(SKIP_1) | instid1(VALU_DEP_1)
	v_fma_f64 v[2:3], v[14:15], v[147:148], v[2:3]
	s_waitcnt lgkmcnt(0)
	v_fma_f64 v[2:3], v[16:17], v[149:150], v[2:3]
	ds_load_b128 v[14:17], v1 offset:880
	ds_load_b128 v[22:25], v1 offset:896
	s_waitcnt vmcnt(2)
	v_fma_f64 v[2:3], v[26:27], v[151:152], v[2:3]
	s_waitcnt lgkmcnt(1)
	s_delay_alu instid0(VALU_DEP_1) | instskip(SKIP_4) | instid1(VALU_DEP_1)
	v_fma_f64 v[2:3], v[28:29], v[14:15], v[2:3]
	ds_load_b64 v[14:15], v1 offset:912
	s_waitcnt vmcnt(1)
	v_fma_f64 v[2:3], v[18:19], v[16:17], v[2:3]
	s_waitcnt lgkmcnt(1)
	v_fma_f64 v[2:3], v[20:21], v[22:23], v[2:3]
	s_waitcnt vmcnt(0)
	s_delay_alu instid0(VALU_DEP_1) | instskip(SKIP_1) | instid1(VALU_DEP_1)
	v_fma_f64 v[2:3], v[30:31], v[24:25], v[2:3]
	s_waitcnt lgkmcnt(0)
	v_fma_f64 v[2:3], v[32:33], v[14:15], v[2:3]
	s_delay_alu instid0(VALU_DEP_1)
	v_add_f64 v[2:3], v[12:13], -v[2:3]
	scratch_store_b64 off, v[2:3], off offset:216
	v_cmpx_lt_u32_e32 26, v0
	s_cbranch_execz .LBB56_299
; %bb.298:
	scratch_load_b64 v[3:4], off, off offset:208
	v_mov_b32_e32 v2, v1
	scratch_store_b64 off, v[1:2], off offset:208
	s_waitcnt vmcnt(0)
	ds_store_b64 v5, v[3:4]
.LBB56_299:
	s_or_b32 exec_lo, exec_lo, s0
	s_waitcnt lgkmcnt(0)
	s_waitcnt_vscnt null, 0x0
	s_barrier
	buffer_gl0_inv
	s_clause 0x4
	scratch_load_b128 v[12:15], off, off offset:208
	scratch_load_b128 v[16:19], off, off offset:224
	;; [unrolled: 1-line block ×5, first 2 shown]
	ds_load_2addr_b64 v[32:35], v1 offset0:85 offset1:86
	ds_load_2addr_b64 v[145:148], v1 offset0:87 offset1:88
	scratch_load_b128 v[149:152], off, off offset:288
	s_mov_b32 s0, exec_lo
	s_waitcnt vmcnt(5) lgkmcnt(1)
	v_fma_f64 v[2:3], v[14:15], v[32:33], 0
	s_waitcnt vmcnt(4)
	s_delay_alu instid0(VALU_DEP_1) | instskip(SKIP_4) | instid1(VALU_DEP_1)
	v_fma_f64 v[2:3], v[16:17], v[34:35], v[2:3]
	scratch_load_b128 v[14:17], off, off offset:304
	s_waitcnt lgkmcnt(0)
	v_fma_f64 v[2:3], v[18:19], v[145:146], v[2:3]
	s_waitcnt vmcnt(4)
	v_fma_f64 v[2:3], v[20:21], v[147:148], v[2:3]
	ds_load_2addr_b64 v[18:21], v1 offset0:89 offset1:90
	ds_load_2addr_b64 v[32:35], v1 offset0:91 offset1:92
	scratch_load_b128 v[145:148], off, off offset:320
	s_waitcnt lgkmcnt(1)
	v_fma_f64 v[2:3], v[22:23], v[18:19], v[2:3]
	s_waitcnt vmcnt(4)
	s_delay_alu instid0(VALU_DEP_1) | instskip(SKIP_4) | instid1(VALU_DEP_1)
	v_fma_f64 v[2:3], v[24:25], v[20:21], v[2:3]
	scratch_load_b128 v[18:21], off, off offset:336
	s_waitcnt lgkmcnt(0)
	v_fma_f64 v[2:3], v[26:27], v[32:33], v[2:3]
	s_waitcnt vmcnt(4)
	v_fma_f64 v[2:3], v[28:29], v[34:35], v[2:3]
	ds_load_2addr_b64 v[22:25], v1 offset0:93 offset1:94
	ds_load_2addr_b64 v[26:29], v1 offset0:95 offset1:96
	s_waitcnt lgkmcnt(1)
	v_fma_f64 v[2:3], v[30:31], v[22:23], v[2:3]
	scratch_load_b128 v[30:33], off, off offset:352
	s_waitcnt vmcnt(4)
	v_fma_f64 v[2:3], v[149:150], v[24:25], v[2:3]
	scratch_load_b128 v[22:25], off, off offset:368
	s_waitcnt lgkmcnt(0)
	v_fma_f64 v[2:3], v[151:152], v[26:27], v[2:3]
	s_waitcnt vmcnt(4)
	s_delay_alu instid0(VALU_DEP_1)
	v_fma_f64 v[2:3], v[14:15], v[28:29], v[2:3]
	ds_load_2addr_b64 v[26:29], v1 offset0:97 offset1:98
	ds_load_2addr_b64 v[149:152], v1 offset0:99 offset1:100
	s_waitcnt lgkmcnt(1)
	v_fma_f64 v[2:3], v[16:17], v[26:27], v[2:3]
	scratch_load_b128 v[14:17], off, off offset:384
	s_waitcnt vmcnt(4)
	v_fma_f64 v[2:3], v[145:146], v[28:29], v[2:3]
	scratch_load_b128 v[26:29], off, off offset:400
	s_waitcnt lgkmcnt(0)
	v_fma_f64 v[2:3], v[147:148], v[149:150], v[2:3]
	s_waitcnt vmcnt(4)
	s_delay_alu instid0(VALU_DEP_1)
	v_fma_f64 v[2:3], v[18:19], v[151:152], v[2:3]
	ds_load_2addr_b64 v[145:148], v1 offset0:101 offset1:102
	ds_load_2addr_b64 v[149:152], v1 offset0:103 offset1:104
	s_waitcnt lgkmcnt(1)
	v_fma_f64 v[2:3], v[20:21], v[145:146], v[2:3]
	scratch_load_b128 v[18:21], off, off offset:416
	s_waitcnt vmcnt(4)
	v_fma_f64 v[2:3], v[30:31], v[147:148], v[2:3]
	s_waitcnt lgkmcnt(0)
	s_delay_alu instid0(VALU_DEP_1)
	v_fma_f64 v[2:3], v[32:33], v[149:150], v[2:3]
	scratch_load_b128 v[30:33], off, off offset:432
	s_waitcnt vmcnt(4)
	v_fma_f64 v[2:3], v[22:23], v[151:152], v[2:3]
	ds_load_2addr_b64 v[145:148], v1 offset0:105 offset1:106
	ds_load_2addr_b64 v[149:152], v1 offset0:107 offset1:108
	scratch_load_b64 v[34:35], off, off offset:448
	s_waitcnt lgkmcnt(1)
	v_fma_f64 v[2:3], v[24:25], v[145:146], v[2:3]
	s_waitcnt vmcnt(4)
	s_delay_alu instid0(VALU_DEP_1) | instskip(SKIP_1) | instid1(VALU_DEP_1)
	v_fma_f64 v[2:3], v[14:15], v[147:148], v[2:3]
	s_waitcnt lgkmcnt(0)
	v_fma_f64 v[2:3], v[16:17], v[149:150], v[2:3]
	ds_load_2addr_b64 v[14:17], v1 offset0:109 offset1:110
	ds_load_2addr_b64 v[22:25], v1 offset0:111 offset1:112
	s_waitcnt vmcnt(3)
	v_fma_f64 v[2:3], v[26:27], v[151:152], v[2:3]
	s_waitcnt lgkmcnt(1)
	s_delay_alu instid0(VALU_DEP_1) | instskip(SKIP_1) | instid1(VALU_DEP_1)
	v_fma_f64 v[2:3], v[28:29], v[14:15], v[2:3]
	s_waitcnt vmcnt(2)
	v_fma_f64 v[2:3], v[18:19], v[16:17], v[2:3]
	s_waitcnt lgkmcnt(0)
	s_delay_alu instid0(VALU_DEP_1) | instskip(SKIP_1) | instid1(VALU_DEP_1)
	v_fma_f64 v[2:3], v[20:21], v[22:23], v[2:3]
	s_waitcnt vmcnt(1)
	v_fma_f64 v[14:15], v[30:31], v[24:25], v[2:3]
	ds_load_2addr_b64 v[1:4], v1 offset0:113 offset1:114
	s_waitcnt lgkmcnt(0)
	v_fma_f64 v[1:2], v[32:33], v[1:2], v[14:15]
	s_waitcnt vmcnt(0)
	s_delay_alu instid0(VALU_DEP_1) | instskip(NEXT) | instid1(VALU_DEP_1)
	v_fma_f64 v[1:2], v[34:35], v[3:4], v[1:2]
	v_add_f64 v[1:2], v[12:13], -v[1:2]
	scratch_store_b64 off, v[1:2], off offset:208
	v_cmpx_lt_u32_e32 25, v0
	s_cbranch_execz .LBB56_301
; %bb.300:
	scratch_load_b64 v[1:2], off, off offset:200
	v_mov_b32_e32 v3, 0
	s_delay_alu instid0(VALU_DEP_1)
	v_mov_b32_e32 v4, v3
	scratch_store_b64 off, v[3:4], off offset:200
	s_waitcnt vmcnt(0)
	ds_store_b64 v5, v[1:2]
.LBB56_301:
	s_or_b32 exec_lo, exec_lo, s0
	s_waitcnt lgkmcnt(0)
	s_waitcnt_vscnt null, 0x0
	s_barrier
	buffer_gl0_inv
	s_clause 0x4
	scratch_load_b128 v[12:15], off, off offset:200
	scratch_load_b128 v[16:19], off, off offset:216
	;; [unrolled: 1-line block ×5, first 2 shown]
	v_mov_b32_e32 v1, 0
	ds_load_b128 v[32:35], v1 offset:672
	ds_load_b128 v[145:148], v1 offset:688
	scratch_load_b128 v[149:152], off, off offset:280
	s_mov_b32 s0, exec_lo
	s_waitcnt vmcnt(5) lgkmcnt(1)
	v_fma_f64 v[2:3], v[14:15], v[32:33], 0
	s_waitcnt vmcnt(4)
	s_delay_alu instid0(VALU_DEP_1) | instskip(SKIP_4) | instid1(VALU_DEP_1)
	v_fma_f64 v[2:3], v[16:17], v[34:35], v[2:3]
	scratch_load_b128 v[14:17], off, off offset:296
	s_waitcnt lgkmcnt(0)
	v_fma_f64 v[2:3], v[18:19], v[145:146], v[2:3]
	s_waitcnt vmcnt(4)
	v_fma_f64 v[2:3], v[20:21], v[147:148], v[2:3]
	ds_load_b128 v[18:21], v1 offset:704
	ds_load_b128 v[32:35], v1 offset:720
	scratch_load_b128 v[145:148], off, off offset:312
	s_waitcnt lgkmcnt(1)
	v_fma_f64 v[2:3], v[22:23], v[18:19], v[2:3]
	s_waitcnt vmcnt(4)
	s_delay_alu instid0(VALU_DEP_1) | instskip(SKIP_4) | instid1(VALU_DEP_1)
	v_fma_f64 v[2:3], v[24:25], v[20:21], v[2:3]
	scratch_load_b128 v[18:21], off, off offset:328
	s_waitcnt lgkmcnt(0)
	v_fma_f64 v[2:3], v[26:27], v[32:33], v[2:3]
	s_waitcnt vmcnt(4)
	v_fma_f64 v[2:3], v[28:29], v[34:35], v[2:3]
	ds_load_b128 v[22:25], v1 offset:736
	ds_load_b128 v[26:29], v1 offset:752
	s_waitcnt lgkmcnt(1)
	v_fma_f64 v[2:3], v[30:31], v[22:23], v[2:3]
	scratch_load_b128 v[30:33], off, off offset:344
	s_waitcnt vmcnt(4)
	v_fma_f64 v[2:3], v[149:150], v[24:25], v[2:3]
	scratch_load_b128 v[22:25], off, off offset:360
	s_waitcnt lgkmcnt(0)
	v_fma_f64 v[2:3], v[151:152], v[26:27], v[2:3]
	s_waitcnt vmcnt(4)
	s_delay_alu instid0(VALU_DEP_1)
	v_fma_f64 v[2:3], v[14:15], v[28:29], v[2:3]
	ds_load_b128 v[26:29], v1 offset:768
	ds_load_b128 v[149:152], v1 offset:784
	s_waitcnt lgkmcnt(1)
	v_fma_f64 v[2:3], v[16:17], v[26:27], v[2:3]
	scratch_load_b128 v[14:17], off, off offset:376
	s_waitcnt vmcnt(4)
	v_fma_f64 v[2:3], v[145:146], v[28:29], v[2:3]
	scratch_load_b128 v[26:29], off, off offset:392
	s_waitcnt lgkmcnt(0)
	v_fma_f64 v[2:3], v[147:148], v[149:150], v[2:3]
	s_waitcnt vmcnt(4)
	s_delay_alu instid0(VALU_DEP_1)
	v_fma_f64 v[2:3], v[18:19], v[151:152], v[2:3]
	ds_load_b128 v[145:148], v1 offset:800
	ds_load_b128 v[149:152], v1 offset:816
	s_waitcnt lgkmcnt(1)
	v_fma_f64 v[2:3], v[20:21], v[145:146], v[2:3]
	scratch_load_b128 v[18:21], off, off offset:408
	s_waitcnt vmcnt(4)
	v_fma_f64 v[2:3], v[30:31], v[147:148], v[2:3]
	s_waitcnt lgkmcnt(0)
	s_delay_alu instid0(VALU_DEP_1)
	v_fma_f64 v[2:3], v[32:33], v[149:150], v[2:3]
	scratch_load_b128 v[30:33], off, off offset:424
	s_waitcnt vmcnt(4)
	v_fma_f64 v[2:3], v[22:23], v[151:152], v[2:3]
	ds_load_b128 v[145:148], v1 offset:832
	ds_load_b128 v[149:152], v1 offset:848
	s_waitcnt lgkmcnt(1)
	v_fma_f64 v[2:3], v[24:25], v[145:146], v[2:3]
	scratch_load_b128 v[22:25], off, off offset:440
	s_waitcnt vmcnt(4)
	v_fma_f64 v[2:3], v[14:15], v[147:148], v[2:3]
	s_waitcnt lgkmcnt(0)
	s_delay_alu instid0(VALU_DEP_1)
	v_fma_f64 v[2:3], v[16:17], v[149:150], v[2:3]
	ds_load_b128 v[14:17], v1 offset:864
	ds_load_b128 v[145:148], v1 offset:880
	s_waitcnt vmcnt(3)
	v_fma_f64 v[2:3], v[26:27], v[151:152], v[2:3]
	s_waitcnt lgkmcnt(1)
	s_delay_alu instid0(VALU_DEP_1) | instskip(SKIP_1) | instid1(VALU_DEP_1)
	v_fma_f64 v[2:3], v[28:29], v[14:15], v[2:3]
	s_waitcnt vmcnt(2)
	v_fma_f64 v[2:3], v[18:19], v[16:17], v[2:3]
	ds_load_b128 v[14:17], v1 offset:896
	ds_load_b64 v[18:19], v1 offset:912
	s_waitcnt lgkmcnt(2)
	v_fma_f64 v[2:3], v[20:21], v[145:146], v[2:3]
	s_waitcnt vmcnt(1)
	s_delay_alu instid0(VALU_DEP_1) | instskip(SKIP_1) | instid1(VALU_DEP_1)
	v_fma_f64 v[2:3], v[30:31], v[147:148], v[2:3]
	s_waitcnt lgkmcnt(1)
	v_fma_f64 v[2:3], v[32:33], v[14:15], v[2:3]
	s_waitcnt vmcnt(0)
	s_delay_alu instid0(VALU_DEP_1) | instskip(SKIP_1) | instid1(VALU_DEP_1)
	v_fma_f64 v[2:3], v[22:23], v[16:17], v[2:3]
	s_waitcnt lgkmcnt(0)
	v_fma_f64 v[2:3], v[24:25], v[18:19], v[2:3]
	s_delay_alu instid0(VALU_DEP_1)
	v_add_f64 v[2:3], v[12:13], -v[2:3]
	scratch_store_b64 off, v[2:3], off offset:200
	v_cmpx_lt_u32_e32 24, v0
	s_cbranch_execz .LBB56_303
; %bb.302:
	scratch_load_b64 v[3:4], off, off offset:192
	v_mov_b32_e32 v2, v1
	scratch_store_b64 off, v[1:2], off offset:192
	s_waitcnt vmcnt(0)
	ds_store_b64 v5, v[3:4]
.LBB56_303:
	s_or_b32 exec_lo, exec_lo, s0
	s_waitcnt lgkmcnt(0)
	s_waitcnt_vscnt null, 0x0
	s_barrier
	buffer_gl0_inv
	s_clause 0x4
	scratch_load_b128 v[12:15], off, off offset:192
	scratch_load_b128 v[16:19], off, off offset:208
	;; [unrolled: 1-line block ×5, first 2 shown]
	ds_load_2addr_b64 v[32:35], v1 offset0:83 offset1:84
	ds_load_2addr_b64 v[145:148], v1 offset0:85 offset1:86
	scratch_load_b128 v[149:152], off, off offset:272
	s_mov_b32 s0, exec_lo
	s_waitcnt vmcnt(5) lgkmcnt(1)
	v_fma_f64 v[2:3], v[14:15], v[32:33], 0
	s_waitcnt vmcnt(4)
	s_delay_alu instid0(VALU_DEP_1) | instskip(SKIP_4) | instid1(VALU_DEP_1)
	v_fma_f64 v[2:3], v[16:17], v[34:35], v[2:3]
	scratch_load_b128 v[14:17], off, off offset:288
	s_waitcnt lgkmcnt(0)
	v_fma_f64 v[2:3], v[18:19], v[145:146], v[2:3]
	s_waitcnt vmcnt(4)
	v_fma_f64 v[2:3], v[20:21], v[147:148], v[2:3]
	ds_load_2addr_b64 v[18:21], v1 offset0:87 offset1:88
	ds_load_2addr_b64 v[32:35], v1 offset0:89 offset1:90
	scratch_load_b128 v[145:148], off, off offset:304
	s_waitcnt lgkmcnt(1)
	v_fma_f64 v[2:3], v[22:23], v[18:19], v[2:3]
	s_waitcnt vmcnt(4)
	s_delay_alu instid0(VALU_DEP_1) | instskip(SKIP_4) | instid1(VALU_DEP_1)
	v_fma_f64 v[2:3], v[24:25], v[20:21], v[2:3]
	scratch_load_b128 v[18:21], off, off offset:320
	s_waitcnt lgkmcnt(0)
	v_fma_f64 v[2:3], v[26:27], v[32:33], v[2:3]
	s_waitcnt vmcnt(4)
	v_fma_f64 v[2:3], v[28:29], v[34:35], v[2:3]
	ds_load_2addr_b64 v[22:25], v1 offset0:91 offset1:92
	ds_load_2addr_b64 v[26:29], v1 offset0:93 offset1:94
	s_waitcnt lgkmcnt(1)
	v_fma_f64 v[2:3], v[30:31], v[22:23], v[2:3]
	scratch_load_b128 v[30:33], off, off offset:336
	s_waitcnt vmcnt(4)
	v_fma_f64 v[2:3], v[149:150], v[24:25], v[2:3]
	scratch_load_b128 v[22:25], off, off offset:352
	s_waitcnt lgkmcnt(0)
	v_fma_f64 v[2:3], v[151:152], v[26:27], v[2:3]
	s_waitcnt vmcnt(4)
	s_delay_alu instid0(VALU_DEP_1)
	v_fma_f64 v[2:3], v[14:15], v[28:29], v[2:3]
	ds_load_2addr_b64 v[26:29], v1 offset0:95 offset1:96
	ds_load_2addr_b64 v[149:152], v1 offset0:97 offset1:98
	s_waitcnt lgkmcnt(1)
	v_fma_f64 v[2:3], v[16:17], v[26:27], v[2:3]
	scratch_load_b128 v[14:17], off, off offset:368
	s_waitcnt vmcnt(4)
	v_fma_f64 v[2:3], v[145:146], v[28:29], v[2:3]
	scratch_load_b128 v[26:29], off, off offset:384
	s_waitcnt lgkmcnt(0)
	v_fma_f64 v[2:3], v[147:148], v[149:150], v[2:3]
	s_waitcnt vmcnt(4)
	s_delay_alu instid0(VALU_DEP_1)
	v_fma_f64 v[2:3], v[18:19], v[151:152], v[2:3]
	ds_load_2addr_b64 v[145:148], v1 offset0:99 offset1:100
	ds_load_2addr_b64 v[149:152], v1 offset0:101 offset1:102
	s_waitcnt lgkmcnt(1)
	v_fma_f64 v[2:3], v[20:21], v[145:146], v[2:3]
	scratch_load_b128 v[18:21], off, off offset:400
	s_waitcnt vmcnt(4)
	v_fma_f64 v[2:3], v[30:31], v[147:148], v[2:3]
	s_waitcnt lgkmcnt(0)
	s_delay_alu instid0(VALU_DEP_1)
	v_fma_f64 v[2:3], v[32:33], v[149:150], v[2:3]
	scratch_load_b128 v[30:33], off, off offset:416
	s_waitcnt vmcnt(4)
	v_fma_f64 v[2:3], v[22:23], v[151:152], v[2:3]
	ds_load_2addr_b64 v[145:148], v1 offset0:103 offset1:104
	ds_load_2addr_b64 v[149:152], v1 offset0:105 offset1:106
	scratch_load_b64 v[34:35], off, off offset:448
	s_waitcnt lgkmcnt(1)
	v_fma_f64 v[2:3], v[24:25], v[145:146], v[2:3]
	scratch_load_b128 v[22:25], off, off offset:432
	s_waitcnt vmcnt(5)
	v_fma_f64 v[2:3], v[14:15], v[147:148], v[2:3]
	s_waitcnt lgkmcnt(0)
	s_delay_alu instid0(VALU_DEP_1)
	v_fma_f64 v[2:3], v[16:17], v[149:150], v[2:3]
	ds_load_2addr_b64 v[14:17], v1 offset0:107 offset1:108
	ds_load_2addr_b64 v[145:148], v1 offset0:109 offset1:110
	s_waitcnt vmcnt(4)
	v_fma_f64 v[2:3], v[26:27], v[151:152], v[2:3]
	s_waitcnt lgkmcnt(1)
	s_delay_alu instid0(VALU_DEP_1) | instskip(SKIP_1) | instid1(VALU_DEP_1)
	v_fma_f64 v[2:3], v[28:29], v[14:15], v[2:3]
	s_waitcnt vmcnt(3)
	v_fma_f64 v[2:3], v[18:19], v[16:17], v[2:3]
	s_waitcnt lgkmcnt(0)
	s_delay_alu instid0(VALU_DEP_1) | instskip(SKIP_1) | instid1(VALU_DEP_1)
	v_fma_f64 v[2:3], v[20:21], v[145:146], v[2:3]
	s_waitcnt vmcnt(2)
	v_fma_f64 v[18:19], v[30:31], v[147:148], v[2:3]
	ds_load_2addr_b64 v[14:17], v1 offset0:111 offset1:112
	ds_load_2addr_b64 v[1:4], v1 offset0:113 offset1:114
	s_waitcnt lgkmcnt(1)
	v_fma_f64 v[14:15], v[32:33], v[14:15], v[18:19]
	s_waitcnt vmcnt(0)
	s_delay_alu instid0(VALU_DEP_1) | instskip(SKIP_1) | instid1(VALU_DEP_1)
	v_fma_f64 v[14:15], v[22:23], v[16:17], v[14:15]
	s_waitcnt lgkmcnt(0)
	v_fma_f64 v[1:2], v[24:25], v[1:2], v[14:15]
	s_delay_alu instid0(VALU_DEP_1) | instskip(NEXT) | instid1(VALU_DEP_1)
	v_fma_f64 v[1:2], v[34:35], v[3:4], v[1:2]
	v_add_f64 v[1:2], v[12:13], -v[1:2]
	scratch_store_b64 off, v[1:2], off offset:192
	v_cmpx_lt_u32_e32 23, v0
	s_cbranch_execz .LBB56_305
; %bb.304:
	scratch_load_b64 v[1:2], off, off offset:184
	v_mov_b32_e32 v3, 0
	s_delay_alu instid0(VALU_DEP_1)
	v_mov_b32_e32 v4, v3
	scratch_store_b64 off, v[3:4], off offset:184
	s_waitcnt vmcnt(0)
	ds_store_b64 v5, v[1:2]
.LBB56_305:
	s_or_b32 exec_lo, exec_lo, s0
	s_waitcnt lgkmcnt(0)
	s_waitcnt_vscnt null, 0x0
	s_barrier
	buffer_gl0_inv
	s_clause 0x4
	scratch_load_b128 v[12:15], off, off offset:184
	scratch_load_b128 v[16:19], off, off offset:200
	;; [unrolled: 1-line block ×5, first 2 shown]
	v_mov_b32_e32 v1, 0
	ds_load_b128 v[32:35], v1 offset:656
	ds_load_b128 v[145:148], v1 offset:672
	scratch_load_b128 v[149:152], off, off offset:264
	s_mov_b32 s0, exec_lo
	s_waitcnt vmcnt(5) lgkmcnt(1)
	v_fma_f64 v[2:3], v[14:15], v[32:33], 0
	s_waitcnt vmcnt(4)
	s_delay_alu instid0(VALU_DEP_1) | instskip(SKIP_4) | instid1(VALU_DEP_1)
	v_fma_f64 v[2:3], v[16:17], v[34:35], v[2:3]
	scratch_load_b128 v[14:17], off, off offset:280
	s_waitcnt lgkmcnt(0)
	v_fma_f64 v[2:3], v[18:19], v[145:146], v[2:3]
	s_waitcnt vmcnt(4)
	v_fma_f64 v[2:3], v[20:21], v[147:148], v[2:3]
	ds_load_b128 v[18:21], v1 offset:688
	ds_load_b128 v[32:35], v1 offset:704
	scratch_load_b128 v[145:148], off, off offset:296
	s_waitcnt lgkmcnt(1)
	v_fma_f64 v[2:3], v[22:23], v[18:19], v[2:3]
	s_waitcnt vmcnt(4)
	s_delay_alu instid0(VALU_DEP_1) | instskip(SKIP_4) | instid1(VALU_DEP_1)
	v_fma_f64 v[2:3], v[24:25], v[20:21], v[2:3]
	scratch_load_b128 v[18:21], off, off offset:312
	s_waitcnt lgkmcnt(0)
	v_fma_f64 v[2:3], v[26:27], v[32:33], v[2:3]
	s_waitcnt vmcnt(4)
	v_fma_f64 v[2:3], v[28:29], v[34:35], v[2:3]
	ds_load_b128 v[22:25], v1 offset:720
	ds_load_b128 v[26:29], v1 offset:736
	s_waitcnt lgkmcnt(1)
	v_fma_f64 v[2:3], v[30:31], v[22:23], v[2:3]
	scratch_load_b128 v[30:33], off, off offset:328
	s_waitcnt vmcnt(4)
	v_fma_f64 v[2:3], v[149:150], v[24:25], v[2:3]
	scratch_load_b128 v[22:25], off, off offset:344
	s_waitcnt lgkmcnt(0)
	v_fma_f64 v[2:3], v[151:152], v[26:27], v[2:3]
	s_waitcnt vmcnt(4)
	s_delay_alu instid0(VALU_DEP_1)
	v_fma_f64 v[2:3], v[14:15], v[28:29], v[2:3]
	ds_load_b128 v[26:29], v1 offset:752
	ds_load_b128 v[149:152], v1 offset:768
	s_waitcnt lgkmcnt(1)
	v_fma_f64 v[2:3], v[16:17], v[26:27], v[2:3]
	scratch_load_b128 v[14:17], off, off offset:360
	s_waitcnt vmcnt(4)
	v_fma_f64 v[2:3], v[145:146], v[28:29], v[2:3]
	scratch_load_b128 v[26:29], off, off offset:376
	s_waitcnt lgkmcnt(0)
	v_fma_f64 v[2:3], v[147:148], v[149:150], v[2:3]
	s_waitcnt vmcnt(4)
	s_delay_alu instid0(VALU_DEP_1)
	v_fma_f64 v[2:3], v[18:19], v[151:152], v[2:3]
	ds_load_b128 v[145:148], v1 offset:784
	ds_load_b128 v[149:152], v1 offset:800
	s_waitcnt lgkmcnt(1)
	v_fma_f64 v[2:3], v[20:21], v[145:146], v[2:3]
	scratch_load_b128 v[18:21], off, off offset:392
	s_waitcnt vmcnt(4)
	v_fma_f64 v[2:3], v[30:31], v[147:148], v[2:3]
	s_waitcnt lgkmcnt(0)
	s_delay_alu instid0(VALU_DEP_1)
	v_fma_f64 v[2:3], v[32:33], v[149:150], v[2:3]
	scratch_load_b128 v[30:33], off, off offset:408
	s_waitcnt vmcnt(4)
	v_fma_f64 v[2:3], v[22:23], v[151:152], v[2:3]
	ds_load_b128 v[145:148], v1 offset:816
	ds_load_b128 v[149:152], v1 offset:832
	s_waitcnt lgkmcnt(1)
	v_fma_f64 v[2:3], v[24:25], v[145:146], v[2:3]
	scratch_load_b128 v[22:25], off, off offset:424
	s_waitcnt vmcnt(4)
	v_fma_f64 v[2:3], v[14:15], v[147:148], v[2:3]
	s_waitcnt lgkmcnt(0)
	s_delay_alu instid0(VALU_DEP_1)
	v_fma_f64 v[2:3], v[16:17], v[149:150], v[2:3]
	scratch_load_b128 v[14:17], off, off offset:440
	s_waitcnt vmcnt(4)
	v_fma_f64 v[2:3], v[26:27], v[151:152], v[2:3]
	ds_load_b128 v[145:148], v1 offset:848
	ds_load_b128 v[149:152], v1 offset:864
	s_waitcnt lgkmcnt(1)
	v_fma_f64 v[2:3], v[28:29], v[145:146], v[2:3]
	s_waitcnt vmcnt(3)
	s_delay_alu instid0(VALU_DEP_1) | instskip(SKIP_1) | instid1(VALU_DEP_1)
	v_fma_f64 v[2:3], v[18:19], v[147:148], v[2:3]
	s_waitcnt lgkmcnt(0)
	v_fma_f64 v[2:3], v[20:21], v[149:150], v[2:3]
	ds_load_b128 v[18:21], v1 offset:880
	ds_load_b128 v[26:29], v1 offset:896
	s_waitcnt vmcnt(2)
	v_fma_f64 v[2:3], v[30:31], v[151:152], v[2:3]
	s_waitcnt lgkmcnt(1)
	s_delay_alu instid0(VALU_DEP_1) | instskip(SKIP_1) | instid1(VALU_DEP_1)
	v_fma_f64 v[2:3], v[32:33], v[18:19], v[2:3]
	s_waitcnt vmcnt(1)
	v_fma_f64 v[2:3], v[22:23], v[20:21], v[2:3]
	s_waitcnt lgkmcnt(0)
	s_delay_alu instid0(VALU_DEP_1) | instskip(SKIP_1) | instid1(VALU_DEP_1)
	v_fma_f64 v[2:3], v[24:25], v[26:27], v[2:3]
	s_waitcnt vmcnt(0)
	v_fma_f64 v[2:3], v[14:15], v[28:29], v[2:3]
	ds_load_b64 v[14:15], v1 offset:912
	s_waitcnt lgkmcnt(0)
	v_fma_f64 v[2:3], v[16:17], v[14:15], v[2:3]
	s_delay_alu instid0(VALU_DEP_1)
	v_add_f64 v[2:3], v[12:13], -v[2:3]
	scratch_store_b64 off, v[2:3], off offset:184
	v_cmpx_lt_u32_e32 22, v0
	s_cbranch_execz .LBB56_307
; %bb.306:
	scratch_load_b64 v[3:4], off, off offset:176
	v_mov_b32_e32 v2, v1
	scratch_store_b64 off, v[1:2], off offset:176
	s_waitcnt vmcnt(0)
	ds_store_b64 v5, v[3:4]
.LBB56_307:
	s_or_b32 exec_lo, exec_lo, s0
	s_waitcnt lgkmcnt(0)
	s_waitcnt_vscnt null, 0x0
	s_barrier
	buffer_gl0_inv
	s_clause 0x4
	scratch_load_b128 v[12:15], off, off offset:176
	scratch_load_b128 v[16:19], off, off offset:192
	;; [unrolled: 1-line block ×5, first 2 shown]
	ds_load_2addr_b64 v[32:35], v1 offset0:81 offset1:82
	ds_load_2addr_b64 v[145:148], v1 offset0:83 offset1:84
	scratch_load_b128 v[149:152], off, off offset:256
	s_mov_b32 s0, exec_lo
	s_waitcnt vmcnt(5) lgkmcnt(1)
	v_fma_f64 v[2:3], v[14:15], v[32:33], 0
	s_waitcnt vmcnt(4)
	s_delay_alu instid0(VALU_DEP_1) | instskip(SKIP_4) | instid1(VALU_DEP_1)
	v_fma_f64 v[2:3], v[16:17], v[34:35], v[2:3]
	scratch_load_b128 v[14:17], off, off offset:272
	s_waitcnt lgkmcnt(0)
	v_fma_f64 v[2:3], v[18:19], v[145:146], v[2:3]
	s_waitcnt vmcnt(4)
	v_fma_f64 v[2:3], v[20:21], v[147:148], v[2:3]
	ds_load_2addr_b64 v[18:21], v1 offset0:85 offset1:86
	ds_load_2addr_b64 v[32:35], v1 offset0:87 offset1:88
	scratch_load_b128 v[145:148], off, off offset:288
	s_waitcnt lgkmcnt(1)
	v_fma_f64 v[2:3], v[22:23], v[18:19], v[2:3]
	s_waitcnt vmcnt(4)
	s_delay_alu instid0(VALU_DEP_1) | instskip(SKIP_4) | instid1(VALU_DEP_1)
	v_fma_f64 v[2:3], v[24:25], v[20:21], v[2:3]
	scratch_load_b128 v[18:21], off, off offset:304
	s_waitcnt lgkmcnt(0)
	v_fma_f64 v[2:3], v[26:27], v[32:33], v[2:3]
	s_waitcnt vmcnt(4)
	v_fma_f64 v[2:3], v[28:29], v[34:35], v[2:3]
	ds_load_2addr_b64 v[22:25], v1 offset0:89 offset1:90
	ds_load_2addr_b64 v[26:29], v1 offset0:91 offset1:92
	s_waitcnt lgkmcnt(1)
	v_fma_f64 v[2:3], v[30:31], v[22:23], v[2:3]
	scratch_load_b128 v[30:33], off, off offset:320
	s_waitcnt vmcnt(4)
	v_fma_f64 v[2:3], v[149:150], v[24:25], v[2:3]
	scratch_load_b128 v[22:25], off, off offset:336
	s_waitcnt lgkmcnt(0)
	v_fma_f64 v[2:3], v[151:152], v[26:27], v[2:3]
	s_waitcnt vmcnt(4)
	s_delay_alu instid0(VALU_DEP_1)
	v_fma_f64 v[2:3], v[14:15], v[28:29], v[2:3]
	ds_load_2addr_b64 v[26:29], v1 offset0:93 offset1:94
	ds_load_2addr_b64 v[149:152], v1 offset0:95 offset1:96
	s_waitcnt lgkmcnt(1)
	v_fma_f64 v[2:3], v[16:17], v[26:27], v[2:3]
	scratch_load_b128 v[14:17], off, off offset:352
	s_waitcnt vmcnt(4)
	v_fma_f64 v[2:3], v[145:146], v[28:29], v[2:3]
	scratch_load_b128 v[26:29], off, off offset:368
	s_waitcnt lgkmcnt(0)
	v_fma_f64 v[2:3], v[147:148], v[149:150], v[2:3]
	s_waitcnt vmcnt(4)
	s_delay_alu instid0(VALU_DEP_1)
	v_fma_f64 v[2:3], v[18:19], v[151:152], v[2:3]
	ds_load_2addr_b64 v[145:148], v1 offset0:97 offset1:98
	ds_load_2addr_b64 v[149:152], v1 offset0:99 offset1:100
	s_waitcnt lgkmcnt(1)
	v_fma_f64 v[2:3], v[20:21], v[145:146], v[2:3]
	scratch_load_b128 v[18:21], off, off offset:384
	s_waitcnt vmcnt(4)
	v_fma_f64 v[2:3], v[30:31], v[147:148], v[2:3]
	s_waitcnt lgkmcnt(0)
	s_delay_alu instid0(VALU_DEP_1)
	v_fma_f64 v[2:3], v[32:33], v[149:150], v[2:3]
	scratch_load_b128 v[30:33], off, off offset:400
	s_waitcnt vmcnt(4)
	v_fma_f64 v[2:3], v[22:23], v[151:152], v[2:3]
	ds_load_2addr_b64 v[145:148], v1 offset0:101 offset1:102
	ds_load_2addr_b64 v[149:152], v1 offset0:103 offset1:104
	s_waitcnt lgkmcnt(1)
	v_fma_f64 v[2:3], v[24:25], v[145:146], v[2:3]
	scratch_load_b128 v[22:25], off, off offset:416
	s_waitcnt vmcnt(4)
	v_fma_f64 v[2:3], v[14:15], v[147:148], v[2:3]
	s_waitcnt lgkmcnt(0)
	s_delay_alu instid0(VALU_DEP_1)
	v_fma_f64 v[2:3], v[16:17], v[149:150], v[2:3]
	scratch_load_b128 v[14:17], off, off offset:432
	s_waitcnt vmcnt(4)
	v_fma_f64 v[2:3], v[26:27], v[151:152], v[2:3]
	ds_load_2addr_b64 v[145:148], v1 offset0:105 offset1:106
	ds_load_2addr_b64 v[149:152], v1 offset0:107 offset1:108
	scratch_load_b64 v[34:35], off, off offset:448
	s_waitcnt lgkmcnt(1)
	v_fma_f64 v[2:3], v[28:29], v[145:146], v[2:3]
	s_waitcnt vmcnt(4)
	s_delay_alu instid0(VALU_DEP_1) | instskip(SKIP_1) | instid1(VALU_DEP_1)
	v_fma_f64 v[2:3], v[18:19], v[147:148], v[2:3]
	s_waitcnt lgkmcnt(0)
	v_fma_f64 v[2:3], v[20:21], v[149:150], v[2:3]
	ds_load_2addr_b64 v[18:21], v1 offset0:109 offset1:110
	ds_load_2addr_b64 v[26:29], v1 offset0:111 offset1:112
	s_waitcnt vmcnt(3)
	v_fma_f64 v[2:3], v[30:31], v[151:152], v[2:3]
	s_waitcnt lgkmcnt(1)
	s_delay_alu instid0(VALU_DEP_1) | instskip(SKIP_1) | instid1(VALU_DEP_1)
	v_fma_f64 v[2:3], v[32:33], v[18:19], v[2:3]
	s_waitcnt vmcnt(2)
	v_fma_f64 v[2:3], v[22:23], v[20:21], v[2:3]
	s_waitcnt lgkmcnt(0)
	s_delay_alu instid0(VALU_DEP_1) | instskip(SKIP_1) | instid1(VALU_DEP_1)
	v_fma_f64 v[2:3], v[24:25], v[26:27], v[2:3]
	s_waitcnt vmcnt(1)
	v_fma_f64 v[14:15], v[14:15], v[28:29], v[2:3]
	ds_load_2addr_b64 v[1:4], v1 offset0:113 offset1:114
	s_waitcnt lgkmcnt(0)
	v_fma_f64 v[1:2], v[16:17], v[1:2], v[14:15]
	s_waitcnt vmcnt(0)
	s_delay_alu instid0(VALU_DEP_1) | instskip(NEXT) | instid1(VALU_DEP_1)
	v_fma_f64 v[1:2], v[34:35], v[3:4], v[1:2]
	v_add_f64 v[1:2], v[12:13], -v[1:2]
	scratch_store_b64 off, v[1:2], off offset:176
	v_cmpx_lt_u32_e32 21, v0
	s_cbranch_execz .LBB56_309
; %bb.308:
	scratch_load_b64 v[1:2], off, off offset:168
	v_mov_b32_e32 v3, 0
	s_delay_alu instid0(VALU_DEP_1)
	v_mov_b32_e32 v4, v3
	scratch_store_b64 off, v[3:4], off offset:168
	s_waitcnt vmcnt(0)
	ds_store_b64 v5, v[1:2]
.LBB56_309:
	s_or_b32 exec_lo, exec_lo, s0
	s_waitcnt lgkmcnt(0)
	s_waitcnt_vscnt null, 0x0
	s_barrier
	buffer_gl0_inv
	s_clause 0x4
	scratch_load_b128 v[12:15], off, off offset:168
	scratch_load_b128 v[16:19], off, off offset:184
	;; [unrolled: 1-line block ×5, first 2 shown]
	v_mov_b32_e32 v1, 0
	ds_load_b128 v[32:35], v1 offset:640
	ds_load_b128 v[145:148], v1 offset:656
	scratch_load_b128 v[149:152], off, off offset:248
	s_mov_b32 s0, exec_lo
	s_waitcnt vmcnt(5) lgkmcnt(1)
	v_fma_f64 v[2:3], v[14:15], v[32:33], 0
	s_waitcnt vmcnt(4)
	s_delay_alu instid0(VALU_DEP_1) | instskip(SKIP_4) | instid1(VALU_DEP_1)
	v_fma_f64 v[2:3], v[16:17], v[34:35], v[2:3]
	scratch_load_b128 v[14:17], off, off offset:264
	s_waitcnt lgkmcnt(0)
	v_fma_f64 v[2:3], v[18:19], v[145:146], v[2:3]
	s_waitcnt vmcnt(4)
	v_fma_f64 v[2:3], v[20:21], v[147:148], v[2:3]
	ds_load_b128 v[18:21], v1 offset:672
	ds_load_b128 v[32:35], v1 offset:688
	scratch_load_b128 v[145:148], off, off offset:280
	s_waitcnt lgkmcnt(1)
	v_fma_f64 v[2:3], v[22:23], v[18:19], v[2:3]
	s_waitcnt vmcnt(4)
	s_delay_alu instid0(VALU_DEP_1) | instskip(SKIP_4) | instid1(VALU_DEP_1)
	v_fma_f64 v[2:3], v[24:25], v[20:21], v[2:3]
	scratch_load_b128 v[18:21], off, off offset:296
	s_waitcnt lgkmcnt(0)
	v_fma_f64 v[2:3], v[26:27], v[32:33], v[2:3]
	s_waitcnt vmcnt(4)
	v_fma_f64 v[2:3], v[28:29], v[34:35], v[2:3]
	ds_load_b128 v[22:25], v1 offset:704
	ds_load_b128 v[26:29], v1 offset:720
	s_waitcnt lgkmcnt(1)
	v_fma_f64 v[2:3], v[30:31], v[22:23], v[2:3]
	scratch_load_b128 v[30:33], off, off offset:312
	s_waitcnt vmcnt(4)
	v_fma_f64 v[2:3], v[149:150], v[24:25], v[2:3]
	scratch_load_b128 v[22:25], off, off offset:328
	s_waitcnt lgkmcnt(0)
	v_fma_f64 v[2:3], v[151:152], v[26:27], v[2:3]
	s_waitcnt vmcnt(4)
	s_delay_alu instid0(VALU_DEP_1)
	v_fma_f64 v[2:3], v[14:15], v[28:29], v[2:3]
	ds_load_b128 v[26:29], v1 offset:736
	ds_load_b128 v[149:152], v1 offset:752
	s_waitcnt lgkmcnt(1)
	v_fma_f64 v[2:3], v[16:17], v[26:27], v[2:3]
	scratch_load_b128 v[14:17], off, off offset:344
	s_waitcnt vmcnt(4)
	v_fma_f64 v[2:3], v[145:146], v[28:29], v[2:3]
	scratch_load_b128 v[26:29], off, off offset:360
	s_waitcnt lgkmcnt(0)
	v_fma_f64 v[2:3], v[147:148], v[149:150], v[2:3]
	s_waitcnt vmcnt(4)
	s_delay_alu instid0(VALU_DEP_1)
	v_fma_f64 v[2:3], v[18:19], v[151:152], v[2:3]
	ds_load_b128 v[145:148], v1 offset:768
	ds_load_b128 v[149:152], v1 offset:784
	s_waitcnt lgkmcnt(1)
	v_fma_f64 v[2:3], v[20:21], v[145:146], v[2:3]
	scratch_load_b128 v[18:21], off, off offset:376
	s_waitcnt vmcnt(4)
	v_fma_f64 v[2:3], v[30:31], v[147:148], v[2:3]
	s_waitcnt lgkmcnt(0)
	s_delay_alu instid0(VALU_DEP_1)
	v_fma_f64 v[2:3], v[32:33], v[149:150], v[2:3]
	scratch_load_b128 v[30:33], off, off offset:392
	s_waitcnt vmcnt(4)
	v_fma_f64 v[2:3], v[22:23], v[151:152], v[2:3]
	ds_load_b128 v[145:148], v1 offset:800
	ds_load_b128 v[149:152], v1 offset:816
	s_waitcnt lgkmcnt(1)
	v_fma_f64 v[2:3], v[24:25], v[145:146], v[2:3]
	scratch_load_b128 v[22:25], off, off offset:408
	s_waitcnt vmcnt(4)
	v_fma_f64 v[2:3], v[14:15], v[147:148], v[2:3]
	s_waitcnt lgkmcnt(0)
	s_delay_alu instid0(VALU_DEP_1)
	v_fma_f64 v[2:3], v[16:17], v[149:150], v[2:3]
	scratch_load_b128 v[14:17], off, off offset:424
	s_waitcnt vmcnt(4)
	v_fma_f64 v[2:3], v[26:27], v[151:152], v[2:3]
	ds_load_b128 v[145:148], v1 offset:832
	ds_load_b128 v[149:152], v1 offset:848
	s_waitcnt lgkmcnt(1)
	v_fma_f64 v[2:3], v[28:29], v[145:146], v[2:3]
	scratch_load_b128 v[26:29], off, off offset:440
	s_waitcnt vmcnt(4)
	v_fma_f64 v[2:3], v[18:19], v[147:148], v[2:3]
	s_waitcnt lgkmcnt(0)
	s_delay_alu instid0(VALU_DEP_1)
	v_fma_f64 v[2:3], v[20:21], v[149:150], v[2:3]
	ds_load_b128 v[18:21], v1 offset:864
	ds_load_b128 v[145:148], v1 offset:880
	s_waitcnt vmcnt(3)
	v_fma_f64 v[2:3], v[30:31], v[151:152], v[2:3]
	s_waitcnt lgkmcnt(1)
	s_delay_alu instid0(VALU_DEP_1) | instskip(SKIP_1) | instid1(VALU_DEP_1)
	v_fma_f64 v[2:3], v[32:33], v[18:19], v[2:3]
	s_waitcnt vmcnt(2)
	v_fma_f64 v[2:3], v[22:23], v[20:21], v[2:3]
	s_waitcnt lgkmcnt(0)
	s_delay_alu instid0(VALU_DEP_1) | instskip(SKIP_1) | instid1(VALU_DEP_1)
	v_fma_f64 v[2:3], v[24:25], v[145:146], v[2:3]
	s_waitcnt vmcnt(1)
	v_fma_f64 v[2:3], v[14:15], v[147:148], v[2:3]
	ds_load_b128 v[18:21], v1 offset:896
	ds_load_b64 v[14:15], v1 offset:912
	s_waitcnt lgkmcnt(1)
	v_fma_f64 v[2:3], v[16:17], v[18:19], v[2:3]
	s_waitcnt vmcnt(0)
	s_delay_alu instid0(VALU_DEP_1) | instskip(SKIP_1) | instid1(VALU_DEP_1)
	v_fma_f64 v[2:3], v[26:27], v[20:21], v[2:3]
	s_waitcnt lgkmcnt(0)
	v_fma_f64 v[2:3], v[28:29], v[14:15], v[2:3]
	s_delay_alu instid0(VALU_DEP_1)
	v_add_f64 v[2:3], v[12:13], -v[2:3]
	scratch_store_b64 off, v[2:3], off offset:168
	v_cmpx_lt_u32_e32 20, v0
	s_cbranch_execz .LBB56_311
; %bb.310:
	scratch_load_b64 v[3:4], off, off offset:160
	v_mov_b32_e32 v2, v1
	scratch_store_b64 off, v[1:2], off offset:160
	s_waitcnt vmcnt(0)
	ds_store_b64 v5, v[3:4]
.LBB56_311:
	s_or_b32 exec_lo, exec_lo, s0
	s_waitcnt lgkmcnt(0)
	s_waitcnt_vscnt null, 0x0
	s_barrier
	buffer_gl0_inv
	s_clause 0x4
	scratch_load_b128 v[12:15], off, off offset:160
	scratch_load_b128 v[16:19], off, off offset:176
	;; [unrolled: 1-line block ×5, first 2 shown]
	ds_load_2addr_b64 v[32:35], v1 offset0:79 offset1:80
	ds_load_2addr_b64 v[145:148], v1 offset0:81 offset1:82
	scratch_load_b128 v[149:152], off, off offset:240
	s_mov_b32 s0, exec_lo
	s_waitcnt vmcnt(5) lgkmcnt(1)
	v_fma_f64 v[2:3], v[14:15], v[32:33], 0
	s_waitcnt vmcnt(4)
	s_delay_alu instid0(VALU_DEP_1) | instskip(SKIP_4) | instid1(VALU_DEP_1)
	v_fma_f64 v[2:3], v[16:17], v[34:35], v[2:3]
	scratch_load_b128 v[14:17], off, off offset:256
	s_waitcnt lgkmcnt(0)
	v_fma_f64 v[2:3], v[18:19], v[145:146], v[2:3]
	s_waitcnt vmcnt(4)
	v_fma_f64 v[2:3], v[20:21], v[147:148], v[2:3]
	ds_load_2addr_b64 v[18:21], v1 offset0:83 offset1:84
	ds_load_2addr_b64 v[32:35], v1 offset0:85 offset1:86
	scratch_load_b128 v[145:148], off, off offset:272
	s_waitcnt lgkmcnt(1)
	v_fma_f64 v[2:3], v[22:23], v[18:19], v[2:3]
	s_waitcnt vmcnt(4)
	s_delay_alu instid0(VALU_DEP_1) | instskip(SKIP_4) | instid1(VALU_DEP_1)
	v_fma_f64 v[2:3], v[24:25], v[20:21], v[2:3]
	scratch_load_b128 v[18:21], off, off offset:288
	s_waitcnt lgkmcnt(0)
	v_fma_f64 v[2:3], v[26:27], v[32:33], v[2:3]
	s_waitcnt vmcnt(4)
	v_fma_f64 v[2:3], v[28:29], v[34:35], v[2:3]
	ds_load_2addr_b64 v[22:25], v1 offset0:87 offset1:88
	ds_load_2addr_b64 v[26:29], v1 offset0:89 offset1:90
	s_waitcnt lgkmcnt(1)
	v_fma_f64 v[2:3], v[30:31], v[22:23], v[2:3]
	scratch_load_b128 v[30:33], off, off offset:304
	s_waitcnt vmcnt(4)
	v_fma_f64 v[2:3], v[149:150], v[24:25], v[2:3]
	scratch_load_b128 v[22:25], off, off offset:320
	s_waitcnt lgkmcnt(0)
	v_fma_f64 v[2:3], v[151:152], v[26:27], v[2:3]
	s_waitcnt vmcnt(4)
	s_delay_alu instid0(VALU_DEP_1)
	v_fma_f64 v[2:3], v[14:15], v[28:29], v[2:3]
	ds_load_2addr_b64 v[26:29], v1 offset0:91 offset1:92
	ds_load_2addr_b64 v[149:152], v1 offset0:93 offset1:94
	s_waitcnt lgkmcnt(1)
	v_fma_f64 v[2:3], v[16:17], v[26:27], v[2:3]
	scratch_load_b128 v[14:17], off, off offset:336
	s_waitcnt vmcnt(4)
	v_fma_f64 v[2:3], v[145:146], v[28:29], v[2:3]
	scratch_load_b128 v[26:29], off, off offset:352
	s_waitcnt lgkmcnt(0)
	v_fma_f64 v[2:3], v[147:148], v[149:150], v[2:3]
	s_waitcnt vmcnt(4)
	s_delay_alu instid0(VALU_DEP_1)
	v_fma_f64 v[2:3], v[18:19], v[151:152], v[2:3]
	ds_load_2addr_b64 v[145:148], v1 offset0:95 offset1:96
	ds_load_2addr_b64 v[149:152], v1 offset0:97 offset1:98
	s_waitcnt lgkmcnt(1)
	v_fma_f64 v[2:3], v[20:21], v[145:146], v[2:3]
	scratch_load_b128 v[18:21], off, off offset:368
	s_waitcnt vmcnt(4)
	v_fma_f64 v[2:3], v[30:31], v[147:148], v[2:3]
	s_waitcnt lgkmcnt(0)
	s_delay_alu instid0(VALU_DEP_1)
	v_fma_f64 v[2:3], v[32:33], v[149:150], v[2:3]
	scratch_load_b128 v[30:33], off, off offset:384
	s_waitcnt vmcnt(4)
	v_fma_f64 v[2:3], v[22:23], v[151:152], v[2:3]
	ds_load_2addr_b64 v[145:148], v1 offset0:99 offset1:100
	ds_load_2addr_b64 v[149:152], v1 offset0:101 offset1:102
	s_waitcnt lgkmcnt(1)
	v_fma_f64 v[2:3], v[24:25], v[145:146], v[2:3]
	scratch_load_b128 v[22:25], off, off offset:400
	s_waitcnt vmcnt(4)
	v_fma_f64 v[2:3], v[14:15], v[147:148], v[2:3]
	s_waitcnt lgkmcnt(0)
	s_delay_alu instid0(VALU_DEP_1)
	v_fma_f64 v[2:3], v[16:17], v[149:150], v[2:3]
	scratch_load_b128 v[14:17], off, off offset:416
	s_waitcnt vmcnt(4)
	v_fma_f64 v[2:3], v[26:27], v[151:152], v[2:3]
	ds_load_2addr_b64 v[145:148], v1 offset0:103 offset1:104
	ds_load_2addr_b64 v[149:152], v1 offset0:105 offset1:106
	scratch_load_b64 v[34:35], off, off offset:448
	s_waitcnt lgkmcnt(1)
	v_fma_f64 v[2:3], v[28:29], v[145:146], v[2:3]
	scratch_load_b128 v[26:29], off, off offset:432
	s_waitcnt vmcnt(5)
	v_fma_f64 v[2:3], v[18:19], v[147:148], v[2:3]
	s_waitcnt lgkmcnt(0)
	s_delay_alu instid0(VALU_DEP_1)
	v_fma_f64 v[2:3], v[20:21], v[149:150], v[2:3]
	ds_load_2addr_b64 v[18:21], v1 offset0:107 offset1:108
	ds_load_2addr_b64 v[145:148], v1 offset0:109 offset1:110
	s_waitcnt vmcnt(4)
	v_fma_f64 v[2:3], v[30:31], v[151:152], v[2:3]
	s_waitcnt lgkmcnt(1)
	s_delay_alu instid0(VALU_DEP_1) | instskip(SKIP_1) | instid1(VALU_DEP_1)
	v_fma_f64 v[2:3], v[32:33], v[18:19], v[2:3]
	s_waitcnt vmcnt(3)
	v_fma_f64 v[2:3], v[22:23], v[20:21], v[2:3]
	s_waitcnt lgkmcnt(0)
	s_delay_alu instid0(VALU_DEP_1) | instskip(SKIP_1) | instid1(VALU_DEP_1)
	v_fma_f64 v[2:3], v[24:25], v[145:146], v[2:3]
	s_waitcnt vmcnt(2)
	v_fma_f64 v[14:15], v[14:15], v[147:148], v[2:3]
	ds_load_2addr_b64 v[18:21], v1 offset0:111 offset1:112
	ds_load_2addr_b64 v[1:4], v1 offset0:113 offset1:114
	s_waitcnt lgkmcnt(1)
	v_fma_f64 v[14:15], v[16:17], v[18:19], v[14:15]
	s_waitcnt vmcnt(0)
	s_delay_alu instid0(VALU_DEP_1) | instskip(SKIP_1) | instid1(VALU_DEP_1)
	v_fma_f64 v[14:15], v[26:27], v[20:21], v[14:15]
	s_waitcnt lgkmcnt(0)
	v_fma_f64 v[1:2], v[28:29], v[1:2], v[14:15]
	s_delay_alu instid0(VALU_DEP_1) | instskip(NEXT) | instid1(VALU_DEP_1)
	v_fma_f64 v[1:2], v[34:35], v[3:4], v[1:2]
	v_add_f64 v[1:2], v[12:13], -v[1:2]
	scratch_store_b64 off, v[1:2], off offset:160
	v_cmpx_lt_u32_e32 19, v0
	s_cbranch_execz .LBB56_313
; %bb.312:
	scratch_load_b64 v[1:2], off, off offset:152
	v_mov_b32_e32 v3, 0
	s_delay_alu instid0(VALU_DEP_1)
	v_mov_b32_e32 v4, v3
	scratch_store_b64 off, v[3:4], off offset:152
	s_waitcnt vmcnt(0)
	ds_store_b64 v5, v[1:2]
.LBB56_313:
	s_or_b32 exec_lo, exec_lo, s0
	s_waitcnt lgkmcnt(0)
	s_waitcnt_vscnt null, 0x0
	s_barrier
	buffer_gl0_inv
	s_clause 0x4
	scratch_load_b128 v[12:15], off, off offset:152
	scratch_load_b128 v[16:19], off, off offset:168
	;; [unrolled: 1-line block ×5, first 2 shown]
	v_mov_b32_e32 v1, 0
	ds_load_b128 v[32:35], v1 offset:624
	ds_load_b128 v[145:148], v1 offset:640
	scratch_load_b128 v[149:152], off, off offset:232
	s_mov_b32 s0, exec_lo
	s_waitcnt vmcnt(5) lgkmcnt(1)
	v_fma_f64 v[2:3], v[14:15], v[32:33], 0
	s_waitcnt vmcnt(4)
	s_delay_alu instid0(VALU_DEP_1) | instskip(SKIP_4) | instid1(VALU_DEP_1)
	v_fma_f64 v[2:3], v[16:17], v[34:35], v[2:3]
	scratch_load_b128 v[14:17], off, off offset:248
	s_waitcnt lgkmcnt(0)
	v_fma_f64 v[2:3], v[18:19], v[145:146], v[2:3]
	s_waitcnt vmcnt(4)
	v_fma_f64 v[2:3], v[20:21], v[147:148], v[2:3]
	ds_load_b128 v[18:21], v1 offset:656
	ds_load_b128 v[32:35], v1 offset:672
	scratch_load_b128 v[145:148], off, off offset:264
	s_waitcnt lgkmcnt(1)
	v_fma_f64 v[2:3], v[22:23], v[18:19], v[2:3]
	s_waitcnt vmcnt(4)
	s_delay_alu instid0(VALU_DEP_1) | instskip(SKIP_4) | instid1(VALU_DEP_1)
	v_fma_f64 v[2:3], v[24:25], v[20:21], v[2:3]
	scratch_load_b128 v[18:21], off, off offset:280
	s_waitcnt lgkmcnt(0)
	v_fma_f64 v[2:3], v[26:27], v[32:33], v[2:3]
	s_waitcnt vmcnt(4)
	v_fma_f64 v[2:3], v[28:29], v[34:35], v[2:3]
	ds_load_b128 v[22:25], v1 offset:688
	ds_load_b128 v[26:29], v1 offset:704
	s_waitcnt lgkmcnt(1)
	v_fma_f64 v[2:3], v[30:31], v[22:23], v[2:3]
	scratch_load_b128 v[30:33], off, off offset:296
	s_waitcnt vmcnt(4)
	v_fma_f64 v[2:3], v[149:150], v[24:25], v[2:3]
	scratch_load_b128 v[22:25], off, off offset:312
	s_waitcnt lgkmcnt(0)
	v_fma_f64 v[2:3], v[151:152], v[26:27], v[2:3]
	s_waitcnt vmcnt(4)
	s_delay_alu instid0(VALU_DEP_1)
	v_fma_f64 v[2:3], v[14:15], v[28:29], v[2:3]
	ds_load_b128 v[26:29], v1 offset:720
	ds_load_b128 v[149:152], v1 offset:736
	s_waitcnt lgkmcnt(1)
	v_fma_f64 v[2:3], v[16:17], v[26:27], v[2:3]
	scratch_load_b128 v[14:17], off, off offset:328
	s_waitcnt vmcnt(4)
	v_fma_f64 v[2:3], v[145:146], v[28:29], v[2:3]
	scratch_load_b128 v[26:29], off, off offset:344
	s_waitcnt lgkmcnt(0)
	v_fma_f64 v[2:3], v[147:148], v[149:150], v[2:3]
	s_waitcnt vmcnt(4)
	s_delay_alu instid0(VALU_DEP_1)
	v_fma_f64 v[2:3], v[18:19], v[151:152], v[2:3]
	ds_load_b128 v[145:148], v1 offset:752
	ds_load_b128 v[149:152], v1 offset:768
	s_waitcnt lgkmcnt(1)
	v_fma_f64 v[2:3], v[20:21], v[145:146], v[2:3]
	scratch_load_b128 v[18:21], off, off offset:360
	s_waitcnt vmcnt(4)
	v_fma_f64 v[2:3], v[30:31], v[147:148], v[2:3]
	s_waitcnt lgkmcnt(0)
	s_delay_alu instid0(VALU_DEP_1)
	v_fma_f64 v[2:3], v[32:33], v[149:150], v[2:3]
	scratch_load_b128 v[30:33], off, off offset:376
	s_waitcnt vmcnt(4)
	v_fma_f64 v[2:3], v[22:23], v[151:152], v[2:3]
	ds_load_b128 v[145:148], v1 offset:784
	ds_load_b128 v[149:152], v1 offset:800
	s_waitcnt lgkmcnt(1)
	v_fma_f64 v[2:3], v[24:25], v[145:146], v[2:3]
	scratch_load_b128 v[22:25], off, off offset:392
	s_waitcnt vmcnt(4)
	v_fma_f64 v[2:3], v[14:15], v[147:148], v[2:3]
	s_waitcnt lgkmcnt(0)
	s_delay_alu instid0(VALU_DEP_1)
	v_fma_f64 v[2:3], v[16:17], v[149:150], v[2:3]
	scratch_load_b128 v[14:17], off, off offset:408
	s_waitcnt vmcnt(4)
	;; [unrolled: 13-line block ×3, first 2 shown]
	v_fma_f64 v[2:3], v[30:31], v[151:152], v[2:3]
	ds_load_b128 v[145:148], v1 offset:848
	ds_load_b128 v[149:152], v1 offset:864
	s_waitcnt lgkmcnt(1)
	v_fma_f64 v[2:3], v[32:33], v[145:146], v[2:3]
	s_waitcnt vmcnt(3)
	s_delay_alu instid0(VALU_DEP_1) | instskip(SKIP_1) | instid1(VALU_DEP_1)
	v_fma_f64 v[2:3], v[22:23], v[147:148], v[2:3]
	s_waitcnt lgkmcnt(0)
	v_fma_f64 v[2:3], v[24:25], v[149:150], v[2:3]
	ds_load_b128 v[22:25], v1 offset:880
	ds_load_b128 v[30:33], v1 offset:896
	s_waitcnt vmcnt(2)
	v_fma_f64 v[2:3], v[14:15], v[151:152], v[2:3]
	ds_load_b64 v[14:15], v1 offset:912
	s_waitcnt lgkmcnt(2)
	v_fma_f64 v[2:3], v[16:17], v[22:23], v[2:3]
	s_waitcnt vmcnt(1)
	s_delay_alu instid0(VALU_DEP_1) | instskip(SKIP_1) | instid1(VALU_DEP_1)
	v_fma_f64 v[2:3], v[26:27], v[24:25], v[2:3]
	s_waitcnt lgkmcnt(1)
	v_fma_f64 v[2:3], v[28:29], v[30:31], v[2:3]
	s_waitcnt vmcnt(0)
	s_delay_alu instid0(VALU_DEP_1) | instskip(SKIP_1) | instid1(VALU_DEP_1)
	v_fma_f64 v[2:3], v[18:19], v[32:33], v[2:3]
	s_waitcnt lgkmcnt(0)
	v_fma_f64 v[2:3], v[20:21], v[14:15], v[2:3]
	s_delay_alu instid0(VALU_DEP_1)
	v_add_f64 v[2:3], v[12:13], -v[2:3]
	scratch_store_b64 off, v[2:3], off offset:152
	v_cmpx_lt_u32_e32 18, v0
	s_cbranch_execz .LBB56_315
; %bb.314:
	scratch_load_b64 v[3:4], off, off offset:144
	v_mov_b32_e32 v2, v1
	scratch_store_b64 off, v[1:2], off offset:144
	s_waitcnt vmcnt(0)
	ds_store_b64 v5, v[3:4]
.LBB56_315:
	s_or_b32 exec_lo, exec_lo, s0
	s_waitcnt lgkmcnt(0)
	s_waitcnt_vscnt null, 0x0
	s_barrier
	buffer_gl0_inv
	s_clause 0x4
	scratch_load_b128 v[12:15], off, off offset:144
	scratch_load_b128 v[16:19], off, off offset:160
	;; [unrolled: 1-line block ×5, first 2 shown]
	ds_load_2addr_b64 v[32:35], v1 offset0:77 offset1:78
	ds_load_2addr_b64 v[145:148], v1 offset0:79 offset1:80
	scratch_load_b128 v[149:152], off, off offset:224
	s_mov_b32 s0, exec_lo
	s_waitcnt vmcnt(5) lgkmcnt(1)
	v_fma_f64 v[2:3], v[14:15], v[32:33], 0
	s_waitcnt vmcnt(4)
	s_delay_alu instid0(VALU_DEP_1) | instskip(SKIP_4) | instid1(VALU_DEP_1)
	v_fma_f64 v[2:3], v[16:17], v[34:35], v[2:3]
	scratch_load_b128 v[14:17], off, off offset:240
	s_waitcnt lgkmcnt(0)
	v_fma_f64 v[2:3], v[18:19], v[145:146], v[2:3]
	s_waitcnt vmcnt(4)
	v_fma_f64 v[2:3], v[20:21], v[147:148], v[2:3]
	ds_load_2addr_b64 v[18:21], v1 offset0:81 offset1:82
	ds_load_2addr_b64 v[32:35], v1 offset0:83 offset1:84
	scratch_load_b128 v[145:148], off, off offset:256
	s_waitcnt lgkmcnt(1)
	v_fma_f64 v[2:3], v[22:23], v[18:19], v[2:3]
	s_waitcnt vmcnt(4)
	s_delay_alu instid0(VALU_DEP_1) | instskip(SKIP_4) | instid1(VALU_DEP_1)
	v_fma_f64 v[2:3], v[24:25], v[20:21], v[2:3]
	scratch_load_b128 v[18:21], off, off offset:272
	s_waitcnt lgkmcnt(0)
	v_fma_f64 v[2:3], v[26:27], v[32:33], v[2:3]
	s_waitcnt vmcnt(4)
	v_fma_f64 v[2:3], v[28:29], v[34:35], v[2:3]
	ds_load_2addr_b64 v[22:25], v1 offset0:85 offset1:86
	ds_load_2addr_b64 v[26:29], v1 offset0:87 offset1:88
	s_waitcnt lgkmcnt(1)
	v_fma_f64 v[2:3], v[30:31], v[22:23], v[2:3]
	scratch_load_b128 v[30:33], off, off offset:288
	s_waitcnt vmcnt(4)
	v_fma_f64 v[2:3], v[149:150], v[24:25], v[2:3]
	scratch_load_b128 v[22:25], off, off offset:304
	s_waitcnt lgkmcnt(0)
	v_fma_f64 v[2:3], v[151:152], v[26:27], v[2:3]
	s_waitcnt vmcnt(4)
	s_delay_alu instid0(VALU_DEP_1)
	v_fma_f64 v[2:3], v[14:15], v[28:29], v[2:3]
	ds_load_2addr_b64 v[26:29], v1 offset0:89 offset1:90
	ds_load_2addr_b64 v[149:152], v1 offset0:91 offset1:92
	s_waitcnt lgkmcnt(1)
	v_fma_f64 v[2:3], v[16:17], v[26:27], v[2:3]
	scratch_load_b128 v[14:17], off, off offset:320
	s_waitcnt vmcnt(4)
	v_fma_f64 v[2:3], v[145:146], v[28:29], v[2:3]
	scratch_load_b128 v[26:29], off, off offset:336
	s_waitcnt lgkmcnt(0)
	v_fma_f64 v[2:3], v[147:148], v[149:150], v[2:3]
	s_waitcnt vmcnt(4)
	s_delay_alu instid0(VALU_DEP_1)
	v_fma_f64 v[2:3], v[18:19], v[151:152], v[2:3]
	ds_load_2addr_b64 v[145:148], v1 offset0:93 offset1:94
	ds_load_2addr_b64 v[149:152], v1 offset0:95 offset1:96
	s_waitcnt lgkmcnt(1)
	v_fma_f64 v[2:3], v[20:21], v[145:146], v[2:3]
	scratch_load_b128 v[18:21], off, off offset:352
	s_waitcnt vmcnt(4)
	v_fma_f64 v[2:3], v[30:31], v[147:148], v[2:3]
	s_waitcnt lgkmcnt(0)
	s_delay_alu instid0(VALU_DEP_1)
	v_fma_f64 v[2:3], v[32:33], v[149:150], v[2:3]
	scratch_load_b128 v[30:33], off, off offset:368
	s_waitcnt vmcnt(4)
	v_fma_f64 v[2:3], v[22:23], v[151:152], v[2:3]
	ds_load_2addr_b64 v[145:148], v1 offset0:97 offset1:98
	ds_load_2addr_b64 v[149:152], v1 offset0:99 offset1:100
	s_waitcnt lgkmcnt(1)
	v_fma_f64 v[2:3], v[24:25], v[145:146], v[2:3]
	scratch_load_b128 v[22:25], off, off offset:384
	s_waitcnt vmcnt(4)
	v_fma_f64 v[2:3], v[14:15], v[147:148], v[2:3]
	s_waitcnt lgkmcnt(0)
	s_delay_alu instid0(VALU_DEP_1)
	v_fma_f64 v[2:3], v[16:17], v[149:150], v[2:3]
	scratch_load_b128 v[14:17], off, off offset:400
	s_waitcnt vmcnt(4)
	;; [unrolled: 13-line block ×3, first 2 shown]
	v_fma_f64 v[2:3], v[30:31], v[151:152], v[2:3]
	ds_load_2addr_b64 v[145:148], v1 offset0:105 offset1:106
	ds_load_2addr_b64 v[149:152], v1 offset0:107 offset1:108
	scratch_load_b64 v[34:35], off, off offset:448
	s_waitcnt lgkmcnt(1)
	v_fma_f64 v[2:3], v[32:33], v[145:146], v[2:3]
	s_waitcnt vmcnt(4)
	s_delay_alu instid0(VALU_DEP_1) | instskip(SKIP_1) | instid1(VALU_DEP_1)
	v_fma_f64 v[2:3], v[22:23], v[147:148], v[2:3]
	s_waitcnt lgkmcnt(0)
	v_fma_f64 v[2:3], v[24:25], v[149:150], v[2:3]
	ds_load_2addr_b64 v[22:25], v1 offset0:109 offset1:110
	ds_load_2addr_b64 v[30:33], v1 offset0:111 offset1:112
	s_waitcnt vmcnt(3)
	v_fma_f64 v[2:3], v[14:15], v[151:152], v[2:3]
	s_waitcnt lgkmcnt(1)
	s_delay_alu instid0(VALU_DEP_1) | instskip(SKIP_1) | instid1(VALU_DEP_1)
	v_fma_f64 v[2:3], v[16:17], v[22:23], v[2:3]
	s_waitcnt vmcnt(2)
	v_fma_f64 v[2:3], v[26:27], v[24:25], v[2:3]
	s_waitcnt lgkmcnt(0)
	s_delay_alu instid0(VALU_DEP_1) | instskip(SKIP_1) | instid1(VALU_DEP_1)
	v_fma_f64 v[2:3], v[28:29], v[30:31], v[2:3]
	s_waitcnt vmcnt(1)
	v_fma_f64 v[14:15], v[18:19], v[32:33], v[2:3]
	ds_load_2addr_b64 v[1:4], v1 offset0:113 offset1:114
	s_waitcnt lgkmcnt(0)
	v_fma_f64 v[1:2], v[20:21], v[1:2], v[14:15]
	s_waitcnt vmcnt(0)
	s_delay_alu instid0(VALU_DEP_1) | instskip(NEXT) | instid1(VALU_DEP_1)
	v_fma_f64 v[1:2], v[34:35], v[3:4], v[1:2]
	v_add_f64 v[1:2], v[12:13], -v[1:2]
	scratch_store_b64 off, v[1:2], off offset:144
	v_cmpx_lt_u32_e32 17, v0
	s_cbranch_execz .LBB56_317
; %bb.316:
	scratch_load_b64 v[1:2], off, off offset:136
	v_mov_b32_e32 v3, 0
	s_delay_alu instid0(VALU_DEP_1)
	v_mov_b32_e32 v4, v3
	scratch_store_b64 off, v[3:4], off offset:136
	s_waitcnt vmcnt(0)
	ds_store_b64 v5, v[1:2]
.LBB56_317:
	s_or_b32 exec_lo, exec_lo, s0
	s_waitcnt lgkmcnt(0)
	s_waitcnt_vscnt null, 0x0
	s_barrier
	buffer_gl0_inv
	s_clause 0x4
	scratch_load_b128 v[12:15], off, off offset:136
	scratch_load_b128 v[16:19], off, off offset:152
	;; [unrolled: 1-line block ×5, first 2 shown]
	v_mov_b32_e32 v1, 0
	ds_load_b128 v[32:35], v1 offset:608
	ds_load_b128 v[145:148], v1 offset:624
	scratch_load_b128 v[149:152], off, off offset:216
	s_mov_b32 s0, exec_lo
	s_waitcnt vmcnt(5) lgkmcnt(1)
	v_fma_f64 v[2:3], v[14:15], v[32:33], 0
	s_waitcnt vmcnt(4)
	s_delay_alu instid0(VALU_DEP_1) | instskip(SKIP_4) | instid1(VALU_DEP_1)
	v_fma_f64 v[2:3], v[16:17], v[34:35], v[2:3]
	scratch_load_b128 v[14:17], off, off offset:232
	s_waitcnt lgkmcnt(0)
	v_fma_f64 v[2:3], v[18:19], v[145:146], v[2:3]
	s_waitcnt vmcnt(4)
	v_fma_f64 v[2:3], v[20:21], v[147:148], v[2:3]
	ds_load_b128 v[18:21], v1 offset:640
	ds_load_b128 v[32:35], v1 offset:656
	scratch_load_b128 v[145:148], off, off offset:248
	s_waitcnt lgkmcnt(1)
	v_fma_f64 v[2:3], v[22:23], v[18:19], v[2:3]
	s_waitcnt vmcnt(4)
	s_delay_alu instid0(VALU_DEP_1) | instskip(SKIP_4) | instid1(VALU_DEP_1)
	v_fma_f64 v[2:3], v[24:25], v[20:21], v[2:3]
	scratch_load_b128 v[18:21], off, off offset:264
	s_waitcnt lgkmcnt(0)
	v_fma_f64 v[2:3], v[26:27], v[32:33], v[2:3]
	s_waitcnt vmcnt(4)
	v_fma_f64 v[2:3], v[28:29], v[34:35], v[2:3]
	ds_load_b128 v[22:25], v1 offset:672
	ds_load_b128 v[26:29], v1 offset:688
	s_waitcnt lgkmcnt(1)
	v_fma_f64 v[2:3], v[30:31], v[22:23], v[2:3]
	scratch_load_b128 v[30:33], off, off offset:280
	s_waitcnt vmcnt(4)
	v_fma_f64 v[2:3], v[149:150], v[24:25], v[2:3]
	scratch_load_b128 v[22:25], off, off offset:296
	s_waitcnt lgkmcnt(0)
	v_fma_f64 v[2:3], v[151:152], v[26:27], v[2:3]
	s_waitcnt vmcnt(4)
	s_delay_alu instid0(VALU_DEP_1)
	v_fma_f64 v[2:3], v[14:15], v[28:29], v[2:3]
	ds_load_b128 v[26:29], v1 offset:704
	ds_load_b128 v[149:152], v1 offset:720
	s_waitcnt lgkmcnt(1)
	v_fma_f64 v[2:3], v[16:17], v[26:27], v[2:3]
	scratch_load_b128 v[14:17], off, off offset:312
	s_waitcnt vmcnt(4)
	v_fma_f64 v[2:3], v[145:146], v[28:29], v[2:3]
	scratch_load_b128 v[26:29], off, off offset:328
	s_waitcnt lgkmcnt(0)
	v_fma_f64 v[2:3], v[147:148], v[149:150], v[2:3]
	s_waitcnt vmcnt(4)
	s_delay_alu instid0(VALU_DEP_1)
	v_fma_f64 v[2:3], v[18:19], v[151:152], v[2:3]
	ds_load_b128 v[145:148], v1 offset:736
	ds_load_b128 v[149:152], v1 offset:752
	s_waitcnt lgkmcnt(1)
	v_fma_f64 v[2:3], v[20:21], v[145:146], v[2:3]
	scratch_load_b128 v[18:21], off, off offset:344
	s_waitcnt vmcnt(4)
	v_fma_f64 v[2:3], v[30:31], v[147:148], v[2:3]
	s_waitcnt lgkmcnt(0)
	s_delay_alu instid0(VALU_DEP_1)
	v_fma_f64 v[2:3], v[32:33], v[149:150], v[2:3]
	scratch_load_b128 v[30:33], off, off offset:360
	s_waitcnt vmcnt(4)
	v_fma_f64 v[2:3], v[22:23], v[151:152], v[2:3]
	ds_load_b128 v[145:148], v1 offset:768
	ds_load_b128 v[149:152], v1 offset:784
	s_waitcnt lgkmcnt(1)
	v_fma_f64 v[2:3], v[24:25], v[145:146], v[2:3]
	scratch_load_b128 v[22:25], off, off offset:376
	s_waitcnt vmcnt(4)
	v_fma_f64 v[2:3], v[14:15], v[147:148], v[2:3]
	s_waitcnt lgkmcnt(0)
	s_delay_alu instid0(VALU_DEP_1)
	v_fma_f64 v[2:3], v[16:17], v[149:150], v[2:3]
	scratch_load_b128 v[14:17], off, off offset:392
	s_waitcnt vmcnt(4)
	;; [unrolled: 13-line block ×3, first 2 shown]
	v_fma_f64 v[2:3], v[30:31], v[151:152], v[2:3]
	ds_load_b128 v[145:148], v1 offset:832
	ds_load_b128 v[149:152], v1 offset:848
	s_waitcnt lgkmcnt(1)
	v_fma_f64 v[2:3], v[32:33], v[145:146], v[2:3]
	scratch_load_b128 v[30:33], off, off offset:440
	s_waitcnt vmcnt(4)
	v_fma_f64 v[2:3], v[22:23], v[147:148], v[2:3]
	s_waitcnt lgkmcnt(0)
	s_delay_alu instid0(VALU_DEP_1)
	v_fma_f64 v[2:3], v[24:25], v[149:150], v[2:3]
	ds_load_b128 v[22:25], v1 offset:864
	ds_load_b128 v[145:148], v1 offset:880
	s_waitcnt vmcnt(3)
	v_fma_f64 v[2:3], v[14:15], v[151:152], v[2:3]
	s_waitcnt lgkmcnt(1)
	s_delay_alu instid0(VALU_DEP_1) | instskip(SKIP_1) | instid1(VALU_DEP_1)
	v_fma_f64 v[2:3], v[16:17], v[22:23], v[2:3]
	s_waitcnt vmcnt(2)
	v_fma_f64 v[2:3], v[26:27], v[24:25], v[2:3]
	s_waitcnt lgkmcnt(0)
	s_delay_alu instid0(VALU_DEP_1) | instskip(SKIP_1) | instid1(VALU_DEP_1)
	v_fma_f64 v[2:3], v[28:29], v[145:146], v[2:3]
	s_waitcnt vmcnt(1)
	v_fma_f64 v[2:3], v[18:19], v[147:148], v[2:3]
	ds_load_b128 v[14:17], v1 offset:896
	ds_load_b64 v[18:19], v1 offset:912
	s_waitcnt lgkmcnt(1)
	v_fma_f64 v[2:3], v[20:21], v[14:15], v[2:3]
	s_waitcnt vmcnt(0)
	s_delay_alu instid0(VALU_DEP_1) | instskip(SKIP_1) | instid1(VALU_DEP_1)
	v_fma_f64 v[2:3], v[30:31], v[16:17], v[2:3]
	s_waitcnt lgkmcnt(0)
	v_fma_f64 v[2:3], v[32:33], v[18:19], v[2:3]
	s_delay_alu instid0(VALU_DEP_1)
	v_add_f64 v[2:3], v[12:13], -v[2:3]
	scratch_store_b64 off, v[2:3], off offset:136
	v_cmpx_lt_u32_e32 16, v0
	s_cbranch_execz .LBB56_319
; %bb.318:
	scratch_load_b64 v[3:4], off, off offset:128
	v_mov_b32_e32 v2, v1
	scratch_store_b64 off, v[1:2], off offset:128
	s_waitcnt vmcnt(0)
	ds_store_b64 v5, v[3:4]
.LBB56_319:
	s_or_b32 exec_lo, exec_lo, s0
	s_waitcnt lgkmcnt(0)
	s_waitcnt_vscnt null, 0x0
	s_barrier
	buffer_gl0_inv
	s_clause 0x4
	scratch_load_b128 v[12:15], off, off offset:128
	scratch_load_b128 v[16:19], off, off offset:144
	scratch_load_b128 v[20:23], off, off offset:160
	scratch_load_b128 v[24:27], off, off offset:176
	scratch_load_b128 v[28:31], off, off offset:192
	ds_load_2addr_b64 v[32:35], v1 offset0:75 offset1:76
	ds_load_2addr_b64 v[145:148], v1 offset0:77 offset1:78
	scratch_load_b128 v[149:152], off, off offset:208
	s_mov_b32 s0, exec_lo
	s_waitcnt vmcnt(5) lgkmcnt(1)
	v_fma_f64 v[2:3], v[14:15], v[32:33], 0
	s_waitcnt vmcnt(4)
	s_delay_alu instid0(VALU_DEP_1) | instskip(SKIP_4) | instid1(VALU_DEP_1)
	v_fma_f64 v[2:3], v[16:17], v[34:35], v[2:3]
	scratch_load_b128 v[14:17], off, off offset:224
	s_waitcnt lgkmcnt(0)
	v_fma_f64 v[2:3], v[18:19], v[145:146], v[2:3]
	s_waitcnt vmcnt(4)
	v_fma_f64 v[2:3], v[20:21], v[147:148], v[2:3]
	ds_load_2addr_b64 v[18:21], v1 offset0:79 offset1:80
	ds_load_2addr_b64 v[32:35], v1 offset0:81 offset1:82
	scratch_load_b128 v[145:148], off, off offset:240
	s_waitcnt lgkmcnt(1)
	v_fma_f64 v[2:3], v[22:23], v[18:19], v[2:3]
	s_waitcnt vmcnt(4)
	s_delay_alu instid0(VALU_DEP_1) | instskip(SKIP_4) | instid1(VALU_DEP_1)
	v_fma_f64 v[2:3], v[24:25], v[20:21], v[2:3]
	scratch_load_b128 v[18:21], off, off offset:256
	s_waitcnt lgkmcnt(0)
	v_fma_f64 v[2:3], v[26:27], v[32:33], v[2:3]
	s_waitcnt vmcnt(4)
	v_fma_f64 v[2:3], v[28:29], v[34:35], v[2:3]
	ds_load_2addr_b64 v[22:25], v1 offset0:83 offset1:84
	ds_load_2addr_b64 v[26:29], v1 offset0:85 offset1:86
	s_waitcnt lgkmcnt(1)
	v_fma_f64 v[2:3], v[30:31], v[22:23], v[2:3]
	scratch_load_b128 v[30:33], off, off offset:272
	s_waitcnt vmcnt(4)
	v_fma_f64 v[2:3], v[149:150], v[24:25], v[2:3]
	scratch_load_b128 v[22:25], off, off offset:288
	s_waitcnt lgkmcnt(0)
	v_fma_f64 v[2:3], v[151:152], v[26:27], v[2:3]
	s_waitcnt vmcnt(4)
	s_delay_alu instid0(VALU_DEP_1)
	v_fma_f64 v[2:3], v[14:15], v[28:29], v[2:3]
	ds_load_2addr_b64 v[26:29], v1 offset0:87 offset1:88
	ds_load_2addr_b64 v[149:152], v1 offset0:89 offset1:90
	s_waitcnt lgkmcnt(1)
	v_fma_f64 v[2:3], v[16:17], v[26:27], v[2:3]
	scratch_load_b128 v[14:17], off, off offset:304
	s_waitcnt vmcnt(4)
	v_fma_f64 v[2:3], v[145:146], v[28:29], v[2:3]
	scratch_load_b128 v[26:29], off, off offset:320
	s_waitcnt lgkmcnt(0)
	v_fma_f64 v[2:3], v[147:148], v[149:150], v[2:3]
	s_waitcnt vmcnt(4)
	s_delay_alu instid0(VALU_DEP_1)
	v_fma_f64 v[2:3], v[18:19], v[151:152], v[2:3]
	ds_load_2addr_b64 v[145:148], v1 offset0:91 offset1:92
	ds_load_2addr_b64 v[149:152], v1 offset0:93 offset1:94
	s_waitcnt lgkmcnt(1)
	v_fma_f64 v[2:3], v[20:21], v[145:146], v[2:3]
	scratch_load_b128 v[18:21], off, off offset:336
	s_waitcnt vmcnt(4)
	v_fma_f64 v[2:3], v[30:31], v[147:148], v[2:3]
	s_waitcnt lgkmcnt(0)
	s_delay_alu instid0(VALU_DEP_1)
	v_fma_f64 v[2:3], v[32:33], v[149:150], v[2:3]
	scratch_load_b128 v[30:33], off, off offset:352
	s_waitcnt vmcnt(4)
	v_fma_f64 v[2:3], v[22:23], v[151:152], v[2:3]
	ds_load_2addr_b64 v[145:148], v1 offset0:95 offset1:96
	ds_load_2addr_b64 v[149:152], v1 offset0:97 offset1:98
	s_waitcnt lgkmcnt(1)
	v_fma_f64 v[2:3], v[24:25], v[145:146], v[2:3]
	scratch_load_b128 v[22:25], off, off offset:368
	s_waitcnt vmcnt(4)
	v_fma_f64 v[2:3], v[14:15], v[147:148], v[2:3]
	s_waitcnt lgkmcnt(0)
	s_delay_alu instid0(VALU_DEP_1)
	v_fma_f64 v[2:3], v[16:17], v[149:150], v[2:3]
	scratch_load_b128 v[14:17], off, off offset:384
	s_waitcnt vmcnt(4)
	;; [unrolled: 13-line block ×3, first 2 shown]
	v_fma_f64 v[2:3], v[30:31], v[151:152], v[2:3]
	ds_load_2addr_b64 v[145:148], v1 offset0:103 offset1:104
	ds_load_2addr_b64 v[149:152], v1 offset0:105 offset1:106
	scratch_load_b64 v[34:35], off, off offset:448
	s_waitcnt lgkmcnt(1)
	v_fma_f64 v[2:3], v[32:33], v[145:146], v[2:3]
	scratch_load_b128 v[30:33], off, off offset:432
	s_waitcnt vmcnt(5)
	v_fma_f64 v[2:3], v[22:23], v[147:148], v[2:3]
	s_waitcnt lgkmcnt(0)
	s_delay_alu instid0(VALU_DEP_1)
	v_fma_f64 v[2:3], v[24:25], v[149:150], v[2:3]
	ds_load_2addr_b64 v[22:25], v1 offset0:107 offset1:108
	ds_load_2addr_b64 v[145:148], v1 offset0:109 offset1:110
	s_waitcnt vmcnt(4)
	v_fma_f64 v[2:3], v[14:15], v[151:152], v[2:3]
	s_waitcnt lgkmcnt(1)
	s_delay_alu instid0(VALU_DEP_1) | instskip(SKIP_1) | instid1(VALU_DEP_1)
	v_fma_f64 v[2:3], v[16:17], v[22:23], v[2:3]
	s_waitcnt vmcnt(3)
	v_fma_f64 v[2:3], v[26:27], v[24:25], v[2:3]
	s_waitcnt lgkmcnt(0)
	s_delay_alu instid0(VALU_DEP_1) | instskip(SKIP_1) | instid1(VALU_DEP_1)
	v_fma_f64 v[2:3], v[28:29], v[145:146], v[2:3]
	s_waitcnt vmcnt(2)
	v_fma_f64 v[18:19], v[18:19], v[147:148], v[2:3]
	ds_load_2addr_b64 v[14:17], v1 offset0:111 offset1:112
	ds_load_2addr_b64 v[1:4], v1 offset0:113 offset1:114
	s_waitcnt lgkmcnt(1)
	v_fma_f64 v[14:15], v[20:21], v[14:15], v[18:19]
	s_waitcnt vmcnt(0)
	s_delay_alu instid0(VALU_DEP_1) | instskip(SKIP_1) | instid1(VALU_DEP_1)
	v_fma_f64 v[14:15], v[30:31], v[16:17], v[14:15]
	s_waitcnt lgkmcnt(0)
	v_fma_f64 v[1:2], v[32:33], v[1:2], v[14:15]
	s_delay_alu instid0(VALU_DEP_1) | instskip(NEXT) | instid1(VALU_DEP_1)
	v_fma_f64 v[1:2], v[34:35], v[3:4], v[1:2]
	v_add_f64 v[1:2], v[12:13], -v[1:2]
	scratch_store_b64 off, v[1:2], off offset:128
	v_cmpx_lt_u32_e32 15, v0
	s_cbranch_execz .LBB56_321
; %bb.320:
	scratch_load_b64 v[1:2], off, off offset:120
	v_mov_b32_e32 v3, 0
	s_delay_alu instid0(VALU_DEP_1)
	v_mov_b32_e32 v4, v3
	scratch_store_b64 off, v[3:4], off offset:120
	s_waitcnt vmcnt(0)
	ds_store_b64 v5, v[1:2]
.LBB56_321:
	s_or_b32 exec_lo, exec_lo, s0
	s_waitcnt lgkmcnt(0)
	s_waitcnt_vscnt null, 0x0
	s_barrier
	buffer_gl0_inv
	s_clause 0x4
	scratch_load_b128 v[12:15], off, off offset:120
	scratch_load_b128 v[16:19], off, off offset:136
	;; [unrolled: 1-line block ×5, first 2 shown]
	v_mov_b32_e32 v1, 0
	ds_load_b128 v[32:35], v1 offset:592
	ds_load_b128 v[145:148], v1 offset:608
	scratch_load_b128 v[149:152], off, off offset:200
	s_mov_b32 s0, exec_lo
	s_waitcnt vmcnt(5) lgkmcnt(1)
	v_fma_f64 v[2:3], v[14:15], v[32:33], 0
	s_waitcnt vmcnt(4)
	s_delay_alu instid0(VALU_DEP_1) | instskip(SKIP_4) | instid1(VALU_DEP_1)
	v_fma_f64 v[2:3], v[16:17], v[34:35], v[2:3]
	scratch_load_b128 v[14:17], off, off offset:216
	s_waitcnt lgkmcnt(0)
	v_fma_f64 v[2:3], v[18:19], v[145:146], v[2:3]
	s_waitcnt vmcnt(4)
	v_fma_f64 v[2:3], v[20:21], v[147:148], v[2:3]
	ds_load_b128 v[18:21], v1 offset:624
	ds_load_b128 v[32:35], v1 offset:640
	scratch_load_b128 v[145:148], off, off offset:232
	s_waitcnt lgkmcnt(1)
	v_fma_f64 v[2:3], v[22:23], v[18:19], v[2:3]
	s_waitcnt vmcnt(4)
	s_delay_alu instid0(VALU_DEP_1) | instskip(SKIP_4) | instid1(VALU_DEP_1)
	v_fma_f64 v[2:3], v[24:25], v[20:21], v[2:3]
	scratch_load_b128 v[18:21], off, off offset:248
	s_waitcnt lgkmcnt(0)
	v_fma_f64 v[2:3], v[26:27], v[32:33], v[2:3]
	s_waitcnt vmcnt(4)
	v_fma_f64 v[2:3], v[28:29], v[34:35], v[2:3]
	ds_load_b128 v[22:25], v1 offset:656
	ds_load_b128 v[26:29], v1 offset:672
	s_waitcnt lgkmcnt(1)
	v_fma_f64 v[2:3], v[30:31], v[22:23], v[2:3]
	scratch_load_b128 v[30:33], off, off offset:264
	s_waitcnt vmcnt(4)
	v_fma_f64 v[2:3], v[149:150], v[24:25], v[2:3]
	scratch_load_b128 v[22:25], off, off offset:280
	s_waitcnt lgkmcnt(0)
	v_fma_f64 v[2:3], v[151:152], v[26:27], v[2:3]
	s_waitcnt vmcnt(4)
	s_delay_alu instid0(VALU_DEP_1)
	v_fma_f64 v[2:3], v[14:15], v[28:29], v[2:3]
	ds_load_b128 v[26:29], v1 offset:688
	ds_load_b128 v[149:152], v1 offset:704
	s_waitcnt lgkmcnt(1)
	v_fma_f64 v[2:3], v[16:17], v[26:27], v[2:3]
	scratch_load_b128 v[14:17], off, off offset:296
	s_waitcnt vmcnt(4)
	v_fma_f64 v[2:3], v[145:146], v[28:29], v[2:3]
	scratch_load_b128 v[26:29], off, off offset:312
	s_waitcnt lgkmcnt(0)
	v_fma_f64 v[2:3], v[147:148], v[149:150], v[2:3]
	s_waitcnt vmcnt(4)
	s_delay_alu instid0(VALU_DEP_1)
	v_fma_f64 v[2:3], v[18:19], v[151:152], v[2:3]
	ds_load_b128 v[145:148], v1 offset:720
	ds_load_b128 v[149:152], v1 offset:736
	s_waitcnt lgkmcnt(1)
	v_fma_f64 v[2:3], v[20:21], v[145:146], v[2:3]
	scratch_load_b128 v[18:21], off, off offset:328
	s_waitcnt vmcnt(4)
	v_fma_f64 v[2:3], v[30:31], v[147:148], v[2:3]
	s_waitcnt lgkmcnt(0)
	s_delay_alu instid0(VALU_DEP_1)
	v_fma_f64 v[2:3], v[32:33], v[149:150], v[2:3]
	scratch_load_b128 v[30:33], off, off offset:344
	s_waitcnt vmcnt(4)
	v_fma_f64 v[2:3], v[22:23], v[151:152], v[2:3]
	ds_load_b128 v[145:148], v1 offset:752
	ds_load_b128 v[149:152], v1 offset:768
	s_waitcnt lgkmcnt(1)
	v_fma_f64 v[2:3], v[24:25], v[145:146], v[2:3]
	scratch_load_b128 v[22:25], off, off offset:360
	s_waitcnt vmcnt(4)
	v_fma_f64 v[2:3], v[14:15], v[147:148], v[2:3]
	s_waitcnt lgkmcnt(0)
	s_delay_alu instid0(VALU_DEP_1)
	v_fma_f64 v[2:3], v[16:17], v[149:150], v[2:3]
	scratch_load_b128 v[14:17], off, off offset:376
	s_waitcnt vmcnt(4)
	;; [unrolled: 13-line block ×4, first 2 shown]
	v_fma_f64 v[2:3], v[14:15], v[151:152], v[2:3]
	ds_load_b128 v[145:148], v1 offset:848
	ds_load_b128 v[149:152], v1 offset:864
	s_waitcnt lgkmcnt(1)
	v_fma_f64 v[2:3], v[16:17], v[145:146], v[2:3]
	s_waitcnt vmcnt(3)
	s_delay_alu instid0(VALU_DEP_1) | instskip(SKIP_1) | instid1(VALU_DEP_1)
	v_fma_f64 v[2:3], v[26:27], v[147:148], v[2:3]
	s_waitcnt lgkmcnt(0)
	v_fma_f64 v[2:3], v[28:29], v[149:150], v[2:3]
	ds_load_b128 v[14:17], v1 offset:880
	ds_load_b128 v[26:29], v1 offset:896
	s_waitcnt vmcnt(2)
	v_fma_f64 v[2:3], v[18:19], v[151:152], v[2:3]
	s_waitcnt lgkmcnt(1)
	s_delay_alu instid0(VALU_DEP_1) | instskip(SKIP_4) | instid1(VALU_DEP_1)
	v_fma_f64 v[2:3], v[20:21], v[14:15], v[2:3]
	ds_load_b64 v[14:15], v1 offset:912
	s_waitcnt vmcnt(1)
	v_fma_f64 v[2:3], v[30:31], v[16:17], v[2:3]
	s_waitcnt lgkmcnt(1)
	v_fma_f64 v[2:3], v[32:33], v[26:27], v[2:3]
	s_waitcnt vmcnt(0)
	s_delay_alu instid0(VALU_DEP_1) | instskip(SKIP_1) | instid1(VALU_DEP_1)
	v_fma_f64 v[2:3], v[22:23], v[28:29], v[2:3]
	s_waitcnt lgkmcnt(0)
	v_fma_f64 v[2:3], v[24:25], v[14:15], v[2:3]
	s_delay_alu instid0(VALU_DEP_1)
	v_add_f64 v[2:3], v[12:13], -v[2:3]
	scratch_store_b64 off, v[2:3], off offset:120
	v_cmpx_lt_u32_e32 14, v0
	s_cbranch_execz .LBB56_323
; %bb.322:
	scratch_load_b64 v[3:4], off, off offset:112
	v_mov_b32_e32 v2, v1
	scratch_store_b64 off, v[1:2], off offset:112
	s_waitcnt vmcnt(0)
	ds_store_b64 v5, v[3:4]
.LBB56_323:
	s_or_b32 exec_lo, exec_lo, s0
	s_waitcnt lgkmcnt(0)
	s_waitcnt_vscnt null, 0x0
	s_barrier
	buffer_gl0_inv
	s_clause 0x4
	scratch_load_b128 v[12:15], off, off offset:112
	scratch_load_b128 v[16:19], off, off offset:128
	;; [unrolled: 1-line block ×5, first 2 shown]
	ds_load_2addr_b64 v[32:35], v1 offset0:73 offset1:74
	ds_load_2addr_b64 v[145:148], v1 offset0:75 offset1:76
	scratch_load_b128 v[149:152], off, off offset:192
	s_mov_b32 s0, exec_lo
	s_waitcnt vmcnt(5) lgkmcnt(1)
	v_fma_f64 v[2:3], v[14:15], v[32:33], 0
	s_waitcnt vmcnt(4)
	s_delay_alu instid0(VALU_DEP_1) | instskip(SKIP_4) | instid1(VALU_DEP_1)
	v_fma_f64 v[2:3], v[16:17], v[34:35], v[2:3]
	scratch_load_b128 v[14:17], off, off offset:208
	s_waitcnt lgkmcnt(0)
	v_fma_f64 v[2:3], v[18:19], v[145:146], v[2:3]
	s_waitcnt vmcnt(4)
	v_fma_f64 v[2:3], v[20:21], v[147:148], v[2:3]
	ds_load_2addr_b64 v[18:21], v1 offset0:77 offset1:78
	ds_load_2addr_b64 v[32:35], v1 offset0:79 offset1:80
	scratch_load_b128 v[145:148], off, off offset:224
	s_waitcnt lgkmcnt(1)
	v_fma_f64 v[2:3], v[22:23], v[18:19], v[2:3]
	s_waitcnt vmcnt(4)
	s_delay_alu instid0(VALU_DEP_1) | instskip(SKIP_4) | instid1(VALU_DEP_1)
	v_fma_f64 v[2:3], v[24:25], v[20:21], v[2:3]
	scratch_load_b128 v[18:21], off, off offset:240
	s_waitcnt lgkmcnt(0)
	v_fma_f64 v[2:3], v[26:27], v[32:33], v[2:3]
	s_waitcnt vmcnt(4)
	v_fma_f64 v[2:3], v[28:29], v[34:35], v[2:3]
	ds_load_2addr_b64 v[22:25], v1 offset0:81 offset1:82
	ds_load_2addr_b64 v[26:29], v1 offset0:83 offset1:84
	s_waitcnt lgkmcnt(1)
	v_fma_f64 v[2:3], v[30:31], v[22:23], v[2:3]
	scratch_load_b128 v[30:33], off, off offset:256
	s_waitcnt vmcnt(4)
	v_fma_f64 v[2:3], v[149:150], v[24:25], v[2:3]
	scratch_load_b128 v[22:25], off, off offset:272
	s_waitcnt lgkmcnt(0)
	v_fma_f64 v[2:3], v[151:152], v[26:27], v[2:3]
	s_waitcnt vmcnt(4)
	s_delay_alu instid0(VALU_DEP_1)
	v_fma_f64 v[2:3], v[14:15], v[28:29], v[2:3]
	ds_load_2addr_b64 v[26:29], v1 offset0:85 offset1:86
	ds_load_2addr_b64 v[149:152], v1 offset0:87 offset1:88
	s_waitcnt lgkmcnt(1)
	v_fma_f64 v[2:3], v[16:17], v[26:27], v[2:3]
	scratch_load_b128 v[14:17], off, off offset:288
	s_waitcnt vmcnt(4)
	v_fma_f64 v[2:3], v[145:146], v[28:29], v[2:3]
	scratch_load_b128 v[26:29], off, off offset:304
	s_waitcnt lgkmcnt(0)
	v_fma_f64 v[2:3], v[147:148], v[149:150], v[2:3]
	s_waitcnt vmcnt(4)
	s_delay_alu instid0(VALU_DEP_1)
	v_fma_f64 v[2:3], v[18:19], v[151:152], v[2:3]
	ds_load_2addr_b64 v[145:148], v1 offset0:89 offset1:90
	ds_load_2addr_b64 v[149:152], v1 offset0:91 offset1:92
	s_waitcnt lgkmcnt(1)
	v_fma_f64 v[2:3], v[20:21], v[145:146], v[2:3]
	scratch_load_b128 v[18:21], off, off offset:320
	s_waitcnt vmcnt(4)
	v_fma_f64 v[2:3], v[30:31], v[147:148], v[2:3]
	s_waitcnt lgkmcnt(0)
	s_delay_alu instid0(VALU_DEP_1)
	v_fma_f64 v[2:3], v[32:33], v[149:150], v[2:3]
	scratch_load_b128 v[30:33], off, off offset:336
	s_waitcnt vmcnt(4)
	v_fma_f64 v[2:3], v[22:23], v[151:152], v[2:3]
	ds_load_2addr_b64 v[145:148], v1 offset0:93 offset1:94
	ds_load_2addr_b64 v[149:152], v1 offset0:95 offset1:96
	s_waitcnt lgkmcnt(1)
	v_fma_f64 v[2:3], v[24:25], v[145:146], v[2:3]
	scratch_load_b128 v[22:25], off, off offset:352
	s_waitcnt vmcnt(4)
	v_fma_f64 v[2:3], v[14:15], v[147:148], v[2:3]
	s_waitcnt lgkmcnt(0)
	s_delay_alu instid0(VALU_DEP_1)
	v_fma_f64 v[2:3], v[16:17], v[149:150], v[2:3]
	scratch_load_b128 v[14:17], off, off offset:368
	s_waitcnt vmcnt(4)
	;; [unrolled: 13-line block ×4, first 2 shown]
	v_fma_f64 v[2:3], v[14:15], v[151:152], v[2:3]
	ds_load_2addr_b64 v[145:148], v1 offset0:105 offset1:106
	ds_load_2addr_b64 v[149:152], v1 offset0:107 offset1:108
	scratch_load_b64 v[34:35], off, off offset:448
	s_waitcnt lgkmcnt(1)
	v_fma_f64 v[2:3], v[16:17], v[145:146], v[2:3]
	s_waitcnt vmcnt(4)
	s_delay_alu instid0(VALU_DEP_1) | instskip(SKIP_1) | instid1(VALU_DEP_1)
	v_fma_f64 v[2:3], v[26:27], v[147:148], v[2:3]
	s_waitcnt lgkmcnt(0)
	v_fma_f64 v[2:3], v[28:29], v[149:150], v[2:3]
	ds_load_2addr_b64 v[14:17], v1 offset0:109 offset1:110
	ds_load_2addr_b64 v[26:29], v1 offset0:111 offset1:112
	s_waitcnt vmcnt(3)
	v_fma_f64 v[2:3], v[18:19], v[151:152], v[2:3]
	s_waitcnt lgkmcnt(1)
	s_delay_alu instid0(VALU_DEP_1) | instskip(SKIP_1) | instid1(VALU_DEP_1)
	v_fma_f64 v[2:3], v[20:21], v[14:15], v[2:3]
	s_waitcnt vmcnt(2)
	v_fma_f64 v[2:3], v[30:31], v[16:17], v[2:3]
	s_waitcnt lgkmcnt(0)
	s_delay_alu instid0(VALU_DEP_1) | instskip(SKIP_1) | instid1(VALU_DEP_1)
	v_fma_f64 v[2:3], v[32:33], v[26:27], v[2:3]
	s_waitcnt vmcnt(1)
	v_fma_f64 v[14:15], v[22:23], v[28:29], v[2:3]
	ds_load_2addr_b64 v[1:4], v1 offset0:113 offset1:114
	s_waitcnt lgkmcnt(0)
	v_fma_f64 v[1:2], v[24:25], v[1:2], v[14:15]
	s_waitcnt vmcnt(0)
	s_delay_alu instid0(VALU_DEP_1) | instskip(NEXT) | instid1(VALU_DEP_1)
	v_fma_f64 v[1:2], v[34:35], v[3:4], v[1:2]
	v_add_f64 v[1:2], v[12:13], -v[1:2]
	scratch_store_b64 off, v[1:2], off offset:112
	v_cmpx_lt_u32_e32 13, v0
	s_cbranch_execz .LBB56_325
; %bb.324:
	scratch_load_b64 v[1:2], off, off offset:104
	v_mov_b32_e32 v3, 0
	s_delay_alu instid0(VALU_DEP_1)
	v_mov_b32_e32 v4, v3
	scratch_store_b64 off, v[3:4], off offset:104
	s_waitcnt vmcnt(0)
	ds_store_b64 v5, v[1:2]
.LBB56_325:
	s_or_b32 exec_lo, exec_lo, s0
	s_waitcnt lgkmcnt(0)
	s_waitcnt_vscnt null, 0x0
	s_barrier
	buffer_gl0_inv
	s_clause 0x4
	scratch_load_b128 v[12:15], off, off offset:104
	scratch_load_b128 v[16:19], off, off offset:120
	;; [unrolled: 1-line block ×5, first 2 shown]
	v_mov_b32_e32 v1, 0
	ds_load_b128 v[32:35], v1 offset:576
	ds_load_b128 v[145:148], v1 offset:592
	scratch_load_b128 v[149:152], off, off offset:184
	s_mov_b32 s0, exec_lo
	s_waitcnt vmcnt(5) lgkmcnt(1)
	v_fma_f64 v[2:3], v[14:15], v[32:33], 0
	s_waitcnt vmcnt(4)
	s_delay_alu instid0(VALU_DEP_1) | instskip(SKIP_4) | instid1(VALU_DEP_1)
	v_fma_f64 v[2:3], v[16:17], v[34:35], v[2:3]
	scratch_load_b128 v[14:17], off, off offset:200
	s_waitcnt lgkmcnt(0)
	v_fma_f64 v[2:3], v[18:19], v[145:146], v[2:3]
	s_waitcnt vmcnt(4)
	v_fma_f64 v[2:3], v[20:21], v[147:148], v[2:3]
	ds_load_b128 v[18:21], v1 offset:608
	ds_load_b128 v[32:35], v1 offset:624
	scratch_load_b128 v[145:148], off, off offset:216
	s_waitcnt lgkmcnt(1)
	v_fma_f64 v[2:3], v[22:23], v[18:19], v[2:3]
	s_waitcnt vmcnt(4)
	s_delay_alu instid0(VALU_DEP_1) | instskip(SKIP_4) | instid1(VALU_DEP_1)
	v_fma_f64 v[2:3], v[24:25], v[20:21], v[2:3]
	scratch_load_b128 v[18:21], off, off offset:232
	s_waitcnt lgkmcnt(0)
	v_fma_f64 v[2:3], v[26:27], v[32:33], v[2:3]
	s_waitcnt vmcnt(4)
	v_fma_f64 v[2:3], v[28:29], v[34:35], v[2:3]
	ds_load_b128 v[22:25], v1 offset:640
	ds_load_b128 v[26:29], v1 offset:656
	s_waitcnt lgkmcnt(1)
	v_fma_f64 v[2:3], v[30:31], v[22:23], v[2:3]
	scratch_load_b128 v[30:33], off, off offset:248
	s_waitcnt vmcnt(4)
	v_fma_f64 v[2:3], v[149:150], v[24:25], v[2:3]
	scratch_load_b128 v[22:25], off, off offset:264
	s_waitcnt lgkmcnt(0)
	v_fma_f64 v[2:3], v[151:152], v[26:27], v[2:3]
	s_waitcnt vmcnt(4)
	s_delay_alu instid0(VALU_DEP_1)
	v_fma_f64 v[2:3], v[14:15], v[28:29], v[2:3]
	ds_load_b128 v[26:29], v1 offset:672
	ds_load_b128 v[149:152], v1 offset:688
	s_waitcnt lgkmcnt(1)
	v_fma_f64 v[2:3], v[16:17], v[26:27], v[2:3]
	scratch_load_b128 v[14:17], off, off offset:280
	s_waitcnt vmcnt(4)
	v_fma_f64 v[2:3], v[145:146], v[28:29], v[2:3]
	scratch_load_b128 v[26:29], off, off offset:296
	s_waitcnt lgkmcnt(0)
	v_fma_f64 v[2:3], v[147:148], v[149:150], v[2:3]
	s_waitcnt vmcnt(4)
	s_delay_alu instid0(VALU_DEP_1)
	v_fma_f64 v[2:3], v[18:19], v[151:152], v[2:3]
	ds_load_b128 v[145:148], v1 offset:704
	ds_load_b128 v[149:152], v1 offset:720
	s_waitcnt lgkmcnt(1)
	v_fma_f64 v[2:3], v[20:21], v[145:146], v[2:3]
	scratch_load_b128 v[18:21], off, off offset:312
	s_waitcnt vmcnt(4)
	v_fma_f64 v[2:3], v[30:31], v[147:148], v[2:3]
	s_waitcnt lgkmcnt(0)
	s_delay_alu instid0(VALU_DEP_1)
	v_fma_f64 v[2:3], v[32:33], v[149:150], v[2:3]
	scratch_load_b128 v[30:33], off, off offset:328
	s_waitcnt vmcnt(4)
	v_fma_f64 v[2:3], v[22:23], v[151:152], v[2:3]
	ds_load_b128 v[145:148], v1 offset:736
	ds_load_b128 v[149:152], v1 offset:752
	s_waitcnt lgkmcnt(1)
	v_fma_f64 v[2:3], v[24:25], v[145:146], v[2:3]
	scratch_load_b128 v[22:25], off, off offset:344
	s_waitcnt vmcnt(4)
	v_fma_f64 v[2:3], v[14:15], v[147:148], v[2:3]
	s_waitcnt lgkmcnt(0)
	s_delay_alu instid0(VALU_DEP_1)
	v_fma_f64 v[2:3], v[16:17], v[149:150], v[2:3]
	scratch_load_b128 v[14:17], off, off offset:360
	s_waitcnt vmcnt(4)
	;; [unrolled: 13-line block ×4, first 2 shown]
	v_fma_f64 v[2:3], v[14:15], v[151:152], v[2:3]
	ds_load_b128 v[145:148], v1 offset:832
	ds_load_b128 v[149:152], v1 offset:848
	s_waitcnt lgkmcnt(1)
	v_fma_f64 v[2:3], v[16:17], v[145:146], v[2:3]
	scratch_load_b128 v[14:17], off, off offset:440
	s_waitcnt vmcnt(4)
	v_fma_f64 v[2:3], v[26:27], v[147:148], v[2:3]
	s_waitcnt lgkmcnt(0)
	s_delay_alu instid0(VALU_DEP_1)
	v_fma_f64 v[2:3], v[28:29], v[149:150], v[2:3]
	ds_load_b128 v[26:29], v1 offset:864
	ds_load_b128 v[145:148], v1 offset:880
	s_waitcnt vmcnt(3)
	v_fma_f64 v[2:3], v[18:19], v[151:152], v[2:3]
	s_waitcnt lgkmcnt(1)
	s_delay_alu instid0(VALU_DEP_1) | instskip(SKIP_1) | instid1(VALU_DEP_1)
	v_fma_f64 v[2:3], v[20:21], v[26:27], v[2:3]
	s_waitcnt vmcnt(2)
	v_fma_f64 v[2:3], v[30:31], v[28:29], v[2:3]
	s_waitcnt lgkmcnt(0)
	s_delay_alu instid0(VALU_DEP_1) | instskip(SKIP_1) | instid1(VALU_DEP_1)
	v_fma_f64 v[2:3], v[32:33], v[145:146], v[2:3]
	s_waitcnt vmcnt(1)
	v_fma_f64 v[2:3], v[22:23], v[147:148], v[2:3]
	ds_load_b128 v[18:21], v1 offset:896
	ds_load_b64 v[22:23], v1 offset:912
	s_waitcnt lgkmcnt(1)
	v_fma_f64 v[2:3], v[24:25], v[18:19], v[2:3]
	s_waitcnt vmcnt(0)
	s_delay_alu instid0(VALU_DEP_1) | instskip(SKIP_1) | instid1(VALU_DEP_1)
	v_fma_f64 v[2:3], v[14:15], v[20:21], v[2:3]
	s_waitcnt lgkmcnt(0)
	v_fma_f64 v[2:3], v[16:17], v[22:23], v[2:3]
	s_delay_alu instid0(VALU_DEP_1)
	v_add_f64 v[2:3], v[12:13], -v[2:3]
	scratch_store_b64 off, v[2:3], off offset:104
	v_cmpx_lt_u32_e32 12, v0
	s_cbranch_execz .LBB56_327
; %bb.326:
	scratch_load_b64 v[3:4], off, off offset:96
	v_mov_b32_e32 v2, v1
	scratch_store_b64 off, v[1:2], off offset:96
	s_waitcnt vmcnt(0)
	ds_store_b64 v5, v[3:4]
.LBB56_327:
	s_or_b32 exec_lo, exec_lo, s0
	s_waitcnt lgkmcnt(0)
	s_waitcnt_vscnt null, 0x0
	s_barrier
	buffer_gl0_inv
	s_clause 0x4
	scratch_load_b128 v[12:15], off, off offset:96
	scratch_load_b128 v[16:19], off, off offset:112
	;; [unrolled: 1-line block ×5, first 2 shown]
	ds_load_2addr_b64 v[32:35], v1 offset0:71 offset1:72
	ds_load_2addr_b64 v[145:148], v1 offset0:73 offset1:74
	scratch_load_b128 v[149:152], off, off offset:176
	s_mov_b32 s0, exec_lo
	s_waitcnt vmcnt(5) lgkmcnt(1)
	v_fma_f64 v[2:3], v[14:15], v[32:33], 0
	s_waitcnt vmcnt(4)
	s_delay_alu instid0(VALU_DEP_1) | instskip(SKIP_4) | instid1(VALU_DEP_1)
	v_fma_f64 v[2:3], v[16:17], v[34:35], v[2:3]
	scratch_load_b128 v[14:17], off, off offset:192
	s_waitcnt lgkmcnt(0)
	v_fma_f64 v[2:3], v[18:19], v[145:146], v[2:3]
	s_waitcnt vmcnt(4)
	v_fma_f64 v[2:3], v[20:21], v[147:148], v[2:3]
	ds_load_2addr_b64 v[18:21], v1 offset0:75 offset1:76
	ds_load_2addr_b64 v[32:35], v1 offset0:77 offset1:78
	scratch_load_b128 v[145:148], off, off offset:208
	s_waitcnt lgkmcnt(1)
	v_fma_f64 v[2:3], v[22:23], v[18:19], v[2:3]
	s_waitcnt vmcnt(4)
	s_delay_alu instid0(VALU_DEP_1) | instskip(SKIP_4) | instid1(VALU_DEP_1)
	v_fma_f64 v[2:3], v[24:25], v[20:21], v[2:3]
	scratch_load_b128 v[18:21], off, off offset:224
	s_waitcnt lgkmcnt(0)
	v_fma_f64 v[2:3], v[26:27], v[32:33], v[2:3]
	s_waitcnt vmcnt(4)
	v_fma_f64 v[2:3], v[28:29], v[34:35], v[2:3]
	ds_load_2addr_b64 v[22:25], v1 offset0:79 offset1:80
	ds_load_2addr_b64 v[26:29], v1 offset0:81 offset1:82
	s_waitcnt lgkmcnt(1)
	v_fma_f64 v[2:3], v[30:31], v[22:23], v[2:3]
	scratch_load_b128 v[30:33], off, off offset:240
	s_waitcnt vmcnt(4)
	v_fma_f64 v[2:3], v[149:150], v[24:25], v[2:3]
	scratch_load_b128 v[22:25], off, off offset:256
	s_waitcnt lgkmcnt(0)
	v_fma_f64 v[2:3], v[151:152], v[26:27], v[2:3]
	s_waitcnt vmcnt(4)
	s_delay_alu instid0(VALU_DEP_1)
	v_fma_f64 v[2:3], v[14:15], v[28:29], v[2:3]
	ds_load_2addr_b64 v[26:29], v1 offset0:83 offset1:84
	ds_load_2addr_b64 v[149:152], v1 offset0:85 offset1:86
	s_waitcnt lgkmcnt(1)
	v_fma_f64 v[2:3], v[16:17], v[26:27], v[2:3]
	scratch_load_b128 v[14:17], off, off offset:272
	s_waitcnt vmcnt(4)
	v_fma_f64 v[2:3], v[145:146], v[28:29], v[2:3]
	scratch_load_b128 v[26:29], off, off offset:288
	s_waitcnt lgkmcnt(0)
	v_fma_f64 v[2:3], v[147:148], v[149:150], v[2:3]
	s_waitcnt vmcnt(4)
	s_delay_alu instid0(VALU_DEP_1)
	v_fma_f64 v[2:3], v[18:19], v[151:152], v[2:3]
	ds_load_2addr_b64 v[145:148], v1 offset0:87 offset1:88
	ds_load_2addr_b64 v[149:152], v1 offset0:89 offset1:90
	s_waitcnt lgkmcnt(1)
	v_fma_f64 v[2:3], v[20:21], v[145:146], v[2:3]
	scratch_load_b128 v[18:21], off, off offset:304
	s_waitcnt vmcnt(4)
	v_fma_f64 v[2:3], v[30:31], v[147:148], v[2:3]
	s_waitcnt lgkmcnt(0)
	s_delay_alu instid0(VALU_DEP_1)
	v_fma_f64 v[2:3], v[32:33], v[149:150], v[2:3]
	scratch_load_b128 v[30:33], off, off offset:320
	s_waitcnt vmcnt(4)
	v_fma_f64 v[2:3], v[22:23], v[151:152], v[2:3]
	ds_load_2addr_b64 v[145:148], v1 offset0:91 offset1:92
	ds_load_2addr_b64 v[149:152], v1 offset0:93 offset1:94
	s_waitcnt lgkmcnt(1)
	v_fma_f64 v[2:3], v[24:25], v[145:146], v[2:3]
	scratch_load_b128 v[22:25], off, off offset:336
	s_waitcnt vmcnt(4)
	v_fma_f64 v[2:3], v[14:15], v[147:148], v[2:3]
	s_waitcnt lgkmcnt(0)
	s_delay_alu instid0(VALU_DEP_1)
	v_fma_f64 v[2:3], v[16:17], v[149:150], v[2:3]
	scratch_load_b128 v[14:17], off, off offset:352
	s_waitcnt vmcnt(4)
	;; [unrolled: 13-line block ×4, first 2 shown]
	v_fma_f64 v[2:3], v[14:15], v[151:152], v[2:3]
	ds_load_2addr_b64 v[145:148], v1 offset0:103 offset1:104
	ds_load_2addr_b64 v[149:152], v1 offset0:105 offset1:106
	scratch_load_b64 v[34:35], off, off offset:448
	s_waitcnt lgkmcnt(1)
	v_fma_f64 v[2:3], v[16:17], v[145:146], v[2:3]
	scratch_load_b128 v[14:17], off, off offset:432
	s_waitcnt vmcnt(5)
	v_fma_f64 v[2:3], v[26:27], v[147:148], v[2:3]
	s_waitcnt lgkmcnt(0)
	s_delay_alu instid0(VALU_DEP_1)
	v_fma_f64 v[2:3], v[28:29], v[149:150], v[2:3]
	ds_load_2addr_b64 v[26:29], v1 offset0:107 offset1:108
	ds_load_2addr_b64 v[145:148], v1 offset0:109 offset1:110
	s_waitcnt vmcnt(4)
	v_fma_f64 v[2:3], v[18:19], v[151:152], v[2:3]
	s_waitcnt lgkmcnt(1)
	s_delay_alu instid0(VALU_DEP_1) | instskip(SKIP_1) | instid1(VALU_DEP_1)
	v_fma_f64 v[2:3], v[20:21], v[26:27], v[2:3]
	s_waitcnt vmcnt(3)
	v_fma_f64 v[2:3], v[30:31], v[28:29], v[2:3]
	s_waitcnt lgkmcnt(0)
	s_delay_alu instid0(VALU_DEP_1) | instskip(SKIP_1) | instid1(VALU_DEP_1)
	v_fma_f64 v[2:3], v[32:33], v[145:146], v[2:3]
	s_waitcnt vmcnt(2)
	v_fma_f64 v[22:23], v[22:23], v[147:148], v[2:3]
	ds_load_2addr_b64 v[18:21], v1 offset0:111 offset1:112
	ds_load_2addr_b64 v[1:4], v1 offset0:113 offset1:114
	s_waitcnt lgkmcnt(1)
	v_fma_f64 v[18:19], v[24:25], v[18:19], v[22:23]
	s_waitcnt vmcnt(0)
	s_delay_alu instid0(VALU_DEP_1) | instskip(SKIP_1) | instid1(VALU_DEP_1)
	v_fma_f64 v[14:15], v[14:15], v[20:21], v[18:19]
	s_waitcnt lgkmcnt(0)
	v_fma_f64 v[1:2], v[16:17], v[1:2], v[14:15]
	s_delay_alu instid0(VALU_DEP_1) | instskip(NEXT) | instid1(VALU_DEP_1)
	v_fma_f64 v[1:2], v[34:35], v[3:4], v[1:2]
	v_add_f64 v[1:2], v[12:13], -v[1:2]
	scratch_store_b64 off, v[1:2], off offset:96
	v_cmpx_lt_u32_e32 11, v0
	s_cbranch_execz .LBB56_329
; %bb.328:
	scratch_load_b64 v[1:2], off, off offset:88
	v_mov_b32_e32 v3, 0
	s_delay_alu instid0(VALU_DEP_1)
	v_mov_b32_e32 v4, v3
	scratch_store_b64 off, v[3:4], off offset:88
	s_waitcnt vmcnt(0)
	ds_store_b64 v5, v[1:2]
.LBB56_329:
	s_or_b32 exec_lo, exec_lo, s0
	s_waitcnt lgkmcnt(0)
	s_waitcnt_vscnt null, 0x0
	s_barrier
	buffer_gl0_inv
	s_clause 0x4
	scratch_load_b128 v[1:4], off, off offset:88
	scratch_load_b128 v[13:16], off, off offset:104
	;; [unrolled: 1-line block ×5, first 2 shown]
	v_mov_b32_e32 v12, 0
	ds_load_b128 v[29:32], v12 offset:560
	ds_load_b128 v[33:36], v12 offset:576
	scratch_load_b128 v[145:148], off, off offset:168
	s_mov_b32 s0, exec_lo
	s_waitcnt vmcnt(5) lgkmcnt(1)
	v_fma_f64 v[3:4], v[3:4], v[29:30], 0
	s_waitcnt vmcnt(4)
	s_delay_alu instid0(VALU_DEP_1) | instskip(SKIP_1) | instid1(VALU_DEP_1)
	v_fma_f64 v[3:4], v[13:14], v[31:32], v[3:4]
	s_waitcnt lgkmcnt(0)
	v_fma_f64 v[3:4], v[15:16], v[33:34], v[3:4]
	scratch_load_b128 v[13:16], off, off offset:184
	s_waitcnt vmcnt(4)
	v_fma_f64 v[3:4], v[17:18], v[35:36], v[3:4]
	ds_load_b128 v[29:32], v12 offset:592
	ds_load_b128 v[33:36], v12 offset:608
	s_waitcnt lgkmcnt(1)
	v_fma_f64 v[3:4], v[19:20], v[29:30], v[3:4]
	scratch_load_b128 v[17:20], off, off offset:200
	s_waitcnt vmcnt(4)
	v_fma_f64 v[3:4], v[21:22], v[31:32], v[3:4]
	s_waitcnt lgkmcnt(0)
	s_delay_alu instid0(VALU_DEP_1)
	v_fma_f64 v[3:4], v[23:24], v[33:34], v[3:4]
	scratch_load_b128 v[21:24], off, off offset:216
	s_waitcnt vmcnt(4)
	v_fma_f64 v[3:4], v[25:26], v[35:36], v[3:4]
	ds_load_b128 v[29:32], v12 offset:624
	ds_load_b128 v[33:36], v12 offset:640
	s_waitcnt lgkmcnt(1)
	v_fma_f64 v[3:4], v[27:28], v[29:30], v[3:4]
	scratch_load_b128 v[25:28], off, off offset:232
	s_waitcnt vmcnt(4)
	v_fma_f64 v[3:4], v[145:146], v[31:32], v[3:4]
	scratch_load_b128 v[29:32], off, off offset:248
	s_waitcnt lgkmcnt(0)
	v_fma_f64 v[3:4], v[147:148], v[33:34], v[3:4]
	s_waitcnt vmcnt(4)
	s_delay_alu instid0(VALU_DEP_1)
	v_fma_f64 v[3:4], v[13:14], v[35:36], v[3:4]
	ds_load_b128 v[33:36], v12 offset:656
	ds_load_b128 v[145:148], v12 offset:672
	s_waitcnt lgkmcnt(1)
	v_fma_f64 v[3:4], v[15:16], v[33:34], v[3:4]
	scratch_load_b128 v[13:16], off, off offset:264
	s_waitcnt vmcnt(4)
	v_fma_f64 v[3:4], v[17:18], v[35:36], v[3:4]
	s_waitcnt lgkmcnt(0)
	s_delay_alu instid0(VALU_DEP_1)
	v_fma_f64 v[3:4], v[19:20], v[145:146], v[3:4]
	scratch_load_b128 v[17:20], off, off offset:280
	s_waitcnt vmcnt(4)
	v_fma_f64 v[3:4], v[21:22], v[147:148], v[3:4]
	ds_load_b128 v[33:36], v12 offset:688
	ds_load_b128 v[145:148], v12 offset:704
	s_waitcnt lgkmcnt(1)
	v_fma_f64 v[3:4], v[23:24], v[33:34], v[3:4]
	scratch_load_b128 v[21:24], off, off offset:296
	s_waitcnt vmcnt(4)
	v_fma_f64 v[3:4], v[25:26], v[35:36], v[3:4]
	s_waitcnt lgkmcnt(0)
	s_delay_alu instid0(VALU_DEP_1)
	v_fma_f64 v[3:4], v[27:28], v[145:146], v[3:4]
	scratch_load_b128 v[25:28], off, off offset:312
	s_waitcnt vmcnt(4)
	;; [unrolled: 13-line block ×6, first 2 shown]
	v_fma_f64 v[3:4], v[21:22], v[147:148], v[3:4]
	ds_load_b128 v[33:36], v12 offset:848
	ds_load_b128 v[145:148], v12 offset:864
	s_waitcnt lgkmcnt(1)
	v_fma_f64 v[3:4], v[23:24], v[33:34], v[3:4]
	s_waitcnt vmcnt(3)
	s_delay_alu instid0(VALU_DEP_1) | instskip(SKIP_1) | instid1(VALU_DEP_1)
	v_fma_f64 v[3:4], v[25:26], v[35:36], v[3:4]
	s_waitcnt lgkmcnt(0)
	v_fma_f64 v[3:4], v[27:28], v[145:146], v[3:4]
	ds_load_b128 v[21:24], v12 offset:880
	ds_load_b128 v[25:28], v12 offset:896
	s_waitcnt vmcnt(2)
	v_fma_f64 v[3:4], v[29:30], v[147:148], v[3:4]
	s_waitcnt lgkmcnt(1)
	s_delay_alu instid0(VALU_DEP_1) | instskip(SKIP_1) | instid1(VALU_DEP_1)
	v_fma_f64 v[3:4], v[31:32], v[21:22], v[3:4]
	s_waitcnt vmcnt(1)
	v_fma_f64 v[3:4], v[13:14], v[23:24], v[3:4]
	ds_load_b64 v[13:14], v12 offset:912
	s_waitcnt lgkmcnt(1)
	v_fma_f64 v[3:4], v[15:16], v[25:26], v[3:4]
	s_waitcnt vmcnt(0)
	s_delay_alu instid0(VALU_DEP_1) | instskip(SKIP_1) | instid1(VALU_DEP_1)
	v_fma_f64 v[3:4], v[17:18], v[27:28], v[3:4]
	s_waitcnt lgkmcnt(0)
	v_fma_f64 v[3:4], v[19:20], v[13:14], v[3:4]
	s_delay_alu instid0(VALU_DEP_1)
	v_add_f64 v[1:2], v[1:2], -v[3:4]
	scratch_store_b64 off, v[1:2], off offset:88
	v_cmpx_lt_u32_e32 10, v0
	s_cbranch_execz .LBB56_331
; %bb.330:
	scratch_load_b64 v[1:2], off, off offset:80
	v_mov_b32_e32 v13, v12
	scratch_store_b64 off, v[12:13], off offset:80
	s_waitcnt vmcnt(0)
	ds_store_b64 v5, v[1:2]
.LBB56_331:
	s_or_b32 exec_lo, exec_lo, s0
	s_waitcnt lgkmcnt(0)
	s_waitcnt_vscnt null, 0x0
	s_barrier
	buffer_gl0_inv
	s_clause 0x4
	scratch_load_b128 v[1:4], off, off offset:80
	scratch_load_b128 v[13:16], off, off offset:96
	;; [unrolled: 1-line block ×5, first 2 shown]
	ds_load_2addr_b64 v[29:32], v12 offset0:69 offset1:70
	ds_load_2addr_b64 v[33:36], v12 offset0:71 offset1:72
	scratch_load_b128 v[145:148], off, off offset:160
	s_mov_b32 s0, exec_lo
	s_waitcnt vmcnt(5) lgkmcnt(1)
	v_fma_f64 v[3:4], v[3:4], v[29:30], 0
	s_waitcnt vmcnt(4)
	s_delay_alu instid0(VALU_DEP_1) | instskip(SKIP_1) | instid1(VALU_DEP_1)
	v_fma_f64 v[3:4], v[13:14], v[31:32], v[3:4]
	s_waitcnt lgkmcnt(0)
	v_fma_f64 v[3:4], v[15:16], v[33:34], v[3:4]
	scratch_load_b128 v[13:16], off, off offset:176
	s_waitcnt vmcnt(4)
	v_fma_f64 v[3:4], v[17:18], v[35:36], v[3:4]
	ds_load_2addr_b64 v[29:32], v12 offset0:73 offset1:74
	ds_load_2addr_b64 v[33:36], v12 offset0:75 offset1:76
	s_waitcnt lgkmcnt(1)
	v_fma_f64 v[3:4], v[19:20], v[29:30], v[3:4]
	scratch_load_b128 v[17:20], off, off offset:192
	s_waitcnt vmcnt(4)
	v_fma_f64 v[3:4], v[21:22], v[31:32], v[3:4]
	s_waitcnt lgkmcnt(0)
	s_delay_alu instid0(VALU_DEP_1)
	v_fma_f64 v[3:4], v[23:24], v[33:34], v[3:4]
	scratch_load_b128 v[21:24], off, off offset:208
	s_waitcnt vmcnt(4)
	v_fma_f64 v[3:4], v[25:26], v[35:36], v[3:4]
	ds_load_2addr_b64 v[29:32], v12 offset0:77 offset1:78
	ds_load_2addr_b64 v[33:36], v12 offset0:79 offset1:80
	s_waitcnt lgkmcnt(1)
	v_fma_f64 v[3:4], v[27:28], v[29:30], v[3:4]
	scratch_load_b128 v[25:28], off, off offset:224
	s_waitcnt vmcnt(4)
	v_fma_f64 v[3:4], v[145:146], v[31:32], v[3:4]
	scratch_load_b128 v[29:32], off, off offset:240
	s_waitcnt lgkmcnt(0)
	v_fma_f64 v[3:4], v[147:148], v[33:34], v[3:4]
	s_waitcnt vmcnt(4)
	s_delay_alu instid0(VALU_DEP_1)
	v_fma_f64 v[3:4], v[13:14], v[35:36], v[3:4]
	ds_load_2addr_b64 v[33:36], v12 offset0:81 offset1:82
	ds_load_2addr_b64 v[145:148], v12 offset0:83 offset1:84
	s_waitcnt lgkmcnt(1)
	v_fma_f64 v[3:4], v[15:16], v[33:34], v[3:4]
	scratch_load_b128 v[13:16], off, off offset:256
	s_waitcnt vmcnt(4)
	v_fma_f64 v[3:4], v[17:18], v[35:36], v[3:4]
	s_waitcnt lgkmcnt(0)
	s_delay_alu instid0(VALU_DEP_1)
	v_fma_f64 v[3:4], v[19:20], v[145:146], v[3:4]
	scratch_load_b128 v[17:20], off, off offset:272
	s_waitcnt vmcnt(4)
	v_fma_f64 v[3:4], v[21:22], v[147:148], v[3:4]
	ds_load_2addr_b64 v[33:36], v12 offset0:85 offset1:86
	ds_load_2addr_b64 v[145:148], v12 offset0:87 offset1:88
	s_waitcnt lgkmcnt(1)
	v_fma_f64 v[3:4], v[23:24], v[33:34], v[3:4]
	scratch_load_b128 v[21:24], off, off offset:288
	s_waitcnt vmcnt(4)
	v_fma_f64 v[3:4], v[25:26], v[35:36], v[3:4]
	s_waitcnt lgkmcnt(0)
	s_delay_alu instid0(VALU_DEP_1)
	v_fma_f64 v[3:4], v[27:28], v[145:146], v[3:4]
	scratch_load_b128 v[25:28], off, off offset:304
	s_waitcnt vmcnt(4)
	;; [unrolled: 13-line block ×6, first 2 shown]
	v_fma_f64 v[3:4], v[21:22], v[147:148], v[3:4]
	ds_load_2addr_b64 v[33:36], v12 offset0:105 offset1:106
	ds_load_2addr_b64 v[145:148], v12 offset0:107 offset1:108
	s_waitcnt lgkmcnt(1)
	v_fma_f64 v[3:4], v[23:24], v[33:34], v[3:4]
	scratch_load_b64 v[33:34], off, off offset:448
	s_waitcnt vmcnt(4)
	v_fma_f64 v[3:4], v[25:26], v[35:36], v[3:4]
	s_waitcnt lgkmcnt(0)
	s_delay_alu instid0(VALU_DEP_1)
	v_fma_f64 v[3:4], v[27:28], v[145:146], v[3:4]
	ds_load_2addr_b64 v[21:24], v12 offset0:109 offset1:110
	ds_load_2addr_b64 v[25:28], v12 offset0:111 offset1:112
	s_waitcnt vmcnt(3)
	v_fma_f64 v[3:4], v[29:30], v[147:148], v[3:4]
	s_waitcnt lgkmcnt(1)
	s_delay_alu instid0(VALU_DEP_1) | instskip(SKIP_1) | instid1(VALU_DEP_1)
	v_fma_f64 v[3:4], v[31:32], v[21:22], v[3:4]
	s_waitcnt vmcnt(2)
	v_fma_f64 v[3:4], v[13:14], v[23:24], v[3:4]
	s_waitcnt lgkmcnt(0)
	s_delay_alu instid0(VALU_DEP_1) | instskip(SKIP_4) | instid1(VALU_DEP_1)
	v_fma_f64 v[3:4], v[15:16], v[25:26], v[3:4]
	ds_load_2addr_b64 v[12:15], v12 offset0:113 offset1:114
	s_waitcnt vmcnt(1)
	v_fma_f64 v[3:4], v[17:18], v[27:28], v[3:4]
	s_waitcnt lgkmcnt(0)
	v_fma_f64 v[3:4], v[19:20], v[12:13], v[3:4]
	s_waitcnt vmcnt(0)
	s_delay_alu instid0(VALU_DEP_1) | instskip(NEXT) | instid1(VALU_DEP_1)
	v_fma_f64 v[3:4], v[33:34], v[14:15], v[3:4]
	v_add_f64 v[1:2], v[1:2], -v[3:4]
	scratch_store_b64 off, v[1:2], off offset:80
	v_cmpx_lt_u32_e32 9, v0
	s_cbranch_execz .LBB56_333
; %bb.332:
	scratch_load_b64 v[1:2], off, off offset:72
	v_mov_b32_e32 v3, 0
	s_delay_alu instid0(VALU_DEP_1)
	v_mov_b32_e32 v4, v3
	scratch_store_b64 off, v[3:4], off offset:72
	s_waitcnt vmcnt(0)
	ds_store_b64 v5, v[1:2]
.LBB56_333:
	s_or_b32 exec_lo, exec_lo, s0
	s_waitcnt lgkmcnt(0)
	s_waitcnt_vscnt null, 0x0
	s_barrier
	buffer_gl0_inv
	s_clause 0x4
	scratch_load_b128 v[1:4], off, off offset:72
	scratch_load_b128 v[13:16], off, off offset:88
	;; [unrolled: 1-line block ×5, first 2 shown]
	v_mov_b32_e32 v12, 0
	ds_load_b128 v[29:32], v12 offset:544
	ds_load_b128 v[33:36], v12 offset:560
	scratch_load_b128 v[145:148], off, off offset:152
	s_mov_b32 s0, exec_lo
	s_waitcnt vmcnt(5) lgkmcnt(1)
	v_fma_f64 v[3:4], v[3:4], v[29:30], 0
	s_waitcnt vmcnt(4)
	s_delay_alu instid0(VALU_DEP_1) | instskip(SKIP_1) | instid1(VALU_DEP_1)
	v_fma_f64 v[3:4], v[13:14], v[31:32], v[3:4]
	s_waitcnt lgkmcnt(0)
	v_fma_f64 v[3:4], v[15:16], v[33:34], v[3:4]
	scratch_load_b128 v[13:16], off, off offset:168
	s_waitcnt vmcnt(4)
	v_fma_f64 v[3:4], v[17:18], v[35:36], v[3:4]
	ds_load_b128 v[29:32], v12 offset:576
	ds_load_b128 v[33:36], v12 offset:592
	s_waitcnt lgkmcnt(1)
	v_fma_f64 v[3:4], v[19:20], v[29:30], v[3:4]
	scratch_load_b128 v[17:20], off, off offset:184
	s_waitcnt vmcnt(4)
	v_fma_f64 v[3:4], v[21:22], v[31:32], v[3:4]
	s_waitcnt lgkmcnt(0)
	s_delay_alu instid0(VALU_DEP_1)
	v_fma_f64 v[3:4], v[23:24], v[33:34], v[3:4]
	scratch_load_b128 v[21:24], off, off offset:200
	s_waitcnt vmcnt(4)
	v_fma_f64 v[3:4], v[25:26], v[35:36], v[3:4]
	ds_load_b128 v[29:32], v12 offset:608
	ds_load_b128 v[33:36], v12 offset:624
	s_waitcnt lgkmcnt(1)
	v_fma_f64 v[3:4], v[27:28], v[29:30], v[3:4]
	scratch_load_b128 v[25:28], off, off offset:216
	s_waitcnt vmcnt(4)
	v_fma_f64 v[3:4], v[145:146], v[31:32], v[3:4]
	scratch_load_b128 v[29:32], off, off offset:232
	s_waitcnt lgkmcnt(0)
	v_fma_f64 v[3:4], v[147:148], v[33:34], v[3:4]
	s_waitcnt vmcnt(4)
	s_delay_alu instid0(VALU_DEP_1)
	v_fma_f64 v[3:4], v[13:14], v[35:36], v[3:4]
	ds_load_b128 v[33:36], v12 offset:640
	ds_load_b128 v[145:148], v12 offset:656
	s_waitcnt lgkmcnt(1)
	v_fma_f64 v[3:4], v[15:16], v[33:34], v[3:4]
	scratch_load_b128 v[13:16], off, off offset:248
	s_waitcnt vmcnt(4)
	v_fma_f64 v[3:4], v[17:18], v[35:36], v[3:4]
	s_waitcnt lgkmcnt(0)
	s_delay_alu instid0(VALU_DEP_1)
	v_fma_f64 v[3:4], v[19:20], v[145:146], v[3:4]
	scratch_load_b128 v[17:20], off, off offset:264
	s_waitcnt vmcnt(4)
	v_fma_f64 v[3:4], v[21:22], v[147:148], v[3:4]
	ds_load_b128 v[33:36], v12 offset:672
	ds_load_b128 v[145:148], v12 offset:688
	s_waitcnt lgkmcnt(1)
	v_fma_f64 v[3:4], v[23:24], v[33:34], v[3:4]
	scratch_load_b128 v[21:24], off, off offset:280
	s_waitcnt vmcnt(4)
	v_fma_f64 v[3:4], v[25:26], v[35:36], v[3:4]
	s_waitcnt lgkmcnt(0)
	s_delay_alu instid0(VALU_DEP_1)
	v_fma_f64 v[3:4], v[27:28], v[145:146], v[3:4]
	scratch_load_b128 v[25:28], off, off offset:296
	s_waitcnt vmcnt(4)
	;; [unrolled: 13-line block ×6, first 2 shown]
	v_fma_f64 v[3:4], v[21:22], v[147:148], v[3:4]
	ds_load_b128 v[33:36], v12 offset:832
	ds_load_b128 v[145:148], v12 offset:848
	s_waitcnt lgkmcnt(1)
	v_fma_f64 v[3:4], v[23:24], v[33:34], v[3:4]
	scratch_load_b128 v[21:24], off, off offset:440
	s_waitcnt vmcnt(4)
	v_fma_f64 v[3:4], v[25:26], v[35:36], v[3:4]
	s_waitcnt lgkmcnt(0)
	s_delay_alu instid0(VALU_DEP_1)
	v_fma_f64 v[3:4], v[27:28], v[145:146], v[3:4]
	ds_load_b128 v[25:28], v12 offset:864
	ds_load_b128 v[33:36], v12 offset:880
	s_waitcnt vmcnt(3)
	v_fma_f64 v[3:4], v[29:30], v[147:148], v[3:4]
	s_waitcnt lgkmcnt(1)
	s_delay_alu instid0(VALU_DEP_1) | instskip(SKIP_1) | instid1(VALU_DEP_1)
	v_fma_f64 v[3:4], v[31:32], v[25:26], v[3:4]
	s_waitcnt vmcnt(2)
	v_fma_f64 v[3:4], v[13:14], v[27:28], v[3:4]
	s_waitcnt lgkmcnt(0)
	s_delay_alu instid0(VALU_DEP_1) | instskip(SKIP_1) | instid1(VALU_DEP_1)
	v_fma_f64 v[3:4], v[15:16], v[33:34], v[3:4]
	s_waitcnt vmcnt(1)
	v_fma_f64 v[3:4], v[17:18], v[35:36], v[3:4]
	ds_load_b128 v[13:16], v12 offset:896
	ds_load_b64 v[17:18], v12 offset:912
	s_waitcnt lgkmcnt(1)
	v_fma_f64 v[3:4], v[19:20], v[13:14], v[3:4]
	s_waitcnt vmcnt(0)
	s_delay_alu instid0(VALU_DEP_1) | instskip(SKIP_1) | instid1(VALU_DEP_1)
	v_fma_f64 v[3:4], v[21:22], v[15:16], v[3:4]
	s_waitcnt lgkmcnt(0)
	v_fma_f64 v[3:4], v[23:24], v[17:18], v[3:4]
	s_delay_alu instid0(VALU_DEP_1)
	v_add_f64 v[1:2], v[1:2], -v[3:4]
	scratch_store_b64 off, v[1:2], off offset:72
	v_cmpx_lt_u32_e32 8, v0
	s_cbranch_execz .LBB56_335
; %bb.334:
	scratch_load_b64 v[1:2], off, off offset:64
	v_mov_b32_e32 v13, v12
	scratch_store_b64 off, v[12:13], off offset:64
	s_waitcnt vmcnt(0)
	ds_store_b64 v5, v[1:2]
.LBB56_335:
	s_or_b32 exec_lo, exec_lo, s0
	s_waitcnt lgkmcnt(0)
	s_waitcnt_vscnt null, 0x0
	s_barrier
	buffer_gl0_inv
	s_clause 0x4
	scratch_load_b128 v[1:4], off, off offset:64
	scratch_load_b128 v[13:16], off, off offset:80
	;; [unrolled: 1-line block ×5, first 2 shown]
	ds_load_2addr_b64 v[29:32], v12 offset0:67 offset1:68
	ds_load_2addr_b64 v[33:36], v12 offset0:69 offset1:70
	scratch_load_b128 v[145:148], off, off offset:144
	s_mov_b32 s0, exec_lo
	s_waitcnt vmcnt(5) lgkmcnt(1)
	v_fma_f64 v[3:4], v[3:4], v[29:30], 0
	s_waitcnt vmcnt(4)
	s_delay_alu instid0(VALU_DEP_1) | instskip(SKIP_1) | instid1(VALU_DEP_1)
	v_fma_f64 v[3:4], v[13:14], v[31:32], v[3:4]
	s_waitcnt lgkmcnt(0)
	v_fma_f64 v[3:4], v[15:16], v[33:34], v[3:4]
	scratch_load_b128 v[13:16], off, off offset:160
	s_waitcnt vmcnt(4)
	v_fma_f64 v[3:4], v[17:18], v[35:36], v[3:4]
	ds_load_2addr_b64 v[29:32], v12 offset0:71 offset1:72
	ds_load_2addr_b64 v[33:36], v12 offset0:73 offset1:74
	s_waitcnt lgkmcnt(1)
	v_fma_f64 v[3:4], v[19:20], v[29:30], v[3:4]
	scratch_load_b128 v[17:20], off, off offset:176
	s_waitcnt vmcnt(4)
	v_fma_f64 v[3:4], v[21:22], v[31:32], v[3:4]
	s_waitcnt lgkmcnt(0)
	s_delay_alu instid0(VALU_DEP_1)
	v_fma_f64 v[3:4], v[23:24], v[33:34], v[3:4]
	scratch_load_b128 v[21:24], off, off offset:192
	s_waitcnt vmcnt(4)
	v_fma_f64 v[3:4], v[25:26], v[35:36], v[3:4]
	ds_load_2addr_b64 v[29:32], v12 offset0:75 offset1:76
	ds_load_2addr_b64 v[33:36], v12 offset0:77 offset1:78
	s_waitcnt lgkmcnt(1)
	v_fma_f64 v[3:4], v[27:28], v[29:30], v[3:4]
	scratch_load_b128 v[25:28], off, off offset:208
	s_waitcnt vmcnt(4)
	v_fma_f64 v[3:4], v[145:146], v[31:32], v[3:4]
	scratch_load_b128 v[29:32], off, off offset:224
	s_waitcnt lgkmcnt(0)
	v_fma_f64 v[3:4], v[147:148], v[33:34], v[3:4]
	s_waitcnt vmcnt(4)
	s_delay_alu instid0(VALU_DEP_1)
	v_fma_f64 v[3:4], v[13:14], v[35:36], v[3:4]
	ds_load_2addr_b64 v[33:36], v12 offset0:79 offset1:80
	ds_load_2addr_b64 v[145:148], v12 offset0:81 offset1:82
	s_waitcnt lgkmcnt(1)
	v_fma_f64 v[3:4], v[15:16], v[33:34], v[3:4]
	scratch_load_b128 v[13:16], off, off offset:240
	s_waitcnt vmcnt(4)
	v_fma_f64 v[3:4], v[17:18], v[35:36], v[3:4]
	s_waitcnt lgkmcnt(0)
	s_delay_alu instid0(VALU_DEP_1)
	v_fma_f64 v[3:4], v[19:20], v[145:146], v[3:4]
	scratch_load_b128 v[17:20], off, off offset:256
	s_waitcnt vmcnt(4)
	v_fma_f64 v[3:4], v[21:22], v[147:148], v[3:4]
	ds_load_2addr_b64 v[33:36], v12 offset0:83 offset1:84
	ds_load_2addr_b64 v[145:148], v12 offset0:85 offset1:86
	s_waitcnt lgkmcnt(1)
	v_fma_f64 v[3:4], v[23:24], v[33:34], v[3:4]
	scratch_load_b128 v[21:24], off, off offset:272
	s_waitcnt vmcnt(4)
	v_fma_f64 v[3:4], v[25:26], v[35:36], v[3:4]
	s_waitcnt lgkmcnt(0)
	s_delay_alu instid0(VALU_DEP_1)
	v_fma_f64 v[3:4], v[27:28], v[145:146], v[3:4]
	scratch_load_b128 v[25:28], off, off offset:288
	s_waitcnt vmcnt(4)
	;; [unrolled: 13-line block ×6, first 2 shown]
	v_fma_f64 v[3:4], v[21:22], v[147:148], v[3:4]
	ds_load_2addr_b64 v[33:36], v12 offset0:103 offset1:104
	ds_load_2addr_b64 v[145:148], v12 offset0:105 offset1:106
	s_waitcnt lgkmcnt(1)
	v_fma_f64 v[3:4], v[23:24], v[33:34], v[3:4]
	scratch_load_b128 v[21:24], off, off offset:432
	s_waitcnt vmcnt(4)
	v_fma_f64 v[3:4], v[25:26], v[35:36], v[3:4]
	s_waitcnt lgkmcnt(0)
	s_delay_alu instid0(VALU_DEP_1)
	v_fma_f64 v[3:4], v[27:28], v[145:146], v[3:4]
	scratch_load_b64 v[145:146], off, off offset:448
	ds_load_2addr_b64 v[25:28], v12 offset0:107 offset1:108
	ds_load_2addr_b64 v[33:36], v12 offset0:109 offset1:110
	s_waitcnt vmcnt(4)
	v_fma_f64 v[3:4], v[29:30], v[147:148], v[3:4]
	s_waitcnt lgkmcnt(1)
	s_delay_alu instid0(VALU_DEP_1) | instskip(SKIP_1) | instid1(VALU_DEP_1)
	v_fma_f64 v[3:4], v[31:32], v[25:26], v[3:4]
	s_waitcnt vmcnt(3)
	v_fma_f64 v[3:4], v[13:14], v[27:28], v[3:4]
	s_waitcnt lgkmcnt(0)
	s_delay_alu instid0(VALU_DEP_1)
	v_fma_f64 v[3:4], v[15:16], v[33:34], v[3:4]
	ds_load_2addr_b64 v[13:16], v12 offset0:111 offset1:112
	ds_load_2addr_b64 v[25:28], v12 offset0:113 offset1:114
	s_waitcnt vmcnt(2)
	v_fma_f64 v[3:4], v[17:18], v[35:36], v[3:4]
	s_waitcnt lgkmcnt(1)
	s_delay_alu instid0(VALU_DEP_1) | instskip(SKIP_1) | instid1(VALU_DEP_1)
	v_fma_f64 v[3:4], v[19:20], v[13:14], v[3:4]
	s_waitcnt vmcnt(1)
	v_fma_f64 v[3:4], v[21:22], v[15:16], v[3:4]
	s_waitcnt lgkmcnt(0)
	s_delay_alu instid0(VALU_DEP_1) | instskip(SKIP_1) | instid1(VALU_DEP_1)
	v_fma_f64 v[3:4], v[23:24], v[25:26], v[3:4]
	s_waitcnt vmcnt(0)
	v_fma_f64 v[3:4], v[145:146], v[27:28], v[3:4]
	s_delay_alu instid0(VALU_DEP_1)
	v_add_f64 v[1:2], v[1:2], -v[3:4]
	scratch_store_b64 off, v[1:2], off offset:64
	v_cmpx_lt_u32_e32 7, v0
	s_cbranch_execz .LBB56_337
; %bb.336:
	scratch_load_b64 v[1:2], off, off offset:56
	v_mov_b32_e32 v3, 0
	s_delay_alu instid0(VALU_DEP_1)
	v_mov_b32_e32 v4, v3
	scratch_store_b64 off, v[3:4], off offset:56
	s_waitcnt vmcnt(0)
	ds_store_b64 v5, v[1:2]
.LBB56_337:
	s_or_b32 exec_lo, exec_lo, s0
	s_waitcnt lgkmcnt(0)
	s_waitcnt_vscnt null, 0x0
	s_barrier
	buffer_gl0_inv
	s_clause 0x4
	scratch_load_b128 v[1:4], off, off offset:56
	scratch_load_b128 v[13:16], off, off offset:72
	;; [unrolled: 1-line block ×5, first 2 shown]
	v_mov_b32_e32 v12, 0
	ds_load_b128 v[29:32], v12 offset:528
	ds_load_b128 v[33:36], v12 offset:544
	scratch_load_b128 v[145:148], off, off offset:136
	s_mov_b32 s0, exec_lo
	s_waitcnt vmcnt(5) lgkmcnt(1)
	v_fma_f64 v[3:4], v[3:4], v[29:30], 0
	s_waitcnt vmcnt(4)
	s_delay_alu instid0(VALU_DEP_1) | instskip(SKIP_1) | instid1(VALU_DEP_1)
	v_fma_f64 v[3:4], v[13:14], v[31:32], v[3:4]
	s_waitcnt lgkmcnt(0)
	v_fma_f64 v[3:4], v[15:16], v[33:34], v[3:4]
	scratch_load_b128 v[13:16], off, off offset:152
	s_waitcnt vmcnt(4)
	v_fma_f64 v[3:4], v[17:18], v[35:36], v[3:4]
	ds_load_b128 v[29:32], v12 offset:560
	ds_load_b128 v[33:36], v12 offset:576
	s_waitcnt lgkmcnt(1)
	v_fma_f64 v[3:4], v[19:20], v[29:30], v[3:4]
	scratch_load_b128 v[17:20], off, off offset:168
	s_waitcnt vmcnt(4)
	v_fma_f64 v[3:4], v[21:22], v[31:32], v[3:4]
	s_waitcnt lgkmcnt(0)
	s_delay_alu instid0(VALU_DEP_1)
	v_fma_f64 v[3:4], v[23:24], v[33:34], v[3:4]
	scratch_load_b128 v[21:24], off, off offset:184
	s_waitcnt vmcnt(4)
	v_fma_f64 v[3:4], v[25:26], v[35:36], v[3:4]
	ds_load_b128 v[29:32], v12 offset:592
	ds_load_b128 v[33:36], v12 offset:608
	s_waitcnt lgkmcnt(1)
	v_fma_f64 v[3:4], v[27:28], v[29:30], v[3:4]
	scratch_load_b128 v[25:28], off, off offset:200
	s_waitcnt vmcnt(4)
	v_fma_f64 v[3:4], v[145:146], v[31:32], v[3:4]
	scratch_load_b128 v[29:32], off, off offset:216
	s_waitcnt lgkmcnt(0)
	v_fma_f64 v[3:4], v[147:148], v[33:34], v[3:4]
	s_waitcnt vmcnt(4)
	s_delay_alu instid0(VALU_DEP_1)
	v_fma_f64 v[3:4], v[13:14], v[35:36], v[3:4]
	ds_load_b128 v[33:36], v12 offset:624
	ds_load_b128 v[145:148], v12 offset:640
	s_waitcnt lgkmcnt(1)
	v_fma_f64 v[3:4], v[15:16], v[33:34], v[3:4]
	scratch_load_b128 v[13:16], off, off offset:232
	s_waitcnt vmcnt(4)
	v_fma_f64 v[3:4], v[17:18], v[35:36], v[3:4]
	s_waitcnt lgkmcnt(0)
	s_delay_alu instid0(VALU_DEP_1)
	v_fma_f64 v[3:4], v[19:20], v[145:146], v[3:4]
	scratch_load_b128 v[17:20], off, off offset:248
	s_waitcnt vmcnt(4)
	v_fma_f64 v[3:4], v[21:22], v[147:148], v[3:4]
	ds_load_b128 v[33:36], v12 offset:656
	ds_load_b128 v[145:148], v12 offset:672
	s_waitcnt lgkmcnt(1)
	v_fma_f64 v[3:4], v[23:24], v[33:34], v[3:4]
	scratch_load_b128 v[21:24], off, off offset:264
	s_waitcnt vmcnt(4)
	v_fma_f64 v[3:4], v[25:26], v[35:36], v[3:4]
	s_waitcnt lgkmcnt(0)
	s_delay_alu instid0(VALU_DEP_1)
	v_fma_f64 v[3:4], v[27:28], v[145:146], v[3:4]
	scratch_load_b128 v[25:28], off, off offset:280
	s_waitcnt vmcnt(4)
	v_fma_f64 v[3:4], v[29:30], v[147:148], v[3:4]
	ds_load_b128 v[33:36], v12 offset:688
	ds_load_b128 v[145:148], v12 offset:704
	s_waitcnt lgkmcnt(1)
	v_fma_f64 v[3:4], v[31:32], v[33:34], v[3:4]
	scratch_load_b128 v[29:32], off, off offset:296
	s_waitcnt vmcnt(4)
	v_fma_f64 v[3:4], v[13:14], v[35:36], v[3:4]
	s_waitcnt lgkmcnt(0)
	s_delay_alu instid0(VALU_DEP_1)
	v_fma_f64 v[3:4], v[15:16], v[145:146], v[3:4]
	scratch_load_b128 v[13:16], off, off offset:312
	s_waitcnt vmcnt(4)
	v_fma_f64 v[3:4], v[17:18], v[147:148], v[3:4]
	ds_load_b128 v[33:36], v12 offset:720
	ds_load_b128 v[145:148], v12 offset:736
	s_waitcnt lgkmcnt(1)
	v_fma_f64 v[3:4], v[19:20], v[33:34], v[3:4]
	scratch_load_b128 v[17:20], off, off offset:328
	s_waitcnt vmcnt(4)
	v_fma_f64 v[3:4], v[21:22], v[35:36], v[3:4]
	s_waitcnt lgkmcnt(0)
	s_delay_alu instid0(VALU_DEP_1)
	v_fma_f64 v[3:4], v[23:24], v[145:146], v[3:4]
	scratch_load_b128 v[21:24], off, off offset:344
	s_waitcnt vmcnt(4)
	v_fma_f64 v[3:4], v[25:26], v[147:148], v[3:4]
	ds_load_b128 v[33:36], v12 offset:752
	ds_load_b128 v[145:148], v12 offset:768
	s_waitcnt lgkmcnt(1)
	v_fma_f64 v[3:4], v[27:28], v[33:34], v[3:4]
	scratch_load_b128 v[25:28], off, off offset:360
	s_waitcnt vmcnt(4)
	v_fma_f64 v[3:4], v[29:30], v[35:36], v[3:4]
	s_waitcnt lgkmcnt(0)
	s_delay_alu instid0(VALU_DEP_1)
	v_fma_f64 v[3:4], v[31:32], v[145:146], v[3:4]
	scratch_load_b128 v[29:32], off, off offset:376
	s_waitcnt vmcnt(4)
	v_fma_f64 v[3:4], v[13:14], v[147:148], v[3:4]
	ds_load_b128 v[33:36], v12 offset:784
	ds_load_b128 v[145:148], v12 offset:800
	s_waitcnt lgkmcnt(1)
	v_fma_f64 v[3:4], v[15:16], v[33:34], v[3:4]
	scratch_load_b128 v[13:16], off, off offset:392
	s_waitcnt vmcnt(4)
	v_fma_f64 v[3:4], v[17:18], v[35:36], v[3:4]
	s_waitcnt lgkmcnt(0)
	s_delay_alu instid0(VALU_DEP_1)
	v_fma_f64 v[3:4], v[19:20], v[145:146], v[3:4]
	scratch_load_b128 v[17:20], off, off offset:408
	s_waitcnt vmcnt(4)
	v_fma_f64 v[3:4], v[21:22], v[147:148], v[3:4]
	ds_load_b128 v[33:36], v12 offset:816
	ds_load_b128 v[145:148], v12 offset:832
	s_waitcnt lgkmcnt(1)
	v_fma_f64 v[3:4], v[23:24], v[33:34], v[3:4]
	scratch_load_b128 v[21:24], off, off offset:424
	s_waitcnt vmcnt(4)
	v_fma_f64 v[3:4], v[25:26], v[35:36], v[3:4]
	s_waitcnt lgkmcnt(0)
	s_delay_alu instid0(VALU_DEP_1)
	v_fma_f64 v[3:4], v[27:28], v[145:146], v[3:4]
	scratch_load_b128 v[25:28], off, off offset:440
	s_waitcnt vmcnt(4)
	v_fma_f64 v[3:4], v[29:30], v[147:148], v[3:4]
	ds_load_b128 v[33:36], v12 offset:848
	ds_load_b128 v[145:148], v12 offset:864
	s_waitcnt lgkmcnt(1)
	v_fma_f64 v[3:4], v[31:32], v[33:34], v[3:4]
	s_waitcnt vmcnt(3)
	s_delay_alu instid0(VALU_DEP_1) | instskip(SKIP_1) | instid1(VALU_DEP_1)
	v_fma_f64 v[3:4], v[13:14], v[35:36], v[3:4]
	s_waitcnt lgkmcnt(0)
	v_fma_f64 v[3:4], v[15:16], v[145:146], v[3:4]
	ds_load_b128 v[13:16], v12 offset:880
	ds_load_b128 v[29:32], v12 offset:896
	s_waitcnt vmcnt(2)
	v_fma_f64 v[3:4], v[17:18], v[147:148], v[3:4]
	s_waitcnt lgkmcnt(1)
	s_delay_alu instid0(VALU_DEP_1) | instskip(SKIP_4) | instid1(VALU_DEP_1)
	v_fma_f64 v[3:4], v[19:20], v[13:14], v[3:4]
	ds_load_b64 v[13:14], v12 offset:912
	s_waitcnt vmcnt(1)
	v_fma_f64 v[3:4], v[21:22], v[15:16], v[3:4]
	s_waitcnt lgkmcnt(1)
	v_fma_f64 v[3:4], v[23:24], v[29:30], v[3:4]
	s_waitcnt vmcnt(0)
	s_delay_alu instid0(VALU_DEP_1) | instskip(SKIP_1) | instid1(VALU_DEP_1)
	v_fma_f64 v[3:4], v[25:26], v[31:32], v[3:4]
	s_waitcnt lgkmcnt(0)
	v_fma_f64 v[3:4], v[27:28], v[13:14], v[3:4]
	s_delay_alu instid0(VALU_DEP_1)
	v_add_f64 v[1:2], v[1:2], -v[3:4]
	scratch_store_b64 off, v[1:2], off offset:56
	v_cmpx_lt_u32_e32 6, v0
	s_cbranch_execz .LBB56_339
; %bb.338:
	scratch_load_b64 v[1:2], off, off offset:48
	v_mov_b32_e32 v13, v12
	scratch_store_b64 off, v[12:13], off offset:48
	s_waitcnt vmcnt(0)
	ds_store_b64 v5, v[1:2]
.LBB56_339:
	s_or_b32 exec_lo, exec_lo, s0
	s_waitcnt lgkmcnt(0)
	s_waitcnt_vscnt null, 0x0
	s_barrier
	buffer_gl0_inv
	s_clause 0x4
	scratch_load_b128 v[1:4], off, off offset:48
	scratch_load_b128 v[13:16], off, off offset:64
	;; [unrolled: 1-line block ×5, first 2 shown]
	ds_load_2addr_b64 v[29:32], v12 offset0:65 offset1:66
	ds_load_2addr_b64 v[33:36], v12 offset0:67 offset1:68
	scratch_load_b128 v[145:148], off, off offset:128
	s_mov_b32 s0, exec_lo
	s_waitcnt vmcnt(5) lgkmcnt(1)
	v_fma_f64 v[3:4], v[3:4], v[29:30], 0
	s_waitcnt vmcnt(4)
	s_delay_alu instid0(VALU_DEP_1) | instskip(SKIP_1) | instid1(VALU_DEP_1)
	v_fma_f64 v[3:4], v[13:14], v[31:32], v[3:4]
	s_waitcnt lgkmcnt(0)
	v_fma_f64 v[3:4], v[15:16], v[33:34], v[3:4]
	scratch_load_b128 v[13:16], off, off offset:144
	s_waitcnt vmcnt(4)
	v_fma_f64 v[3:4], v[17:18], v[35:36], v[3:4]
	ds_load_2addr_b64 v[29:32], v12 offset0:69 offset1:70
	ds_load_2addr_b64 v[33:36], v12 offset0:71 offset1:72
	s_waitcnt lgkmcnt(1)
	v_fma_f64 v[3:4], v[19:20], v[29:30], v[3:4]
	scratch_load_b128 v[17:20], off, off offset:160
	s_waitcnt vmcnt(4)
	v_fma_f64 v[3:4], v[21:22], v[31:32], v[3:4]
	s_waitcnt lgkmcnt(0)
	s_delay_alu instid0(VALU_DEP_1)
	v_fma_f64 v[3:4], v[23:24], v[33:34], v[3:4]
	scratch_load_b128 v[21:24], off, off offset:176
	s_waitcnt vmcnt(4)
	v_fma_f64 v[3:4], v[25:26], v[35:36], v[3:4]
	ds_load_2addr_b64 v[29:32], v12 offset0:73 offset1:74
	ds_load_2addr_b64 v[33:36], v12 offset0:75 offset1:76
	s_waitcnt lgkmcnt(1)
	v_fma_f64 v[3:4], v[27:28], v[29:30], v[3:4]
	scratch_load_b128 v[25:28], off, off offset:192
	s_waitcnt vmcnt(4)
	v_fma_f64 v[3:4], v[145:146], v[31:32], v[3:4]
	scratch_load_b128 v[29:32], off, off offset:208
	s_waitcnt lgkmcnt(0)
	v_fma_f64 v[3:4], v[147:148], v[33:34], v[3:4]
	s_waitcnt vmcnt(4)
	s_delay_alu instid0(VALU_DEP_1)
	v_fma_f64 v[3:4], v[13:14], v[35:36], v[3:4]
	ds_load_2addr_b64 v[33:36], v12 offset0:77 offset1:78
	ds_load_2addr_b64 v[145:148], v12 offset0:79 offset1:80
	s_waitcnt lgkmcnt(1)
	v_fma_f64 v[3:4], v[15:16], v[33:34], v[3:4]
	scratch_load_b128 v[13:16], off, off offset:224
	s_waitcnt vmcnt(4)
	v_fma_f64 v[3:4], v[17:18], v[35:36], v[3:4]
	s_waitcnt lgkmcnt(0)
	s_delay_alu instid0(VALU_DEP_1)
	v_fma_f64 v[3:4], v[19:20], v[145:146], v[3:4]
	scratch_load_b128 v[17:20], off, off offset:240
	s_waitcnt vmcnt(4)
	v_fma_f64 v[3:4], v[21:22], v[147:148], v[3:4]
	ds_load_2addr_b64 v[33:36], v12 offset0:81 offset1:82
	ds_load_2addr_b64 v[145:148], v12 offset0:83 offset1:84
	s_waitcnt lgkmcnt(1)
	v_fma_f64 v[3:4], v[23:24], v[33:34], v[3:4]
	scratch_load_b128 v[21:24], off, off offset:256
	s_waitcnt vmcnt(4)
	v_fma_f64 v[3:4], v[25:26], v[35:36], v[3:4]
	s_waitcnt lgkmcnt(0)
	s_delay_alu instid0(VALU_DEP_1)
	v_fma_f64 v[3:4], v[27:28], v[145:146], v[3:4]
	scratch_load_b128 v[25:28], off, off offset:272
	s_waitcnt vmcnt(4)
	;; [unrolled: 13-line block ×7, first 2 shown]
	v_fma_f64 v[3:4], v[29:30], v[147:148], v[3:4]
	ds_load_2addr_b64 v[33:36], v12 offset0:105 offset1:106
	ds_load_2addr_b64 v[145:148], v12 offset0:107 offset1:108
	s_waitcnt lgkmcnt(1)
	v_fma_f64 v[3:4], v[31:32], v[33:34], v[3:4]
	scratch_load_b64 v[33:34], off, off offset:448
	s_waitcnt vmcnt(4)
	v_fma_f64 v[3:4], v[13:14], v[35:36], v[3:4]
	s_waitcnt lgkmcnt(0)
	s_delay_alu instid0(VALU_DEP_1)
	v_fma_f64 v[3:4], v[15:16], v[145:146], v[3:4]
	ds_load_2addr_b64 v[13:16], v12 offset0:109 offset1:110
	ds_load_2addr_b64 v[29:32], v12 offset0:111 offset1:112
	s_waitcnt vmcnt(3)
	v_fma_f64 v[3:4], v[17:18], v[147:148], v[3:4]
	s_waitcnt lgkmcnt(1)
	s_delay_alu instid0(VALU_DEP_1) | instskip(SKIP_1) | instid1(VALU_DEP_1)
	v_fma_f64 v[3:4], v[19:20], v[13:14], v[3:4]
	s_waitcnt vmcnt(2)
	v_fma_f64 v[3:4], v[21:22], v[15:16], v[3:4]
	ds_load_2addr_b64 v[12:15], v12 offset0:113 offset1:114
	s_waitcnt lgkmcnt(1)
	v_fma_f64 v[3:4], v[23:24], v[29:30], v[3:4]
	s_waitcnt vmcnt(1)
	s_delay_alu instid0(VALU_DEP_1) | instskip(SKIP_1) | instid1(VALU_DEP_1)
	v_fma_f64 v[3:4], v[25:26], v[31:32], v[3:4]
	s_waitcnt lgkmcnt(0)
	v_fma_f64 v[3:4], v[27:28], v[12:13], v[3:4]
	s_waitcnt vmcnt(0)
	s_delay_alu instid0(VALU_DEP_1) | instskip(NEXT) | instid1(VALU_DEP_1)
	v_fma_f64 v[3:4], v[33:34], v[14:15], v[3:4]
	v_add_f64 v[1:2], v[1:2], -v[3:4]
	scratch_store_b64 off, v[1:2], off offset:48
	v_cmpx_lt_u32_e32 5, v0
	s_cbranch_execz .LBB56_341
; %bb.340:
	scratch_load_b64 v[1:2], off, off offset:40
	v_mov_b32_e32 v3, 0
	s_delay_alu instid0(VALU_DEP_1)
	v_mov_b32_e32 v4, v3
	scratch_store_b64 off, v[3:4], off offset:40
	s_waitcnt vmcnt(0)
	ds_store_b64 v5, v[1:2]
.LBB56_341:
	s_or_b32 exec_lo, exec_lo, s0
	s_waitcnt lgkmcnt(0)
	s_waitcnt_vscnt null, 0x0
	s_barrier
	buffer_gl0_inv
	s_clause 0x4
	scratch_load_b128 v[1:4], off, off offset:40
	scratch_load_b128 v[13:16], off, off offset:56
	;; [unrolled: 1-line block ×5, first 2 shown]
	v_mov_b32_e32 v12, 0
	ds_load_b128 v[29:32], v12 offset:512
	ds_load_b128 v[33:36], v12 offset:528
	scratch_load_b128 v[145:148], off, off offset:120
	s_mov_b32 s0, exec_lo
	s_waitcnt vmcnt(5) lgkmcnt(1)
	v_fma_f64 v[3:4], v[3:4], v[29:30], 0
	s_waitcnt vmcnt(4)
	s_delay_alu instid0(VALU_DEP_1) | instskip(SKIP_1) | instid1(VALU_DEP_1)
	v_fma_f64 v[3:4], v[13:14], v[31:32], v[3:4]
	s_waitcnt lgkmcnt(0)
	v_fma_f64 v[3:4], v[15:16], v[33:34], v[3:4]
	scratch_load_b128 v[13:16], off, off offset:136
	s_waitcnt vmcnt(4)
	v_fma_f64 v[3:4], v[17:18], v[35:36], v[3:4]
	ds_load_b128 v[29:32], v12 offset:544
	ds_load_b128 v[33:36], v12 offset:560
	s_waitcnt lgkmcnt(1)
	v_fma_f64 v[3:4], v[19:20], v[29:30], v[3:4]
	scratch_load_b128 v[17:20], off, off offset:152
	s_waitcnt vmcnt(4)
	v_fma_f64 v[3:4], v[21:22], v[31:32], v[3:4]
	s_waitcnt lgkmcnt(0)
	s_delay_alu instid0(VALU_DEP_1)
	v_fma_f64 v[3:4], v[23:24], v[33:34], v[3:4]
	scratch_load_b128 v[21:24], off, off offset:168
	s_waitcnt vmcnt(4)
	v_fma_f64 v[3:4], v[25:26], v[35:36], v[3:4]
	ds_load_b128 v[29:32], v12 offset:576
	ds_load_b128 v[33:36], v12 offset:592
	s_waitcnt lgkmcnt(1)
	v_fma_f64 v[3:4], v[27:28], v[29:30], v[3:4]
	scratch_load_b128 v[25:28], off, off offset:184
	s_waitcnt vmcnt(4)
	v_fma_f64 v[3:4], v[145:146], v[31:32], v[3:4]
	scratch_load_b128 v[29:32], off, off offset:200
	s_waitcnt lgkmcnt(0)
	v_fma_f64 v[3:4], v[147:148], v[33:34], v[3:4]
	s_waitcnt vmcnt(4)
	s_delay_alu instid0(VALU_DEP_1)
	v_fma_f64 v[3:4], v[13:14], v[35:36], v[3:4]
	ds_load_b128 v[33:36], v12 offset:608
	ds_load_b128 v[145:148], v12 offset:624
	s_waitcnt lgkmcnt(1)
	v_fma_f64 v[3:4], v[15:16], v[33:34], v[3:4]
	scratch_load_b128 v[13:16], off, off offset:216
	s_waitcnt vmcnt(4)
	v_fma_f64 v[3:4], v[17:18], v[35:36], v[3:4]
	s_waitcnt lgkmcnt(0)
	s_delay_alu instid0(VALU_DEP_1)
	v_fma_f64 v[3:4], v[19:20], v[145:146], v[3:4]
	scratch_load_b128 v[17:20], off, off offset:232
	s_waitcnt vmcnt(4)
	v_fma_f64 v[3:4], v[21:22], v[147:148], v[3:4]
	ds_load_b128 v[33:36], v12 offset:640
	ds_load_b128 v[145:148], v12 offset:656
	s_waitcnt lgkmcnt(1)
	v_fma_f64 v[3:4], v[23:24], v[33:34], v[3:4]
	scratch_load_b128 v[21:24], off, off offset:248
	s_waitcnt vmcnt(4)
	v_fma_f64 v[3:4], v[25:26], v[35:36], v[3:4]
	s_waitcnt lgkmcnt(0)
	s_delay_alu instid0(VALU_DEP_1)
	v_fma_f64 v[3:4], v[27:28], v[145:146], v[3:4]
	scratch_load_b128 v[25:28], off, off offset:264
	s_waitcnt vmcnt(4)
	;; [unrolled: 13-line block ×7, first 2 shown]
	v_fma_f64 v[3:4], v[29:30], v[147:148], v[3:4]
	ds_load_b128 v[33:36], v12 offset:832
	ds_load_b128 v[145:148], v12 offset:848
	s_waitcnt lgkmcnt(1)
	v_fma_f64 v[3:4], v[31:32], v[33:34], v[3:4]
	scratch_load_b128 v[29:32], off, off offset:440
	s_waitcnt vmcnt(4)
	v_fma_f64 v[3:4], v[13:14], v[35:36], v[3:4]
	s_waitcnt lgkmcnt(0)
	s_delay_alu instid0(VALU_DEP_1)
	v_fma_f64 v[3:4], v[15:16], v[145:146], v[3:4]
	ds_load_b128 v[13:16], v12 offset:864
	ds_load_b128 v[33:36], v12 offset:880
	s_waitcnt vmcnt(3)
	v_fma_f64 v[3:4], v[17:18], v[147:148], v[3:4]
	s_waitcnt lgkmcnt(1)
	s_delay_alu instid0(VALU_DEP_1) | instskip(SKIP_1) | instid1(VALU_DEP_1)
	v_fma_f64 v[3:4], v[19:20], v[13:14], v[3:4]
	s_waitcnt vmcnt(2)
	v_fma_f64 v[3:4], v[21:22], v[15:16], v[3:4]
	ds_load_b128 v[13:16], v12 offset:896
	ds_load_b64 v[17:18], v12 offset:912
	s_waitcnt lgkmcnt(2)
	v_fma_f64 v[3:4], v[23:24], v[33:34], v[3:4]
	s_waitcnt vmcnt(1)
	s_delay_alu instid0(VALU_DEP_1) | instskip(SKIP_1) | instid1(VALU_DEP_1)
	v_fma_f64 v[3:4], v[25:26], v[35:36], v[3:4]
	s_waitcnt lgkmcnt(1)
	v_fma_f64 v[3:4], v[27:28], v[13:14], v[3:4]
	s_waitcnt vmcnt(0)
	s_delay_alu instid0(VALU_DEP_1) | instskip(SKIP_1) | instid1(VALU_DEP_1)
	v_fma_f64 v[3:4], v[29:30], v[15:16], v[3:4]
	s_waitcnt lgkmcnt(0)
	v_fma_f64 v[3:4], v[31:32], v[17:18], v[3:4]
	s_delay_alu instid0(VALU_DEP_1)
	v_add_f64 v[1:2], v[1:2], -v[3:4]
	scratch_store_b64 off, v[1:2], off offset:40
	v_cmpx_lt_u32_e32 4, v0
	s_cbranch_execz .LBB56_343
; %bb.342:
	scratch_load_b64 v[1:2], off, off offset:32
	v_mov_b32_e32 v13, v12
	scratch_store_b64 off, v[12:13], off offset:32
	s_waitcnt vmcnt(0)
	ds_store_b64 v5, v[1:2]
.LBB56_343:
	s_or_b32 exec_lo, exec_lo, s0
	s_waitcnt lgkmcnt(0)
	s_waitcnt_vscnt null, 0x0
	s_barrier
	buffer_gl0_inv
	s_clause 0x4
	scratch_load_b128 v[1:4], off, off offset:32
	scratch_load_b128 v[13:16], off, off offset:48
	scratch_load_b128 v[17:20], off, off offset:64
	scratch_load_b128 v[21:24], off, off offset:80
	scratch_load_b128 v[25:28], off, off offset:96
	ds_load_2addr_b64 v[29:32], v12 offset0:63 offset1:64
	ds_load_2addr_b64 v[33:36], v12 offset0:65 offset1:66
	scratch_load_b128 v[145:148], off, off offset:112
	s_mov_b32 s0, exec_lo
	s_waitcnt vmcnt(5) lgkmcnt(1)
	v_fma_f64 v[3:4], v[3:4], v[29:30], 0
	s_waitcnt vmcnt(4)
	s_delay_alu instid0(VALU_DEP_1) | instskip(SKIP_1) | instid1(VALU_DEP_1)
	v_fma_f64 v[3:4], v[13:14], v[31:32], v[3:4]
	s_waitcnt lgkmcnt(0)
	v_fma_f64 v[3:4], v[15:16], v[33:34], v[3:4]
	scratch_load_b128 v[13:16], off, off offset:128
	s_waitcnt vmcnt(4)
	v_fma_f64 v[3:4], v[17:18], v[35:36], v[3:4]
	ds_load_2addr_b64 v[29:32], v12 offset0:67 offset1:68
	ds_load_2addr_b64 v[33:36], v12 offset0:69 offset1:70
	s_waitcnt lgkmcnt(1)
	v_fma_f64 v[3:4], v[19:20], v[29:30], v[3:4]
	scratch_load_b128 v[17:20], off, off offset:144
	s_waitcnt vmcnt(4)
	v_fma_f64 v[3:4], v[21:22], v[31:32], v[3:4]
	s_waitcnt lgkmcnt(0)
	s_delay_alu instid0(VALU_DEP_1)
	v_fma_f64 v[3:4], v[23:24], v[33:34], v[3:4]
	scratch_load_b128 v[21:24], off, off offset:160
	s_waitcnt vmcnt(4)
	v_fma_f64 v[3:4], v[25:26], v[35:36], v[3:4]
	ds_load_2addr_b64 v[29:32], v12 offset0:71 offset1:72
	ds_load_2addr_b64 v[33:36], v12 offset0:73 offset1:74
	s_waitcnt lgkmcnt(1)
	v_fma_f64 v[3:4], v[27:28], v[29:30], v[3:4]
	scratch_load_b128 v[25:28], off, off offset:176
	s_waitcnt vmcnt(4)
	v_fma_f64 v[3:4], v[145:146], v[31:32], v[3:4]
	scratch_load_b128 v[29:32], off, off offset:192
	s_waitcnt lgkmcnt(0)
	v_fma_f64 v[3:4], v[147:148], v[33:34], v[3:4]
	s_waitcnt vmcnt(4)
	s_delay_alu instid0(VALU_DEP_1)
	v_fma_f64 v[3:4], v[13:14], v[35:36], v[3:4]
	ds_load_2addr_b64 v[33:36], v12 offset0:75 offset1:76
	ds_load_2addr_b64 v[145:148], v12 offset0:77 offset1:78
	s_waitcnt lgkmcnt(1)
	v_fma_f64 v[3:4], v[15:16], v[33:34], v[3:4]
	scratch_load_b128 v[13:16], off, off offset:208
	s_waitcnt vmcnt(4)
	v_fma_f64 v[3:4], v[17:18], v[35:36], v[3:4]
	s_waitcnt lgkmcnt(0)
	s_delay_alu instid0(VALU_DEP_1)
	v_fma_f64 v[3:4], v[19:20], v[145:146], v[3:4]
	scratch_load_b128 v[17:20], off, off offset:224
	s_waitcnt vmcnt(4)
	v_fma_f64 v[3:4], v[21:22], v[147:148], v[3:4]
	ds_load_2addr_b64 v[33:36], v12 offset0:79 offset1:80
	ds_load_2addr_b64 v[145:148], v12 offset0:81 offset1:82
	s_waitcnt lgkmcnt(1)
	v_fma_f64 v[3:4], v[23:24], v[33:34], v[3:4]
	scratch_load_b128 v[21:24], off, off offset:240
	s_waitcnt vmcnt(4)
	v_fma_f64 v[3:4], v[25:26], v[35:36], v[3:4]
	s_waitcnt lgkmcnt(0)
	s_delay_alu instid0(VALU_DEP_1)
	v_fma_f64 v[3:4], v[27:28], v[145:146], v[3:4]
	scratch_load_b128 v[25:28], off, off offset:256
	s_waitcnt vmcnt(4)
	;; [unrolled: 13-line block ×7, first 2 shown]
	v_fma_f64 v[3:4], v[29:30], v[147:148], v[3:4]
	ds_load_2addr_b64 v[33:36], v12 offset0:103 offset1:104
	ds_load_2addr_b64 v[145:148], v12 offset0:105 offset1:106
	s_waitcnt lgkmcnt(1)
	v_fma_f64 v[3:4], v[31:32], v[33:34], v[3:4]
	scratch_load_b128 v[29:32], off, off offset:432
	s_waitcnt vmcnt(4)
	v_fma_f64 v[3:4], v[13:14], v[35:36], v[3:4]
	s_waitcnt lgkmcnt(0)
	s_delay_alu instid0(VALU_DEP_1)
	v_fma_f64 v[3:4], v[15:16], v[145:146], v[3:4]
	scratch_load_b64 v[145:146], off, off offset:448
	ds_load_2addr_b64 v[13:16], v12 offset0:107 offset1:108
	ds_load_2addr_b64 v[33:36], v12 offset0:109 offset1:110
	s_waitcnt vmcnt(4)
	v_fma_f64 v[3:4], v[17:18], v[147:148], v[3:4]
	s_waitcnt lgkmcnt(1)
	s_delay_alu instid0(VALU_DEP_1) | instskip(SKIP_1) | instid1(VALU_DEP_1)
	v_fma_f64 v[3:4], v[19:20], v[13:14], v[3:4]
	s_waitcnt vmcnt(3)
	v_fma_f64 v[3:4], v[21:22], v[15:16], v[3:4]
	ds_load_2addr_b64 v[13:16], v12 offset0:111 offset1:112
	ds_load_2addr_b64 v[17:20], v12 offset0:113 offset1:114
	s_waitcnt lgkmcnt(2)
	v_fma_f64 v[3:4], v[23:24], v[33:34], v[3:4]
	s_waitcnt vmcnt(2)
	s_delay_alu instid0(VALU_DEP_1) | instskip(SKIP_1) | instid1(VALU_DEP_1)
	v_fma_f64 v[3:4], v[25:26], v[35:36], v[3:4]
	s_waitcnt lgkmcnt(1)
	v_fma_f64 v[3:4], v[27:28], v[13:14], v[3:4]
	s_waitcnt vmcnt(1)
	s_delay_alu instid0(VALU_DEP_1) | instskip(SKIP_1) | instid1(VALU_DEP_1)
	v_fma_f64 v[3:4], v[29:30], v[15:16], v[3:4]
	s_waitcnt lgkmcnt(0)
	v_fma_f64 v[3:4], v[31:32], v[17:18], v[3:4]
	s_waitcnt vmcnt(0)
	s_delay_alu instid0(VALU_DEP_1) | instskip(NEXT) | instid1(VALU_DEP_1)
	v_fma_f64 v[3:4], v[145:146], v[19:20], v[3:4]
	v_add_f64 v[1:2], v[1:2], -v[3:4]
	scratch_store_b64 off, v[1:2], off offset:32
	v_cmpx_lt_u32_e32 3, v0
	s_cbranch_execz .LBB56_345
; %bb.344:
	scratch_load_b64 v[1:2], off, off offset:24
	v_mov_b32_e32 v3, 0
	s_delay_alu instid0(VALU_DEP_1)
	v_mov_b32_e32 v4, v3
	scratch_store_b64 off, v[3:4], off offset:24
	s_waitcnt vmcnt(0)
	ds_store_b64 v5, v[1:2]
.LBB56_345:
	s_or_b32 exec_lo, exec_lo, s0
	s_waitcnt lgkmcnt(0)
	s_waitcnt_vscnt null, 0x0
	s_barrier
	buffer_gl0_inv
	s_clause 0x4
	scratch_load_b128 v[1:4], off, off offset:24
	scratch_load_b128 v[13:16], off, off offset:40
	;; [unrolled: 1-line block ×5, first 2 shown]
	v_mov_b32_e32 v12, 0
	ds_load_b128 v[29:32], v12 offset:496
	ds_load_b128 v[33:36], v12 offset:512
	scratch_load_b128 v[145:148], off, off offset:104
	s_mov_b32 s0, exec_lo
	s_waitcnt vmcnt(5) lgkmcnt(1)
	v_fma_f64 v[3:4], v[3:4], v[29:30], 0
	s_waitcnt vmcnt(4)
	s_delay_alu instid0(VALU_DEP_1) | instskip(SKIP_1) | instid1(VALU_DEP_1)
	v_fma_f64 v[3:4], v[13:14], v[31:32], v[3:4]
	s_waitcnt lgkmcnt(0)
	v_fma_f64 v[3:4], v[15:16], v[33:34], v[3:4]
	scratch_load_b128 v[13:16], off, off offset:120
	s_waitcnt vmcnt(4)
	v_fma_f64 v[3:4], v[17:18], v[35:36], v[3:4]
	ds_load_b128 v[29:32], v12 offset:528
	ds_load_b128 v[33:36], v12 offset:544
	s_waitcnt lgkmcnt(1)
	v_fma_f64 v[3:4], v[19:20], v[29:30], v[3:4]
	scratch_load_b128 v[17:20], off, off offset:136
	s_waitcnt vmcnt(4)
	v_fma_f64 v[3:4], v[21:22], v[31:32], v[3:4]
	s_waitcnt lgkmcnt(0)
	s_delay_alu instid0(VALU_DEP_1)
	v_fma_f64 v[3:4], v[23:24], v[33:34], v[3:4]
	scratch_load_b128 v[21:24], off, off offset:152
	s_waitcnt vmcnt(4)
	v_fma_f64 v[3:4], v[25:26], v[35:36], v[3:4]
	ds_load_b128 v[29:32], v12 offset:560
	ds_load_b128 v[33:36], v12 offset:576
	s_waitcnt lgkmcnt(1)
	v_fma_f64 v[3:4], v[27:28], v[29:30], v[3:4]
	scratch_load_b128 v[25:28], off, off offset:168
	s_waitcnt vmcnt(4)
	v_fma_f64 v[3:4], v[145:146], v[31:32], v[3:4]
	scratch_load_b128 v[29:32], off, off offset:184
	s_waitcnt lgkmcnt(0)
	v_fma_f64 v[3:4], v[147:148], v[33:34], v[3:4]
	s_waitcnt vmcnt(4)
	s_delay_alu instid0(VALU_DEP_1)
	v_fma_f64 v[3:4], v[13:14], v[35:36], v[3:4]
	ds_load_b128 v[33:36], v12 offset:592
	ds_load_b128 v[145:148], v12 offset:608
	s_waitcnt lgkmcnt(1)
	v_fma_f64 v[3:4], v[15:16], v[33:34], v[3:4]
	scratch_load_b128 v[13:16], off, off offset:200
	s_waitcnt vmcnt(4)
	v_fma_f64 v[3:4], v[17:18], v[35:36], v[3:4]
	s_waitcnt lgkmcnt(0)
	s_delay_alu instid0(VALU_DEP_1)
	v_fma_f64 v[3:4], v[19:20], v[145:146], v[3:4]
	scratch_load_b128 v[17:20], off, off offset:216
	s_waitcnt vmcnt(4)
	v_fma_f64 v[3:4], v[21:22], v[147:148], v[3:4]
	ds_load_b128 v[33:36], v12 offset:624
	ds_load_b128 v[145:148], v12 offset:640
	s_waitcnt lgkmcnt(1)
	v_fma_f64 v[3:4], v[23:24], v[33:34], v[3:4]
	scratch_load_b128 v[21:24], off, off offset:232
	s_waitcnt vmcnt(4)
	v_fma_f64 v[3:4], v[25:26], v[35:36], v[3:4]
	s_waitcnt lgkmcnt(0)
	s_delay_alu instid0(VALU_DEP_1)
	v_fma_f64 v[3:4], v[27:28], v[145:146], v[3:4]
	scratch_load_b128 v[25:28], off, off offset:248
	s_waitcnt vmcnt(4)
	;; [unrolled: 13-line block ×8, first 2 shown]
	v_fma_f64 v[3:4], v[17:18], v[147:148], v[3:4]
	ds_load_b128 v[33:36], v12 offset:848
	ds_load_b128 v[145:148], v12 offset:864
	s_waitcnt lgkmcnt(1)
	v_fma_f64 v[3:4], v[19:20], v[33:34], v[3:4]
	s_waitcnt vmcnt(3)
	s_delay_alu instid0(VALU_DEP_1) | instskip(SKIP_1) | instid1(VALU_DEP_1)
	v_fma_f64 v[3:4], v[21:22], v[35:36], v[3:4]
	s_waitcnt lgkmcnt(0)
	v_fma_f64 v[3:4], v[23:24], v[145:146], v[3:4]
	ds_load_b128 v[17:20], v12 offset:880
	ds_load_b128 v[21:24], v12 offset:896
	s_waitcnt vmcnt(2)
	v_fma_f64 v[3:4], v[25:26], v[147:148], v[3:4]
	s_waitcnt lgkmcnt(1)
	s_delay_alu instid0(VALU_DEP_1) | instskip(SKIP_1) | instid1(VALU_DEP_1)
	v_fma_f64 v[3:4], v[27:28], v[17:18], v[3:4]
	s_waitcnt vmcnt(1)
	v_fma_f64 v[3:4], v[29:30], v[19:20], v[3:4]
	s_waitcnt lgkmcnt(0)
	s_delay_alu instid0(VALU_DEP_1) | instskip(SKIP_1) | instid1(VALU_DEP_1)
	v_fma_f64 v[3:4], v[31:32], v[21:22], v[3:4]
	s_waitcnt vmcnt(0)
	v_fma_f64 v[3:4], v[13:14], v[23:24], v[3:4]
	ds_load_b64 v[13:14], v12 offset:912
	s_waitcnt lgkmcnt(0)
	v_fma_f64 v[3:4], v[15:16], v[13:14], v[3:4]
	s_delay_alu instid0(VALU_DEP_1)
	v_add_f64 v[1:2], v[1:2], -v[3:4]
	scratch_store_b64 off, v[1:2], off offset:24
	v_cmpx_lt_u32_e32 2, v0
	s_cbranch_execz .LBB56_347
; %bb.346:
	scratch_load_b64 v[1:2], off, off offset:16
	v_mov_b32_e32 v13, v12
	scratch_store_b64 off, v[12:13], off offset:16
	s_waitcnt vmcnt(0)
	ds_store_b64 v5, v[1:2]
.LBB56_347:
	s_or_b32 exec_lo, exec_lo, s0
	s_waitcnt lgkmcnt(0)
	s_waitcnt_vscnt null, 0x0
	s_barrier
	buffer_gl0_inv
	s_clause 0x4
	scratch_load_b128 v[1:4], off, off offset:16
	scratch_load_b128 v[13:16], off, off offset:32
	;; [unrolled: 1-line block ×5, first 2 shown]
	ds_load_2addr_b64 v[29:32], v12 offset0:61 offset1:62
	ds_load_2addr_b64 v[33:36], v12 offset0:63 offset1:64
	scratch_load_b128 v[145:148], off, off offset:96
	s_mov_b32 s0, exec_lo
	s_waitcnt vmcnt(5) lgkmcnt(1)
	v_fma_f64 v[3:4], v[3:4], v[29:30], 0
	s_waitcnt vmcnt(4)
	s_delay_alu instid0(VALU_DEP_1) | instskip(SKIP_1) | instid1(VALU_DEP_1)
	v_fma_f64 v[3:4], v[13:14], v[31:32], v[3:4]
	s_waitcnt lgkmcnt(0)
	v_fma_f64 v[3:4], v[15:16], v[33:34], v[3:4]
	scratch_load_b128 v[13:16], off, off offset:112
	s_waitcnt vmcnt(4)
	v_fma_f64 v[3:4], v[17:18], v[35:36], v[3:4]
	ds_load_2addr_b64 v[29:32], v12 offset0:65 offset1:66
	ds_load_2addr_b64 v[33:36], v12 offset0:67 offset1:68
	s_waitcnt lgkmcnt(1)
	v_fma_f64 v[3:4], v[19:20], v[29:30], v[3:4]
	scratch_load_b128 v[17:20], off, off offset:128
	s_waitcnt vmcnt(4)
	v_fma_f64 v[3:4], v[21:22], v[31:32], v[3:4]
	s_waitcnt lgkmcnt(0)
	s_delay_alu instid0(VALU_DEP_1)
	v_fma_f64 v[3:4], v[23:24], v[33:34], v[3:4]
	scratch_load_b128 v[21:24], off, off offset:144
	s_waitcnt vmcnt(4)
	v_fma_f64 v[3:4], v[25:26], v[35:36], v[3:4]
	ds_load_2addr_b64 v[29:32], v12 offset0:69 offset1:70
	ds_load_2addr_b64 v[33:36], v12 offset0:71 offset1:72
	s_waitcnt lgkmcnt(1)
	v_fma_f64 v[3:4], v[27:28], v[29:30], v[3:4]
	scratch_load_b128 v[25:28], off, off offset:160
	s_waitcnt vmcnt(4)
	v_fma_f64 v[3:4], v[145:146], v[31:32], v[3:4]
	scratch_load_b128 v[29:32], off, off offset:176
	s_waitcnt lgkmcnt(0)
	v_fma_f64 v[3:4], v[147:148], v[33:34], v[3:4]
	s_waitcnt vmcnt(4)
	s_delay_alu instid0(VALU_DEP_1)
	v_fma_f64 v[3:4], v[13:14], v[35:36], v[3:4]
	ds_load_2addr_b64 v[33:36], v12 offset0:73 offset1:74
	ds_load_2addr_b64 v[145:148], v12 offset0:75 offset1:76
	s_waitcnt lgkmcnt(1)
	v_fma_f64 v[3:4], v[15:16], v[33:34], v[3:4]
	scratch_load_b128 v[13:16], off, off offset:192
	s_waitcnt vmcnt(4)
	v_fma_f64 v[3:4], v[17:18], v[35:36], v[3:4]
	s_waitcnt lgkmcnt(0)
	s_delay_alu instid0(VALU_DEP_1)
	v_fma_f64 v[3:4], v[19:20], v[145:146], v[3:4]
	scratch_load_b128 v[17:20], off, off offset:208
	s_waitcnt vmcnt(4)
	v_fma_f64 v[3:4], v[21:22], v[147:148], v[3:4]
	ds_load_2addr_b64 v[33:36], v12 offset0:77 offset1:78
	ds_load_2addr_b64 v[145:148], v12 offset0:79 offset1:80
	s_waitcnt lgkmcnt(1)
	v_fma_f64 v[3:4], v[23:24], v[33:34], v[3:4]
	scratch_load_b128 v[21:24], off, off offset:224
	s_waitcnt vmcnt(4)
	v_fma_f64 v[3:4], v[25:26], v[35:36], v[3:4]
	s_waitcnt lgkmcnt(0)
	s_delay_alu instid0(VALU_DEP_1)
	v_fma_f64 v[3:4], v[27:28], v[145:146], v[3:4]
	scratch_load_b128 v[25:28], off, off offset:240
	s_waitcnt vmcnt(4)
	v_fma_f64 v[3:4], v[29:30], v[147:148], v[3:4]
	ds_load_2addr_b64 v[33:36], v12 offset0:81 offset1:82
	ds_load_2addr_b64 v[145:148], v12 offset0:83 offset1:84
	s_waitcnt lgkmcnt(1)
	v_fma_f64 v[3:4], v[31:32], v[33:34], v[3:4]
	scratch_load_b128 v[29:32], off, off offset:256
	s_waitcnt vmcnt(4)
	v_fma_f64 v[3:4], v[13:14], v[35:36], v[3:4]
	s_waitcnt lgkmcnt(0)
	s_delay_alu instid0(VALU_DEP_1)
	v_fma_f64 v[3:4], v[15:16], v[145:146], v[3:4]
	scratch_load_b128 v[13:16], off, off offset:272
	s_waitcnt vmcnt(4)
	v_fma_f64 v[3:4], v[17:18], v[147:148], v[3:4]
	ds_load_2addr_b64 v[33:36], v12 offset0:85 offset1:86
	ds_load_2addr_b64 v[145:148], v12 offset0:87 offset1:88
	s_waitcnt lgkmcnt(1)
	v_fma_f64 v[3:4], v[19:20], v[33:34], v[3:4]
	scratch_load_b128 v[17:20], off, off offset:288
	s_waitcnt vmcnt(4)
	v_fma_f64 v[3:4], v[21:22], v[35:36], v[3:4]
	s_waitcnt lgkmcnt(0)
	s_delay_alu instid0(VALU_DEP_1)
	v_fma_f64 v[3:4], v[23:24], v[145:146], v[3:4]
	scratch_load_b128 v[21:24], off, off offset:304
	s_waitcnt vmcnt(4)
	v_fma_f64 v[3:4], v[25:26], v[147:148], v[3:4]
	ds_load_2addr_b64 v[33:36], v12 offset0:89 offset1:90
	ds_load_2addr_b64 v[145:148], v12 offset0:91 offset1:92
	s_waitcnt lgkmcnt(1)
	v_fma_f64 v[3:4], v[27:28], v[33:34], v[3:4]
	scratch_load_b128 v[25:28], off, off offset:320
	s_waitcnt vmcnt(4)
	v_fma_f64 v[3:4], v[29:30], v[35:36], v[3:4]
	s_waitcnt lgkmcnt(0)
	s_delay_alu instid0(VALU_DEP_1)
	v_fma_f64 v[3:4], v[31:32], v[145:146], v[3:4]
	scratch_load_b128 v[29:32], off, off offset:336
	s_waitcnt vmcnt(4)
	v_fma_f64 v[3:4], v[13:14], v[147:148], v[3:4]
	ds_load_2addr_b64 v[33:36], v12 offset0:93 offset1:94
	ds_load_2addr_b64 v[145:148], v12 offset0:95 offset1:96
	s_waitcnt lgkmcnt(1)
	v_fma_f64 v[3:4], v[15:16], v[33:34], v[3:4]
	scratch_load_b128 v[13:16], off, off offset:352
	s_waitcnt vmcnt(4)
	v_fma_f64 v[3:4], v[17:18], v[35:36], v[3:4]
	s_waitcnt lgkmcnt(0)
	s_delay_alu instid0(VALU_DEP_1)
	v_fma_f64 v[3:4], v[19:20], v[145:146], v[3:4]
	scratch_load_b128 v[17:20], off, off offset:368
	s_waitcnt vmcnt(4)
	v_fma_f64 v[3:4], v[21:22], v[147:148], v[3:4]
	ds_load_2addr_b64 v[33:36], v12 offset0:97 offset1:98
	ds_load_2addr_b64 v[145:148], v12 offset0:99 offset1:100
	s_waitcnt lgkmcnt(1)
	v_fma_f64 v[3:4], v[23:24], v[33:34], v[3:4]
	scratch_load_b128 v[21:24], off, off offset:384
	s_waitcnt vmcnt(4)
	v_fma_f64 v[3:4], v[25:26], v[35:36], v[3:4]
	s_waitcnt lgkmcnt(0)
	s_delay_alu instid0(VALU_DEP_1)
	v_fma_f64 v[3:4], v[27:28], v[145:146], v[3:4]
	scratch_load_b128 v[25:28], off, off offset:400
	s_waitcnt vmcnt(4)
	v_fma_f64 v[3:4], v[29:30], v[147:148], v[3:4]
	ds_load_2addr_b64 v[33:36], v12 offset0:101 offset1:102
	ds_load_2addr_b64 v[145:148], v12 offset0:103 offset1:104
	s_waitcnt lgkmcnt(1)
	v_fma_f64 v[3:4], v[31:32], v[33:34], v[3:4]
	scratch_load_b128 v[29:32], off, off offset:416
	s_waitcnt vmcnt(4)
	v_fma_f64 v[3:4], v[13:14], v[35:36], v[3:4]
	s_waitcnt lgkmcnt(0)
	s_delay_alu instid0(VALU_DEP_1)
	v_fma_f64 v[3:4], v[15:16], v[145:146], v[3:4]
	scratch_load_b128 v[13:16], off, off offset:432
	s_waitcnt vmcnt(4)
	v_fma_f64 v[3:4], v[17:18], v[147:148], v[3:4]
	ds_load_2addr_b64 v[33:36], v12 offset0:105 offset1:106
	ds_load_2addr_b64 v[145:148], v12 offset0:107 offset1:108
	s_waitcnt lgkmcnt(1)
	v_fma_f64 v[3:4], v[19:20], v[33:34], v[3:4]
	scratch_load_b64 v[33:34], off, off offset:448
	s_waitcnt vmcnt(4)
	v_fma_f64 v[3:4], v[21:22], v[35:36], v[3:4]
	s_waitcnt lgkmcnt(0)
	s_delay_alu instid0(VALU_DEP_1)
	v_fma_f64 v[3:4], v[23:24], v[145:146], v[3:4]
	ds_load_2addr_b64 v[17:20], v12 offset0:109 offset1:110
	ds_load_2addr_b64 v[21:24], v12 offset0:111 offset1:112
	s_waitcnt vmcnt(3)
	v_fma_f64 v[3:4], v[25:26], v[147:148], v[3:4]
	s_waitcnt lgkmcnt(1)
	s_delay_alu instid0(VALU_DEP_1) | instskip(SKIP_1) | instid1(VALU_DEP_1)
	v_fma_f64 v[3:4], v[27:28], v[17:18], v[3:4]
	s_waitcnt vmcnt(2)
	v_fma_f64 v[3:4], v[29:30], v[19:20], v[3:4]
	ds_load_2addr_b64 v[17:20], v12 offset0:113 offset1:114
	s_waitcnt lgkmcnt(1)
	v_fma_f64 v[3:4], v[31:32], v[21:22], v[3:4]
	s_waitcnt vmcnt(1)
	s_delay_alu instid0(VALU_DEP_1) | instskip(SKIP_1) | instid1(VALU_DEP_1)
	v_fma_f64 v[3:4], v[13:14], v[23:24], v[3:4]
	s_waitcnt lgkmcnt(0)
	v_fma_f64 v[3:4], v[15:16], v[17:18], v[3:4]
	s_waitcnt vmcnt(0)
	s_delay_alu instid0(VALU_DEP_1) | instskip(NEXT) | instid1(VALU_DEP_1)
	v_fma_f64 v[3:4], v[33:34], v[19:20], v[3:4]
	v_add_f64 v[1:2], v[1:2], -v[3:4]
	scratch_store_b64 off, v[1:2], off offset:16
	v_cmpx_lt_u32_e32 1, v0
	s_cbranch_execz .LBB56_349
; %bb.348:
	scratch_load_b64 v[1:2], off, off offset:8
	v_mov_b32_e32 v3, 0
	s_delay_alu instid0(VALU_DEP_1)
	v_mov_b32_e32 v4, v3
	scratch_store_b64 off, v[3:4], off offset:8
	s_waitcnt vmcnt(0)
	ds_store_b64 v5, v[1:2]
.LBB56_349:
	s_or_b32 exec_lo, exec_lo, s0
	s_waitcnt lgkmcnt(0)
	s_waitcnt_vscnt null, 0x0
	s_barrier
	buffer_gl0_inv
	s_clause 0x4
	scratch_load_b128 v[1:4], off, off offset:8
	scratch_load_b128 v[13:16], off, off offset:24
	;; [unrolled: 1-line block ×5, first 2 shown]
	v_mov_b32_e32 v12, 0
	ds_load_b128 v[29:32], v12 offset:480
	ds_load_b128 v[33:36], v12 offset:496
	scratch_load_b128 v[145:148], off, off offset:88
	s_mov_b32 s0, exec_lo
	s_waitcnt vmcnt(5) lgkmcnt(1)
	v_fma_f64 v[3:4], v[3:4], v[29:30], 0
	s_waitcnt vmcnt(4)
	s_delay_alu instid0(VALU_DEP_1) | instskip(SKIP_1) | instid1(VALU_DEP_1)
	v_fma_f64 v[3:4], v[13:14], v[31:32], v[3:4]
	s_waitcnt lgkmcnt(0)
	v_fma_f64 v[3:4], v[15:16], v[33:34], v[3:4]
	scratch_load_b128 v[13:16], off, off offset:104
	s_waitcnt vmcnt(4)
	v_fma_f64 v[3:4], v[17:18], v[35:36], v[3:4]
	ds_load_b128 v[29:32], v12 offset:512
	ds_load_b128 v[33:36], v12 offset:528
	s_waitcnt lgkmcnt(1)
	v_fma_f64 v[3:4], v[19:20], v[29:30], v[3:4]
	scratch_load_b128 v[17:20], off, off offset:120
	s_waitcnt vmcnt(4)
	v_fma_f64 v[3:4], v[21:22], v[31:32], v[3:4]
	s_waitcnt lgkmcnt(0)
	s_delay_alu instid0(VALU_DEP_1)
	v_fma_f64 v[3:4], v[23:24], v[33:34], v[3:4]
	scratch_load_b128 v[21:24], off, off offset:136
	s_waitcnt vmcnt(4)
	v_fma_f64 v[3:4], v[25:26], v[35:36], v[3:4]
	ds_load_b128 v[29:32], v12 offset:544
	ds_load_b128 v[33:36], v12 offset:560
	s_waitcnt lgkmcnt(1)
	v_fma_f64 v[3:4], v[27:28], v[29:30], v[3:4]
	scratch_load_b128 v[25:28], off, off offset:152
	s_waitcnt vmcnt(4)
	v_fma_f64 v[3:4], v[145:146], v[31:32], v[3:4]
	scratch_load_b128 v[29:32], off, off offset:168
	s_waitcnt lgkmcnt(0)
	v_fma_f64 v[3:4], v[147:148], v[33:34], v[3:4]
	s_waitcnt vmcnt(4)
	s_delay_alu instid0(VALU_DEP_1)
	v_fma_f64 v[3:4], v[13:14], v[35:36], v[3:4]
	ds_load_b128 v[33:36], v12 offset:576
	ds_load_b128 v[145:148], v12 offset:592
	s_waitcnt lgkmcnt(1)
	v_fma_f64 v[3:4], v[15:16], v[33:34], v[3:4]
	scratch_load_b128 v[13:16], off, off offset:184
	s_waitcnt vmcnt(4)
	v_fma_f64 v[3:4], v[17:18], v[35:36], v[3:4]
	s_waitcnt lgkmcnt(0)
	s_delay_alu instid0(VALU_DEP_1)
	v_fma_f64 v[3:4], v[19:20], v[145:146], v[3:4]
	scratch_load_b128 v[17:20], off, off offset:200
	s_waitcnt vmcnt(4)
	v_fma_f64 v[3:4], v[21:22], v[147:148], v[3:4]
	ds_load_b128 v[33:36], v12 offset:608
	ds_load_b128 v[145:148], v12 offset:624
	s_waitcnt lgkmcnt(1)
	v_fma_f64 v[3:4], v[23:24], v[33:34], v[3:4]
	scratch_load_b128 v[21:24], off, off offset:216
	s_waitcnt vmcnt(4)
	v_fma_f64 v[3:4], v[25:26], v[35:36], v[3:4]
	s_waitcnt lgkmcnt(0)
	s_delay_alu instid0(VALU_DEP_1)
	v_fma_f64 v[3:4], v[27:28], v[145:146], v[3:4]
	scratch_load_b128 v[25:28], off, off offset:232
	s_waitcnt vmcnt(4)
	;; [unrolled: 13-line block ×8, first 2 shown]
	v_fma_f64 v[3:4], v[17:18], v[147:148], v[3:4]
	ds_load_b128 v[33:36], v12 offset:832
	ds_load_b128 v[145:148], v12 offset:848
	s_waitcnt lgkmcnt(1)
	v_fma_f64 v[3:4], v[19:20], v[33:34], v[3:4]
	scratch_load_b128 v[17:20], off, off offset:440
	s_waitcnt vmcnt(4)
	v_fma_f64 v[3:4], v[21:22], v[35:36], v[3:4]
	s_waitcnt lgkmcnt(0)
	s_delay_alu instid0(VALU_DEP_1)
	v_fma_f64 v[3:4], v[23:24], v[145:146], v[3:4]
	ds_load_b128 v[21:24], v12 offset:864
	ds_load_b128 v[33:36], v12 offset:880
	s_waitcnt vmcnt(3)
	v_fma_f64 v[3:4], v[25:26], v[147:148], v[3:4]
	s_waitcnt lgkmcnt(1)
	s_delay_alu instid0(VALU_DEP_1) | instskip(SKIP_1) | instid1(VALU_DEP_1)
	v_fma_f64 v[3:4], v[27:28], v[21:22], v[3:4]
	s_waitcnt vmcnt(2)
	v_fma_f64 v[3:4], v[29:30], v[23:24], v[3:4]
	s_waitcnt lgkmcnt(0)
	s_delay_alu instid0(VALU_DEP_1) | instskip(SKIP_1) | instid1(VALU_DEP_1)
	v_fma_f64 v[3:4], v[31:32], v[33:34], v[3:4]
	s_waitcnt vmcnt(1)
	v_fma_f64 v[3:4], v[13:14], v[35:36], v[3:4]
	ds_load_b128 v[21:24], v12 offset:896
	ds_load_b64 v[13:14], v12 offset:912
	s_waitcnt lgkmcnt(1)
	v_fma_f64 v[3:4], v[15:16], v[21:22], v[3:4]
	s_waitcnt vmcnt(0)
	s_delay_alu instid0(VALU_DEP_1) | instskip(SKIP_1) | instid1(VALU_DEP_1)
	v_fma_f64 v[3:4], v[17:18], v[23:24], v[3:4]
	s_waitcnt lgkmcnt(0)
	v_fma_f64 v[3:4], v[19:20], v[13:14], v[3:4]
	s_delay_alu instid0(VALU_DEP_1)
	v_add_f64 v[1:2], v[1:2], -v[3:4]
	scratch_store_b64 off, v[1:2], off offset:8
	v_cmpx_ne_u32_e32 0, v0
	s_cbranch_execz .LBB56_351
; %bb.350:
	scratch_load_b64 v[0:1], off, off
	v_mov_b32_e32 v13, v12
	scratch_store_b64 off, v[12:13], off
	s_waitcnt vmcnt(0)
	ds_store_b64 v5, v[0:1]
.LBB56_351:
	s_or_b32 exec_lo, exec_lo, s0
	s_waitcnt lgkmcnt(0)
	s_waitcnt_vscnt null, 0x0
	s_barrier
	buffer_gl0_inv
	s_clause 0x4
	scratch_load_b128 v[0:3], off, off
	scratch_load_b128 v[13:16], off, off offset:16
	scratch_load_b128 v[17:20], off, off offset:32
	;; [unrolled: 1-line block ×4, first 2 shown]
	ds_load_2addr_b64 v[29:32], v12 offset0:59 offset1:60
	ds_load_2addr_b64 v[33:36], v12 offset0:61 offset1:62
	s_and_b32 vcc_lo, exec_lo, s16
	s_waitcnt vmcnt(4) lgkmcnt(1)
	v_fma_f64 v[29:30], v[2:3], v[29:30], 0
	scratch_load_b128 v[2:5], off, off offset:80
	s_waitcnt vmcnt(4)
	v_fma_f64 v[13:14], v[13:14], v[31:32], v[29:30]
	s_waitcnt lgkmcnt(0)
	s_delay_alu instid0(VALU_DEP_1)
	v_fma_f64 v[29:30], v[15:16], v[33:34], v[13:14]
	scratch_load_b128 v[13:16], off, off offset:96
	s_waitcnt vmcnt(4)
	v_fma_f64 v[17:18], v[17:18], v[35:36], v[29:30]
	ds_load_2addr_b64 v[29:32], v12 offset0:63 offset1:64
	ds_load_2addr_b64 v[33:36], v12 offset0:65 offset1:66
	s_waitcnt lgkmcnt(1)
	v_fma_f64 v[29:30], v[19:20], v[29:30], v[17:18]
	scratch_load_b128 v[17:20], off, off offset:112
	s_waitcnt vmcnt(4)
	v_fma_f64 v[21:22], v[21:22], v[31:32], v[29:30]
	s_waitcnt lgkmcnt(0)
	s_delay_alu instid0(VALU_DEP_1)
	v_fma_f64 v[29:30], v[23:24], v[33:34], v[21:22]
	scratch_load_b128 v[21:24], off, off offset:128
	s_waitcnt vmcnt(4)
	v_fma_f64 v[25:26], v[25:26], v[35:36], v[29:30]
	ds_load_2addr_b64 v[29:32], v12 offset0:67 offset1:68
	ds_load_2addr_b64 v[33:36], v12 offset0:69 offset1:70
	s_waitcnt lgkmcnt(1)
	;; [unrolled: 13-line block ×9, first 2 shown]
	v_fma_f64 v[29:30], v[23:24], v[29:30], v[21:22]
	scratch_load_b128 v[21:24], off, off offset:368
	s_waitcnt vmcnt(4)
	v_fma_f64 v[25:26], v[25:26], v[31:32], v[29:30]
	s_waitcnt lgkmcnt(0)
	s_delay_alu instid0(VALU_DEP_1)
	v_fma_f64 v[29:30], v[27:28], v[33:34], v[25:26]
	scratch_load_b128 v[25:28], off, off offset:384
	s_waitcnt vmcnt(4)
	v_fma_f64 v[2:3], v[2:3], v[35:36], v[29:30]
	ds_load_2addr_b64 v[29:32], v12 offset0:99 offset1:100
	ds_load_2addr_b64 v[33:36], v12 offset0:101 offset1:102
	scratch_load_b128 v[145:148], off, off offset:400
	s_waitcnt lgkmcnt(1)
	v_fma_f64 v[2:3], v[4:5], v[29:30], v[2:3]
	s_waitcnt vmcnt(4)
	s_delay_alu instid0(VALU_DEP_1) | instskip(SKIP_1) | instid1(VALU_DEP_1)
	v_fma_f64 v[2:3], v[13:14], v[31:32], v[2:3]
	s_waitcnt lgkmcnt(0)
	v_fma_f64 v[2:3], v[15:16], v[33:34], v[2:3]
	scratch_load_b128 v[13:16], off, off offset:416
	s_waitcnt vmcnt(4)
	v_fma_f64 v[2:3], v[17:18], v[35:36], v[2:3]
	ds_load_2addr_b64 v[29:32], v12 offset0:103 offset1:104
	ds_load_2addr_b64 v[33:36], v12 offset0:105 offset1:106
	s_waitcnt lgkmcnt(1)
	v_fma_f64 v[17:18], v[19:20], v[29:30], v[2:3]
	s_clause 0x1
	scratch_load_b128 v[2:5], off, off offset:432
	scratch_load_b64 v[29:30], off, off offset:448
	s_waitcnt vmcnt(5)
	v_fma_f64 v[17:18], v[21:22], v[31:32], v[17:18]
	s_waitcnt lgkmcnt(0)
	s_delay_alu instid0(VALU_DEP_1) | instskip(SKIP_1) | instid1(VALU_DEP_1)
	v_fma_f64 v[17:18], v[23:24], v[33:34], v[17:18]
	s_waitcnt vmcnt(4)
	v_fma_f64 v[25:26], v[25:26], v[35:36], v[17:18]
	ds_load_2addr_b64 v[17:20], v12 offset0:107 offset1:108
	ds_load_2addr_b64 v[21:24], v12 offset0:109 offset1:110
	s_waitcnt lgkmcnt(1)
	v_fma_f64 v[17:18], v[27:28], v[17:18], v[25:26]
	s_waitcnt vmcnt(3)
	s_delay_alu instid0(VALU_DEP_1) | instskip(SKIP_1) | instid1(VALU_DEP_1)
	v_fma_f64 v[17:18], v[145:146], v[19:20], v[17:18]
	s_waitcnt lgkmcnt(0)
	v_fma_f64 v[17:18], v[147:148], v[21:22], v[17:18]
	s_waitcnt vmcnt(2)
	s_delay_alu instid0(VALU_DEP_1)
	v_fma_f64 v[13:14], v[13:14], v[23:24], v[17:18]
	ds_load_2addr_b64 v[17:20], v12 offset0:111 offset1:112
	ds_load_2addr_b64 v[21:24], v12 offset0:113 offset1:114
	s_waitcnt lgkmcnt(1)
	v_fma_f64 v[12:13], v[15:16], v[17:18], v[13:14]
	s_waitcnt vmcnt(1)
	s_delay_alu instid0(VALU_DEP_1) | instskip(SKIP_1) | instid1(VALU_DEP_1)
	v_fma_f64 v[2:3], v[2:3], v[19:20], v[12:13]
	s_waitcnt lgkmcnt(0)
	v_fma_f64 v[2:3], v[4:5], v[21:22], v[2:3]
	s_waitcnt vmcnt(0)
	s_delay_alu instid0(VALU_DEP_1) | instskip(NEXT) | instid1(VALU_DEP_1)
	v_fma_f64 v[2:3], v[29:30], v[23:24], v[2:3]
	v_add_f64 v[0:1], v[0:1], -v[2:3]
	scratch_store_b64 off, v[0:1], off
	s_cbranch_vccz .LBB56_465
; %bb.352:
	v_dual_mov_b32 v0, s12 :: v_dual_mov_b32 v1, s13
	s_mov_b32 s0, exec_lo
	flat_load_b32 v0, v[0:1] offset:220
	s_waitcnt vmcnt(0) lgkmcnt(0)
	v_cmpx_ne_u32_e32 56, v0
	s_cbranch_execz .LBB56_354
; %bb.353:
	v_lshl_add_u32 v2, v0, 3, 0
	scratch_load_b64 v[0:1], v2, off offset:-8
	s_waitcnt vmcnt(0)
	scratch_store_b64 off, v[0:1], off offset:440
	scratch_store_b64 v2, v[4:5], off offset:-8
.LBB56_354:
	s_or_b32 exec_lo, exec_lo, s0
	v_dual_mov_b32 v0, s12 :: v_dual_mov_b32 v1, s13
	s_mov_b32 s0, exec_lo
	flat_load_b32 v0, v[0:1] offset:216
	s_waitcnt vmcnt(0) lgkmcnt(0)
	v_cmpx_ne_u32_e32 55, v0
	s_cbranch_execz .LBB56_356
; %bb.355:
	v_lshl_add_u32 v4, v0, 3, 0
	scratch_load_b64 v[0:1], v4, off offset:-8
	scratch_load_b64 v[2:3], off, off offset:432
	s_waitcnt vmcnt(1)
	scratch_store_b64 off, v[0:1], off offset:432
	s_waitcnt vmcnt(0)
	scratch_store_b64 v4, v[2:3], off offset:-8
.LBB56_356:
	s_or_b32 exec_lo, exec_lo, s0
	v_dual_mov_b32 v0, s12 :: v_dual_mov_b32 v1, s13
	s_mov_b32 s0, exec_lo
	flat_load_b32 v0, v[0:1] offset:212
	s_waitcnt vmcnt(0) lgkmcnt(0)
	v_cmpx_ne_u32_e32 54, v0
	s_cbranch_execz .LBB56_358
; %bb.357:
	v_lshl_add_u32 v4, v0, 3, 0
	scratch_load_b64 v[0:1], v4, off offset:-8
	scratch_load_b64 v[2:3], off, off offset:424
	s_waitcnt vmcnt(1)
	scratch_store_b64 off, v[0:1], off offset:424
	s_waitcnt vmcnt(0)
	scratch_store_b64 v4, v[2:3], off offset:-8
.LBB56_358:
	;; [unrolled: 16-line block ×54, first 2 shown]
	s_or_b32 exec_lo, exec_lo, s0
	v_dual_mov_b32 v0, s12 :: v_dual_mov_b32 v1, s13
	s_mov_b32 s0, exec_lo
	flat_load_b32 v2, v[0:1]
	scratch_load_b64 v[0:1], off, off
	s_waitcnt vmcnt(1) lgkmcnt(0)
	v_cmpx_ne_u32_e32 1, v2
	s_cbranch_execz .LBB56_464
; %bb.463:
	v_lshl_add_u32 v4, v2, 3, 0
	scratch_load_b64 v[2:3], v4, off offset:-8
	s_waitcnt vmcnt(0)
	scratch_store_b64 off, v[2:3], off
	scratch_store_b64 v4, v[0:1], off offset:-8
	scratch_load_b64 v[0:1], off, off
.LBB56_464:
	s_or_b32 exec_lo, exec_lo, s0
.LBB56_465:
	s_clause 0xb
	scratch_load_b128 v[2:5], off, off offset:8
	scratch_load_b128 v[12:15], off, off offset:24
	;; [unrolled: 1-line block ×12, first 2 shown]
	s_waitcnt vmcnt(12)
	global_store_b64 v[37:38], v[0:1], off
	s_clause 0x1
	scratch_load_b128 v[165:168], off, off offset:360
	scratch_load_b128 v[169:172], off, off offset:424
	s_waitcnt vmcnt(13)
	global_store_b64 v[39:40], v[2:3], off
	s_clause 0x1
	scratch_load_b128 v[0:3], off, off offset:200
	scratch_load_b128 v[36:39], off, off offset:216
	global_store_b64 v[41:42], v[4:5], off
	s_waitcnt vmcnt(14)
	global_store_b64 v[43:44], v[12:13], off
	scratch_load_b128 v[40:43], off, off offset:232
	global_store_b64 v[45:46], v[14:15], off
	scratch_load_b128 v[12:15], off, off offset:248
	s_waitcnt vmcnt(15)
	global_store_b64 v[47:48], v[16:17], off
	scratch_load_b128 v[44:47], off, off offset:264
	global_store_b64 v[49:50], v[18:19], off
	scratch_load_b128 v[16:19], off, off offset:280
	s_waitcnt vmcnt(16)
	global_store_b64 v[51:52], v[20:21], off
	scratch_load_b128 v[48:51], off, off offset:296
	global_store_b64 v[53:54], v[22:23], off
	scratch_load_b128 v[20:23], off, off offset:312
	s_waitcnt vmcnt(17)
	global_store_b64 v[55:56], v[24:25], off
	scratch_load_b128 v[52:55], off, off offset:328
	global_store_b64 v[85:86], v[26:27], off
	scratch_load_b128 v[24:27], off, off offset:344
	s_waitcnt vmcnt(18)
	s_clause 0x1
	global_store_b64 v[81:82], v[28:29], off
	global_store_b64 v[75:76], v[30:31], off
	scratch_load_b128 v[28:31], off, off offset:376
	s_waitcnt vmcnt(18)
	global_store_b64 v[73:74], v[32:33], off
	scratch_load_b128 v[73:76], off, off offset:392
	global_store_b64 v[69:70], v[34:35], off
	scratch_load_b128 v[32:35], off, off offset:408
	s_waitcnt vmcnt(19)
	s_clause 0x1
	global_store_b64 v[63:64], v[145:146], off
	global_store_b64 v[59:60], v[147:148], off
	scratch_load_b128 v[145:148], off, off offset:440
	s_waitcnt vmcnt(19)
	s_clause 0x1
	global_store_b64 v[57:58], v[149:150], off
	global_store_b64 v[61:62], v[151:152], off
	s_waitcnt vmcnt(18)
	s_clause 0x1
	global_store_b64 v[65:66], v[153:154], off
	global_store_b64 v[67:68], v[155:156], off
	;; [unrolled: 4-line block ×14, first 2 shown]
	global_store_b64 v[127:128], v[165:166], off
	global_store_b64 v[129:130], v[167:168], off
	s_waitcnt vmcnt(3)
	s_clause 0x1
	global_store_b64 v[131:132], v[28:29], off
	global_store_b64 v[6:7], v[30:31], off
	s_waitcnt vmcnt(2)
	s_clause 0x1
	;; [unrolled: 4-line block ×3, first 2 shown]
	global_store_b64 v[133:134], v[32:33], off
	global_store_b64 v[135:136], v[34:35], off
	;; [unrolled: 1-line block ×4, first 2 shown]
	s_waitcnt vmcnt(0)
	s_clause 0x1
	global_store_b64 v[137:138], v[145:146], off
	global_store_b64 v[141:142], v[147:148], off
	s_endpgm
	.section	.rodata,"a",@progbits
	.p2align	6, 0x0
	.amdhsa_kernel _ZN9rocsolver6v33100L18getri_kernel_smallILi57EdPdEEvT1_iilPiilS4_bb
		.amdhsa_group_segment_fixed_size 920
		.amdhsa_private_segment_fixed_size 464
		.amdhsa_kernarg_size 60
		.amdhsa_user_sgpr_count 15
		.amdhsa_user_sgpr_dispatch_ptr 0
		.amdhsa_user_sgpr_queue_ptr 0
		.amdhsa_user_sgpr_kernarg_segment_ptr 1
		.amdhsa_user_sgpr_dispatch_id 0
		.amdhsa_user_sgpr_private_segment_size 0
		.amdhsa_wavefront_size32 1
		.amdhsa_uses_dynamic_stack 0
		.amdhsa_enable_private_segment 1
		.amdhsa_system_sgpr_workgroup_id_x 1
		.amdhsa_system_sgpr_workgroup_id_y 0
		.amdhsa_system_sgpr_workgroup_id_z 0
		.amdhsa_system_sgpr_workgroup_info 0
		.amdhsa_system_vgpr_workitem_id 0
		.amdhsa_next_free_vgpr 173
		.amdhsa_next_free_sgpr 18
		.amdhsa_reserve_vcc 1
		.amdhsa_float_round_mode_32 0
		.amdhsa_float_round_mode_16_64 0
		.amdhsa_float_denorm_mode_32 3
		.amdhsa_float_denorm_mode_16_64 3
		.amdhsa_dx10_clamp 1
		.amdhsa_ieee_mode 1
		.amdhsa_fp16_overflow 0
		.amdhsa_workgroup_processor_mode 1
		.amdhsa_memory_ordered 1
		.amdhsa_forward_progress 0
		.amdhsa_shared_vgpr_count 0
		.amdhsa_exception_fp_ieee_invalid_op 0
		.amdhsa_exception_fp_denorm_src 0
		.amdhsa_exception_fp_ieee_div_zero 0
		.amdhsa_exception_fp_ieee_overflow 0
		.amdhsa_exception_fp_ieee_underflow 0
		.amdhsa_exception_fp_ieee_inexact 0
		.amdhsa_exception_int_div_zero 0
	.end_amdhsa_kernel
	.section	.text._ZN9rocsolver6v33100L18getri_kernel_smallILi57EdPdEEvT1_iilPiilS4_bb,"axG",@progbits,_ZN9rocsolver6v33100L18getri_kernel_smallILi57EdPdEEvT1_iilPiilS4_bb,comdat
.Lfunc_end56:
	.size	_ZN9rocsolver6v33100L18getri_kernel_smallILi57EdPdEEvT1_iilPiilS4_bb, .Lfunc_end56-_ZN9rocsolver6v33100L18getri_kernel_smallILi57EdPdEEvT1_iilPiilS4_bb
                                        ; -- End function
	.section	.AMDGPU.csdata,"",@progbits
; Kernel info:
; codeLenInByte = 59076
; NumSgprs: 20
; NumVgprs: 173
; ScratchSize: 464
; MemoryBound: 0
; FloatMode: 240
; IeeeMode: 1
; LDSByteSize: 920 bytes/workgroup (compile time only)
; SGPRBlocks: 2
; VGPRBlocks: 21
; NumSGPRsForWavesPerEU: 20
; NumVGPRsForWavesPerEU: 173
; Occupancy: 8
; WaveLimiterHint : 1
; COMPUTE_PGM_RSRC2:SCRATCH_EN: 1
; COMPUTE_PGM_RSRC2:USER_SGPR: 15
; COMPUTE_PGM_RSRC2:TRAP_HANDLER: 0
; COMPUTE_PGM_RSRC2:TGID_X_EN: 1
; COMPUTE_PGM_RSRC2:TGID_Y_EN: 0
; COMPUTE_PGM_RSRC2:TGID_Z_EN: 0
; COMPUTE_PGM_RSRC2:TIDIG_COMP_CNT: 0
	.section	.text._ZN9rocsolver6v33100L18getri_kernel_smallILi58EdPdEEvT1_iilPiilS4_bb,"axG",@progbits,_ZN9rocsolver6v33100L18getri_kernel_smallILi58EdPdEEvT1_iilPiilS4_bb,comdat
	.globl	_ZN9rocsolver6v33100L18getri_kernel_smallILi58EdPdEEvT1_iilPiilS4_bb ; -- Begin function _ZN9rocsolver6v33100L18getri_kernel_smallILi58EdPdEEvT1_iilPiilS4_bb
	.p2align	8
	.type	_ZN9rocsolver6v33100L18getri_kernel_smallILi58EdPdEEvT1_iilPiilS4_bb,@function
_ZN9rocsolver6v33100L18getri_kernel_smallILi58EdPdEEvT1_iilPiilS4_bb: ; @_ZN9rocsolver6v33100L18getri_kernel_smallILi58EdPdEEvT1_iilPiilS4_bb
; %bb.0:
	s_mov_b32 s2, exec_lo
	v_cmpx_gt_u32_e32 58, v0
	s_cbranch_execz .LBB57_242
; %bb.1:
	s_clause 0x2
	s_load_b32 s17, s[0:1], 0x38
	s_load_b128 s[8:11], s[0:1], 0x10
	s_load_b128 s[4:7], s[0:1], 0x28
	s_mov_b32 s14, s15
                                        ; implicit-def: $sgpr12_sgpr13
	s_waitcnt lgkmcnt(0)
	s_bitcmp1_b32 s17, 8
	s_cselect_b32 s16, -1, 0
	s_bfe_u32 s2, s17, 0x10008
	s_ashr_i32 s15, s15, 31
	s_cmp_eq_u32 s2, 0
	s_cbranch_scc1 .LBB57_3
; %bb.2:
	s_load_b32 s2, s[0:1], 0x20
	s_mul_i32 s3, s14, s5
	s_mul_hi_u32 s5, s14, s4
	s_mul_i32 s12, s15, s4
	s_add_i32 s3, s5, s3
	s_mul_i32 s4, s14, s4
	s_add_i32 s5, s3, s12
	s_delay_alu instid0(SALU_CYCLE_1)
	s_lshl_b64 s[4:5], s[4:5], 2
	s_waitcnt lgkmcnt(0)
	s_ashr_i32 s3, s2, 31
	s_add_u32 s4, s10, s4
	s_addc_u32 s5, s11, s5
	s_lshl_b64 s[2:3], s[2:3], 2
	s_delay_alu instid0(SALU_CYCLE_1)
	s_add_u32 s12, s4, s2
	s_addc_u32 s13, s5, s3
.LBB57_3:
	s_load_b128 s[0:3], s[0:1], 0x0
	s_mul_i32 s4, s14, s9
	s_mul_hi_u32 s5, s14, s8
	s_mul_i32 s9, s15, s8
	s_add_i32 s5, s5, s4
	s_mul_i32 s4, s14, s8
	s_add_i32 s5, s5, s9
	v_lshlrev_b32_e32 v3, 3, v0
	s_lshl_b64 s[4:5], s[4:5], 3
	s_waitcnt lgkmcnt(0)
	v_add3_u32 v1, s3, s3, v0
	s_ashr_i32 s9, s2, 31
	s_mov_b32 s8, s2
	s_add_u32 s2, s0, s4
	s_addc_u32 s4, s1, s5
	v_add_nc_u32_e32 v4, s3, v1
	s_lshl_b64 s[0:1], s[8:9], 3
	s_mov_b32 s10, s3
	s_add_u32 s0, s2, s0
	s_addc_u32 s1, s4, s1
	v_add_nc_u32_e32 v6, s3, v4
	v_add_co_u32 v44, s2, s0, v3
	v_ashrrev_i32_e32 v2, 31, v1
	s_ashr_i32 s11, s3, 31
	s_delay_alu instid0(VALU_DEP_3) | instskip(SKIP_3) | instid1(VALU_DEP_3)
	v_add_nc_u32_e32 v8, s3, v6
	v_add_co_ci_u32_e64 v45, null, s1, 0, s2
	s_lshl_b64 s[4:5], s[10:11], 3
	v_ashrrev_i32_e32 v5, 31, v4
	v_add_nc_u32_e32 v10, s3, v8
	v_add_co_u32 v40, vcc_lo, v44, s4
	v_lshlrev_b64 v[1:2], 3, v[1:2]
	v_add_co_ci_u32_e32 v41, vcc_lo, s5, v45, vcc_lo
	v_ashrrev_i32_e32 v7, 31, v6
	v_add_nc_u32_e32 v12, s3, v10
	v_lshlrev_b64 v[4:5], 3, v[4:5]
	s_clause 0x1
	global_load_b64 v[52:53], v3, s[0:1]
	global_load_b64 v[54:55], v[40:41], off
	v_add_co_u32 v36, vcc_lo, s0, v1
	v_ashrrev_i32_e32 v9, 31, v8
	v_add_co_ci_u32_e32 v37, vcc_lo, s1, v2, vcc_lo
	v_lshlrev_b64 v[1:2], 3, v[6:7]
	v_add_nc_u32_e32 v14, s3, v12
	v_add_co_u32 v38, vcc_lo, s0, v4
	v_ashrrev_i32_e32 v11, 31, v10
	v_add_co_ci_u32_e32 v39, vcc_lo, s1, v5, vcc_lo
	v_lshlrev_b64 v[4:5], 3, v[8:9]
	v_add_nc_u32_e32 v6, s3, v14
	v_add_co_u32 v30, vcc_lo, s0, v1
	v_add_co_ci_u32_e32 v31, vcc_lo, s1, v2, vcc_lo
	v_lshlrev_b64 v[1:2], 3, v[10:11]
	v_ashrrev_i32_e32 v13, 31, v12
	v_add_co_u32 v24, vcc_lo, s0, v4
	v_add_nc_u32_e32 v8, s3, v6
	v_ashrrev_i32_e32 v15, 31, v14
	v_add_co_ci_u32_e32 v25, vcc_lo, s1, v5, vcc_lo
	v_lshlrev_b64 v[11:12], 3, v[12:13]
	s_clause 0x3
	global_load_b64 v[60:61], v[36:37], off
	global_load_b64 v[62:63], v[38:39], off
	;; [unrolled: 1-line block ×4, first 2 shown]
	v_add_co_u32 v32, vcc_lo, s0, v1
	v_ashrrev_i32_e32 v7, 31, v6
	v_add_nc_u32_e32 v10, s3, v8
	v_add_co_ci_u32_e32 v33, vcc_lo, s1, v2, vcc_lo
	v_lshlrev_b64 v[1:2], 3, v[14:15]
	v_add_co_u32 v28, vcc_lo, s0, v11
	v_lshlrev_b64 v[5:6], 3, v[6:7]
	v_add_nc_u32_e32 v4, s3, v10
	v_add_co_ci_u32_e32 v29, vcc_lo, s1, v12, vcc_lo
	v_ashrrev_i32_e32 v9, 31, v8
	v_add_co_u32 v20, vcc_lo, s0, v1
	v_add_co_ci_u32_e32 v21, vcc_lo, s1, v2, vcc_lo
	v_add_co_u32 v12, vcc_lo, s0, v5
	v_add_nc_u32_e32 v18, s3, v4
	v_ashrrev_i32_e32 v11, 31, v10
	v_lshlrev_b64 v[1:2], 3, v[8:9]
	v_add_co_ci_u32_e32 v13, vcc_lo, s1, v6, vcc_lo
	v_ashrrev_i32_e32 v5, 31, v4
	v_add_nc_u32_e32 v14, s3, v18
	s_clause 0x2
	global_load_b64 v[68:69], v[32:33], off
	global_load_b64 v[70:71], v[28:29], off
	;; [unrolled: 1-line block ×3, first 2 shown]
	v_lshlrev_b64 v[6:7], 3, v[10:11]
	global_load_b64 v[74:75], v[12:13], off
	v_add_co_u32 v22, vcc_lo, s0, v1
	v_ashrrev_i32_e32 v19, 31, v18
	v_add_co_ci_u32_e32 v23, vcc_lo, s1, v2, vcc_lo
	v_lshlrev_b64 v[1:2], 3, v[4:5]
	v_add_nc_u32_e32 v26, s3, v14
	v_add_co_u32 v16, vcc_lo, s0, v6
	v_lshlrev_b64 v[4:5], 3, v[18:19]
	v_ashrrev_i32_e32 v15, 31, v14
	v_add_co_ci_u32_e32 v17, vcc_lo, s1, v7, vcc_lo
	v_add_co_u32 v10, vcc_lo, s0, v1
	v_ashrrev_i32_e32 v27, 31, v26
	v_add_co_ci_u32_e32 v11, vcc_lo, s1, v2, vcc_lo
	v_add_co_u32 v6, vcc_lo, s0, v4
	v_lshlrev_b64 v[8:9], 3, v[14:15]
	v_add_co_ci_u32_e32 v7, vcc_lo, s1, v5, vcc_lo
	v_add_nc_u32_e32 v34, s3, v26
	v_lshlrev_b64 v[26:27], 3, v[26:27]
	s_clause 0x3
	global_load_b64 v[76:77], v[22:23], off
	global_load_b64 v[78:79], v[16:17], off
	;; [unrolled: 1-line block ×4, first 2 shown]
	v_add_co_u32 v14, vcc_lo, s0, v8
	v_add_co_ci_u32_e32 v15, vcc_lo, s1, v9, vcc_lo
	v_add_co_u32 v8, vcc_lo, s0, v26
	v_add_co_ci_u32_e32 v9, vcc_lo, s1, v27, vcc_lo
	s_clause 0x1
	global_load_b64 v[84:85], v[14:15], off
	global_load_b64 v[86:87], v[8:9], off
	v_add_nc_u32_e32 v1, s3, v34
	v_ashrrev_i32_e32 v35, 31, v34
	s_bitcmp0_b32 s17, 0
	s_delay_alu instid0(VALU_DEP_2) | instskip(SKIP_1) | instid1(VALU_DEP_3)
	v_add_nc_u32_e32 v4, s3, v1
	v_ashrrev_i32_e32 v2, 31, v1
	v_lshlrev_b64 v[26:27], 3, v[34:35]
	s_delay_alu instid0(VALU_DEP_3) | instskip(NEXT) | instid1(VALU_DEP_3)
	v_add_nc_u32_e32 v18, s3, v4
	v_lshlrev_b64 v[1:2], 3, v[1:2]
	v_ashrrev_i32_e32 v5, 31, v4
	s_delay_alu instid0(VALU_DEP_4) | instskip(NEXT) | instid1(VALU_DEP_4)
	v_add_co_u32 v42, vcc_lo, s0, v26
	v_add_nc_u32_e32 v46, s3, v18
	v_ashrrev_i32_e32 v19, 31, v18
	v_add_co_ci_u32_e32 v43, vcc_lo, s1, v27, vcc_lo
	v_add_co_u32 v26, vcc_lo, s0, v1
	s_delay_alu instid0(VALU_DEP_4) | instskip(SKIP_3) | instid1(VALU_DEP_4)
	v_add_nc_u32_e32 v48, s3, v46
	v_lshlrev_b64 v[4:5], 3, v[4:5]
	v_add_co_ci_u32_e32 v27, vcc_lo, s1, v2, vcc_lo
	v_lshlrev_b64 v[1:2], 3, v[18:19]
	v_add_nc_u32_e32 v50, s3, v48
	v_ashrrev_i32_e32 v47, 31, v46
	v_add_co_u32 v34, vcc_lo, s0, v4
	v_add_co_ci_u32_e32 v35, vcc_lo, s1, v5, vcc_lo
	s_delay_alu instid0(VALU_DEP_4) | instskip(NEXT) | instid1(VALU_DEP_4)
	v_add_nc_u32_e32 v56, s3, v50
	v_lshlrev_b64 v[4:5], 3, v[46:47]
	v_ashrrev_i32_e32 v49, 31, v48
	v_add_co_u32 v46, vcc_lo, s0, v1
	s_delay_alu instid0(VALU_DEP_4) | instskip(SKIP_1) | instid1(VALU_DEP_4)
	v_add_nc_u32_e32 v58, s3, v56
	v_add_co_ci_u32_e32 v47, vcc_lo, s1, v2, vcc_lo
	v_lshlrev_b64 v[1:2], 3, v[48:49]
	v_ashrrev_i32_e32 v51, 31, v50
	s_delay_alu instid0(VALU_DEP_4) | instskip(SKIP_2) | instid1(VALU_DEP_3)
	v_add_nc_u32_e32 v100, s3, v58
	v_add_co_u32 v48, vcc_lo, s0, v4
	v_add_co_ci_u32_e32 v49, vcc_lo, s1, v5, vcc_lo
	v_add_nc_u32_e32 v102, s3, v100
	v_ashrrev_i32_e32 v57, 31, v56
	s_clause 0x1
	global_load_b64 v[88:89], v[42:43], off
	global_load_b64 v[90:91], v[26:27], off
	v_lshlrev_b64 v[4:5], 3, v[50:51]
	v_add_nc_u32_e32 v108, s3, v102
	v_ashrrev_i32_e32 v59, 31, v58
	v_ashrrev_i32_e32 v101, 31, v100
	;; [unrolled: 1-line block ×3, first 2 shown]
	s_delay_alu instid0(VALU_DEP_4) | instskip(SKIP_1) | instid1(VALU_DEP_2)
	v_add_nc_u32_e32 v110, s3, v108
	v_ashrrev_i32_e32 v109, 31, v108
	v_add_nc_u32_e32 v112, s3, v110
	v_ashrrev_i32_e32 v111, 31, v110
	s_delay_alu instid0(VALU_DEP_2) | instskip(SKIP_1) | instid1(VALU_DEP_2)
	v_add_nc_u32_e32 v116, s3, v112
	v_ashrrev_i32_e32 v113, 31, v112
	v_add_nc_u32_e32 v118, s3, v116
	v_ashrrev_i32_e32 v117, 31, v116
	s_delay_alu instid0(VALU_DEP_2) | instskip(SKIP_1) | instid1(VALU_DEP_2)
	;; [unrolled: 5-line block ×14, first 2 shown]
	v_add_nc_u32_e32 v170, s3, v168
	v_ashrrev_i32_e32 v169, 31, v168
	v_add_nc_u32_e32 v18, s3, v170
	v_ashrrev_i32_e32 v171, 31, v170
	s_delay_alu instid0(VALU_DEP_2) | instskip(NEXT) | instid1(VALU_DEP_1)
	v_ashrrev_i32_e32 v19, 31, v18
	v_lshlrev_b64 v[18:19], 3, v[18:19]
	s_delay_alu instid0(VALU_DEP_1) | instskip(NEXT) | instid1(VALU_DEP_2)
	v_add_co_u32 v18, vcc_lo, s0, v18
	v_add_co_ci_u32_e32 v19, vcc_lo, s1, v19, vcc_lo
	v_add_co_u32 v50, vcc_lo, s0, v1
	v_add_co_ci_u32_e32 v51, vcc_lo, s1, v2, vcc_lo
	global_load_b64 v[124:125], v[18:19], off
	v_lshlrev_b64 v[1:2], 3, v[56:57]
	s_waitcnt vmcnt(17)
	scratch_store_b128 off, v[52:55], off
	v_add_co_u32 v52, vcc_lo, s0, v4
	s_clause 0x3
	global_load_b64 v[92:93], v[34:35], off
	global_load_b64 v[94:95], v[46:47], off
	;; [unrolled: 1-line block ×4, first 2 shown]
	v_add_co_ci_u32_e32 v53, vcc_lo, s1, v5, vcc_lo
	v_lshlrev_b64 v[4:5], 3, v[58:59]
	v_add_co_u32 v54, vcc_lo, s0, v1
	v_add_co_ci_u32_e32 v55, vcc_lo, s1, v2, vcc_lo
	v_lshlrev_b64 v[1:2], 3, v[100:101]
	s_delay_alu instid0(VALU_DEP_4) | instskip(SKIP_2) | instid1(VALU_DEP_4)
	v_add_co_u32 v56, vcc_lo, s0, v4
	v_add_co_ci_u32_e32 v57, vcc_lo, s1, v5, vcc_lo
	v_lshlrev_b64 v[4:5], 3, v[102:103]
	v_add_co_u32 v58, vcc_lo, s0, v1
	v_add_co_ci_u32_e32 v59, vcc_lo, s1, v2, vcc_lo
	v_lshlrev_b64 v[1:2], 3, v[108:109]
	s_waitcnt vmcnt(19)
	scratch_store_b128 off, v[60:63], off offset:16
	s_waitcnt vmcnt(17)
	scratch_store_b128 off, v[64:67], off offset:32
	v_add_co_u32 v60, vcc_lo, s0, v4
	s_clause 0x3
	global_load_b64 v[100:101], v[52:53], off
	global_load_b64 v[102:103], v[54:55], off
	global_load_b64 v[104:105], v[56:57], off
	global_load_b64 v[106:107], v[58:59], off
	v_add_co_ci_u32_e32 v61, vcc_lo, s1, v5, vcc_lo
	v_lshlrev_b64 v[4:5], 3, v[110:111]
	v_add_co_u32 v62, vcc_lo, s0, v1
	v_add_co_ci_u32_e32 v63, vcc_lo, s1, v2, vcc_lo
	v_lshlrev_b64 v[1:2], 3, v[112:113]
	s_delay_alu instid0(VALU_DEP_4) | instskip(SKIP_2) | instid1(VALU_DEP_4)
	v_add_co_u32 v64, vcc_lo, s0, v4
	v_add_co_ci_u32_e32 v65, vcc_lo, s1, v5, vcc_lo
	v_lshlrev_b64 v[4:5], 3, v[118:119]
	v_add_co_u32 v66, vcc_lo, s0, v1
	v_add_co_ci_u32_e32 v67, vcc_lo, s1, v2, vcc_lo
	v_lshlrev_b64 v[1:2], 3, v[116:117]
	s_waitcnt vmcnt(19)
	scratch_store_b128 off, v[68:71], off offset:48
	s_waitcnt vmcnt(17)
	scratch_store_b128 off, v[72:75], off offset:64
	s_clause 0x3
	global_load_b64 v[108:109], v[60:61], off
	global_load_b64 v[110:111], v[62:63], off
	;; [unrolled: 1-line block ×4, first 2 shown]
	v_add_co_u32 v68, vcc_lo, s0, v1
	v_add_co_ci_u32_e32 v69, vcc_lo, s1, v2, vcc_lo
	v_lshlrev_b64 v[1:2], 3, v[120:121]
	v_add_co_u32 v70, vcc_lo, s0, v4
	v_add_co_ci_u32_e32 v71, vcc_lo, s1, v5, vcc_lo
	v_lshlrev_b64 v[4:5], 3, v[122:123]
	s_delay_alu instid0(VALU_DEP_4) | instskip(SKIP_2) | instid1(VALU_DEP_4)
	v_add_co_u32 v72, vcc_lo, s0, v1
	v_add_co_ci_u32_e32 v73, vcc_lo, s1, v2, vcc_lo
	v_lshlrev_b64 v[1:2], 3, v[126:127]
	v_add_co_u32 v74, vcc_lo, s0, v4
	v_add_co_ci_u32_e32 v75, vcc_lo, s1, v5, vcc_lo
	s_waitcnt vmcnt(19)
	scratch_store_b128 off, v[76:79], off offset:80
	s_waitcnt vmcnt(17)
	scratch_store_b128 off, v[80:83], off offset:96
	v_lshlrev_b64 v[4:5], 3, v[128:129]
	s_clause 0x3
	global_load_b64 v[116:117], v[68:69], off
	global_load_b64 v[118:119], v[70:71], off
	;; [unrolled: 1-line block ×4, first 2 shown]
	v_add_co_u32 v76, vcc_lo, s0, v1
	v_add_co_ci_u32_e32 v77, vcc_lo, s1, v2, vcc_lo
	v_add_co_u32 v78, vcc_lo, s0, v4
	v_add_co_ci_u32_e32 v79, vcc_lo, s1, v5, vcc_lo
	s_waitcnt vmcnt(19)
	scratch_store_b128 off, v[84:87], off offset:112
	s_clause 0x1
	global_load_b64 v[126:127], v[76:77], off
	global_load_b64 v[128:129], v[78:79], off
	v_lshlrev_b64 v[1:2], 3, v[130:131]
	v_lshlrev_b64 v[4:5], 3, v[134:135]
	s_delay_alu instid0(VALU_DEP_2) | instskip(NEXT) | instid1(VALU_DEP_3)
	v_add_co_u32 v80, vcc_lo, s0, v1
	v_add_co_ci_u32_e32 v81, vcc_lo, s1, v2, vcc_lo
	v_lshlrev_b64 v[1:2], 3, v[132:133]
	global_load_b64 v[130:131], v[80:81], off
	v_add_co_u32 v82, vcc_lo, s0, v1
	v_add_co_ci_u32_e32 v83, vcc_lo, s1, v2, vcc_lo
	v_lshlrev_b64 v[1:2], 3, v[136:137]
	v_add_co_u32 v84, vcc_lo, s0, v4
	v_add_co_ci_u32_e32 v85, vcc_lo, s1, v5, vcc_lo
	v_lshlrev_b64 v[4:5], 3, v[138:139]
	s_delay_alu instid0(VALU_DEP_4)
	v_add_co_u32 v86, vcc_lo, s0, v1
	v_add_co_ci_u32_e32 v87, vcc_lo, s1, v2, vcc_lo
	v_lshlrev_b64 v[1:2], 3, v[140:141]
	s_waitcnt vmcnt(20)
	scratch_store_b128 off, v[88:91], off offset:128
	v_add_co_u32 v88, vcc_lo, s0, v4
	v_add_co_ci_u32_e32 v89, vcc_lo, s1, v5, vcc_lo
	v_lshlrev_b64 v[4:5], 3, v[142:143]
	v_add_co_u32 v90, vcc_lo, s0, v1
	v_add_co_ci_u32_e32 v91, vcc_lo, s1, v2, vcc_lo
	v_lshlrev_b64 v[1:2], 3, v[144:145]
	s_waitcnt vmcnt(17)
	scratch_store_b128 off, v[92:95], off offset:144
	s_waitcnt vmcnt(15)
	scratch_store_b128 off, v[96:99], off offset:160
	v_add_co_u32 v92, vcc_lo, s0, v4
	v_add_co_ci_u32_e32 v93, vcc_lo, s1, v5, vcc_lo
	v_lshlrev_b64 v[4:5], 3, v[146:147]
	v_add_co_u32 v94, vcc_lo, s0, v1
	v_add_co_ci_u32_e32 v95, vcc_lo, s1, v2, vcc_lo
	v_lshlrev_b64 v[1:2], 3, v[148:149]
	s_delay_alu instid0(VALU_DEP_4) | instskip(SKIP_2) | instid1(VALU_DEP_4)
	v_add_co_u32 v96, vcc_lo, s0, v4
	v_add_co_ci_u32_e32 v97, vcc_lo, s1, v5, vcc_lo
	v_lshlrev_b64 v[4:5], 3, v[150:151]
	v_add_co_u32 v98, vcc_lo, s0, v1
	v_add_co_ci_u32_e32 v99, vcc_lo, s1, v2, vcc_lo
	v_lshlrev_b64 v[1:2], 3, v[152:153]
	s_clause 0x3
	global_load_b64 v[132:133], v[82:83], off
	global_load_b64 v[134:135], v[84:85], off
	global_load_b64 v[136:137], v[86:87], off
	global_load_b64 v[138:139], v[88:89], off
	s_waitcnt vmcnt(17)
	scratch_store_b128 off, v[100:103], off offset:176
	s_waitcnt vmcnt(15)
	scratch_store_b128 off, v[104:107], off offset:192
	v_add_co_u32 v100, vcc_lo, s0, v4
	v_add_co_ci_u32_e32 v101, vcc_lo, s1, v5, vcc_lo
	v_lshlrev_b64 v[4:5], 3, v[154:155]
	v_add_co_u32 v102, vcc_lo, s0, v1
	v_add_co_ci_u32_e32 v103, vcc_lo, s1, v2, vcc_lo
	v_lshlrev_b64 v[1:2], 3, v[156:157]
	s_delay_alu instid0(VALU_DEP_4) | instskip(SKIP_2) | instid1(VALU_DEP_4)
	v_add_co_u32 v104, vcc_lo, s0, v4
	v_add_co_ci_u32_e32 v105, vcc_lo, s1, v5, vcc_lo
	v_lshlrev_b64 v[4:5], 3, v[158:159]
	v_add_co_u32 v106, vcc_lo, s0, v1
	v_add_co_ci_u32_e32 v107, vcc_lo, s1, v2, vcc_lo
	v_lshlrev_b64 v[1:2], 3, v[160:161]
	s_clause 0x3
	global_load_b64 v[140:141], v[90:91], off
	global_load_b64 v[142:143], v[92:93], off
	global_load_b64 v[144:145], v[94:95], off
	global_load_b64 v[146:147], v[96:97], off
	;; [unrolled: 22-line block ×3, first 2 shown]
	s_waitcnt vmcnt(17)
	scratch_store_b128 off, v[116:119], off offset:240
	s_waitcnt vmcnt(15)
	scratch_store_b128 off, v[120:123], off offset:256
	v_add_co_u32 v116, vcc_lo, s0, v4
	v_add_co_ci_u32_e32 v117, vcc_lo, s1, v5, vcc_lo
	v_lshlrev_b64 v[4:5], 3, v[170:171]
	v_add_co_u32 v118, vcc_lo, s0, v1
	v_add_co_ci_u32_e32 v119, vcc_lo, s1, v2, vcc_lo
	s_clause 0x3
	global_load_b64 v[156:157], v[106:107], off
	global_load_b64 v[158:159], v[108:109], off
	;; [unrolled: 1-line block ×4, first 2 shown]
	v_add_co_u32 v120, vcc_lo, s0, v4
	v_add_co_ci_u32_e32 v121, vcc_lo, s1, v5, vcc_lo
	s_waitcnt vmcnt(17)
	scratch_store_b128 off, v[126:129], off offset:272
	s_clause 0x3
	global_load_b64 v[164:165], v[114:115], off
	global_load_b64 v[126:127], v[116:117], off
	;; [unrolled: 1-line block ×4, first 2 shown]
	s_mov_b32 s1, -1
	s_waitcnt vmcnt(19)
	scratch_store_b128 off, v[130:133], off offset:288
	s_waitcnt vmcnt(17)
	scratch_store_b128 off, v[134:137], off offset:304
	;; [unrolled: 2-line block ×11, first 2 shown]
	s_cbranch_scc1 .LBB57_240
; %bb.4:
	v_cmp_eq_u32_e64 s0, 0, v0
	s_delay_alu instid0(VALU_DEP_1)
	s_and_saveexec_b32 s1, s0
	s_cbranch_execz .LBB57_6
; %bb.5:
	v_mov_b32_e32 v1, 0
	ds_store_b32 v1, v1 offset:928
.LBB57_6:
	s_or_b32 exec_lo, exec_lo, s1
	s_waitcnt lgkmcnt(0)
	s_waitcnt_vscnt null, 0x0
	s_barrier
	buffer_gl0_inv
	scratch_load_b64 v[1:2], v3, off
	s_mov_b32 s2, exec_lo
	s_waitcnt vmcnt(0)
	v_cmpx_eq_f64_e32 0, v[1:2]
	s_cbranch_execz .LBB57_10
; %bb.7:
	v_mov_b32_e32 v1, 0
	s_mov_b32 s3, 0
	ds_load_b32 v2, v1 offset:928
	s_waitcnt lgkmcnt(0)
	v_readfirstlane_b32 s1, v2
	v_add_nc_u32_e32 v2, 1, v0
	s_delay_alu instid0(VALU_DEP_2) | instskip(NEXT) | instid1(VALU_DEP_1)
	s_cmp_eq_u32 s1, 0
	v_cmp_gt_i32_e32 vcc_lo, s1, v2
	s_cselect_b32 s4, -1, 0
	s_delay_alu instid0(SALU_CYCLE_1) | instskip(NEXT) | instid1(SALU_CYCLE_1)
	s_or_b32 s4, s4, vcc_lo
	s_and_b32 exec_lo, exec_lo, s4
	s_cbranch_execz .LBB57_10
; %bb.8:
	v_mov_b32_e32 v4, s1
.LBB57_9:                               ; =>This Inner Loop Header: Depth=1
	ds_cmpstore_rtn_b32 v4, v1, v2, v4 offset:928
	s_waitcnt lgkmcnt(0)
	v_cmp_ne_u32_e32 vcc_lo, 0, v4
	v_cmp_le_i32_e64 s1, v4, v2
	s_delay_alu instid0(VALU_DEP_1) | instskip(NEXT) | instid1(SALU_CYCLE_1)
	s_and_b32 s1, vcc_lo, s1
	s_and_b32 s1, exec_lo, s1
	s_delay_alu instid0(SALU_CYCLE_1) | instskip(NEXT) | instid1(SALU_CYCLE_1)
	s_or_b32 s3, s1, s3
	s_and_not1_b32 exec_lo, exec_lo, s3
	s_cbranch_execnz .LBB57_9
.LBB57_10:
	s_or_b32 exec_lo, exec_lo, s2
	v_mov_b32_e32 v1, 0
	s_barrier
	buffer_gl0_inv
	ds_load_b32 v2, v1 offset:928
	s_and_saveexec_b32 s1, s0
	s_cbranch_execz .LBB57_12
; %bb.11:
	s_lshl_b64 s[2:3], s[14:15], 2
	s_delay_alu instid0(SALU_CYCLE_1)
	s_add_u32 s2, s6, s2
	s_addc_u32 s3, s7, s3
	s_waitcnt lgkmcnt(0)
	global_store_b32 v1, v2, s[2:3]
.LBB57_12:
	s_or_b32 exec_lo, exec_lo, s1
	s_waitcnt lgkmcnt(0)
	v_cmp_ne_u32_e32 vcc_lo, 0, v2
	s_mov_b32 s1, 0
	s_cbranch_vccnz .LBB57_240
; %bb.13:
	v_add_nc_u32_e32 v4, 0, v3
	v_add_nc_u32_e32 v5, 0x1d0, v3
	scratch_load_b64 v[1:2], v4, off
	s_waitcnt vmcnt(0)
	v_div_scale_f64 v[122:123], null, v[1:2], v[1:2], 1.0
	v_div_scale_f64 v[128:129], vcc_lo, 1.0, v[1:2], 1.0
	s_delay_alu instid0(VALU_DEP_2) | instskip(SKIP_2) | instid1(VALU_DEP_1)
	v_rcp_f64_e32 v[124:125], v[122:123]
	s_waitcnt_depctr 0xfff
	v_fma_f64 v[126:127], -v[122:123], v[124:125], 1.0
	v_fma_f64 v[124:125], v[124:125], v[126:127], v[124:125]
	s_delay_alu instid0(VALU_DEP_1) | instskip(NEXT) | instid1(VALU_DEP_1)
	v_fma_f64 v[126:127], -v[122:123], v[124:125], 1.0
	v_fma_f64 v[124:125], v[124:125], v[126:127], v[124:125]
	s_delay_alu instid0(VALU_DEP_1) | instskip(NEXT) | instid1(VALU_DEP_1)
	v_mul_f64 v[126:127], v[128:129], v[124:125]
	v_fma_f64 v[122:123], -v[122:123], v[126:127], v[128:129]
	s_delay_alu instid0(VALU_DEP_1) | instskip(NEXT) | instid1(VALU_DEP_1)
	v_div_fmas_f64 v[122:123], v[122:123], v[124:125], v[126:127]
	v_div_fixup_f64 v[1:2], v[122:123], v[1:2], 1.0
	scratch_store_b64 v4, v[1:2], off
	scratch_load_b64 v[122:123], off, off offset:8
	v_xor_b32_e32 v2, 0x80000000, v2
	s_waitcnt vmcnt(0)
	ds_store_2addr_b64 v3, v[1:2], v[122:123] offset1:58
	s_waitcnt lgkmcnt(0)
	s_waitcnt_vscnt null, 0x0
	s_barrier
	buffer_gl0_inv
	s_and_saveexec_b32 s1, s0
	s_cbranch_execz .LBB57_15
; %bb.14:
	scratch_load_b64 v[1:2], v4, off
	ds_load_b64 v[122:123], v5
	s_waitcnt vmcnt(0) lgkmcnt(0)
	v_fma_f64 v[1:2], v[1:2], v[122:123], 0
	v_mov_b32_e32 v122, 0
	ds_load_b64 v[122:123], v122 offset:8
	s_waitcnt lgkmcnt(0)
	v_mul_f64 v[1:2], v[1:2], v[122:123]
	scratch_store_b64 off, v[1:2], off offset:8
.LBB57_15:
	s_or_b32 exec_lo, exec_lo, s1
	s_waitcnt_vscnt null, 0x0
	s_barrier
	buffer_gl0_inv
	scratch_load_b64 v[1:2], off, off offset:16
	s_mov_b32 s1, exec_lo
	s_waitcnt vmcnt(0)
	ds_store_b64 v5, v[1:2]
	s_waitcnt lgkmcnt(0)
	s_barrier
	buffer_gl0_inv
	v_cmpx_gt_u32_e32 2, v0
	s_cbranch_execz .LBB57_19
; %bb.16:
	scratch_load_b64 v[1:2], v4, off
	ds_load_b64 v[122:123], v5
	s_waitcnt vmcnt(0) lgkmcnt(0)
	v_fma_f64 v[1:2], v[1:2], v[122:123], 0
	s_and_saveexec_b32 s2, s0
	s_cbranch_execz .LBB57_18
; %bb.17:
	scratch_load_b64 v[122:123], off, off offset:8
	v_mov_b32_e32 v124, 0
	ds_load_b64 v[124:125], v124 offset:472
	s_waitcnt vmcnt(0) lgkmcnt(0)
	v_fma_f64 v[1:2], v[122:123], v[124:125], v[1:2]
.LBB57_18:
	s_or_b32 exec_lo, exec_lo, s2
	v_mov_b32_e32 v122, 0
	ds_load_b64 v[122:123], v122 offset:16
	s_waitcnt lgkmcnt(0)
	v_mul_f64 v[1:2], v[1:2], v[122:123]
	scratch_store_b64 off, v[1:2], off offset:16
.LBB57_19:
	s_or_b32 exec_lo, exec_lo, s1
	s_waitcnt_vscnt null, 0x0
	s_barrier
	buffer_gl0_inv
	scratch_load_b64 v[1:2], off, off offset:24
	v_add_nc_u32_e32 v122, -1, v0
	s_mov_b32 s0, exec_lo
	s_waitcnt vmcnt(0)
	ds_store_b64 v5, v[1:2]
	s_waitcnt lgkmcnt(0)
	s_barrier
	buffer_gl0_inv
	v_cmpx_gt_u32_e32 3, v0
	s_cbranch_execz .LBB57_23
; %bb.20:
	v_dual_mov_b32 v1, 0 :: v_dual_add_nc_u32 v124, 0x1d0, v3
	v_dual_mov_b32 v2, 0 :: v_dual_add_nc_u32 v123, -1, v0
	v_add_nc_u32_e32 v125, 0, v3
	s_mov_b32 s1, 0
.LBB57_21:                              ; =>This Inner Loop Header: Depth=1
	scratch_load_b64 v[126:127], v125, off
	ds_load_b64 v[128:129], v124
	v_add_nc_u32_e32 v123, 1, v123
	v_add_nc_u32_e32 v124, 8, v124
	v_add_nc_u32_e32 v125, 8, v125
	s_delay_alu instid0(VALU_DEP_3)
	v_cmp_lt_u32_e32 vcc_lo, 1, v123
	s_or_b32 s1, vcc_lo, s1
	s_waitcnt vmcnt(0) lgkmcnt(0)
	v_fma_f64 v[1:2], v[126:127], v[128:129], v[1:2]
	s_and_not1_b32 exec_lo, exec_lo, s1
	s_cbranch_execnz .LBB57_21
; %bb.22:
	s_or_b32 exec_lo, exec_lo, s1
	v_mov_b32_e32 v123, 0
	ds_load_b64 v[123:124], v123 offset:24
	s_waitcnt lgkmcnt(0)
	v_mul_f64 v[1:2], v[1:2], v[123:124]
	scratch_store_b64 off, v[1:2], off offset:24
.LBB57_23:
	s_or_b32 exec_lo, exec_lo, s0
	s_waitcnt_vscnt null, 0x0
	s_barrier
	buffer_gl0_inv
	scratch_load_b64 v[1:2], off, off offset:32
	s_mov_b32 s0, exec_lo
	s_waitcnt vmcnt(0)
	ds_store_b64 v5, v[1:2]
	s_waitcnt lgkmcnt(0)
	s_barrier
	buffer_gl0_inv
	v_cmpx_gt_u32_e32 4, v0
	s_cbranch_execz .LBB57_27
; %bb.24:
	v_dual_mov_b32 v1, 0 :: v_dual_add_nc_u32 v124, 0x1d0, v3
	v_dual_mov_b32 v2, 0 :: v_dual_add_nc_u32 v123, -1, v0
	v_add_nc_u32_e32 v125, 0, v3
	s_mov_b32 s1, 0
.LBB57_25:                              ; =>This Inner Loop Header: Depth=1
	scratch_load_b64 v[126:127], v125, off
	ds_load_b64 v[128:129], v124
	v_add_nc_u32_e32 v123, 1, v123
	v_add_nc_u32_e32 v124, 8, v124
	v_add_nc_u32_e32 v125, 8, v125
	s_delay_alu instid0(VALU_DEP_3)
	v_cmp_lt_u32_e32 vcc_lo, 2, v123
	s_or_b32 s1, vcc_lo, s1
	s_waitcnt vmcnt(0) lgkmcnt(0)
	v_fma_f64 v[1:2], v[126:127], v[128:129], v[1:2]
	s_and_not1_b32 exec_lo, exec_lo, s1
	s_cbranch_execnz .LBB57_25
; %bb.26:
	s_or_b32 exec_lo, exec_lo, s1
	v_mov_b32_e32 v123, 0
	ds_load_b64 v[123:124], v123 offset:32
	s_waitcnt lgkmcnt(0)
	v_mul_f64 v[1:2], v[1:2], v[123:124]
	scratch_store_b64 off, v[1:2], off offset:32
.LBB57_27:
	s_or_b32 exec_lo, exec_lo, s0
	s_waitcnt_vscnt null, 0x0
	s_barrier
	buffer_gl0_inv
	scratch_load_b64 v[1:2], off, off offset:40
	;; [unrolled: 39-line block ×20, first 2 shown]
	s_mov_b32 s0, exec_lo
	s_waitcnt vmcnt(0)
	ds_store_b64 v5, v[1:2]
	s_waitcnt lgkmcnt(0)
	s_barrier
	buffer_gl0_inv
	v_cmpx_gt_u32_e32 23, v0
	s_cbranch_execz .LBB57_103
; %bb.100:
	v_dual_mov_b32 v1, 0 :: v_dual_add_nc_u32 v124, 0x1d0, v3
	v_dual_mov_b32 v2, 0 :: v_dual_add_nc_u32 v123, -1, v0
	v_add_nc_u32_e32 v125, 0, v3
	s_mov_b32 s1, 0
.LBB57_101:                             ; =>This Inner Loop Header: Depth=1
	scratch_load_b64 v[126:127], v125, off
	ds_load_b64 v[128:129], v124
	v_add_nc_u32_e32 v123, 1, v123
	v_add_nc_u32_e32 v124, 8, v124
	v_add_nc_u32_e32 v125, 8, v125
	s_delay_alu instid0(VALU_DEP_3)
	v_cmp_lt_u32_e32 vcc_lo, 21, v123
	s_or_b32 s1, vcc_lo, s1
	s_waitcnt vmcnt(0) lgkmcnt(0)
	v_fma_f64 v[1:2], v[126:127], v[128:129], v[1:2]
	s_and_not1_b32 exec_lo, exec_lo, s1
	s_cbranch_execnz .LBB57_101
; %bb.102:
	s_or_b32 exec_lo, exec_lo, s1
	v_mov_b32_e32 v123, 0
	ds_load_b64 v[123:124], v123 offset:184
	s_waitcnt lgkmcnt(0)
	v_mul_f64 v[1:2], v[1:2], v[123:124]
	scratch_store_b64 off, v[1:2], off offset:184
.LBB57_103:
	s_or_b32 exec_lo, exec_lo, s0
	s_waitcnt_vscnt null, 0x0
	s_barrier
	buffer_gl0_inv
	scratch_load_b64 v[1:2], off, off offset:192
	s_mov_b32 s0, exec_lo
	s_waitcnt vmcnt(0)
	ds_store_b64 v5, v[1:2]
	s_waitcnt lgkmcnt(0)
	s_barrier
	buffer_gl0_inv
	v_cmpx_gt_u32_e32 24, v0
	s_cbranch_execz .LBB57_107
; %bb.104:
	v_dual_mov_b32 v1, 0 :: v_dual_add_nc_u32 v124, 0x1d0, v3
	v_dual_mov_b32 v2, 0 :: v_dual_add_nc_u32 v123, -1, v0
	v_add_nc_u32_e32 v125, 0, v3
	s_mov_b32 s1, 0
.LBB57_105:                             ; =>This Inner Loop Header: Depth=1
	scratch_load_b64 v[126:127], v125, off
	ds_load_b64 v[128:129], v124
	v_add_nc_u32_e32 v123, 1, v123
	v_add_nc_u32_e32 v124, 8, v124
	v_add_nc_u32_e32 v125, 8, v125
	s_delay_alu instid0(VALU_DEP_3)
	v_cmp_lt_u32_e32 vcc_lo, 22, v123
	s_or_b32 s1, vcc_lo, s1
	s_waitcnt vmcnt(0) lgkmcnt(0)
	v_fma_f64 v[1:2], v[126:127], v[128:129], v[1:2]
	s_and_not1_b32 exec_lo, exec_lo, s1
	s_cbranch_execnz .LBB57_105
; %bb.106:
	s_or_b32 exec_lo, exec_lo, s1
	v_mov_b32_e32 v123, 0
	ds_load_b64 v[123:124], v123 offset:192
	s_waitcnt lgkmcnt(0)
	v_mul_f64 v[1:2], v[1:2], v[123:124]
	scratch_store_b64 off, v[1:2], off offset:192
.LBB57_107:
	s_or_b32 exec_lo, exec_lo, s0
	s_waitcnt_vscnt null, 0x0
	s_barrier
	buffer_gl0_inv
	scratch_load_b64 v[1:2], off, off offset:200
	;; [unrolled: 39-line block ×34, first 2 shown]
	s_mov_b32 s0, exec_lo
	s_waitcnt vmcnt(0)
	ds_store_b64 v5, v[1:2]
	s_waitcnt lgkmcnt(0)
	s_barrier
	buffer_gl0_inv
	v_cmpx_ne_u32_e32 57, v0
	s_cbranch_execz .LBB57_239
; %bb.236:
	v_mov_b32_e32 v1, 0
	v_mov_b32_e32 v2, 0
	s_mov_b32 s1, 0
.LBB57_237:                             ; =>This Inner Loop Header: Depth=1
	scratch_load_b64 v[123:124], v4, off
	ds_load_b64 v[125:126], v5
	v_add_nc_u32_e32 v122, 1, v122
	v_add_nc_u32_e32 v5, 8, v5
	v_add_nc_u32_e32 v4, 8, v4
	s_delay_alu instid0(VALU_DEP_3)
	v_cmp_lt_u32_e32 vcc_lo, 55, v122
	s_or_b32 s1, vcc_lo, s1
	s_waitcnt vmcnt(0) lgkmcnt(0)
	v_fma_f64 v[1:2], v[123:124], v[125:126], v[1:2]
	s_and_not1_b32 exec_lo, exec_lo, s1
	s_cbranch_execnz .LBB57_237
; %bb.238:
	s_or_b32 exec_lo, exec_lo, s1
	v_mov_b32_e32 v3, 0
	ds_load_b64 v[3:4], v3 offset:456
	s_waitcnt lgkmcnt(0)
	v_mul_f64 v[1:2], v[1:2], v[3:4]
	scratch_store_b64 off, v[1:2], off offset:456
.LBB57_239:
	s_or_b32 exec_lo, exec_lo, s0
	s_mov_b32 s1, -1
	s_waitcnt_vscnt null, 0x0
	s_barrier
	buffer_gl0_inv
.LBB57_240:
	s_and_b32 vcc_lo, exec_lo, s1
	s_cbranch_vccz .LBB57_242
; %bb.241:
	s_lshl_b64 s[0:1], s[14:15], 2
	v_mov_b32_e32 v1, 0
	s_add_u32 s0, s6, s0
	s_addc_u32 s1, s7, s1
	global_load_b32 v1, v1, s[0:1]
	s_waitcnt vmcnt(0)
	v_cmp_ne_u32_e32 vcc_lo, 0, v1
	s_cbranch_vccz .LBB57_243
.LBB57_242:
	s_endpgm
.LBB57_243:
	v_lshl_add_u32 v5, v0, 3, 0x1d0
	s_mov_b32 s0, exec_lo
	v_cmpx_eq_u32_e32 57, v0
	s_cbranch_execz .LBB57_245
; %bb.244:
	scratch_load_b64 v[1:2], off, off offset:448
	v_mov_b32_e32 v3, 0
	s_delay_alu instid0(VALU_DEP_1)
	v_mov_b32_e32 v4, v3
	scratch_store_b64 off, v[3:4], off offset:448
	s_waitcnt vmcnt(0)
	ds_store_b64 v5, v[1:2]
.LBB57_245:
	s_or_b32 exec_lo, exec_lo, s0
	s_waitcnt lgkmcnt(0)
	s_waitcnt_vscnt null, 0x0
	s_barrier
	buffer_gl0_inv
	scratch_load_b128 v[122:125], off, off offset:448
	v_mov_b32_e32 v1, 0
	s_mov_b32 s0, exec_lo
	ds_load_b64 v[2:3], v1 offset:920
	s_waitcnt vmcnt(0) lgkmcnt(0)
	v_fma_f64 v[2:3], v[124:125], v[2:3], 0
	s_delay_alu instid0(VALU_DEP_1)
	v_add_f64 v[2:3], v[122:123], -v[2:3]
	scratch_store_b64 off, v[2:3], off offset:448
	v_cmpx_lt_u32_e32 55, v0
	s_cbranch_execz .LBB57_247
; %bb.246:
	scratch_load_b64 v[3:4], off, off offset:440
	v_mov_b32_e32 v2, v1
	scratch_store_b64 off, v[1:2], off offset:440
	s_waitcnt vmcnt(0)
	ds_store_b64 v5, v[3:4]
.LBB57_247:
	s_or_b32 exec_lo, exec_lo, s0
	s_waitcnt lgkmcnt(0)
	s_waitcnt_vscnt null, 0x0
	s_barrier
	buffer_gl0_inv
	s_clause 0x1
	scratch_load_b128 v[122:125], off, off offset:440
	scratch_load_b64 v[126:127], off, off offset:456
	ds_load_b128 v[1:4], v1 offset:912
	s_mov_b32 s0, exec_lo
	s_waitcnt vmcnt(1) lgkmcnt(0)
	v_fma_f64 v[1:2], v[124:125], v[1:2], 0
	s_waitcnt vmcnt(0)
	s_delay_alu instid0(VALU_DEP_1) | instskip(NEXT) | instid1(VALU_DEP_1)
	v_fma_f64 v[1:2], v[126:127], v[3:4], v[1:2]
	v_add_f64 v[1:2], v[122:123], -v[1:2]
	scratch_store_b64 off, v[1:2], off offset:440
	v_cmpx_lt_u32_e32 54, v0
	s_cbranch_execz .LBB57_249
; %bb.248:
	scratch_load_b64 v[1:2], off, off offset:432
	v_mov_b32_e32 v3, 0
	s_delay_alu instid0(VALU_DEP_1)
	v_mov_b32_e32 v4, v3
	scratch_store_b64 off, v[3:4], off offset:432
	s_waitcnt vmcnt(0)
	ds_store_b64 v5, v[1:2]
.LBB57_249:
	s_or_b32 exec_lo, exec_lo, s0
	s_waitcnt lgkmcnt(0)
	s_waitcnt_vscnt null, 0x0
	s_barrier
	buffer_gl0_inv
	s_clause 0x1
	scratch_load_b128 v[122:125], off, off offset:432
	scratch_load_b128 v[126:129], off, off offset:448
	v_mov_b32_e32 v1, 0
	ds_load_2addr_b64 v[130:133], v1 offset0:113 offset1:114
	ds_load_b64 v[2:3], v1 offset:920
	s_mov_b32 s0, exec_lo
	s_waitcnt vmcnt(1) lgkmcnt(1)
	v_fma_f64 v[124:125], v[124:125], v[130:131], 0
	s_waitcnt vmcnt(0)
	s_delay_alu instid0(VALU_DEP_1) | instskip(SKIP_1) | instid1(VALU_DEP_1)
	v_fma_f64 v[124:125], v[126:127], v[132:133], v[124:125]
	s_waitcnt lgkmcnt(0)
	v_fma_f64 v[2:3], v[128:129], v[2:3], v[124:125]
	s_delay_alu instid0(VALU_DEP_1)
	v_add_f64 v[2:3], v[122:123], -v[2:3]
	scratch_store_b64 off, v[2:3], off offset:432
	v_cmpx_lt_u32_e32 53, v0
	s_cbranch_execz .LBB57_251
; %bb.250:
	scratch_load_b64 v[3:4], off, off offset:424
	v_mov_b32_e32 v2, v1
	scratch_store_b64 off, v[1:2], off offset:424
	s_waitcnt vmcnt(0)
	ds_store_b64 v5, v[3:4]
.LBB57_251:
	s_or_b32 exec_lo, exec_lo, s0
	s_waitcnt lgkmcnt(0)
	s_waitcnt_vscnt null, 0x0
	s_barrier
	buffer_gl0_inv
	s_clause 0x2
	scratch_load_b128 v[122:125], off, off offset:424
	scratch_load_b128 v[126:129], off, off offset:440
	scratch_load_b64 v[134:135], off, off offset:456
	ds_load_b128 v[130:133], v1 offset:896
	ds_load_b128 v[1:4], v1 offset:912
	s_mov_b32 s0, exec_lo
	s_waitcnt vmcnt(2) lgkmcnt(1)
	v_fma_f64 v[124:125], v[124:125], v[130:131], 0
	s_waitcnt vmcnt(1)
	s_delay_alu instid0(VALU_DEP_1) | instskip(SKIP_1) | instid1(VALU_DEP_1)
	v_fma_f64 v[124:125], v[126:127], v[132:133], v[124:125]
	s_waitcnt lgkmcnt(0)
	v_fma_f64 v[1:2], v[128:129], v[1:2], v[124:125]
	s_waitcnt vmcnt(0)
	s_delay_alu instid0(VALU_DEP_1) | instskip(NEXT) | instid1(VALU_DEP_1)
	v_fma_f64 v[1:2], v[134:135], v[3:4], v[1:2]
	v_add_f64 v[1:2], v[122:123], -v[1:2]
	scratch_store_b64 off, v[1:2], off offset:424
	v_cmpx_lt_u32_e32 52, v0
	s_cbranch_execz .LBB57_253
; %bb.252:
	scratch_load_b64 v[1:2], off, off offset:416
	v_mov_b32_e32 v3, 0
	s_delay_alu instid0(VALU_DEP_1)
	v_mov_b32_e32 v4, v3
	scratch_store_b64 off, v[3:4], off offset:416
	s_waitcnt vmcnt(0)
	ds_store_b64 v5, v[1:2]
.LBB57_253:
	s_or_b32 exec_lo, exec_lo, s0
	s_waitcnt lgkmcnt(0)
	s_waitcnt_vscnt null, 0x0
	s_barrier
	buffer_gl0_inv
	s_clause 0x2
	scratch_load_b128 v[122:125], off, off offset:416
	scratch_load_b128 v[126:129], off, off offset:432
	;; [unrolled: 1-line block ×3, first 2 shown]
	v_mov_b32_e32 v1, 0
	ds_load_2addr_b64 v[134:137], v1 offset0:111 offset1:112
	ds_load_2addr_b64 v[138:141], v1 offset0:113 offset1:114
	s_mov_b32 s0, exec_lo
	s_waitcnt vmcnt(2) lgkmcnt(1)
	v_fma_f64 v[2:3], v[124:125], v[134:135], 0
	ds_load_b64 v[124:125], v1 offset:920
	s_waitcnt vmcnt(1)
	v_fma_f64 v[2:3], v[126:127], v[136:137], v[2:3]
	s_waitcnt lgkmcnt(1)
	s_delay_alu instid0(VALU_DEP_1) | instskip(SKIP_1) | instid1(VALU_DEP_1)
	v_fma_f64 v[2:3], v[128:129], v[138:139], v[2:3]
	s_waitcnt vmcnt(0)
	v_fma_f64 v[2:3], v[130:131], v[140:141], v[2:3]
	s_waitcnt lgkmcnt(0)
	s_delay_alu instid0(VALU_DEP_1) | instskip(NEXT) | instid1(VALU_DEP_1)
	v_fma_f64 v[2:3], v[132:133], v[124:125], v[2:3]
	v_add_f64 v[2:3], v[122:123], -v[2:3]
	scratch_store_b64 off, v[2:3], off offset:416
	v_cmpx_lt_u32_e32 51, v0
	s_cbranch_execz .LBB57_255
; %bb.254:
	scratch_load_b64 v[3:4], off, off offset:408
	v_mov_b32_e32 v2, v1
	scratch_store_b64 off, v[1:2], off offset:408
	s_waitcnt vmcnt(0)
	ds_store_b64 v5, v[3:4]
.LBB57_255:
	s_or_b32 exec_lo, exec_lo, s0
	s_waitcnt lgkmcnt(0)
	s_waitcnt_vscnt null, 0x0
	s_barrier
	buffer_gl0_inv
	s_clause 0x3
	scratch_load_b128 v[122:125], off, off offset:408
	scratch_load_b128 v[126:129], off, off offset:424
	;; [unrolled: 1-line block ×3, first 2 shown]
	scratch_load_b64 v[142:143], off, off offset:456
	ds_load_b128 v[134:137], v1 offset:880
	ds_load_b128 v[138:141], v1 offset:896
	s_mov_b32 s0, exec_lo
	s_waitcnt vmcnt(3) lgkmcnt(1)
	v_fma_f64 v[2:3], v[124:125], v[134:135], 0
	s_waitcnt vmcnt(2)
	s_delay_alu instid0(VALU_DEP_1) | instskip(SKIP_1) | instid1(VALU_DEP_1)
	v_fma_f64 v[2:3], v[126:127], v[136:137], v[2:3]
	s_waitcnt lgkmcnt(0)
	v_fma_f64 v[2:3], v[128:129], v[138:139], v[2:3]
	s_waitcnt vmcnt(1)
	s_delay_alu instid0(VALU_DEP_1) | instskip(SKIP_4) | instid1(VALU_DEP_1)
	v_fma_f64 v[124:125], v[130:131], v[140:141], v[2:3]
	ds_load_b128 v[1:4], v1 offset:912
	s_waitcnt lgkmcnt(0)
	v_fma_f64 v[1:2], v[132:133], v[1:2], v[124:125]
	s_waitcnt vmcnt(0)
	v_fma_f64 v[1:2], v[142:143], v[3:4], v[1:2]
	s_delay_alu instid0(VALU_DEP_1)
	v_add_f64 v[1:2], v[122:123], -v[1:2]
	scratch_store_b64 off, v[1:2], off offset:408
	v_cmpx_lt_u32_e32 50, v0
	s_cbranch_execz .LBB57_257
; %bb.256:
	scratch_load_b64 v[1:2], off, off offset:400
	v_mov_b32_e32 v3, 0
	s_delay_alu instid0(VALU_DEP_1)
	v_mov_b32_e32 v4, v3
	scratch_store_b64 off, v[3:4], off offset:400
	s_waitcnt vmcnt(0)
	ds_store_b64 v5, v[1:2]
.LBB57_257:
	s_or_b32 exec_lo, exec_lo, s0
	s_waitcnt lgkmcnt(0)
	s_waitcnt_vscnt null, 0x0
	s_barrier
	buffer_gl0_inv
	s_clause 0x3
	scratch_load_b128 v[122:125], off, off offset:400
	scratch_load_b128 v[126:129], off, off offset:416
	;; [unrolled: 1-line block ×4, first 2 shown]
	v_mov_b32_e32 v1, 0
	s_mov_b32 s0, exec_lo
	ds_load_2addr_b64 v[138:141], v1 offset0:109 offset1:110
	s_waitcnt vmcnt(3) lgkmcnt(0)
	v_fma_f64 v[2:3], v[124:125], v[138:139], 0
	s_waitcnt vmcnt(2)
	s_delay_alu instid0(VALU_DEP_1) | instskip(SKIP_4) | instid1(VALU_DEP_1)
	v_fma_f64 v[2:3], v[126:127], v[140:141], v[2:3]
	ds_load_2addr_b64 v[124:127], v1 offset0:111 offset1:112
	s_waitcnt lgkmcnt(0)
	v_fma_f64 v[2:3], v[128:129], v[124:125], v[2:3]
	s_waitcnt vmcnt(1)
	v_fma_f64 v[2:3], v[130:131], v[126:127], v[2:3]
	ds_load_2addr_b64 v[124:127], v1 offset0:113 offset1:114
	s_waitcnt lgkmcnt(0)
	v_fma_f64 v[2:3], v[132:133], v[124:125], v[2:3]
	ds_load_b64 v[124:125], v1 offset:920
	s_waitcnt vmcnt(0)
	v_fma_f64 v[2:3], v[134:135], v[126:127], v[2:3]
	s_waitcnt lgkmcnt(0)
	s_delay_alu instid0(VALU_DEP_1) | instskip(NEXT) | instid1(VALU_DEP_1)
	v_fma_f64 v[2:3], v[136:137], v[124:125], v[2:3]
	v_add_f64 v[2:3], v[122:123], -v[2:3]
	scratch_store_b64 off, v[2:3], off offset:400
	v_cmpx_lt_u32_e32 49, v0
	s_cbranch_execz .LBB57_259
; %bb.258:
	scratch_load_b64 v[3:4], off, off offset:392
	v_mov_b32_e32 v2, v1
	scratch_store_b64 off, v[1:2], off offset:392
	s_waitcnt vmcnt(0)
	ds_store_b64 v5, v[3:4]
.LBB57_259:
	s_or_b32 exec_lo, exec_lo, s0
	s_waitcnt lgkmcnt(0)
	s_waitcnt_vscnt null, 0x0
	s_barrier
	buffer_gl0_inv
	s_clause 0x4
	scratch_load_b128 v[122:125], off, off offset:392
	scratch_load_b128 v[126:129], off, off offset:408
	;; [unrolled: 1-line block ×4, first 2 shown]
	scratch_load_b64 v[142:143], off, off offset:456
	ds_load_b128 v[138:141], v1 offset:864
	s_mov_b32 s0, exec_lo
	s_waitcnt vmcnt(4) lgkmcnt(0)
	v_fma_f64 v[2:3], v[124:125], v[138:139], 0
	s_waitcnt vmcnt(3)
	s_delay_alu instid0(VALU_DEP_1) | instskip(SKIP_4) | instid1(VALU_DEP_1)
	v_fma_f64 v[2:3], v[126:127], v[140:141], v[2:3]
	ds_load_b128 v[124:127], v1 offset:880
	s_waitcnt lgkmcnt(0)
	v_fma_f64 v[2:3], v[128:129], v[124:125], v[2:3]
	s_waitcnt vmcnt(2)
	v_fma_f64 v[2:3], v[130:131], v[126:127], v[2:3]
	ds_load_b128 v[124:127], v1 offset:896
	s_waitcnt lgkmcnt(0)
	v_fma_f64 v[2:3], v[132:133], v[124:125], v[2:3]
	s_waitcnt vmcnt(1)
	s_delay_alu instid0(VALU_DEP_1) | instskip(SKIP_4) | instid1(VALU_DEP_1)
	v_fma_f64 v[124:125], v[134:135], v[126:127], v[2:3]
	ds_load_b128 v[1:4], v1 offset:912
	s_waitcnt lgkmcnt(0)
	v_fma_f64 v[1:2], v[136:137], v[1:2], v[124:125]
	s_waitcnt vmcnt(0)
	v_fma_f64 v[1:2], v[142:143], v[3:4], v[1:2]
	s_delay_alu instid0(VALU_DEP_1)
	v_add_f64 v[1:2], v[122:123], -v[1:2]
	scratch_store_b64 off, v[1:2], off offset:392
	v_cmpx_lt_u32_e32 48, v0
	s_cbranch_execz .LBB57_261
; %bb.260:
	scratch_load_b64 v[1:2], off, off offset:384
	v_mov_b32_e32 v3, 0
	s_delay_alu instid0(VALU_DEP_1)
	v_mov_b32_e32 v4, v3
	scratch_store_b64 off, v[3:4], off offset:384
	s_waitcnt vmcnt(0)
	ds_store_b64 v5, v[1:2]
.LBB57_261:
	s_or_b32 exec_lo, exec_lo, s0
	s_waitcnt lgkmcnt(0)
	s_waitcnt_vscnt null, 0x0
	s_barrier
	buffer_gl0_inv
	s_clause 0x4
	scratch_load_b128 v[122:125], off, off offset:384
	scratch_load_b128 v[126:129], off, off offset:400
	;; [unrolled: 1-line block ×5, first 2 shown]
	v_mov_b32_e32 v1, 0
	s_mov_b32 s0, exec_lo
	ds_load_2addr_b64 v[142:145], v1 offset0:107 offset1:108
	s_waitcnt vmcnt(4) lgkmcnt(0)
	v_fma_f64 v[2:3], v[124:125], v[142:143], 0
	s_waitcnt vmcnt(3)
	s_delay_alu instid0(VALU_DEP_1) | instskip(SKIP_4) | instid1(VALU_DEP_1)
	v_fma_f64 v[2:3], v[126:127], v[144:145], v[2:3]
	ds_load_2addr_b64 v[124:127], v1 offset0:109 offset1:110
	s_waitcnt lgkmcnt(0)
	v_fma_f64 v[2:3], v[128:129], v[124:125], v[2:3]
	s_waitcnt vmcnt(2)
	v_fma_f64 v[2:3], v[130:131], v[126:127], v[2:3]
	ds_load_2addr_b64 v[124:127], v1 offset0:111 offset1:112
	s_waitcnt lgkmcnt(0)
	v_fma_f64 v[2:3], v[132:133], v[124:125], v[2:3]
	s_waitcnt vmcnt(1)
	s_delay_alu instid0(VALU_DEP_1)
	v_fma_f64 v[2:3], v[134:135], v[126:127], v[2:3]
	ds_load_2addr_b64 v[124:127], v1 offset0:113 offset1:114
	s_waitcnt lgkmcnt(0)
	v_fma_f64 v[2:3], v[136:137], v[124:125], v[2:3]
	ds_load_b64 v[124:125], v1 offset:920
	s_waitcnt vmcnt(0)
	v_fma_f64 v[2:3], v[138:139], v[126:127], v[2:3]
	s_waitcnt lgkmcnt(0)
	s_delay_alu instid0(VALU_DEP_1) | instskip(NEXT) | instid1(VALU_DEP_1)
	v_fma_f64 v[2:3], v[140:141], v[124:125], v[2:3]
	v_add_f64 v[2:3], v[122:123], -v[2:3]
	scratch_store_b64 off, v[2:3], off offset:384
	v_cmpx_lt_u32_e32 47, v0
	s_cbranch_execz .LBB57_263
; %bb.262:
	scratch_load_b64 v[3:4], off, off offset:376
	v_mov_b32_e32 v2, v1
	scratch_store_b64 off, v[1:2], off offset:376
	s_waitcnt vmcnt(0)
	ds_store_b64 v5, v[3:4]
.LBB57_263:
	s_or_b32 exec_lo, exec_lo, s0
	s_waitcnt lgkmcnt(0)
	s_waitcnt_vscnt null, 0x0
	s_barrier
	buffer_gl0_inv
	s_clause 0x4
	scratch_load_b128 v[122:125], off, off offset:376
	scratch_load_b128 v[126:129], off, off offset:392
	scratch_load_b128 v[130:133], off, off offset:408
	scratch_load_b128 v[134:137], off, off offset:424
	scratch_load_b128 v[138:141], off, off offset:440
	ds_load_b128 v[142:145], v1 offset:848
	ds_load_b128 v[146:149], v1 offset:864
	s_mov_b32 s0, exec_lo
	s_waitcnt vmcnt(4) lgkmcnt(1)
	v_fma_f64 v[2:3], v[124:125], v[142:143], 0
	scratch_load_b64 v[142:143], off, off offset:456
	s_waitcnt vmcnt(4)
	v_fma_f64 v[2:3], v[126:127], v[144:145], v[2:3]
	s_waitcnt lgkmcnt(0)
	s_delay_alu instid0(VALU_DEP_1) | instskip(SKIP_1) | instid1(VALU_DEP_1)
	v_fma_f64 v[2:3], v[128:129], v[146:147], v[2:3]
	s_waitcnt vmcnt(3)
	v_fma_f64 v[2:3], v[130:131], v[148:149], v[2:3]
	ds_load_b128 v[124:127], v1 offset:880
	ds_load_b128 v[128:131], v1 offset:896
	s_waitcnt lgkmcnt(1)
	v_fma_f64 v[2:3], v[132:133], v[124:125], v[2:3]
	s_waitcnt vmcnt(2)
	s_delay_alu instid0(VALU_DEP_1) | instskip(SKIP_1) | instid1(VALU_DEP_1)
	v_fma_f64 v[2:3], v[134:135], v[126:127], v[2:3]
	s_waitcnt lgkmcnt(0)
	v_fma_f64 v[2:3], v[136:137], v[128:129], v[2:3]
	s_waitcnt vmcnt(1)
	s_delay_alu instid0(VALU_DEP_1) | instskip(SKIP_4) | instid1(VALU_DEP_1)
	v_fma_f64 v[124:125], v[138:139], v[130:131], v[2:3]
	ds_load_b128 v[1:4], v1 offset:912
	s_waitcnt lgkmcnt(0)
	v_fma_f64 v[1:2], v[140:141], v[1:2], v[124:125]
	s_waitcnt vmcnt(0)
	v_fma_f64 v[1:2], v[142:143], v[3:4], v[1:2]
	s_delay_alu instid0(VALU_DEP_1)
	v_add_f64 v[1:2], v[122:123], -v[1:2]
	scratch_store_b64 off, v[1:2], off offset:376
	v_cmpx_lt_u32_e32 46, v0
	s_cbranch_execz .LBB57_265
; %bb.264:
	scratch_load_b64 v[1:2], off, off offset:368
	v_mov_b32_e32 v3, 0
	s_delay_alu instid0(VALU_DEP_1)
	v_mov_b32_e32 v4, v3
	scratch_store_b64 off, v[3:4], off offset:368
	s_waitcnt vmcnt(0)
	ds_store_b64 v5, v[1:2]
.LBB57_265:
	s_or_b32 exec_lo, exec_lo, s0
	s_waitcnt lgkmcnt(0)
	s_waitcnt_vscnt null, 0x0
	s_barrier
	buffer_gl0_inv
	s_clause 0x4
	scratch_load_b128 v[122:125], off, off offset:368
	scratch_load_b128 v[126:129], off, off offset:384
	;; [unrolled: 1-line block ×5, first 2 shown]
	v_mov_b32_e32 v1, 0
	ds_load_2addr_b64 v[142:145], v1 offset0:105 offset1:106
	ds_load_2addr_b64 v[146:149], v1 offset0:107 offset1:108
	scratch_load_b128 v[150:153], off, off offset:448
	s_mov_b32 s0, exec_lo
	s_waitcnt vmcnt(5) lgkmcnt(1)
	v_fma_f64 v[2:3], v[124:125], v[142:143], 0
	s_waitcnt vmcnt(4)
	s_delay_alu instid0(VALU_DEP_1) | instskip(SKIP_1) | instid1(VALU_DEP_1)
	v_fma_f64 v[2:3], v[126:127], v[144:145], v[2:3]
	s_waitcnt lgkmcnt(0)
	v_fma_f64 v[2:3], v[128:129], v[146:147], v[2:3]
	s_waitcnt vmcnt(3)
	s_delay_alu instid0(VALU_DEP_1)
	v_fma_f64 v[2:3], v[130:131], v[148:149], v[2:3]
	ds_load_2addr_b64 v[124:127], v1 offset0:109 offset1:110
	ds_load_2addr_b64 v[128:131], v1 offset0:111 offset1:112
	s_waitcnt lgkmcnt(1)
	v_fma_f64 v[2:3], v[132:133], v[124:125], v[2:3]
	s_waitcnt vmcnt(2)
	s_delay_alu instid0(VALU_DEP_1) | instskip(SKIP_1) | instid1(VALU_DEP_1)
	v_fma_f64 v[2:3], v[134:135], v[126:127], v[2:3]
	s_waitcnt lgkmcnt(0)
	v_fma_f64 v[2:3], v[136:137], v[128:129], v[2:3]
	ds_load_2addr_b64 v[124:127], v1 offset0:113 offset1:114
	ds_load_b64 v[128:129], v1 offset:920
	s_waitcnt vmcnt(1)
	v_fma_f64 v[2:3], v[138:139], v[130:131], v[2:3]
	s_waitcnt lgkmcnt(1)
	s_delay_alu instid0(VALU_DEP_1) | instskip(SKIP_1) | instid1(VALU_DEP_1)
	v_fma_f64 v[2:3], v[140:141], v[124:125], v[2:3]
	s_waitcnt vmcnt(0)
	v_fma_f64 v[2:3], v[150:151], v[126:127], v[2:3]
	s_waitcnt lgkmcnt(0)
	s_delay_alu instid0(VALU_DEP_1) | instskip(NEXT) | instid1(VALU_DEP_1)
	v_fma_f64 v[2:3], v[152:153], v[128:129], v[2:3]
	v_add_f64 v[2:3], v[122:123], -v[2:3]
	scratch_store_b64 off, v[2:3], off offset:368
	v_cmpx_lt_u32_e32 45, v0
	s_cbranch_execz .LBB57_267
; %bb.266:
	scratch_load_b64 v[3:4], off, off offset:360
	v_mov_b32_e32 v2, v1
	scratch_store_b64 off, v[1:2], off offset:360
	s_waitcnt vmcnt(0)
	ds_store_b64 v5, v[3:4]
.LBB57_267:
	s_or_b32 exec_lo, exec_lo, s0
	s_waitcnt lgkmcnt(0)
	s_waitcnt_vscnt null, 0x0
	s_barrier
	buffer_gl0_inv
	s_clause 0x4
	scratch_load_b128 v[122:125], off, off offset:360
	scratch_load_b128 v[126:129], off, off offset:376
	;; [unrolled: 1-line block ×5, first 2 shown]
	ds_load_b128 v[142:145], v1 offset:832
	ds_load_b128 v[146:149], v1 offset:848
	scratch_load_b128 v[150:153], off, off offset:440
	s_mov_b32 s0, exec_lo
	s_waitcnt vmcnt(5) lgkmcnt(1)
	v_fma_f64 v[2:3], v[124:125], v[142:143], 0
	scratch_load_b64 v[142:143], off, off offset:456
	s_waitcnt vmcnt(5)
	v_fma_f64 v[2:3], v[126:127], v[144:145], v[2:3]
	s_waitcnt lgkmcnt(0)
	s_delay_alu instid0(VALU_DEP_1) | instskip(SKIP_1) | instid1(VALU_DEP_1)
	v_fma_f64 v[2:3], v[128:129], v[146:147], v[2:3]
	s_waitcnt vmcnt(4)
	v_fma_f64 v[2:3], v[130:131], v[148:149], v[2:3]
	ds_load_b128 v[124:127], v1 offset:864
	ds_load_b128 v[128:131], v1 offset:880
	s_waitcnt lgkmcnt(1)
	v_fma_f64 v[2:3], v[132:133], v[124:125], v[2:3]
	s_waitcnt vmcnt(3)
	s_delay_alu instid0(VALU_DEP_1) | instskip(SKIP_1) | instid1(VALU_DEP_1)
	v_fma_f64 v[2:3], v[134:135], v[126:127], v[2:3]
	s_waitcnt lgkmcnt(0)
	v_fma_f64 v[2:3], v[136:137], v[128:129], v[2:3]
	s_waitcnt vmcnt(2)
	s_delay_alu instid0(VALU_DEP_1)
	v_fma_f64 v[128:129], v[138:139], v[130:131], v[2:3]
	ds_load_b128 v[124:127], v1 offset:896
	ds_load_b128 v[1:4], v1 offset:912
	s_waitcnt lgkmcnt(1)
	v_fma_f64 v[124:125], v[140:141], v[124:125], v[128:129]
	s_waitcnt vmcnt(1)
	s_delay_alu instid0(VALU_DEP_1) | instskip(SKIP_1) | instid1(VALU_DEP_1)
	v_fma_f64 v[124:125], v[150:151], v[126:127], v[124:125]
	s_waitcnt lgkmcnt(0)
	v_fma_f64 v[1:2], v[152:153], v[1:2], v[124:125]
	s_waitcnt vmcnt(0)
	s_delay_alu instid0(VALU_DEP_1) | instskip(NEXT) | instid1(VALU_DEP_1)
	v_fma_f64 v[1:2], v[142:143], v[3:4], v[1:2]
	v_add_f64 v[1:2], v[122:123], -v[1:2]
	scratch_store_b64 off, v[1:2], off offset:360
	v_cmpx_lt_u32_e32 44, v0
	s_cbranch_execz .LBB57_269
; %bb.268:
	scratch_load_b64 v[1:2], off, off offset:352
	v_mov_b32_e32 v3, 0
	s_delay_alu instid0(VALU_DEP_1)
	v_mov_b32_e32 v4, v3
	scratch_store_b64 off, v[3:4], off offset:352
	s_waitcnt vmcnt(0)
	ds_store_b64 v5, v[1:2]
.LBB57_269:
	s_or_b32 exec_lo, exec_lo, s0
	s_waitcnt lgkmcnt(0)
	s_waitcnt_vscnt null, 0x0
	s_barrier
	buffer_gl0_inv
	s_clause 0x4
	scratch_load_b128 v[122:125], off, off offset:352
	scratch_load_b128 v[126:129], off, off offset:368
	;; [unrolled: 1-line block ×5, first 2 shown]
	v_mov_b32_e32 v1, 0
	ds_load_2addr_b64 v[142:145], v1 offset0:103 offset1:104
	ds_load_2addr_b64 v[146:149], v1 offset0:105 offset1:106
	scratch_load_b128 v[150:153], off, off offset:432
	s_mov_b32 s0, exec_lo
	s_waitcnt vmcnt(5) lgkmcnt(1)
	v_fma_f64 v[2:3], v[124:125], v[142:143], 0
	s_waitcnt vmcnt(4)
	s_delay_alu instid0(VALU_DEP_1) | instskip(SKIP_4) | instid1(VALU_DEP_1)
	v_fma_f64 v[2:3], v[126:127], v[144:145], v[2:3]
	scratch_load_b128 v[124:127], off, off offset:448
	s_waitcnt lgkmcnt(0)
	v_fma_f64 v[2:3], v[128:129], v[146:147], v[2:3]
	s_waitcnt vmcnt(4)
	v_fma_f64 v[2:3], v[130:131], v[148:149], v[2:3]
	ds_load_2addr_b64 v[128:131], v1 offset0:107 offset1:108
	ds_load_2addr_b64 v[142:145], v1 offset0:109 offset1:110
	s_waitcnt lgkmcnt(1)
	v_fma_f64 v[2:3], v[132:133], v[128:129], v[2:3]
	s_waitcnt vmcnt(3)
	s_delay_alu instid0(VALU_DEP_1)
	v_fma_f64 v[2:3], v[134:135], v[130:131], v[2:3]
	ds_load_2addr_b64 v[128:131], v1 offset0:111 offset1:112
	ds_load_2addr_b64 v[132:135], v1 offset0:113 offset1:114
	s_waitcnt lgkmcnt(2)
	v_fma_f64 v[2:3], v[136:137], v[142:143], v[2:3]
	s_waitcnt vmcnt(2)
	s_delay_alu instid0(VALU_DEP_1) | instskip(SKIP_1) | instid1(VALU_DEP_1)
	v_fma_f64 v[2:3], v[138:139], v[144:145], v[2:3]
	s_waitcnt lgkmcnt(1)
	v_fma_f64 v[2:3], v[140:141], v[128:129], v[2:3]
	s_waitcnt vmcnt(1)
	s_delay_alu instid0(VALU_DEP_1) | instskip(SKIP_1) | instid1(VALU_DEP_1)
	v_fma_f64 v[2:3], v[150:151], v[130:131], v[2:3]
	s_waitcnt lgkmcnt(0)
	v_fma_f64 v[2:3], v[152:153], v[132:133], v[2:3]
	s_waitcnt vmcnt(0)
	s_delay_alu instid0(VALU_DEP_1) | instskip(SKIP_3) | instid1(VALU_DEP_1)
	v_fma_f64 v[2:3], v[124:125], v[134:135], v[2:3]
	ds_load_b64 v[124:125], v1 offset:920
	s_waitcnt lgkmcnt(0)
	v_fma_f64 v[2:3], v[126:127], v[124:125], v[2:3]
	v_add_f64 v[2:3], v[122:123], -v[2:3]
	scratch_store_b64 off, v[2:3], off offset:352
	v_cmpx_lt_u32_e32 43, v0
	s_cbranch_execz .LBB57_271
; %bb.270:
	scratch_load_b64 v[3:4], off, off offset:344
	v_mov_b32_e32 v2, v1
	scratch_store_b64 off, v[1:2], off offset:344
	s_waitcnt vmcnt(0)
	ds_store_b64 v5, v[3:4]
.LBB57_271:
	s_or_b32 exec_lo, exec_lo, s0
	s_waitcnt lgkmcnt(0)
	s_waitcnt_vscnt null, 0x0
	s_barrier
	buffer_gl0_inv
	s_clause 0x4
	scratch_load_b128 v[122:125], off, off offset:344
	scratch_load_b128 v[126:129], off, off offset:360
	;; [unrolled: 1-line block ×5, first 2 shown]
	ds_load_b128 v[142:145], v1 offset:816
	ds_load_b128 v[146:149], v1 offset:832
	scratch_load_b128 v[150:153], off, off offset:424
	s_mov_b32 s0, exec_lo
	s_waitcnt vmcnt(5) lgkmcnt(1)
	v_fma_f64 v[2:3], v[124:125], v[142:143], 0
	s_waitcnt vmcnt(4)
	s_delay_alu instid0(VALU_DEP_1) | instskip(SKIP_4) | instid1(VALU_DEP_1)
	v_fma_f64 v[2:3], v[126:127], v[144:145], v[2:3]
	scratch_load_b128 v[124:127], off, off offset:440
	s_waitcnt lgkmcnt(0)
	v_fma_f64 v[2:3], v[128:129], v[146:147], v[2:3]
	s_waitcnt vmcnt(4)
	v_fma_f64 v[2:3], v[130:131], v[148:149], v[2:3]
	ds_load_b128 v[128:131], v1 offset:848
	ds_load_b128 v[142:145], v1 offset:864
	scratch_load_b64 v[146:147], off, off offset:456
	s_waitcnt lgkmcnt(1)
	v_fma_f64 v[2:3], v[132:133], v[128:129], v[2:3]
	s_waitcnt vmcnt(4)
	s_delay_alu instid0(VALU_DEP_1)
	v_fma_f64 v[2:3], v[134:135], v[130:131], v[2:3]
	ds_load_b128 v[128:131], v1 offset:880
	ds_load_b128 v[132:135], v1 offset:896
	s_waitcnt lgkmcnt(2)
	v_fma_f64 v[2:3], v[136:137], v[142:143], v[2:3]
	s_waitcnt vmcnt(3)
	s_delay_alu instid0(VALU_DEP_1) | instskip(SKIP_1) | instid1(VALU_DEP_1)
	v_fma_f64 v[2:3], v[138:139], v[144:145], v[2:3]
	s_waitcnt lgkmcnt(1)
	v_fma_f64 v[2:3], v[140:141], v[128:129], v[2:3]
	s_waitcnt vmcnt(2)
	s_delay_alu instid0(VALU_DEP_1) | instskip(SKIP_1) | instid1(VALU_DEP_1)
	v_fma_f64 v[2:3], v[150:151], v[130:131], v[2:3]
	s_waitcnt lgkmcnt(0)
	v_fma_f64 v[2:3], v[152:153], v[132:133], v[2:3]
	s_waitcnt vmcnt(1)
	s_delay_alu instid0(VALU_DEP_1) | instskip(SKIP_4) | instid1(VALU_DEP_1)
	v_fma_f64 v[124:125], v[124:125], v[134:135], v[2:3]
	ds_load_b128 v[1:4], v1 offset:912
	s_waitcnt lgkmcnt(0)
	v_fma_f64 v[1:2], v[126:127], v[1:2], v[124:125]
	s_waitcnt vmcnt(0)
	v_fma_f64 v[1:2], v[146:147], v[3:4], v[1:2]
	s_delay_alu instid0(VALU_DEP_1)
	v_add_f64 v[1:2], v[122:123], -v[1:2]
	scratch_store_b64 off, v[1:2], off offset:344
	v_cmpx_lt_u32_e32 42, v0
	s_cbranch_execz .LBB57_273
; %bb.272:
	scratch_load_b64 v[1:2], off, off offset:336
	v_mov_b32_e32 v3, 0
	s_delay_alu instid0(VALU_DEP_1)
	v_mov_b32_e32 v4, v3
	scratch_store_b64 off, v[3:4], off offset:336
	s_waitcnt vmcnt(0)
	ds_store_b64 v5, v[1:2]
.LBB57_273:
	s_or_b32 exec_lo, exec_lo, s0
	s_waitcnt lgkmcnt(0)
	s_waitcnt_vscnt null, 0x0
	s_barrier
	buffer_gl0_inv
	s_clause 0x4
	scratch_load_b128 v[122:125], off, off offset:336
	scratch_load_b128 v[126:129], off, off offset:352
	;; [unrolled: 1-line block ×5, first 2 shown]
	v_mov_b32_e32 v1, 0
	ds_load_2addr_b64 v[142:145], v1 offset0:101 offset1:102
	ds_load_2addr_b64 v[146:149], v1 offset0:103 offset1:104
	scratch_load_b128 v[150:153], off, off offset:416
	s_mov_b32 s0, exec_lo
	s_waitcnt vmcnt(5) lgkmcnt(1)
	v_fma_f64 v[2:3], v[124:125], v[142:143], 0
	s_waitcnt vmcnt(4)
	s_delay_alu instid0(VALU_DEP_1) | instskip(SKIP_4) | instid1(VALU_DEP_1)
	v_fma_f64 v[2:3], v[126:127], v[144:145], v[2:3]
	scratch_load_b128 v[124:127], off, off offset:432
	s_waitcnt lgkmcnt(0)
	v_fma_f64 v[2:3], v[128:129], v[146:147], v[2:3]
	s_waitcnt vmcnt(4)
	v_fma_f64 v[2:3], v[130:131], v[148:149], v[2:3]
	ds_load_2addr_b64 v[128:131], v1 offset0:105 offset1:106
	ds_load_2addr_b64 v[142:145], v1 offset0:107 offset1:108
	scratch_load_b128 v[146:149], off, off offset:448
	s_waitcnt lgkmcnt(1)
	v_fma_f64 v[2:3], v[132:133], v[128:129], v[2:3]
	s_waitcnt vmcnt(4)
	s_delay_alu instid0(VALU_DEP_1)
	v_fma_f64 v[2:3], v[134:135], v[130:131], v[2:3]
	ds_load_2addr_b64 v[128:131], v1 offset0:109 offset1:110
	ds_load_2addr_b64 v[132:135], v1 offset0:111 offset1:112
	s_waitcnt lgkmcnt(2)
	v_fma_f64 v[2:3], v[136:137], v[142:143], v[2:3]
	s_waitcnt vmcnt(3)
	s_delay_alu instid0(VALU_DEP_1) | instskip(SKIP_1) | instid1(VALU_DEP_1)
	v_fma_f64 v[2:3], v[138:139], v[144:145], v[2:3]
	s_waitcnt lgkmcnt(1)
	v_fma_f64 v[2:3], v[140:141], v[128:129], v[2:3]
	s_waitcnt vmcnt(2)
	s_delay_alu instid0(VALU_DEP_1) | instskip(SKIP_1) | instid1(VALU_DEP_1)
	v_fma_f64 v[2:3], v[150:151], v[130:131], v[2:3]
	s_waitcnt lgkmcnt(0)
	v_fma_f64 v[2:3], v[152:153], v[132:133], v[2:3]
	s_waitcnt vmcnt(1)
	s_delay_alu instid0(VALU_DEP_1)
	v_fma_f64 v[2:3], v[124:125], v[134:135], v[2:3]
	ds_load_2addr_b64 v[128:131], v1 offset0:113 offset1:114
	ds_load_b64 v[124:125], v1 offset:920
	s_waitcnt lgkmcnt(1)
	v_fma_f64 v[2:3], v[126:127], v[128:129], v[2:3]
	s_waitcnt vmcnt(0)
	s_delay_alu instid0(VALU_DEP_1) | instskip(SKIP_1) | instid1(VALU_DEP_1)
	v_fma_f64 v[2:3], v[146:147], v[130:131], v[2:3]
	s_waitcnt lgkmcnt(0)
	v_fma_f64 v[2:3], v[148:149], v[124:125], v[2:3]
	s_delay_alu instid0(VALU_DEP_1)
	v_add_f64 v[2:3], v[122:123], -v[2:3]
	scratch_store_b64 off, v[2:3], off offset:336
	v_cmpx_lt_u32_e32 41, v0
	s_cbranch_execz .LBB57_275
; %bb.274:
	scratch_load_b64 v[3:4], off, off offset:328
	v_mov_b32_e32 v2, v1
	scratch_store_b64 off, v[1:2], off offset:328
	s_waitcnt vmcnt(0)
	ds_store_b64 v5, v[3:4]
.LBB57_275:
	s_or_b32 exec_lo, exec_lo, s0
	s_waitcnt lgkmcnt(0)
	s_waitcnt_vscnt null, 0x0
	s_barrier
	buffer_gl0_inv
	s_clause 0x4
	scratch_load_b128 v[122:125], off, off offset:328
	scratch_load_b128 v[126:129], off, off offset:344
	;; [unrolled: 1-line block ×5, first 2 shown]
	ds_load_b128 v[142:145], v1 offset:800
	ds_load_b128 v[146:149], v1 offset:816
	scratch_load_b128 v[150:153], off, off offset:408
	s_mov_b32 s0, exec_lo
	s_waitcnt vmcnt(5) lgkmcnt(1)
	v_fma_f64 v[2:3], v[124:125], v[142:143], 0
	s_waitcnt vmcnt(4)
	s_delay_alu instid0(VALU_DEP_1) | instskip(SKIP_4) | instid1(VALU_DEP_1)
	v_fma_f64 v[2:3], v[126:127], v[144:145], v[2:3]
	scratch_load_b128 v[124:127], off, off offset:424
	s_waitcnt lgkmcnt(0)
	v_fma_f64 v[2:3], v[128:129], v[146:147], v[2:3]
	s_waitcnt vmcnt(4)
	v_fma_f64 v[2:3], v[130:131], v[148:149], v[2:3]
	ds_load_b128 v[128:131], v1 offset:832
	ds_load_b128 v[142:145], v1 offset:848
	scratch_load_b128 v[146:149], off, off offset:440
	s_waitcnt lgkmcnt(1)
	v_fma_f64 v[2:3], v[132:133], v[128:129], v[2:3]
	s_waitcnt vmcnt(4)
	s_delay_alu instid0(VALU_DEP_1) | instskip(SKIP_1) | instid1(VALU_DEP_1)
	v_fma_f64 v[2:3], v[134:135], v[130:131], v[2:3]
	s_waitcnt lgkmcnt(0)
	v_fma_f64 v[2:3], v[136:137], v[142:143], v[2:3]
	scratch_load_b64 v[136:137], off, off offset:456
	ds_load_b128 v[128:131], v1 offset:864
	ds_load_b128 v[132:135], v1 offset:880
	s_waitcnt vmcnt(4)
	v_fma_f64 v[2:3], v[138:139], v[144:145], v[2:3]
	s_waitcnt lgkmcnt(1)
	s_delay_alu instid0(VALU_DEP_1) | instskip(SKIP_1) | instid1(VALU_DEP_1)
	v_fma_f64 v[2:3], v[140:141], v[128:129], v[2:3]
	s_waitcnt vmcnt(3)
	v_fma_f64 v[2:3], v[150:151], v[130:131], v[2:3]
	s_waitcnt lgkmcnt(0)
	s_delay_alu instid0(VALU_DEP_1) | instskip(SKIP_1) | instid1(VALU_DEP_1)
	v_fma_f64 v[2:3], v[152:153], v[132:133], v[2:3]
	s_waitcnt vmcnt(2)
	v_fma_f64 v[124:125], v[124:125], v[134:135], v[2:3]
	ds_load_b128 v[128:131], v1 offset:896
	ds_load_b128 v[1:4], v1 offset:912
	s_waitcnt lgkmcnt(1)
	v_fma_f64 v[124:125], v[126:127], v[128:129], v[124:125]
	s_waitcnt vmcnt(1)
	s_delay_alu instid0(VALU_DEP_1) | instskip(SKIP_1) | instid1(VALU_DEP_1)
	v_fma_f64 v[124:125], v[146:147], v[130:131], v[124:125]
	s_waitcnt lgkmcnt(0)
	v_fma_f64 v[1:2], v[148:149], v[1:2], v[124:125]
	s_waitcnt vmcnt(0)
	s_delay_alu instid0(VALU_DEP_1) | instskip(NEXT) | instid1(VALU_DEP_1)
	v_fma_f64 v[1:2], v[136:137], v[3:4], v[1:2]
	v_add_f64 v[1:2], v[122:123], -v[1:2]
	scratch_store_b64 off, v[1:2], off offset:328
	v_cmpx_lt_u32_e32 40, v0
	s_cbranch_execz .LBB57_277
; %bb.276:
	scratch_load_b64 v[1:2], off, off offset:320
	v_mov_b32_e32 v3, 0
	s_delay_alu instid0(VALU_DEP_1)
	v_mov_b32_e32 v4, v3
	scratch_store_b64 off, v[3:4], off offset:320
	s_waitcnt vmcnt(0)
	ds_store_b64 v5, v[1:2]
.LBB57_277:
	s_or_b32 exec_lo, exec_lo, s0
	s_waitcnt lgkmcnt(0)
	s_waitcnt_vscnt null, 0x0
	s_barrier
	buffer_gl0_inv
	s_clause 0x4
	scratch_load_b128 v[122:125], off, off offset:320
	scratch_load_b128 v[126:129], off, off offset:336
	;; [unrolled: 1-line block ×5, first 2 shown]
	v_mov_b32_e32 v1, 0
	ds_load_2addr_b64 v[142:145], v1 offset0:99 offset1:100
	ds_load_2addr_b64 v[146:149], v1 offset0:101 offset1:102
	scratch_load_b128 v[150:153], off, off offset:400
	s_mov_b32 s0, exec_lo
	s_waitcnt vmcnt(5) lgkmcnt(1)
	v_fma_f64 v[2:3], v[124:125], v[142:143], 0
	s_waitcnt vmcnt(4)
	s_delay_alu instid0(VALU_DEP_1) | instskip(SKIP_4) | instid1(VALU_DEP_1)
	v_fma_f64 v[2:3], v[126:127], v[144:145], v[2:3]
	scratch_load_b128 v[124:127], off, off offset:416
	s_waitcnt lgkmcnt(0)
	v_fma_f64 v[2:3], v[128:129], v[146:147], v[2:3]
	s_waitcnt vmcnt(4)
	v_fma_f64 v[2:3], v[130:131], v[148:149], v[2:3]
	ds_load_2addr_b64 v[128:131], v1 offset0:103 offset1:104
	ds_load_2addr_b64 v[142:145], v1 offset0:105 offset1:106
	scratch_load_b128 v[146:149], off, off offset:432
	s_waitcnt lgkmcnt(1)
	v_fma_f64 v[2:3], v[132:133], v[128:129], v[2:3]
	s_waitcnt vmcnt(4)
	s_delay_alu instid0(VALU_DEP_1) | instskip(SKIP_4) | instid1(VALU_DEP_1)
	v_fma_f64 v[2:3], v[134:135], v[130:131], v[2:3]
	scratch_load_b128 v[128:131], off, off offset:448
	s_waitcnt lgkmcnt(0)
	v_fma_f64 v[2:3], v[136:137], v[142:143], v[2:3]
	s_waitcnt vmcnt(4)
	v_fma_f64 v[2:3], v[138:139], v[144:145], v[2:3]
	ds_load_2addr_b64 v[132:135], v1 offset0:107 offset1:108
	ds_load_2addr_b64 v[136:139], v1 offset0:109 offset1:110
	s_waitcnt lgkmcnt(1)
	v_fma_f64 v[2:3], v[140:141], v[132:133], v[2:3]
	s_waitcnt vmcnt(3)
	s_delay_alu instid0(VALU_DEP_1) | instskip(SKIP_1) | instid1(VALU_DEP_1)
	v_fma_f64 v[2:3], v[150:151], v[134:135], v[2:3]
	s_waitcnt lgkmcnt(0)
	v_fma_f64 v[2:3], v[152:153], v[136:137], v[2:3]
	s_waitcnt vmcnt(2)
	s_delay_alu instid0(VALU_DEP_1)
	v_fma_f64 v[2:3], v[124:125], v[138:139], v[2:3]
	ds_load_2addr_b64 v[132:135], v1 offset0:111 offset1:112
	ds_load_2addr_b64 v[136:139], v1 offset0:113 offset1:114
	ds_load_b64 v[124:125], v1 offset:920
	s_waitcnt lgkmcnt(2)
	v_fma_f64 v[2:3], v[126:127], v[132:133], v[2:3]
	s_waitcnt vmcnt(1)
	s_delay_alu instid0(VALU_DEP_1) | instskip(SKIP_1) | instid1(VALU_DEP_1)
	v_fma_f64 v[2:3], v[146:147], v[134:135], v[2:3]
	s_waitcnt lgkmcnt(1)
	v_fma_f64 v[2:3], v[148:149], v[136:137], v[2:3]
	s_waitcnt vmcnt(0)
	s_delay_alu instid0(VALU_DEP_1) | instskip(SKIP_1) | instid1(VALU_DEP_1)
	v_fma_f64 v[2:3], v[128:129], v[138:139], v[2:3]
	s_waitcnt lgkmcnt(0)
	v_fma_f64 v[2:3], v[130:131], v[124:125], v[2:3]
	s_delay_alu instid0(VALU_DEP_1)
	v_add_f64 v[2:3], v[122:123], -v[2:3]
	scratch_store_b64 off, v[2:3], off offset:320
	v_cmpx_lt_u32_e32 39, v0
	s_cbranch_execz .LBB57_279
; %bb.278:
	scratch_load_b64 v[3:4], off, off offset:312
	v_mov_b32_e32 v2, v1
	scratch_store_b64 off, v[1:2], off offset:312
	s_waitcnt vmcnt(0)
	ds_store_b64 v5, v[3:4]
.LBB57_279:
	s_or_b32 exec_lo, exec_lo, s0
	s_waitcnt lgkmcnt(0)
	s_waitcnt_vscnt null, 0x0
	s_barrier
	buffer_gl0_inv
	s_clause 0x4
	scratch_load_b128 v[122:125], off, off offset:312
	scratch_load_b128 v[126:129], off, off offset:328
	;; [unrolled: 1-line block ×5, first 2 shown]
	ds_load_b128 v[142:145], v1 offset:784
	ds_load_b128 v[146:149], v1 offset:800
	scratch_load_b128 v[150:153], off, off offset:392
	s_mov_b32 s0, exec_lo
	s_waitcnt vmcnt(5) lgkmcnt(1)
	v_fma_f64 v[2:3], v[124:125], v[142:143], 0
	s_waitcnt vmcnt(4)
	s_delay_alu instid0(VALU_DEP_1) | instskip(SKIP_4) | instid1(VALU_DEP_1)
	v_fma_f64 v[2:3], v[126:127], v[144:145], v[2:3]
	scratch_load_b128 v[124:127], off, off offset:408
	s_waitcnt lgkmcnt(0)
	v_fma_f64 v[2:3], v[128:129], v[146:147], v[2:3]
	s_waitcnt vmcnt(4)
	v_fma_f64 v[2:3], v[130:131], v[148:149], v[2:3]
	ds_load_b128 v[128:131], v1 offset:816
	ds_load_b128 v[142:145], v1 offset:832
	scratch_load_b128 v[146:149], off, off offset:424
	s_waitcnt lgkmcnt(1)
	v_fma_f64 v[2:3], v[132:133], v[128:129], v[2:3]
	s_waitcnt vmcnt(4)
	s_delay_alu instid0(VALU_DEP_1) | instskip(SKIP_4) | instid1(VALU_DEP_1)
	v_fma_f64 v[2:3], v[134:135], v[130:131], v[2:3]
	scratch_load_b128 v[128:131], off, off offset:440
	s_waitcnt lgkmcnt(0)
	v_fma_f64 v[2:3], v[136:137], v[142:143], v[2:3]
	s_waitcnt vmcnt(4)
	v_fma_f64 v[2:3], v[138:139], v[144:145], v[2:3]
	ds_load_b128 v[132:135], v1 offset:848
	ds_load_b128 v[136:139], v1 offset:864
	s_waitcnt lgkmcnt(1)
	v_fma_f64 v[2:3], v[140:141], v[132:133], v[2:3]
	scratch_load_b64 v[140:141], off, off offset:456
	s_waitcnt vmcnt(4)
	v_fma_f64 v[2:3], v[150:151], v[134:135], v[2:3]
	s_waitcnt lgkmcnt(0)
	s_delay_alu instid0(VALU_DEP_1) | instskip(SKIP_1) | instid1(VALU_DEP_1)
	v_fma_f64 v[2:3], v[152:153], v[136:137], v[2:3]
	s_waitcnt vmcnt(3)
	v_fma_f64 v[2:3], v[124:125], v[138:139], v[2:3]
	ds_load_b128 v[132:135], v1 offset:880
	ds_load_b128 v[136:139], v1 offset:896
	s_waitcnt lgkmcnt(1)
	v_fma_f64 v[2:3], v[126:127], v[132:133], v[2:3]
	s_waitcnt vmcnt(2)
	s_delay_alu instid0(VALU_DEP_1) | instskip(SKIP_1) | instid1(VALU_DEP_1)
	v_fma_f64 v[2:3], v[146:147], v[134:135], v[2:3]
	s_waitcnt lgkmcnt(0)
	v_fma_f64 v[2:3], v[148:149], v[136:137], v[2:3]
	s_waitcnt vmcnt(1)
	s_delay_alu instid0(VALU_DEP_1) | instskip(SKIP_4) | instid1(VALU_DEP_1)
	v_fma_f64 v[124:125], v[128:129], v[138:139], v[2:3]
	ds_load_b128 v[1:4], v1 offset:912
	s_waitcnt lgkmcnt(0)
	v_fma_f64 v[1:2], v[130:131], v[1:2], v[124:125]
	s_waitcnt vmcnt(0)
	v_fma_f64 v[1:2], v[140:141], v[3:4], v[1:2]
	s_delay_alu instid0(VALU_DEP_1)
	v_add_f64 v[1:2], v[122:123], -v[1:2]
	scratch_store_b64 off, v[1:2], off offset:312
	v_cmpx_lt_u32_e32 38, v0
	s_cbranch_execz .LBB57_281
; %bb.280:
	scratch_load_b64 v[1:2], off, off offset:304
	v_mov_b32_e32 v3, 0
	s_delay_alu instid0(VALU_DEP_1)
	v_mov_b32_e32 v4, v3
	scratch_store_b64 off, v[3:4], off offset:304
	s_waitcnt vmcnt(0)
	ds_store_b64 v5, v[1:2]
.LBB57_281:
	s_or_b32 exec_lo, exec_lo, s0
	s_waitcnt lgkmcnt(0)
	s_waitcnt_vscnt null, 0x0
	s_barrier
	buffer_gl0_inv
	s_clause 0x4
	scratch_load_b128 v[122:125], off, off offset:304
	scratch_load_b128 v[126:129], off, off offset:320
	;; [unrolled: 1-line block ×5, first 2 shown]
	v_mov_b32_e32 v1, 0
	ds_load_2addr_b64 v[142:145], v1 offset0:97 offset1:98
	ds_load_2addr_b64 v[146:149], v1 offset0:99 offset1:100
	scratch_load_b128 v[150:153], off, off offset:384
	s_mov_b32 s0, exec_lo
	s_waitcnt vmcnt(5) lgkmcnt(1)
	v_fma_f64 v[2:3], v[124:125], v[142:143], 0
	s_waitcnt vmcnt(4)
	s_delay_alu instid0(VALU_DEP_1) | instskip(SKIP_4) | instid1(VALU_DEP_1)
	v_fma_f64 v[2:3], v[126:127], v[144:145], v[2:3]
	scratch_load_b128 v[124:127], off, off offset:400
	s_waitcnt lgkmcnt(0)
	v_fma_f64 v[2:3], v[128:129], v[146:147], v[2:3]
	s_waitcnt vmcnt(4)
	v_fma_f64 v[2:3], v[130:131], v[148:149], v[2:3]
	ds_load_2addr_b64 v[128:131], v1 offset0:101 offset1:102
	ds_load_2addr_b64 v[142:145], v1 offset0:103 offset1:104
	scratch_load_b128 v[146:149], off, off offset:416
	s_waitcnt lgkmcnt(1)
	v_fma_f64 v[2:3], v[132:133], v[128:129], v[2:3]
	s_waitcnt vmcnt(4)
	s_delay_alu instid0(VALU_DEP_1) | instskip(SKIP_4) | instid1(VALU_DEP_1)
	v_fma_f64 v[2:3], v[134:135], v[130:131], v[2:3]
	scratch_load_b128 v[128:131], off, off offset:432
	s_waitcnt lgkmcnt(0)
	v_fma_f64 v[2:3], v[136:137], v[142:143], v[2:3]
	s_waitcnt vmcnt(4)
	v_fma_f64 v[2:3], v[138:139], v[144:145], v[2:3]
	ds_load_2addr_b64 v[132:135], v1 offset0:105 offset1:106
	ds_load_2addr_b64 v[136:139], v1 offset0:107 offset1:108
	s_waitcnt lgkmcnt(1)
	v_fma_f64 v[2:3], v[140:141], v[132:133], v[2:3]
	scratch_load_b128 v[140:143], off, off offset:448
	s_waitcnt vmcnt(4)
	v_fma_f64 v[2:3], v[150:151], v[134:135], v[2:3]
	s_waitcnt lgkmcnt(0)
	s_delay_alu instid0(VALU_DEP_1) | instskip(SKIP_1) | instid1(VALU_DEP_1)
	v_fma_f64 v[2:3], v[152:153], v[136:137], v[2:3]
	s_waitcnt vmcnt(3)
	v_fma_f64 v[2:3], v[124:125], v[138:139], v[2:3]
	ds_load_2addr_b64 v[132:135], v1 offset0:109 offset1:110
	ds_load_2addr_b64 v[136:139], v1 offset0:111 offset1:112
	s_waitcnt lgkmcnt(1)
	v_fma_f64 v[2:3], v[126:127], v[132:133], v[2:3]
	s_waitcnt vmcnt(2)
	s_delay_alu instid0(VALU_DEP_1) | instskip(SKIP_1) | instid1(VALU_DEP_1)
	v_fma_f64 v[2:3], v[146:147], v[134:135], v[2:3]
	s_waitcnt lgkmcnt(0)
	v_fma_f64 v[2:3], v[148:149], v[136:137], v[2:3]
	s_waitcnt vmcnt(1)
	s_delay_alu instid0(VALU_DEP_1)
	v_fma_f64 v[2:3], v[128:129], v[138:139], v[2:3]
	ds_load_2addr_b64 v[124:127], v1 offset0:113 offset1:114
	ds_load_b64 v[128:129], v1 offset:920
	s_waitcnt lgkmcnt(1)
	v_fma_f64 v[2:3], v[130:131], v[124:125], v[2:3]
	s_waitcnt vmcnt(0)
	s_delay_alu instid0(VALU_DEP_1) | instskip(SKIP_1) | instid1(VALU_DEP_1)
	v_fma_f64 v[2:3], v[140:141], v[126:127], v[2:3]
	s_waitcnt lgkmcnt(0)
	v_fma_f64 v[2:3], v[142:143], v[128:129], v[2:3]
	s_delay_alu instid0(VALU_DEP_1)
	v_add_f64 v[2:3], v[122:123], -v[2:3]
	scratch_store_b64 off, v[2:3], off offset:304
	v_cmpx_lt_u32_e32 37, v0
	s_cbranch_execz .LBB57_283
; %bb.282:
	scratch_load_b64 v[3:4], off, off offset:296
	v_mov_b32_e32 v2, v1
	scratch_store_b64 off, v[1:2], off offset:296
	s_waitcnt vmcnt(0)
	ds_store_b64 v5, v[3:4]
.LBB57_283:
	s_or_b32 exec_lo, exec_lo, s0
	s_waitcnt lgkmcnt(0)
	s_waitcnt_vscnt null, 0x0
	s_barrier
	buffer_gl0_inv
	s_clause 0x4
	scratch_load_b128 v[122:125], off, off offset:296
	scratch_load_b128 v[126:129], off, off offset:312
	;; [unrolled: 1-line block ×5, first 2 shown]
	ds_load_b128 v[142:145], v1 offset:768
	ds_load_b128 v[146:149], v1 offset:784
	scratch_load_b128 v[150:153], off, off offset:376
	s_mov_b32 s0, exec_lo
	s_waitcnt vmcnt(5) lgkmcnt(1)
	v_fma_f64 v[2:3], v[124:125], v[142:143], 0
	s_waitcnt vmcnt(4)
	s_delay_alu instid0(VALU_DEP_1) | instskip(SKIP_4) | instid1(VALU_DEP_1)
	v_fma_f64 v[2:3], v[126:127], v[144:145], v[2:3]
	scratch_load_b128 v[124:127], off, off offset:392
	s_waitcnt lgkmcnt(0)
	v_fma_f64 v[2:3], v[128:129], v[146:147], v[2:3]
	s_waitcnt vmcnt(4)
	v_fma_f64 v[2:3], v[130:131], v[148:149], v[2:3]
	ds_load_b128 v[128:131], v1 offset:800
	ds_load_b128 v[142:145], v1 offset:816
	scratch_load_b128 v[146:149], off, off offset:408
	s_waitcnt lgkmcnt(1)
	v_fma_f64 v[2:3], v[132:133], v[128:129], v[2:3]
	s_waitcnt vmcnt(4)
	s_delay_alu instid0(VALU_DEP_1) | instskip(SKIP_4) | instid1(VALU_DEP_1)
	v_fma_f64 v[2:3], v[134:135], v[130:131], v[2:3]
	scratch_load_b128 v[128:131], off, off offset:424
	s_waitcnt lgkmcnt(0)
	v_fma_f64 v[2:3], v[136:137], v[142:143], v[2:3]
	s_waitcnt vmcnt(4)
	v_fma_f64 v[2:3], v[138:139], v[144:145], v[2:3]
	ds_load_b128 v[132:135], v1 offset:832
	ds_load_b128 v[136:139], v1 offset:848
	scratch_load_b64 v[144:145], off, off offset:456
	s_waitcnt lgkmcnt(1)
	v_fma_f64 v[2:3], v[140:141], v[132:133], v[2:3]
	scratch_load_b128 v[140:143], off, off offset:440
	s_waitcnt vmcnt(5)
	v_fma_f64 v[2:3], v[150:151], v[134:135], v[2:3]
	s_waitcnt lgkmcnt(0)
	s_delay_alu instid0(VALU_DEP_1) | instskip(SKIP_1) | instid1(VALU_DEP_1)
	v_fma_f64 v[2:3], v[152:153], v[136:137], v[2:3]
	s_waitcnt vmcnt(4)
	v_fma_f64 v[2:3], v[124:125], v[138:139], v[2:3]
	ds_load_b128 v[132:135], v1 offset:864
	ds_load_b128 v[136:139], v1 offset:880
	s_waitcnt lgkmcnt(1)
	v_fma_f64 v[2:3], v[126:127], v[132:133], v[2:3]
	s_waitcnt vmcnt(3)
	s_delay_alu instid0(VALU_DEP_1) | instskip(SKIP_1) | instid1(VALU_DEP_1)
	v_fma_f64 v[2:3], v[146:147], v[134:135], v[2:3]
	s_waitcnt lgkmcnt(0)
	v_fma_f64 v[2:3], v[148:149], v[136:137], v[2:3]
	s_waitcnt vmcnt(2)
	s_delay_alu instid0(VALU_DEP_1)
	v_fma_f64 v[128:129], v[128:129], v[138:139], v[2:3]
	ds_load_b128 v[124:127], v1 offset:896
	ds_load_b128 v[1:4], v1 offset:912
	s_waitcnt lgkmcnt(1)
	v_fma_f64 v[124:125], v[130:131], v[124:125], v[128:129]
	s_waitcnt vmcnt(0)
	s_delay_alu instid0(VALU_DEP_1) | instskip(SKIP_1) | instid1(VALU_DEP_1)
	v_fma_f64 v[124:125], v[140:141], v[126:127], v[124:125]
	s_waitcnt lgkmcnt(0)
	v_fma_f64 v[1:2], v[142:143], v[1:2], v[124:125]
	s_delay_alu instid0(VALU_DEP_1) | instskip(NEXT) | instid1(VALU_DEP_1)
	v_fma_f64 v[1:2], v[144:145], v[3:4], v[1:2]
	v_add_f64 v[1:2], v[122:123], -v[1:2]
	scratch_store_b64 off, v[1:2], off offset:296
	v_cmpx_lt_u32_e32 36, v0
	s_cbranch_execz .LBB57_285
; %bb.284:
	scratch_load_b64 v[1:2], off, off offset:288
	v_mov_b32_e32 v3, 0
	s_delay_alu instid0(VALU_DEP_1)
	v_mov_b32_e32 v4, v3
	scratch_store_b64 off, v[3:4], off offset:288
	s_waitcnt vmcnt(0)
	ds_store_b64 v5, v[1:2]
.LBB57_285:
	s_or_b32 exec_lo, exec_lo, s0
	s_waitcnt lgkmcnt(0)
	s_waitcnt_vscnt null, 0x0
	s_barrier
	buffer_gl0_inv
	s_clause 0x4
	scratch_load_b128 v[122:125], off, off offset:288
	scratch_load_b128 v[126:129], off, off offset:304
	;; [unrolled: 1-line block ×5, first 2 shown]
	v_mov_b32_e32 v1, 0
	ds_load_2addr_b64 v[142:145], v1 offset0:95 offset1:96
	ds_load_2addr_b64 v[146:149], v1 offset0:97 offset1:98
	scratch_load_b128 v[150:153], off, off offset:368
	s_mov_b32 s0, exec_lo
	s_waitcnt vmcnt(5) lgkmcnt(1)
	v_fma_f64 v[2:3], v[124:125], v[142:143], 0
	s_waitcnt vmcnt(4)
	s_delay_alu instid0(VALU_DEP_1) | instskip(SKIP_4) | instid1(VALU_DEP_1)
	v_fma_f64 v[2:3], v[126:127], v[144:145], v[2:3]
	scratch_load_b128 v[124:127], off, off offset:384
	s_waitcnt lgkmcnt(0)
	v_fma_f64 v[2:3], v[128:129], v[146:147], v[2:3]
	s_waitcnt vmcnt(4)
	v_fma_f64 v[2:3], v[130:131], v[148:149], v[2:3]
	ds_load_2addr_b64 v[128:131], v1 offset0:99 offset1:100
	ds_load_2addr_b64 v[142:145], v1 offset0:101 offset1:102
	scratch_load_b128 v[146:149], off, off offset:400
	s_waitcnt lgkmcnt(1)
	v_fma_f64 v[2:3], v[132:133], v[128:129], v[2:3]
	s_waitcnt vmcnt(4)
	s_delay_alu instid0(VALU_DEP_1) | instskip(SKIP_4) | instid1(VALU_DEP_1)
	v_fma_f64 v[2:3], v[134:135], v[130:131], v[2:3]
	scratch_load_b128 v[128:131], off, off offset:416
	s_waitcnt lgkmcnt(0)
	v_fma_f64 v[2:3], v[136:137], v[142:143], v[2:3]
	s_waitcnt vmcnt(4)
	v_fma_f64 v[2:3], v[138:139], v[144:145], v[2:3]
	ds_load_2addr_b64 v[132:135], v1 offset0:103 offset1:104
	ds_load_2addr_b64 v[136:139], v1 offset0:105 offset1:106
	s_waitcnt lgkmcnt(1)
	v_fma_f64 v[2:3], v[140:141], v[132:133], v[2:3]
	scratch_load_b128 v[140:143], off, off offset:432
	s_waitcnt vmcnt(4)
	v_fma_f64 v[2:3], v[150:151], v[134:135], v[2:3]
	scratch_load_b128 v[132:135], off, off offset:448
	s_waitcnt lgkmcnt(0)
	v_fma_f64 v[2:3], v[152:153], v[136:137], v[2:3]
	s_waitcnt vmcnt(4)
	s_delay_alu instid0(VALU_DEP_1)
	v_fma_f64 v[2:3], v[124:125], v[138:139], v[2:3]
	ds_load_2addr_b64 v[136:139], v1 offset0:107 offset1:108
	ds_load_2addr_b64 v[150:153], v1 offset0:109 offset1:110
	s_waitcnt lgkmcnt(1)
	v_fma_f64 v[2:3], v[126:127], v[136:137], v[2:3]
	s_waitcnt vmcnt(3)
	s_delay_alu instid0(VALU_DEP_1)
	v_fma_f64 v[2:3], v[146:147], v[138:139], v[2:3]
	ds_load_2addr_b64 v[124:127], v1 offset0:111 offset1:112
	ds_load_2addr_b64 v[136:139], v1 offset0:113 offset1:114
	s_waitcnt lgkmcnt(2)
	v_fma_f64 v[2:3], v[148:149], v[150:151], v[2:3]
	s_waitcnt vmcnt(2)
	s_delay_alu instid0(VALU_DEP_1) | instskip(SKIP_1) | instid1(VALU_DEP_1)
	v_fma_f64 v[2:3], v[128:129], v[152:153], v[2:3]
	s_waitcnt lgkmcnt(1)
	v_fma_f64 v[2:3], v[130:131], v[124:125], v[2:3]
	ds_load_b64 v[124:125], v1 offset:920
	s_waitcnt vmcnt(1)
	v_fma_f64 v[2:3], v[140:141], v[126:127], v[2:3]
	s_waitcnt lgkmcnt(1)
	s_delay_alu instid0(VALU_DEP_1) | instskip(SKIP_1) | instid1(VALU_DEP_1)
	v_fma_f64 v[2:3], v[142:143], v[136:137], v[2:3]
	s_waitcnt vmcnt(0)
	v_fma_f64 v[2:3], v[132:133], v[138:139], v[2:3]
	s_waitcnt lgkmcnt(0)
	s_delay_alu instid0(VALU_DEP_1) | instskip(NEXT) | instid1(VALU_DEP_1)
	v_fma_f64 v[2:3], v[134:135], v[124:125], v[2:3]
	v_add_f64 v[2:3], v[122:123], -v[2:3]
	scratch_store_b64 off, v[2:3], off offset:288
	v_cmpx_lt_u32_e32 35, v0
	s_cbranch_execz .LBB57_287
; %bb.286:
	scratch_load_b64 v[3:4], off, off offset:280
	v_mov_b32_e32 v2, v1
	scratch_store_b64 off, v[1:2], off offset:280
	s_waitcnt vmcnt(0)
	ds_store_b64 v5, v[3:4]
.LBB57_287:
	s_or_b32 exec_lo, exec_lo, s0
	s_waitcnt lgkmcnt(0)
	s_waitcnt_vscnt null, 0x0
	s_barrier
	buffer_gl0_inv
	s_clause 0x4
	scratch_load_b128 v[122:125], off, off offset:280
	scratch_load_b128 v[126:129], off, off offset:296
	;; [unrolled: 1-line block ×5, first 2 shown]
	ds_load_b128 v[142:145], v1 offset:752
	ds_load_b128 v[146:149], v1 offset:768
	scratch_load_b128 v[150:153], off, off offset:360
	s_mov_b32 s0, exec_lo
	s_waitcnt vmcnt(5) lgkmcnt(1)
	v_fma_f64 v[2:3], v[124:125], v[142:143], 0
	s_waitcnt vmcnt(4)
	s_delay_alu instid0(VALU_DEP_1) | instskip(SKIP_4) | instid1(VALU_DEP_1)
	v_fma_f64 v[2:3], v[126:127], v[144:145], v[2:3]
	scratch_load_b128 v[124:127], off, off offset:376
	s_waitcnt lgkmcnt(0)
	v_fma_f64 v[2:3], v[128:129], v[146:147], v[2:3]
	s_waitcnt vmcnt(4)
	v_fma_f64 v[2:3], v[130:131], v[148:149], v[2:3]
	ds_load_b128 v[128:131], v1 offset:784
	ds_load_b128 v[142:145], v1 offset:800
	scratch_load_b128 v[146:149], off, off offset:392
	s_waitcnt lgkmcnt(1)
	v_fma_f64 v[2:3], v[132:133], v[128:129], v[2:3]
	s_waitcnt vmcnt(4)
	s_delay_alu instid0(VALU_DEP_1) | instskip(SKIP_4) | instid1(VALU_DEP_1)
	v_fma_f64 v[2:3], v[134:135], v[130:131], v[2:3]
	scratch_load_b128 v[128:131], off, off offset:408
	s_waitcnt lgkmcnt(0)
	v_fma_f64 v[2:3], v[136:137], v[142:143], v[2:3]
	s_waitcnt vmcnt(4)
	v_fma_f64 v[2:3], v[138:139], v[144:145], v[2:3]
	ds_load_b128 v[132:135], v1 offset:816
	ds_load_b128 v[136:139], v1 offset:832
	s_waitcnt lgkmcnt(1)
	v_fma_f64 v[2:3], v[140:141], v[132:133], v[2:3]
	scratch_load_b128 v[140:143], off, off offset:424
	s_waitcnt vmcnt(4)
	v_fma_f64 v[2:3], v[150:151], v[134:135], v[2:3]
	scratch_load_b128 v[132:135], off, off offset:440
	s_waitcnt lgkmcnt(0)
	v_fma_f64 v[2:3], v[152:153], v[136:137], v[2:3]
	s_waitcnt vmcnt(4)
	s_delay_alu instid0(VALU_DEP_1)
	v_fma_f64 v[2:3], v[124:125], v[138:139], v[2:3]
	ds_load_b128 v[136:139], v1 offset:848
	ds_load_b128 v[150:153], v1 offset:864
	scratch_load_b64 v[144:145], off, off offset:456
	s_waitcnt lgkmcnt(1)
	v_fma_f64 v[2:3], v[126:127], v[136:137], v[2:3]
	s_waitcnt vmcnt(4)
	s_delay_alu instid0(VALU_DEP_1)
	v_fma_f64 v[2:3], v[146:147], v[138:139], v[2:3]
	ds_load_b128 v[124:127], v1 offset:880
	ds_load_b128 v[136:139], v1 offset:896
	s_waitcnt lgkmcnt(2)
	v_fma_f64 v[2:3], v[148:149], v[150:151], v[2:3]
	s_waitcnt vmcnt(3)
	s_delay_alu instid0(VALU_DEP_1) | instskip(SKIP_1) | instid1(VALU_DEP_1)
	v_fma_f64 v[2:3], v[128:129], v[152:153], v[2:3]
	s_waitcnt lgkmcnt(1)
	v_fma_f64 v[2:3], v[130:131], v[124:125], v[2:3]
	s_waitcnt vmcnt(2)
	s_delay_alu instid0(VALU_DEP_1) | instskip(SKIP_1) | instid1(VALU_DEP_1)
	v_fma_f64 v[2:3], v[140:141], v[126:127], v[2:3]
	s_waitcnt lgkmcnt(0)
	v_fma_f64 v[2:3], v[142:143], v[136:137], v[2:3]
	s_waitcnt vmcnt(1)
	s_delay_alu instid0(VALU_DEP_1) | instskip(SKIP_4) | instid1(VALU_DEP_1)
	v_fma_f64 v[124:125], v[132:133], v[138:139], v[2:3]
	ds_load_b128 v[1:4], v1 offset:912
	s_waitcnt lgkmcnt(0)
	v_fma_f64 v[1:2], v[134:135], v[1:2], v[124:125]
	s_waitcnt vmcnt(0)
	v_fma_f64 v[1:2], v[144:145], v[3:4], v[1:2]
	s_delay_alu instid0(VALU_DEP_1)
	v_add_f64 v[1:2], v[122:123], -v[1:2]
	scratch_store_b64 off, v[1:2], off offset:280
	v_cmpx_lt_u32_e32 34, v0
	s_cbranch_execz .LBB57_289
; %bb.288:
	scratch_load_b64 v[1:2], off, off offset:272
	v_mov_b32_e32 v3, 0
	s_delay_alu instid0(VALU_DEP_1)
	v_mov_b32_e32 v4, v3
	scratch_store_b64 off, v[3:4], off offset:272
	s_waitcnt vmcnt(0)
	ds_store_b64 v5, v[1:2]
.LBB57_289:
	s_or_b32 exec_lo, exec_lo, s0
	s_waitcnt lgkmcnt(0)
	s_waitcnt_vscnt null, 0x0
	s_barrier
	buffer_gl0_inv
	s_clause 0x4
	scratch_load_b128 v[122:125], off, off offset:272
	scratch_load_b128 v[126:129], off, off offset:288
	scratch_load_b128 v[130:133], off, off offset:304
	scratch_load_b128 v[134:137], off, off offset:320
	scratch_load_b128 v[138:141], off, off offset:336
	v_mov_b32_e32 v1, 0
	ds_load_2addr_b64 v[142:145], v1 offset0:93 offset1:94
	ds_load_2addr_b64 v[146:149], v1 offset0:95 offset1:96
	scratch_load_b128 v[150:153], off, off offset:352
	s_mov_b32 s0, exec_lo
	s_waitcnt vmcnt(5) lgkmcnt(1)
	v_fma_f64 v[2:3], v[124:125], v[142:143], 0
	s_waitcnt vmcnt(4)
	s_delay_alu instid0(VALU_DEP_1) | instskip(SKIP_4) | instid1(VALU_DEP_1)
	v_fma_f64 v[2:3], v[126:127], v[144:145], v[2:3]
	scratch_load_b128 v[124:127], off, off offset:368
	s_waitcnt lgkmcnt(0)
	v_fma_f64 v[2:3], v[128:129], v[146:147], v[2:3]
	s_waitcnt vmcnt(4)
	v_fma_f64 v[2:3], v[130:131], v[148:149], v[2:3]
	ds_load_2addr_b64 v[128:131], v1 offset0:97 offset1:98
	ds_load_2addr_b64 v[142:145], v1 offset0:99 offset1:100
	scratch_load_b128 v[146:149], off, off offset:384
	s_waitcnt lgkmcnt(1)
	v_fma_f64 v[2:3], v[132:133], v[128:129], v[2:3]
	s_waitcnt vmcnt(4)
	s_delay_alu instid0(VALU_DEP_1) | instskip(SKIP_4) | instid1(VALU_DEP_1)
	v_fma_f64 v[2:3], v[134:135], v[130:131], v[2:3]
	scratch_load_b128 v[128:131], off, off offset:400
	s_waitcnt lgkmcnt(0)
	v_fma_f64 v[2:3], v[136:137], v[142:143], v[2:3]
	s_waitcnt vmcnt(4)
	v_fma_f64 v[2:3], v[138:139], v[144:145], v[2:3]
	ds_load_2addr_b64 v[132:135], v1 offset0:101 offset1:102
	ds_load_2addr_b64 v[136:139], v1 offset0:103 offset1:104
	s_waitcnt lgkmcnt(1)
	v_fma_f64 v[2:3], v[140:141], v[132:133], v[2:3]
	scratch_load_b128 v[140:143], off, off offset:416
	s_waitcnt vmcnt(4)
	v_fma_f64 v[2:3], v[150:151], v[134:135], v[2:3]
	scratch_load_b128 v[132:135], off, off offset:432
	s_waitcnt lgkmcnt(0)
	v_fma_f64 v[2:3], v[152:153], v[136:137], v[2:3]
	s_waitcnt vmcnt(4)
	s_delay_alu instid0(VALU_DEP_1)
	v_fma_f64 v[2:3], v[124:125], v[138:139], v[2:3]
	ds_load_2addr_b64 v[136:139], v1 offset0:105 offset1:106
	ds_load_2addr_b64 v[150:153], v1 offset0:107 offset1:108
	s_waitcnt lgkmcnt(1)
	v_fma_f64 v[2:3], v[126:127], v[136:137], v[2:3]
	scratch_load_b128 v[124:127], off, off offset:448
	s_waitcnt vmcnt(4)
	v_fma_f64 v[2:3], v[146:147], v[138:139], v[2:3]
	ds_load_2addr_b64 v[136:139], v1 offset0:109 offset1:110
	ds_load_2addr_b64 v[144:147], v1 offset0:111 offset1:112
	s_waitcnt lgkmcnt(2)
	v_fma_f64 v[2:3], v[148:149], v[150:151], v[2:3]
	s_waitcnt vmcnt(3)
	s_delay_alu instid0(VALU_DEP_1) | instskip(SKIP_1) | instid1(VALU_DEP_1)
	v_fma_f64 v[2:3], v[128:129], v[152:153], v[2:3]
	s_waitcnt lgkmcnt(1)
	v_fma_f64 v[2:3], v[130:131], v[136:137], v[2:3]
	s_waitcnt vmcnt(2)
	s_delay_alu instid0(VALU_DEP_1) | instskip(SKIP_1) | instid1(VALU_DEP_1)
	v_fma_f64 v[2:3], v[140:141], v[138:139], v[2:3]
	s_waitcnt lgkmcnt(0)
	v_fma_f64 v[2:3], v[142:143], v[144:145], v[2:3]
	s_waitcnt vmcnt(1)
	s_delay_alu instid0(VALU_DEP_1)
	v_fma_f64 v[2:3], v[132:133], v[146:147], v[2:3]
	ds_load_2addr_b64 v[128:131], v1 offset0:113 offset1:114
	ds_load_b64 v[132:133], v1 offset:920
	s_waitcnt lgkmcnt(1)
	v_fma_f64 v[2:3], v[134:135], v[128:129], v[2:3]
	s_waitcnt vmcnt(0)
	s_delay_alu instid0(VALU_DEP_1) | instskip(SKIP_1) | instid1(VALU_DEP_1)
	v_fma_f64 v[2:3], v[124:125], v[130:131], v[2:3]
	s_waitcnt lgkmcnt(0)
	v_fma_f64 v[2:3], v[126:127], v[132:133], v[2:3]
	s_delay_alu instid0(VALU_DEP_1)
	v_add_f64 v[2:3], v[122:123], -v[2:3]
	scratch_store_b64 off, v[2:3], off offset:272
	v_cmpx_lt_u32_e32 33, v0
	s_cbranch_execz .LBB57_291
; %bb.290:
	scratch_load_b64 v[3:4], off, off offset:264
	v_mov_b32_e32 v2, v1
	scratch_store_b64 off, v[1:2], off offset:264
	s_waitcnt vmcnt(0)
	ds_store_b64 v5, v[3:4]
.LBB57_291:
	s_or_b32 exec_lo, exec_lo, s0
	s_waitcnt lgkmcnt(0)
	s_waitcnt_vscnt null, 0x0
	s_barrier
	buffer_gl0_inv
	s_clause 0x4
	scratch_load_b128 v[122:125], off, off offset:264
	scratch_load_b128 v[126:129], off, off offset:280
	;; [unrolled: 1-line block ×5, first 2 shown]
	ds_load_b128 v[142:145], v1 offset:736
	ds_load_b128 v[146:149], v1 offset:752
	scratch_load_b128 v[150:153], off, off offset:344
	s_mov_b32 s0, exec_lo
	s_waitcnt vmcnt(5) lgkmcnt(1)
	v_fma_f64 v[2:3], v[124:125], v[142:143], 0
	s_waitcnt vmcnt(4)
	s_delay_alu instid0(VALU_DEP_1) | instskip(SKIP_4) | instid1(VALU_DEP_1)
	v_fma_f64 v[2:3], v[126:127], v[144:145], v[2:3]
	scratch_load_b128 v[124:127], off, off offset:360
	s_waitcnt lgkmcnt(0)
	v_fma_f64 v[2:3], v[128:129], v[146:147], v[2:3]
	s_waitcnt vmcnt(4)
	v_fma_f64 v[2:3], v[130:131], v[148:149], v[2:3]
	ds_load_b128 v[128:131], v1 offset:768
	ds_load_b128 v[142:145], v1 offset:784
	scratch_load_b128 v[146:149], off, off offset:376
	s_waitcnt lgkmcnt(1)
	v_fma_f64 v[2:3], v[132:133], v[128:129], v[2:3]
	s_waitcnt vmcnt(4)
	s_delay_alu instid0(VALU_DEP_1) | instskip(SKIP_4) | instid1(VALU_DEP_1)
	v_fma_f64 v[2:3], v[134:135], v[130:131], v[2:3]
	scratch_load_b128 v[128:131], off, off offset:392
	s_waitcnt lgkmcnt(0)
	v_fma_f64 v[2:3], v[136:137], v[142:143], v[2:3]
	s_waitcnt vmcnt(4)
	v_fma_f64 v[2:3], v[138:139], v[144:145], v[2:3]
	ds_load_b128 v[132:135], v1 offset:800
	ds_load_b128 v[136:139], v1 offset:816
	s_waitcnt lgkmcnt(1)
	v_fma_f64 v[2:3], v[140:141], v[132:133], v[2:3]
	scratch_load_b128 v[140:143], off, off offset:408
	s_waitcnt vmcnt(4)
	v_fma_f64 v[2:3], v[150:151], v[134:135], v[2:3]
	scratch_load_b128 v[132:135], off, off offset:424
	s_waitcnt lgkmcnt(0)
	v_fma_f64 v[2:3], v[152:153], v[136:137], v[2:3]
	s_waitcnt vmcnt(4)
	s_delay_alu instid0(VALU_DEP_1)
	v_fma_f64 v[2:3], v[124:125], v[138:139], v[2:3]
	ds_load_b128 v[136:139], v1 offset:832
	ds_load_b128 v[150:153], v1 offset:848
	s_waitcnt lgkmcnt(1)
	v_fma_f64 v[2:3], v[126:127], v[136:137], v[2:3]
	scratch_load_b128 v[124:127], off, off offset:440
	s_waitcnt vmcnt(4)
	v_fma_f64 v[2:3], v[146:147], v[138:139], v[2:3]
	s_waitcnt lgkmcnt(0)
	s_delay_alu instid0(VALU_DEP_1)
	v_fma_f64 v[2:3], v[148:149], v[150:151], v[2:3]
	scratch_load_b64 v[148:149], off, off offset:456
	ds_load_b128 v[136:139], v1 offset:864
	ds_load_b128 v[144:147], v1 offset:880
	s_waitcnt vmcnt(4)
	v_fma_f64 v[2:3], v[128:129], v[152:153], v[2:3]
	s_waitcnt lgkmcnt(1)
	s_delay_alu instid0(VALU_DEP_1) | instskip(SKIP_1) | instid1(VALU_DEP_1)
	v_fma_f64 v[2:3], v[130:131], v[136:137], v[2:3]
	s_waitcnt vmcnt(3)
	v_fma_f64 v[2:3], v[140:141], v[138:139], v[2:3]
	s_waitcnt lgkmcnt(0)
	s_delay_alu instid0(VALU_DEP_1) | instskip(SKIP_1) | instid1(VALU_DEP_1)
	v_fma_f64 v[2:3], v[142:143], v[144:145], v[2:3]
	s_waitcnt vmcnt(2)
	v_fma_f64 v[132:133], v[132:133], v[146:147], v[2:3]
	ds_load_b128 v[128:131], v1 offset:896
	ds_load_b128 v[1:4], v1 offset:912
	s_waitcnt lgkmcnt(1)
	v_fma_f64 v[128:129], v[134:135], v[128:129], v[132:133]
	s_waitcnt vmcnt(1)
	s_delay_alu instid0(VALU_DEP_1) | instskip(SKIP_1) | instid1(VALU_DEP_1)
	v_fma_f64 v[124:125], v[124:125], v[130:131], v[128:129]
	s_waitcnt lgkmcnt(0)
	v_fma_f64 v[1:2], v[126:127], v[1:2], v[124:125]
	s_waitcnt vmcnt(0)
	s_delay_alu instid0(VALU_DEP_1) | instskip(NEXT) | instid1(VALU_DEP_1)
	v_fma_f64 v[1:2], v[148:149], v[3:4], v[1:2]
	v_add_f64 v[1:2], v[122:123], -v[1:2]
	scratch_store_b64 off, v[1:2], off offset:264
	v_cmpx_lt_u32_e32 32, v0
	s_cbranch_execz .LBB57_293
; %bb.292:
	scratch_load_b64 v[1:2], off, off offset:256
	v_mov_b32_e32 v3, 0
	s_delay_alu instid0(VALU_DEP_1)
	v_mov_b32_e32 v4, v3
	scratch_store_b64 off, v[3:4], off offset:256
	s_waitcnt vmcnt(0)
	ds_store_b64 v5, v[1:2]
.LBB57_293:
	s_or_b32 exec_lo, exec_lo, s0
	s_waitcnt lgkmcnt(0)
	s_waitcnt_vscnt null, 0x0
	s_barrier
	buffer_gl0_inv
	s_clause 0x4
	scratch_load_b128 v[122:125], off, off offset:256
	scratch_load_b128 v[126:129], off, off offset:272
	;; [unrolled: 1-line block ×5, first 2 shown]
	v_mov_b32_e32 v1, 0
	ds_load_2addr_b64 v[142:145], v1 offset0:91 offset1:92
	ds_load_2addr_b64 v[146:149], v1 offset0:93 offset1:94
	scratch_load_b128 v[150:153], off, off offset:336
	s_mov_b32 s0, exec_lo
	s_waitcnt vmcnt(5) lgkmcnt(1)
	v_fma_f64 v[2:3], v[124:125], v[142:143], 0
	s_waitcnt vmcnt(4)
	s_delay_alu instid0(VALU_DEP_1) | instskip(SKIP_4) | instid1(VALU_DEP_1)
	v_fma_f64 v[2:3], v[126:127], v[144:145], v[2:3]
	scratch_load_b128 v[124:127], off, off offset:352
	s_waitcnt lgkmcnt(0)
	v_fma_f64 v[2:3], v[128:129], v[146:147], v[2:3]
	s_waitcnt vmcnt(4)
	v_fma_f64 v[2:3], v[130:131], v[148:149], v[2:3]
	ds_load_2addr_b64 v[128:131], v1 offset0:95 offset1:96
	ds_load_2addr_b64 v[142:145], v1 offset0:97 offset1:98
	scratch_load_b128 v[146:149], off, off offset:368
	s_waitcnt lgkmcnt(1)
	v_fma_f64 v[2:3], v[132:133], v[128:129], v[2:3]
	s_waitcnt vmcnt(4)
	s_delay_alu instid0(VALU_DEP_1) | instskip(SKIP_4) | instid1(VALU_DEP_1)
	v_fma_f64 v[2:3], v[134:135], v[130:131], v[2:3]
	scratch_load_b128 v[128:131], off, off offset:384
	s_waitcnt lgkmcnt(0)
	v_fma_f64 v[2:3], v[136:137], v[142:143], v[2:3]
	s_waitcnt vmcnt(4)
	v_fma_f64 v[2:3], v[138:139], v[144:145], v[2:3]
	ds_load_2addr_b64 v[132:135], v1 offset0:99 offset1:100
	ds_load_2addr_b64 v[136:139], v1 offset0:101 offset1:102
	s_waitcnt lgkmcnt(1)
	v_fma_f64 v[2:3], v[140:141], v[132:133], v[2:3]
	scratch_load_b128 v[140:143], off, off offset:400
	s_waitcnt vmcnt(4)
	v_fma_f64 v[2:3], v[150:151], v[134:135], v[2:3]
	scratch_load_b128 v[132:135], off, off offset:416
	s_waitcnt lgkmcnt(0)
	v_fma_f64 v[2:3], v[152:153], v[136:137], v[2:3]
	s_waitcnt vmcnt(4)
	s_delay_alu instid0(VALU_DEP_1)
	v_fma_f64 v[2:3], v[124:125], v[138:139], v[2:3]
	ds_load_2addr_b64 v[136:139], v1 offset0:103 offset1:104
	ds_load_2addr_b64 v[150:153], v1 offset0:105 offset1:106
	s_waitcnt lgkmcnt(1)
	v_fma_f64 v[2:3], v[126:127], v[136:137], v[2:3]
	scratch_load_b128 v[124:127], off, off offset:432
	s_waitcnt vmcnt(4)
	v_fma_f64 v[2:3], v[146:147], v[138:139], v[2:3]
	scratch_load_b128 v[136:139], off, off offset:448
	s_waitcnt lgkmcnt(0)
	v_fma_f64 v[2:3], v[148:149], v[150:151], v[2:3]
	ds_load_2addr_b64 v[144:147], v1 offset0:107 offset1:108
	ds_load_2addr_b64 v[148:151], v1 offset0:109 offset1:110
	s_waitcnt vmcnt(4)
	v_fma_f64 v[2:3], v[128:129], v[152:153], v[2:3]
	s_waitcnt lgkmcnt(1)
	s_delay_alu instid0(VALU_DEP_1) | instskip(SKIP_1) | instid1(VALU_DEP_1)
	v_fma_f64 v[2:3], v[130:131], v[144:145], v[2:3]
	s_waitcnt vmcnt(3)
	v_fma_f64 v[2:3], v[140:141], v[146:147], v[2:3]
	s_waitcnt lgkmcnt(0)
	s_delay_alu instid0(VALU_DEP_1)
	v_fma_f64 v[2:3], v[142:143], v[148:149], v[2:3]
	ds_load_2addr_b64 v[128:131], v1 offset0:111 offset1:112
	ds_load_2addr_b64 v[140:143], v1 offset0:113 offset1:114
	s_waitcnt vmcnt(2)
	v_fma_f64 v[2:3], v[132:133], v[150:151], v[2:3]
	s_waitcnt lgkmcnt(1)
	s_delay_alu instid0(VALU_DEP_1) | instskip(SKIP_1) | instid1(VALU_DEP_1)
	v_fma_f64 v[2:3], v[134:135], v[128:129], v[2:3]
	s_waitcnt vmcnt(1)
	v_fma_f64 v[2:3], v[124:125], v[130:131], v[2:3]
	ds_load_b64 v[124:125], v1 offset:920
	s_waitcnt lgkmcnt(1)
	v_fma_f64 v[2:3], v[126:127], v[140:141], v[2:3]
	s_waitcnt vmcnt(0)
	s_delay_alu instid0(VALU_DEP_1) | instskip(SKIP_1) | instid1(VALU_DEP_1)
	v_fma_f64 v[2:3], v[136:137], v[142:143], v[2:3]
	s_waitcnt lgkmcnt(0)
	v_fma_f64 v[2:3], v[138:139], v[124:125], v[2:3]
	s_delay_alu instid0(VALU_DEP_1)
	v_add_f64 v[2:3], v[122:123], -v[2:3]
	scratch_store_b64 off, v[2:3], off offset:256
	v_cmpx_lt_u32_e32 31, v0
	s_cbranch_execz .LBB57_295
; %bb.294:
	scratch_load_b64 v[3:4], off, off offset:248
	v_mov_b32_e32 v2, v1
	scratch_store_b64 off, v[1:2], off offset:248
	s_waitcnt vmcnt(0)
	ds_store_b64 v5, v[3:4]
.LBB57_295:
	s_or_b32 exec_lo, exec_lo, s0
	s_waitcnt lgkmcnt(0)
	s_waitcnt_vscnt null, 0x0
	s_barrier
	buffer_gl0_inv
	s_clause 0x4
	scratch_load_b128 v[122:125], off, off offset:248
	scratch_load_b128 v[126:129], off, off offset:264
	;; [unrolled: 1-line block ×5, first 2 shown]
	ds_load_b128 v[142:145], v1 offset:720
	ds_load_b128 v[146:149], v1 offset:736
	scratch_load_b128 v[150:153], off, off offset:328
	s_mov_b32 s0, exec_lo
	s_waitcnt vmcnt(5) lgkmcnt(1)
	v_fma_f64 v[2:3], v[124:125], v[142:143], 0
	s_waitcnt vmcnt(4)
	s_delay_alu instid0(VALU_DEP_1) | instskip(SKIP_4) | instid1(VALU_DEP_1)
	v_fma_f64 v[2:3], v[126:127], v[144:145], v[2:3]
	scratch_load_b128 v[124:127], off, off offset:344
	s_waitcnt lgkmcnt(0)
	v_fma_f64 v[2:3], v[128:129], v[146:147], v[2:3]
	s_waitcnt vmcnt(4)
	v_fma_f64 v[2:3], v[130:131], v[148:149], v[2:3]
	ds_load_b128 v[128:131], v1 offset:752
	ds_load_b128 v[142:145], v1 offset:768
	scratch_load_b128 v[146:149], off, off offset:360
	s_waitcnt lgkmcnt(1)
	v_fma_f64 v[2:3], v[132:133], v[128:129], v[2:3]
	s_waitcnt vmcnt(4)
	s_delay_alu instid0(VALU_DEP_1) | instskip(SKIP_4) | instid1(VALU_DEP_1)
	v_fma_f64 v[2:3], v[134:135], v[130:131], v[2:3]
	scratch_load_b128 v[128:131], off, off offset:376
	s_waitcnt lgkmcnt(0)
	v_fma_f64 v[2:3], v[136:137], v[142:143], v[2:3]
	s_waitcnt vmcnt(4)
	v_fma_f64 v[2:3], v[138:139], v[144:145], v[2:3]
	ds_load_b128 v[132:135], v1 offset:784
	ds_load_b128 v[136:139], v1 offset:800
	s_waitcnt lgkmcnt(1)
	v_fma_f64 v[2:3], v[140:141], v[132:133], v[2:3]
	scratch_load_b128 v[140:143], off, off offset:392
	s_waitcnt vmcnt(4)
	v_fma_f64 v[2:3], v[150:151], v[134:135], v[2:3]
	scratch_load_b128 v[132:135], off, off offset:408
	s_waitcnt lgkmcnt(0)
	v_fma_f64 v[2:3], v[152:153], v[136:137], v[2:3]
	s_waitcnt vmcnt(4)
	s_delay_alu instid0(VALU_DEP_1)
	v_fma_f64 v[2:3], v[124:125], v[138:139], v[2:3]
	ds_load_b128 v[136:139], v1 offset:816
	ds_load_b128 v[150:153], v1 offset:832
	s_waitcnt lgkmcnt(1)
	v_fma_f64 v[2:3], v[126:127], v[136:137], v[2:3]
	scratch_load_b128 v[124:127], off, off offset:424
	s_waitcnt vmcnt(4)
	v_fma_f64 v[2:3], v[146:147], v[138:139], v[2:3]
	scratch_load_b128 v[136:139], off, off offset:440
	s_waitcnt lgkmcnt(0)
	v_fma_f64 v[2:3], v[148:149], v[150:151], v[2:3]
	ds_load_b128 v[144:147], v1 offset:848
	ds_load_b128 v[148:151], v1 offset:864
	s_waitcnt vmcnt(4)
	v_fma_f64 v[2:3], v[128:129], v[152:153], v[2:3]
	s_waitcnt lgkmcnt(1)
	s_delay_alu instid0(VALU_DEP_1) | instskip(SKIP_4) | instid1(VALU_DEP_1)
	v_fma_f64 v[2:3], v[130:131], v[144:145], v[2:3]
	scratch_load_b64 v[144:145], off, off offset:456
	s_waitcnt vmcnt(4)
	v_fma_f64 v[2:3], v[140:141], v[146:147], v[2:3]
	s_waitcnt lgkmcnt(0)
	v_fma_f64 v[2:3], v[142:143], v[148:149], v[2:3]
	ds_load_b128 v[128:131], v1 offset:880
	ds_load_b128 v[140:143], v1 offset:896
	s_waitcnt vmcnt(3)
	v_fma_f64 v[2:3], v[132:133], v[150:151], v[2:3]
	s_waitcnt lgkmcnt(1)
	s_delay_alu instid0(VALU_DEP_1) | instskip(SKIP_1) | instid1(VALU_DEP_1)
	v_fma_f64 v[2:3], v[134:135], v[128:129], v[2:3]
	s_waitcnt vmcnt(2)
	v_fma_f64 v[2:3], v[124:125], v[130:131], v[2:3]
	s_waitcnt lgkmcnt(0)
	s_delay_alu instid0(VALU_DEP_1) | instskip(SKIP_1) | instid1(VALU_DEP_1)
	v_fma_f64 v[2:3], v[126:127], v[140:141], v[2:3]
	s_waitcnt vmcnt(1)
	v_fma_f64 v[124:125], v[136:137], v[142:143], v[2:3]
	ds_load_b128 v[1:4], v1 offset:912
	s_waitcnt lgkmcnt(0)
	v_fma_f64 v[1:2], v[138:139], v[1:2], v[124:125]
	s_waitcnt vmcnt(0)
	s_delay_alu instid0(VALU_DEP_1) | instskip(NEXT) | instid1(VALU_DEP_1)
	v_fma_f64 v[1:2], v[144:145], v[3:4], v[1:2]
	v_add_f64 v[1:2], v[122:123], -v[1:2]
	scratch_store_b64 off, v[1:2], off offset:248
	v_cmpx_lt_u32_e32 30, v0
	s_cbranch_execz .LBB57_297
; %bb.296:
	scratch_load_b64 v[1:2], off, off offset:240
	v_mov_b32_e32 v3, 0
	s_delay_alu instid0(VALU_DEP_1)
	v_mov_b32_e32 v4, v3
	scratch_store_b64 off, v[3:4], off offset:240
	s_waitcnt vmcnt(0)
	ds_store_b64 v5, v[1:2]
.LBB57_297:
	s_or_b32 exec_lo, exec_lo, s0
	s_waitcnt lgkmcnt(0)
	s_waitcnt_vscnt null, 0x0
	s_barrier
	buffer_gl0_inv
	s_clause 0x4
	scratch_load_b128 v[122:125], off, off offset:240
	scratch_load_b128 v[126:129], off, off offset:256
	;; [unrolled: 1-line block ×5, first 2 shown]
	v_mov_b32_e32 v1, 0
	ds_load_2addr_b64 v[142:145], v1 offset0:89 offset1:90
	ds_load_2addr_b64 v[146:149], v1 offset0:91 offset1:92
	scratch_load_b128 v[150:153], off, off offset:320
	s_mov_b32 s0, exec_lo
	s_waitcnt vmcnt(5) lgkmcnt(1)
	v_fma_f64 v[2:3], v[124:125], v[142:143], 0
	s_waitcnt vmcnt(4)
	s_delay_alu instid0(VALU_DEP_1) | instskip(SKIP_4) | instid1(VALU_DEP_1)
	v_fma_f64 v[2:3], v[126:127], v[144:145], v[2:3]
	scratch_load_b128 v[124:127], off, off offset:336
	s_waitcnt lgkmcnt(0)
	v_fma_f64 v[2:3], v[128:129], v[146:147], v[2:3]
	s_waitcnt vmcnt(4)
	v_fma_f64 v[2:3], v[130:131], v[148:149], v[2:3]
	ds_load_2addr_b64 v[128:131], v1 offset0:93 offset1:94
	ds_load_2addr_b64 v[142:145], v1 offset0:95 offset1:96
	scratch_load_b128 v[146:149], off, off offset:352
	s_waitcnt lgkmcnt(1)
	v_fma_f64 v[2:3], v[132:133], v[128:129], v[2:3]
	s_waitcnt vmcnt(4)
	s_delay_alu instid0(VALU_DEP_1) | instskip(SKIP_4) | instid1(VALU_DEP_1)
	v_fma_f64 v[2:3], v[134:135], v[130:131], v[2:3]
	scratch_load_b128 v[128:131], off, off offset:368
	s_waitcnt lgkmcnt(0)
	v_fma_f64 v[2:3], v[136:137], v[142:143], v[2:3]
	s_waitcnt vmcnt(4)
	v_fma_f64 v[2:3], v[138:139], v[144:145], v[2:3]
	ds_load_2addr_b64 v[132:135], v1 offset0:97 offset1:98
	ds_load_2addr_b64 v[136:139], v1 offset0:99 offset1:100
	s_waitcnt lgkmcnt(1)
	v_fma_f64 v[2:3], v[140:141], v[132:133], v[2:3]
	scratch_load_b128 v[140:143], off, off offset:384
	s_waitcnt vmcnt(4)
	v_fma_f64 v[2:3], v[150:151], v[134:135], v[2:3]
	scratch_load_b128 v[132:135], off, off offset:400
	s_waitcnt lgkmcnt(0)
	v_fma_f64 v[2:3], v[152:153], v[136:137], v[2:3]
	s_waitcnt vmcnt(4)
	s_delay_alu instid0(VALU_DEP_1)
	v_fma_f64 v[2:3], v[124:125], v[138:139], v[2:3]
	ds_load_2addr_b64 v[136:139], v1 offset0:101 offset1:102
	ds_load_2addr_b64 v[150:153], v1 offset0:103 offset1:104
	s_waitcnt lgkmcnt(1)
	v_fma_f64 v[2:3], v[126:127], v[136:137], v[2:3]
	scratch_load_b128 v[124:127], off, off offset:416
	s_waitcnt vmcnt(4)
	v_fma_f64 v[2:3], v[146:147], v[138:139], v[2:3]
	scratch_load_b128 v[136:139], off, off offset:432
	s_waitcnt lgkmcnt(0)
	v_fma_f64 v[2:3], v[148:149], v[150:151], v[2:3]
	ds_load_2addr_b64 v[144:147], v1 offset0:105 offset1:106
	ds_load_2addr_b64 v[148:151], v1 offset0:107 offset1:108
	s_waitcnt vmcnt(4)
	v_fma_f64 v[2:3], v[128:129], v[152:153], v[2:3]
	s_waitcnt lgkmcnt(1)
	s_delay_alu instid0(VALU_DEP_1) | instskip(SKIP_4) | instid1(VALU_DEP_1)
	v_fma_f64 v[2:3], v[130:131], v[144:145], v[2:3]
	scratch_load_b128 v[128:131], off, off offset:448
	s_waitcnt vmcnt(4)
	v_fma_f64 v[2:3], v[140:141], v[146:147], v[2:3]
	s_waitcnt lgkmcnt(0)
	v_fma_f64 v[2:3], v[142:143], v[148:149], v[2:3]
	ds_load_2addr_b64 v[140:143], v1 offset0:109 offset1:110
	ds_load_2addr_b64 v[144:147], v1 offset0:111 offset1:112
	s_waitcnt vmcnt(3)
	v_fma_f64 v[2:3], v[132:133], v[150:151], v[2:3]
	s_waitcnt lgkmcnt(1)
	s_delay_alu instid0(VALU_DEP_1) | instskip(SKIP_1) | instid1(VALU_DEP_1)
	v_fma_f64 v[2:3], v[134:135], v[140:141], v[2:3]
	s_waitcnt vmcnt(2)
	v_fma_f64 v[2:3], v[124:125], v[142:143], v[2:3]
	s_waitcnt lgkmcnt(0)
	s_delay_alu instid0(VALU_DEP_1)
	v_fma_f64 v[2:3], v[126:127], v[144:145], v[2:3]
	ds_load_2addr_b64 v[124:127], v1 offset0:113 offset1:114
	ds_load_b64 v[132:133], v1 offset:920
	s_waitcnt vmcnt(1)
	v_fma_f64 v[2:3], v[136:137], v[146:147], v[2:3]
	s_waitcnt lgkmcnt(1)
	s_delay_alu instid0(VALU_DEP_1) | instskip(SKIP_1) | instid1(VALU_DEP_1)
	v_fma_f64 v[2:3], v[138:139], v[124:125], v[2:3]
	s_waitcnt vmcnt(0)
	v_fma_f64 v[2:3], v[128:129], v[126:127], v[2:3]
	s_waitcnt lgkmcnt(0)
	s_delay_alu instid0(VALU_DEP_1) | instskip(NEXT) | instid1(VALU_DEP_1)
	v_fma_f64 v[2:3], v[130:131], v[132:133], v[2:3]
	v_add_f64 v[2:3], v[122:123], -v[2:3]
	scratch_store_b64 off, v[2:3], off offset:240
	v_cmpx_lt_u32_e32 29, v0
	s_cbranch_execz .LBB57_299
; %bb.298:
	scratch_load_b64 v[3:4], off, off offset:232
	v_mov_b32_e32 v2, v1
	scratch_store_b64 off, v[1:2], off offset:232
	s_waitcnt vmcnt(0)
	ds_store_b64 v5, v[3:4]
.LBB57_299:
	s_or_b32 exec_lo, exec_lo, s0
	s_waitcnt lgkmcnt(0)
	s_waitcnt_vscnt null, 0x0
	s_barrier
	buffer_gl0_inv
	s_clause 0x4
	scratch_load_b128 v[122:125], off, off offset:232
	scratch_load_b128 v[126:129], off, off offset:248
	;; [unrolled: 1-line block ×5, first 2 shown]
	ds_load_b128 v[142:145], v1 offset:704
	ds_load_b128 v[146:149], v1 offset:720
	scratch_load_b128 v[150:153], off, off offset:312
	s_mov_b32 s0, exec_lo
	s_waitcnt vmcnt(5) lgkmcnt(1)
	v_fma_f64 v[2:3], v[124:125], v[142:143], 0
	s_waitcnt vmcnt(4)
	s_delay_alu instid0(VALU_DEP_1) | instskip(SKIP_4) | instid1(VALU_DEP_1)
	v_fma_f64 v[2:3], v[126:127], v[144:145], v[2:3]
	scratch_load_b128 v[124:127], off, off offset:328
	s_waitcnt lgkmcnt(0)
	v_fma_f64 v[2:3], v[128:129], v[146:147], v[2:3]
	s_waitcnt vmcnt(4)
	v_fma_f64 v[2:3], v[130:131], v[148:149], v[2:3]
	ds_load_b128 v[128:131], v1 offset:736
	ds_load_b128 v[142:145], v1 offset:752
	scratch_load_b128 v[146:149], off, off offset:344
	s_waitcnt lgkmcnt(1)
	v_fma_f64 v[2:3], v[132:133], v[128:129], v[2:3]
	s_waitcnt vmcnt(4)
	s_delay_alu instid0(VALU_DEP_1) | instskip(SKIP_4) | instid1(VALU_DEP_1)
	v_fma_f64 v[2:3], v[134:135], v[130:131], v[2:3]
	scratch_load_b128 v[128:131], off, off offset:360
	s_waitcnt lgkmcnt(0)
	v_fma_f64 v[2:3], v[136:137], v[142:143], v[2:3]
	s_waitcnt vmcnt(4)
	v_fma_f64 v[2:3], v[138:139], v[144:145], v[2:3]
	ds_load_b128 v[132:135], v1 offset:768
	ds_load_b128 v[136:139], v1 offset:784
	s_waitcnt lgkmcnt(1)
	v_fma_f64 v[2:3], v[140:141], v[132:133], v[2:3]
	scratch_load_b128 v[140:143], off, off offset:376
	s_waitcnt vmcnt(4)
	v_fma_f64 v[2:3], v[150:151], v[134:135], v[2:3]
	scratch_load_b128 v[132:135], off, off offset:392
	s_waitcnt lgkmcnt(0)
	v_fma_f64 v[2:3], v[152:153], v[136:137], v[2:3]
	s_waitcnt vmcnt(4)
	s_delay_alu instid0(VALU_DEP_1)
	v_fma_f64 v[2:3], v[124:125], v[138:139], v[2:3]
	ds_load_b128 v[136:139], v1 offset:800
	ds_load_b128 v[150:153], v1 offset:816
	s_waitcnt lgkmcnt(1)
	v_fma_f64 v[2:3], v[126:127], v[136:137], v[2:3]
	scratch_load_b128 v[124:127], off, off offset:408
	s_waitcnt vmcnt(4)
	v_fma_f64 v[2:3], v[146:147], v[138:139], v[2:3]
	scratch_load_b128 v[136:139], off, off offset:424
	s_waitcnt lgkmcnt(0)
	v_fma_f64 v[2:3], v[148:149], v[150:151], v[2:3]
	ds_load_b128 v[144:147], v1 offset:832
	ds_load_b128 v[148:151], v1 offset:848
	s_waitcnt vmcnt(4)
	v_fma_f64 v[2:3], v[128:129], v[152:153], v[2:3]
	s_waitcnt lgkmcnt(1)
	s_delay_alu instid0(VALU_DEP_1) | instskip(SKIP_4) | instid1(VALU_DEP_1)
	v_fma_f64 v[2:3], v[130:131], v[144:145], v[2:3]
	scratch_load_b128 v[128:131], off, off offset:440
	s_waitcnt vmcnt(4)
	v_fma_f64 v[2:3], v[140:141], v[146:147], v[2:3]
	s_waitcnt lgkmcnt(0)
	v_fma_f64 v[2:3], v[142:143], v[148:149], v[2:3]
	scratch_load_b64 v[148:149], off, off offset:456
	ds_load_b128 v[140:143], v1 offset:864
	ds_load_b128 v[144:147], v1 offset:880
	s_waitcnt vmcnt(4)
	v_fma_f64 v[2:3], v[132:133], v[150:151], v[2:3]
	s_waitcnt lgkmcnt(1)
	s_delay_alu instid0(VALU_DEP_1) | instskip(SKIP_1) | instid1(VALU_DEP_1)
	v_fma_f64 v[2:3], v[134:135], v[140:141], v[2:3]
	s_waitcnt vmcnt(3)
	v_fma_f64 v[2:3], v[124:125], v[142:143], v[2:3]
	s_waitcnt lgkmcnt(0)
	s_delay_alu instid0(VALU_DEP_1) | instskip(SKIP_1) | instid1(VALU_DEP_1)
	v_fma_f64 v[2:3], v[126:127], v[144:145], v[2:3]
	s_waitcnt vmcnt(2)
	v_fma_f64 v[132:133], v[136:137], v[146:147], v[2:3]
	ds_load_b128 v[124:127], v1 offset:896
	ds_load_b128 v[1:4], v1 offset:912
	s_waitcnt lgkmcnt(1)
	v_fma_f64 v[124:125], v[138:139], v[124:125], v[132:133]
	s_waitcnt vmcnt(1)
	s_delay_alu instid0(VALU_DEP_1) | instskip(SKIP_1) | instid1(VALU_DEP_1)
	v_fma_f64 v[124:125], v[128:129], v[126:127], v[124:125]
	s_waitcnt lgkmcnt(0)
	v_fma_f64 v[1:2], v[130:131], v[1:2], v[124:125]
	s_waitcnt vmcnt(0)
	s_delay_alu instid0(VALU_DEP_1) | instskip(NEXT) | instid1(VALU_DEP_1)
	v_fma_f64 v[1:2], v[148:149], v[3:4], v[1:2]
	v_add_f64 v[1:2], v[122:123], -v[1:2]
	scratch_store_b64 off, v[1:2], off offset:232
	v_cmpx_lt_u32_e32 28, v0
	s_cbranch_execz .LBB57_301
; %bb.300:
	scratch_load_b64 v[1:2], off, off offset:224
	v_mov_b32_e32 v3, 0
	s_delay_alu instid0(VALU_DEP_1)
	v_mov_b32_e32 v4, v3
	scratch_store_b64 off, v[3:4], off offset:224
	s_waitcnt vmcnt(0)
	ds_store_b64 v5, v[1:2]
.LBB57_301:
	s_or_b32 exec_lo, exec_lo, s0
	s_waitcnt lgkmcnt(0)
	s_waitcnt_vscnt null, 0x0
	s_barrier
	buffer_gl0_inv
	s_clause 0x4
	scratch_load_b128 v[122:125], off, off offset:224
	scratch_load_b128 v[126:129], off, off offset:240
	;; [unrolled: 1-line block ×5, first 2 shown]
	v_mov_b32_e32 v1, 0
	ds_load_2addr_b64 v[142:145], v1 offset0:87 offset1:88
	ds_load_2addr_b64 v[146:149], v1 offset0:89 offset1:90
	scratch_load_b128 v[150:153], off, off offset:304
	s_mov_b32 s0, exec_lo
	s_waitcnt vmcnt(5) lgkmcnt(1)
	v_fma_f64 v[2:3], v[124:125], v[142:143], 0
	s_waitcnt vmcnt(4)
	s_delay_alu instid0(VALU_DEP_1) | instskip(SKIP_4) | instid1(VALU_DEP_1)
	v_fma_f64 v[2:3], v[126:127], v[144:145], v[2:3]
	scratch_load_b128 v[124:127], off, off offset:320
	s_waitcnt lgkmcnt(0)
	v_fma_f64 v[2:3], v[128:129], v[146:147], v[2:3]
	s_waitcnt vmcnt(4)
	v_fma_f64 v[2:3], v[130:131], v[148:149], v[2:3]
	ds_load_2addr_b64 v[128:131], v1 offset0:91 offset1:92
	ds_load_2addr_b64 v[142:145], v1 offset0:93 offset1:94
	scratch_load_b128 v[146:149], off, off offset:336
	s_waitcnt lgkmcnt(1)
	v_fma_f64 v[2:3], v[132:133], v[128:129], v[2:3]
	s_waitcnt vmcnt(4)
	s_delay_alu instid0(VALU_DEP_1) | instskip(SKIP_4) | instid1(VALU_DEP_1)
	v_fma_f64 v[2:3], v[134:135], v[130:131], v[2:3]
	scratch_load_b128 v[128:131], off, off offset:352
	s_waitcnt lgkmcnt(0)
	v_fma_f64 v[2:3], v[136:137], v[142:143], v[2:3]
	s_waitcnt vmcnt(4)
	v_fma_f64 v[2:3], v[138:139], v[144:145], v[2:3]
	ds_load_2addr_b64 v[132:135], v1 offset0:95 offset1:96
	ds_load_2addr_b64 v[136:139], v1 offset0:97 offset1:98
	s_waitcnt lgkmcnt(1)
	v_fma_f64 v[2:3], v[140:141], v[132:133], v[2:3]
	scratch_load_b128 v[140:143], off, off offset:368
	s_waitcnt vmcnt(4)
	v_fma_f64 v[2:3], v[150:151], v[134:135], v[2:3]
	scratch_load_b128 v[132:135], off, off offset:384
	s_waitcnt lgkmcnt(0)
	v_fma_f64 v[2:3], v[152:153], v[136:137], v[2:3]
	s_waitcnt vmcnt(4)
	s_delay_alu instid0(VALU_DEP_1)
	v_fma_f64 v[2:3], v[124:125], v[138:139], v[2:3]
	ds_load_2addr_b64 v[136:139], v1 offset0:99 offset1:100
	ds_load_2addr_b64 v[150:153], v1 offset0:101 offset1:102
	s_waitcnt lgkmcnt(1)
	v_fma_f64 v[2:3], v[126:127], v[136:137], v[2:3]
	scratch_load_b128 v[124:127], off, off offset:400
	s_waitcnt vmcnt(4)
	v_fma_f64 v[2:3], v[146:147], v[138:139], v[2:3]
	scratch_load_b128 v[136:139], off, off offset:416
	s_waitcnt lgkmcnt(0)
	v_fma_f64 v[2:3], v[148:149], v[150:151], v[2:3]
	ds_load_2addr_b64 v[144:147], v1 offset0:103 offset1:104
	ds_load_2addr_b64 v[148:151], v1 offset0:105 offset1:106
	s_waitcnt vmcnt(4)
	v_fma_f64 v[2:3], v[128:129], v[152:153], v[2:3]
	s_waitcnt lgkmcnt(1)
	s_delay_alu instid0(VALU_DEP_1) | instskip(SKIP_4) | instid1(VALU_DEP_1)
	v_fma_f64 v[2:3], v[130:131], v[144:145], v[2:3]
	scratch_load_b128 v[128:131], off, off offset:432
	s_waitcnt vmcnt(4)
	v_fma_f64 v[2:3], v[140:141], v[146:147], v[2:3]
	s_waitcnt lgkmcnt(0)
	v_fma_f64 v[2:3], v[142:143], v[148:149], v[2:3]
	scratch_load_b128 v[140:143], off, off offset:448
	s_waitcnt vmcnt(4)
	v_fma_f64 v[2:3], v[132:133], v[150:151], v[2:3]
	ds_load_2addr_b64 v[144:147], v1 offset0:107 offset1:108
	ds_load_2addr_b64 v[148:151], v1 offset0:109 offset1:110
	s_waitcnt lgkmcnt(1)
	v_fma_f64 v[2:3], v[134:135], v[144:145], v[2:3]
	s_waitcnt vmcnt(3)
	s_delay_alu instid0(VALU_DEP_1) | instskip(SKIP_1) | instid1(VALU_DEP_1)
	v_fma_f64 v[2:3], v[124:125], v[146:147], v[2:3]
	s_waitcnt lgkmcnt(0)
	v_fma_f64 v[2:3], v[126:127], v[148:149], v[2:3]
	ds_load_2addr_b64 v[124:127], v1 offset0:111 offset1:112
	ds_load_2addr_b64 v[132:135], v1 offset0:113 offset1:114
	s_waitcnt vmcnt(2)
	v_fma_f64 v[2:3], v[136:137], v[150:151], v[2:3]
	s_waitcnt lgkmcnt(1)
	s_delay_alu instid0(VALU_DEP_1) | instskip(SKIP_4) | instid1(VALU_DEP_1)
	v_fma_f64 v[2:3], v[138:139], v[124:125], v[2:3]
	ds_load_b64 v[124:125], v1 offset:920
	s_waitcnt vmcnt(1)
	v_fma_f64 v[2:3], v[128:129], v[126:127], v[2:3]
	s_waitcnt lgkmcnt(1)
	v_fma_f64 v[2:3], v[130:131], v[132:133], v[2:3]
	s_waitcnt vmcnt(0)
	s_delay_alu instid0(VALU_DEP_1) | instskip(SKIP_1) | instid1(VALU_DEP_1)
	v_fma_f64 v[2:3], v[140:141], v[134:135], v[2:3]
	s_waitcnt lgkmcnt(0)
	v_fma_f64 v[2:3], v[142:143], v[124:125], v[2:3]
	s_delay_alu instid0(VALU_DEP_1)
	v_add_f64 v[2:3], v[122:123], -v[2:3]
	scratch_store_b64 off, v[2:3], off offset:224
	v_cmpx_lt_u32_e32 27, v0
	s_cbranch_execz .LBB57_303
; %bb.302:
	scratch_load_b64 v[3:4], off, off offset:216
	v_mov_b32_e32 v2, v1
	scratch_store_b64 off, v[1:2], off offset:216
	s_waitcnt vmcnt(0)
	ds_store_b64 v5, v[3:4]
.LBB57_303:
	s_or_b32 exec_lo, exec_lo, s0
	s_waitcnt lgkmcnt(0)
	s_waitcnt_vscnt null, 0x0
	s_barrier
	buffer_gl0_inv
	s_clause 0x4
	scratch_load_b128 v[122:125], off, off offset:216
	scratch_load_b128 v[126:129], off, off offset:232
	;; [unrolled: 1-line block ×5, first 2 shown]
	ds_load_b128 v[142:145], v1 offset:688
	ds_load_b128 v[146:149], v1 offset:704
	scratch_load_b128 v[150:153], off, off offset:296
	s_mov_b32 s0, exec_lo
	s_waitcnt vmcnt(5) lgkmcnt(1)
	v_fma_f64 v[2:3], v[124:125], v[142:143], 0
	s_waitcnt vmcnt(4)
	s_delay_alu instid0(VALU_DEP_1) | instskip(SKIP_4) | instid1(VALU_DEP_1)
	v_fma_f64 v[2:3], v[126:127], v[144:145], v[2:3]
	scratch_load_b128 v[124:127], off, off offset:312
	s_waitcnt lgkmcnt(0)
	v_fma_f64 v[2:3], v[128:129], v[146:147], v[2:3]
	s_waitcnt vmcnt(4)
	v_fma_f64 v[2:3], v[130:131], v[148:149], v[2:3]
	ds_load_b128 v[128:131], v1 offset:720
	ds_load_b128 v[142:145], v1 offset:736
	scratch_load_b128 v[146:149], off, off offset:328
	s_waitcnt lgkmcnt(1)
	v_fma_f64 v[2:3], v[132:133], v[128:129], v[2:3]
	s_waitcnt vmcnt(4)
	s_delay_alu instid0(VALU_DEP_1) | instskip(SKIP_4) | instid1(VALU_DEP_1)
	v_fma_f64 v[2:3], v[134:135], v[130:131], v[2:3]
	scratch_load_b128 v[128:131], off, off offset:344
	s_waitcnt lgkmcnt(0)
	v_fma_f64 v[2:3], v[136:137], v[142:143], v[2:3]
	s_waitcnt vmcnt(4)
	v_fma_f64 v[2:3], v[138:139], v[144:145], v[2:3]
	ds_load_b128 v[132:135], v1 offset:752
	ds_load_b128 v[136:139], v1 offset:768
	s_waitcnt lgkmcnt(1)
	v_fma_f64 v[2:3], v[140:141], v[132:133], v[2:3]
	scratch_load_b128 v[140:143], off, off offset:360
	s_waitcnt vmcnt(4)
	v_fma_f64 v[2:3], v[150:151], v[134:135], v[2:3]
	scratch_load_b128 v[132:135], off, off offset:376
	s_waitcnt lgkmcnt(0)
	v_fma_f64 v[2:3], v[152:153], v[136:137], v[2:3]
	s_waitcnt vmcnt(4)
	s_delay_alu instid0(VALU_DEP_1)
	v_fma_f64 v[2:3], v[124:125], v[138:139], v[2:3]
	ds_load_b128 v[136:139], v1 offset:784
	ds_load_b128 v[150:153], v1 offset:800
	s_waitcnt lgkmcnt(1)
	v_fma_f64 v[2:3], v[126:127], v[136:137], v[2:3]
	scratch_load_b128 v[124:127], off, off offset:392
	s_waitcnt vmcnt(4)
	v_fma_f64 v[2:3], v[146:147], v[138:139], v[2:3]
	scratch_load_b128 v[136:139], off, off offset:408
	s_waitcnt lgkmcnt(0)
	v_fma_f64 v[2:3], v[148:149], v[150:151], v[2:3]
	ds_load_b128 v[144:147], v1 offset:816
	ds_load_b128 v[148:151], v1 offset:832
	s_waitcnt vmcnt(4)
	v_fma_f64 v[2:3], v[128:129], v[152:153], v[2:3]
	s_waitcnt lgkmcnt(1)
	s_delay_alu instid0(VALU_DEP_1) | instskip(SKIP_4) | instid1(VALU_DEP_1)
	v_fma_f64 v[2:3], v[130:131], v[144:145], v[2:3]
	scratch_load_b128 v[128:131], off, off offset:424
	s_waitcnt vmcnt(4)
	v_fma_f64 v[2:3], v[140:141], v[146:147], v[2:3]
	s_waitcnt lgkmcnt(0)
	v_fma_f64 v[2:3], v[142:143], v[148:149], v[2:3]
	scratch_load_b128 v[140:143], off, off offset:440
	s_waitcnt vmcnt(4)
	v_fma_f64 v[2:3], v[132:133], v[150:151], v[2:3]
	ds_load_b128 v[144:147], v1 offset:848
	ds_load_b128 v[148:151], v1 offset:864
	s_waitcnt lgkmcnt(1)
	v_fma_f64 v[2:3], v[134:135], v[144:145], v[2:3]
	scratch_load_b64 v[144:145], off, off offset:456
	s_waitcnt vmcnt(4)
	v_fma_f64 v[2:3], v[124:125], v[146:147], v[2:3]
	s_waitcnt lgkmcnt(0)
	s_delay_alu instid0(VALU_DEP_1)
	v_fma_f64 v[2:3], v[126:127], v[148:149], v[2:3]
	ds_load_b128 v[124:127], v1 offset:880
	ds_load_b128 v[132:135], v1 offset:896
	s_waitcnt vmcnt(3)
	v_fma_f64 v[2:3], v[136:137], v[150:151], v[2:3]
	s_waitcnt lgkmcnt(1)
	s_delay_alu instid0(VALU_DEP_1) | instskip(SKIP_1) | instid1(VALU_DEP_1)
	v_fma_f64 v[2:3], v[138:139], v[124:125], v[2:3]
	s_waitcnt vmcnt(2)
	v_fma_f64 v[2:3], v[128:129], v[126:127], v[2:3]
	s_waitcnt lgkmcnt(0)
	s_delay_alu instid0(VALU_DEP_1) | instskip(SKIP_1) | instid1(VALU_DEP_1)
	v_fma_f64 v[2:3], v[130:131], v[132:133], v[2:3]
	s_waitcnt vmcnt(1)
	v_fma_f64 v[124:125], v[140:141], v[134:135], v[2:3]
	ds_load_b128 v[1:4], v1 offset:912
	s_waitcnt lgkmcnt(0)
	v_fma_f64 v[1:2], v[142:143], v[1:2], v[124:125]
	s_waitcnt vmcnt(0)
	s_delay_alu instid0(VALU_DEP_1) | instskip(NEXT) | instid1(VALU_DEP_1)
	v_fma_f64 v[1:2], v[144:145], v[3:4], v[1:2]
	v_add_f64 v[1:2], v[122:123], -v[1:2]
	scratch_store_b64 off, v[1:2], off offset:216
	v_cmpx_lt_u32_e32 26, v0
	s_cbranch_execz .LBB57_305
; %bb.304:
	scratch_load_b64 v[1:2], off, off offset:208
	v_mov_b32_e32 v3, 0
	s_delay_alu instid0(VALU_DEP_1)
	v_mov_b32_e32 v4, v3
	scratch_store_b64 off, v[3:4], off offset:208
	s_waitcnt vmcnt(0)
	ds_store_b64 v5, v[1:2]
.LBB57_305:
	s_or_b32 exec_lo, exec_lo, s0
	s_waitcnt lgkmcnt(0)
	s_waitcnt_vscnt null, 0x0
	s_barrier
	buffer_gl0_inv
	s_clause 0x4
	scratch_load_b128 v[122:125], off, off offset:208
	scratch_load_b128 v[126:129], off, off offset:224
	;; [unrolled: 1-line block ×5, first 2 shown]
	v_mov_b32_e32 v1, 0
	ds_load_2addr_b64 v[142:145], v1 offset0:85 offset1:86
	ds_load_2addr_b64 v[146:149], v1 offset0:87 offset1:88
	scratch_load_b128 v[150:153], off, off offset:288
	s_mov_b32 s0, exec_lo
	s_waitcnt vmcnt(5) lgkmcnt(1)
	v_fma_f64 v[2:3], v[124:125], v[142:143], 0
	s_waitcnt vmcnt(4)
	s_delay_alu instid0(VALU_DEP_1) | instskip(SKIP_4) | instid1(VALU_DEP_1)
	v_fma_f64 v[2:3], v[126:127], v[144:145], v[2:3]
	scratch_load_b128 v[124:127], off, off offset:304
	s_waitcnt lgkmcnt(0)
	v_fma_f64 v[2:3], v[128:129], v[146:147], v[2:3]
	s_waitcnt vmcnt(4)
	v_fma_f64 v[2:3], v[130:131], v[148:149], v[2:3]
	ds_load_2addr_b64 v[128:131], v1 offset0:89 offset1:90
	ds_load_2addr_b64 v[142:145], v1 offset0:91 offset1:92
	scratch_load_b128 v[146:149], off, off offset:320
	s_waitcnt lgkmcnt(1)
	v_fma_f64 v[2:3], v[132:133], v[128:129], v[2:3]
	s_waitcnt vmcnt(4)
	s_delay_alu instid0(VALU_DEP_1) | instskip(SKIP_4) | instid1(VALU_DEP_1)
	v_fma_f64 v[2:3], v[134:135], v[130:131], v[2:3]
	scratch_load_b128 v[128:131], off, off offset:336
	s_waitcnt lgkmcnt(0)
	v_fma_f64 v[2:3], v[136:137], v[142:143], v[2:3]
	s_waitcnt vmcnt(4)
	v_fma_f64 v[2:3], v[138:139], v[144:145], v[2:3]
	ds_load_2addr_b64 v[132:135], v1 offset0:93 offset1:94
	ds_load_2addr_b64 v[136:139], v1 offset0:95 offset1:96
	s_waitcnt lgkmcnt(1)
	v_fma_f64 v[2:3], v[140:141], v[132:133], v[2:3]
	scratch_load_b128 v[140:143], off, off offset:352
	s_waitcnt vmcnt(4)
	v_fma_f64 v[2:3], v[150:151], v[134:135], v[2:3]
	scratch_load_b128 v[132:135], off, off offset:368
	s_waitcnt lgkmcnt(0)
	v_fma_f64 v[2:3], v[152:153], v[136:137], v[2:3]
	s_waitcnt vmcnt(4)
	s_delay_alu instid0(VALU_DEP_1)
	v_fma_f64 v[2:3], v[124:125], v[138:139], v[2:3]
	ds_load_2addr_b64 v[136:139], v1 offset0:97 offset1:98
	ds_load_2addr_b64 v[150:153], v1 offset0:99 offset1:100
	s_waitcnt lgkmcnt(1)
	v_fma_f64 v[2:3], v[126:127], v[136:137], v[2:3]
	scratch_load_b128 v[124:127], off, off offset:384
	s_waitcnt vmcnt(4)
	v_fma_f64 v[2:3], v[146:147], v[138:139], v[2:3]
	scratch_load_b128 v[136:139], off, off offset:400
	s_waitcnt lgkmcnt(0)
	v_fma_f64 v[2:3], v[148:149], v[150:151], v[2:3]
	ds_load_2addr_b64 v[144:147], v1 offset0:101 offset1:102
	ds_load_2addr_b64 v[148:151], v1 offset0:103 offset1:104
	s_waitcnt vmcnt(4)
	v_fma_f64 v[2:3], v[128:129], v[152:153], v[2:3]
	s_waitcnt lgkmcnt(1)
	s_delay_alu instid0(VALU_DEP_1) | instskip(SKIP_4) | instid1(VALU_DEP_1)
	v_fma_f64 v[2:3], v[130:131], v[144:145], v[2:3]
	scratch_load_b128 v[128:131], off, off offset:416
	s_waitcnt vmcnt(4)
	v_fma_f64 v[2:3], v[140:141], v[146:147], v[2:3]
	s_waitcnt lgkmcnt(0)
	v_fma_f64 v[2:3], v[142:143], v[148:149], v[2:3]
	scratch_load_b128 v[140:143], off, off offset:432
	s_waitcnt vmcnt(4)
	v_fma_f64 v[2:3], v[132:133], v[150:151], v[2:3]
	ds_load_2addr_b64 v[144:147], v1 offset0:105 offset1:106
	ds_load_2addr_b64 v[148:151], v1 offset0:107 offset1:108
	s_waitcnt lgkmcnt(1)
	v_fma_f64 v[2:3], v[134:135], v[144:145], v[2:3]
	scratch_load_b128 v[132:135], off, off offset:448
	s_waitcnt vmcnt(4)
	v_fma_f64 v[2:3], v[124:125], v[146:147], v[2:3]
	s_waitcnt lgkmcnt(0)
	s_delay_alu instid0(VALU_DEP_1)
	v_fma_f64 v[2:3], v[126:127], v[148:149], v[2:3]
	ds_load_2addr_b64 v[124:127], v1 offset0:109 offset1:110
	ds_load_2addr_b64 v[144:147], v1 offset0:111 offset1:112
	s_waitcnt vmcnt(3)
	v_fma_f64 v[2:3], v[136:137], v[150:151], v[2:3]
	s_waitcnt lgkmcnt(1)
	s_delay_alu instid0(VALU_DEP_1) | instskip(SKIP_1) | instid1(VALU_DEP_1)
	v_fma_f64 v[2:3], v[138:139], v[124:125], v[2:3]
	s_waitcnt vmcnt(2)
	v_fma_f64 v[2:3], v[128:129], v[126:127], v[2:3]
	ds_load_2addr_b64 v[124:127], v1 offset0:113 offset1:114
	ds_load_b64 v[128:129], v1 offset:920
	s_waitcnt lgkmcnt(2)
	v_fma_f64 v[2:3], v[130:131], v[144:145], v[2:3]
	s_waitcnt vmcnt(1)
	s_delay_alu instid0(VALU_DEP_1) | instskip(SKIP_1) | instid1(VALU_DEP_1)
	v_fma_f64 v[2:3], v[140:141], v[146:147], v[2:3]
	s_waitcnt lgkmcnt(1)
	v_fma_f64 v[2:3], v[142:143], v[124:125], v[2:3]
	s_waitcnt vmcnt(0)
	s_delay_alu instid0(VALU_DEP_1) | instskip(SKIP_1) | instid1(VALU_DEP_1)
	v_fma_f64 v[2:3], v[132:133], v[126:127], v[2:3]
	s_waitcnt lgkmcnt(0)
	v_fma_f64 v[2:3], v[134:135], v[128:129], v[2:3]
	s_delay_alu instid0(VALU_DEP_1)
	v_add_f64 v[2:3], v[122:123], -v[2:3]
	scratch_store_b64 off, v[2:3], off offset:208
	v_cmpx_lt_u32_e32 25, v0
	s_cbranch_execz .LBB57_307
; %bb.306:
	scratch_load_b64 v[3:4], off, off offset:200
	v_mov_b32_e32 v2, v1
	scratch_store_b64 off, v[1:2], off offset:200
	s_waitcnt vmcnt(0)
	ds_store_b64 v5, v[3:4]
.LBB57_307:
	s_or_b32 exec_lo, exec_lo, s0
	s_waitcnt lgkmcnt(0)
	s_waitcnt_vscnt null, 0x0
	s_barrier
	buffer_gl0_inv
	s_clause 0x4
	scratch_load_b128 v[122:125], off, off offset:200
	scratch_load_b128 v[126:129], off, off offset:216
	;; [unrolled: 1-line block ×5, first 2 shown]
	ds_load_b128 v[142:145], v1 offset:672
	ds_load_b128 v[146:149], v1 offset:688
	scratch_load_b128 v[150:153], off, off offset:280
	s_mov_b32 s0, exec_lo
	s_waitcnt vmcnt(5) lgkmcnt(1)
	v_fma_f64 v[2:3], v[124:125], v[142:143], 0
	s_waitcnt vmcnt(4)
	s_delay_alu instid0(VALU_DEP_1) | instskip(SKIP_4) | instid1(VALU_DEP_1)
	v_fma_f64 v[2:3], v[126:127], v[144:145], v[2:3]
	scratch_load_b128 v[124:127], off, off offset:296
	s_waitcnt lgkmcnt(0)
	v_fma_f64 v[2:3], v[128:129], v[146:147], v[2:3]
	s_waitcnt vmcnt(4)
	v_fma_f64 v[2:3], v[130:131], v[148:149], v[2:3]
	ds_load_b128 v[128:131], v1 offset:704
	ds_load_b128 v[142:145], v1 offset:720
	scratch_load_b128 v[146:149], off, off offset:312
	s_waitcnt lgkmcnt(1)
	v_fma_f64 v[2:3], v[132:133], v[128:129], v[2:3]
	s_waitcnt vmcnt(4)
	s_delay_alu instid0(VALU_DEP_1) | instskip(SKIP_4) | instid1(VALU_DEP_1)
	v_fma_f64 v[2:3], v[134:135], v[130:131], v[2:3]
	scratch_load_b128 v[128:131], off, off offset:328
	s_waitcnt lgkmcnt(0)
	v_fma_f64 v[2:3], v[136:137], v[142:143], v[2:3]
	s_waitcnt vmcnt(4)
	v_fma_f64 v[2:3], v[138:139], v[144:145], v[2:3]
	ds_load_b128 v[132:135], v1 offset:736
	ds_load_b128 v[136:139], v1 offset:752
	s_waitcnt lgkmcnt(1)
	v_fma_f64 v[2:3], v[140:141], v[132:133], v[2:3]
	scratch_load_b128 v[140:143], off, off offset:344
	s_waitcnt vmcnt(4)
	v_fma_f64 v[2:3], v[150:151], v[134:135], v[2:3]
	scratch_load_b128 v[132:135], off, off offset:360
	s_waitcnt lgkmcnt(0)
	v_fma_f64 v[2:3], v[152:153], v[136:137], v[2:3]
	s_waitcnt vmcnt(4)
	s_delay_alu instid0(VALU_DEP_1)
	v_fma_f64 v[2:3], v[124:125], v[138:139], v[2:3]
	ds_load_b128 v[136:139], v1 offset:768
	ds_load_b128 v[150:153], v1 offset:784
	s_waitcnt lgkmcnt(1)
	v_fma_f64 v[2:3], v[126:127], v[136:137], v[2:3]
	scratch_load_b128 v[124:127], off, off offset:376
	s_waitcnt vmcnt(4)
	v_fma_f64 v[2:3], v[146:147], v[138:139], v[2:3]
	scratch_load_b128 v[136:139], off, off offset:392
	s_waitcnt lgkmcnt(0)
	v_fma_f64 v[2:3], v[148:149], v[150:151], v[2:3]
	ds_load_b128 v[144:147], v1 offset:800
	ds_load_b128 v[148:151], v1 offset:816
	s_waitcnt vmcnt(4)
	v_fma_f64 v[2:3], v[128:129], v[152:153], v[2:3]
	s_waitcnt lgkmcnt(1)
	s_delay_alu instid0(VALU_DEP_1) | instskip(SKIP_4) | instid1(VALU_DEP_1)
	v_fma_f64 v[2:3], v[130:131], v[144:145], v[2:3]
	scratch_load_b128 v[128:131], off, off offset:408
	s_waitcnt vmcnt(4)
	v_fma_f64 v[2:3], v[140:141], v[146:147], v[2:3]
	s_waitcnt lgkmcnt(0)
	v_fma_f64 v[2:3], v[142:143], v[148:149], v[2:3]
	scratch_load_b128 v[140:143], off, off offset:424
	s_waitcnt vmcnt(4)
	v_fma_f64 v[2:3], v[132:133], v[150:151], v[2:3]
	ds_load_b128 v[144:147], v1 offset:832
	ds_load_b128 v[148:151], v1 offset:848
	s_waitcnt lgkmcnt(1)
	v_fma_f64 v[2:3], v[134:135], v[144:145], v[2:3]
	scratch_load_b128 v[132:135], off, off offset:440
	s_waitcnt vmcnt(4)
	v_fma_f64 v[2:3], v[124:125], v[146:147], v[2:3]
	s_waitcnt lgkmcnt(0)
	s_delay_alu instid0(VALU_DEP_1)
	v_fma_f64 v[2:3], v[126:127], v[148:149], v[2:3]
	scratch_load_b64 v[148:149], off, off offset:456
	ds_load_b128 v[124:127], v1 offset:864
	ds_load_b128 v[144:147], v1 offset:880
	s_waitcnt vmcnt(4)
	v_fma_f64 v[2:3], v[136:137], v[150:151], v[2:3]
	s_waitcnt lgkmcnt(1)
	s_delay_alu instid0(VALU_DEP_1) | instskip(SKIP_1) | instid1(VALU_DEP_1)
	v_fma_f64 v[2:3], v[138:139], v[124:125], v[2:3]
	s_waitcnt vmcnt(3)
	v_fma_f64 v[2:3], v[128:129], v[126:127], v[2:3]
	s_waitcnt lgkmcnt(0)
	s_delay_alu instid0(VALU_DEP_1) | instskip(SKIP_1) | instid1(VALU_DEP_1)
	v_fma_f64 v[2:3], v[130:131], v[144:145], v[2:3]
	s_waitcnt vmcnt(2)
	v_fma_f64 v[128:129], v[140:141], v[146:147], v[2:3]
	ds_load_b128 v[124:127], v1 offset:896
	ds_load_b128 v[1:4], v1 offset:912
	s_waitcnt lgkmcnt(1)
	v_fma_f64 v[124:125], v[142:143], v[124:125], v[128:129]
	s_waitcnt vmcnt(1)
	s_delay_alu instid0(VALU_DEP_1) | instskip(SKIP_1) | instid1(VALU_DEP_1)
	v_fma_f64 v[124:125], v[132:133], v[126:127], v[124:125]
	s_waitcnt lgkmcnt(0)
	v_fma_f64 v[1:2], v[134:135], v[1:2], v[124:125]
	s_waitcnt vmcnt(0)
	s_delay_alu instid0(VALU_DEP_1) | instskip(NEXT) | instid1(VALU_DEP_1)
	v_fma_f64 v[1:2], v[148:149], v[3:4], v[1:2]
	v_add_f64 v[1:2], v[122:123], -v[1:2]
	scratch_store_b64 off, v[1:2], off offset:200
	v_cmpx_lt_u32_e32 24, v0
	s_cbranch_execz .LBB57_309
; %bb.308:
	scratch_load_b64 v[1:2], off, off offset:192
	v_mov_b32_e32 v3, 0
	s_delay_alu instid0(VALU_DEP_1)
	v_mov_b32_e32 v4, v3
	scratch_store_b64 off, v[3:4], off offset:192
	s_waitcnt vmcnt(0)
	ds_store_b64 v5, v[1:2]
.LBB57_309:
	s_or_b32 exec_lo, exec_lo, s0
	s_waitcnt lgkmcnt(0)
	s_waitcnt_vscnt null, 0x0
	s_barrier
	buffer_gl0_inv
	s_clause 0x4
	scratch_load_b128 v[122:125], off, off offset:192
	scratch_load_b128 v[126:129], off, off offset:208
	;; [unrolled: 1-line block ×5, first 2 shown]
	v_mov_b32_e32 v1, 0
	ds_load_2addr_b64 v[142:145], v1 offset0:83 offset1:84
	ds_load_2addr_b64 v[146:149], v1 offset0:85 offset1:86
	scratch_load_b128 v[150:153], off, off offset:272
	s_mov_b32 s0, exec_lo
	s_waitcnt vmcnt(5) lgkmcnt(1)
	v_fma_f64 v[2:3], v[124:125], v[142:143], 0
	s_waitcnt vmcnt(4)
	s_delay_alu instid0(VALU_DEP_1) | instskip(SKIP_4) | instid1(VALU_DEP_1)
	v_fma_f64 v[2:3], v[126:127], v[144:145], v[2:3]
	scratch_load_b128 v[124:127], off, off offset:288
	s_waitcnt lgkmcnt(0)
	v_fma_f64 v[2:3], v[128:129], v[146:147], v[2:3]
	s_waitcnt vmcnt(4)
	v_fma_f64 v[2:3], v[130:131], v[148:149], v[2:3]
	ds_load_2addr_b64 v[128:131], v1 offset0:87 offset1:88
	ds_load_2addr_b64 v[142:145], v1 offset0:89 offset1:90
	scratch_load_b128 v[146:149], off, off offset:304
	s_waitcnt lgkmcnt(1)
	v_fma_f64 v[2:3], v[132:133], v[128:129], v[2:3]
	s_waitcnt vmcnt(4)
	s_delay_alu instid0(VALU_DEP_1) | instskip(SKIP_4) | instid1(VALU_DEP_1)
	v_fma_f64 v[2:3], v[134:135], v[130:131], v[2:3]
	scratch_load_b128 v[128:131], off, off offset:320
	s_waitcnt lgkmcnt(0)
	v_fma_f64 v[2:3], v[136:137], v[142:143], v[2:3]
	s_waitcnt vmcnt(4)
	v_fma_f64 v[2:3], v[138:139], v[144:145], v[2:3]
	ds_load_2addr_b64 v[132:135], v1 offset0:91 offset1:92
	ds_load_2addr_b64 v[136:139], v1 offset0:93 offset1:94
	s_waitcnt lgkmcnt(1)
	v_fma_f64 v[2:3], v[140:141], v[132:133], v[2:3]
	scratch_load_b128 v[140:143], off, off offset:336
	s_waitcnt vmcnt(4)
	v_fma_f64 v[2:3], v[150:151], v[134:135], v[2:3]
	scratch_load_b128 v[132:135], off, off offset:352
	s_waitcnt lgkmcnt(0)
	v_fma_f64 v[2:3], v[152:153], v[136:137], v[2:3]
	s_waitcnt vmcnt(4)
	s_delay_alu instid0(VALU_DEP_1)
	v_fma_f64 v[2:3], v[124:125], v[138:139], v[2:3]
	ds_load_2addr_b64 v[136:139], v1 offset0:95 offset1:96
	ds_load_2addr_b64 v[150:153], v1 offset0:97 offset1:98
	s_waitcnt lgkmcnt(1)
	v_fma_f64 v[2:3], v[126:127], v[136:137], v[2:3]
	scratch_load_b128 v[124:127], off, off offset:368
	s_waitcnt vmcnt(4)
	v_fma_f64 v[2:3], v[146:147], v[138:139], v[2:3]
	scratch_load_b128 v[136:139], off, off offset:384
	s_waitcnt lgkmcnt(0)
	v_fma_f64 v[2:3], v[148:149], v[150:151], v[2:3]
	ds_load_2addr_b64 v[144:147], v1 offset0:99 offset1:100
	ds_load_2addr_b64 v[148:151], v1 offset0:101 offset1:102
	s_waitcnt vmcnt(4)
	v_fma_f64 v[2:3], v[128:129], v[152:153], v[2:3]
	s_waitcnt lgkmcnt(1)
	s_delay_alu instid0(VALU_DEP_1) | instskip(SKIP_4) | instid1(VALU_DEP_1)
	v_fma_f64 v[2:3], v[130:131], v[144:145], v[2:3]
	scratch_load_b128 v[128:131], off, off offset:400
	s_waitcnt vmcnt(4)
	v_fma_f64 v[2:3], v[140:141], v[146:147], v[2:3]
	s_waitcnt lgkmcnt(0)
	v_fma_f64 v[2:3], v[142:143], v[148:149], v[2:3]
	scratch_load_b128 v[140:143], off, off offset:416
	s_waitcnt vmcnt(4)
	v_fma_f64 v[2:3], v[132:133], v[150:151], v[2:3]
	ds_load_2addr_b64 v[144:147], v1 offset0:103 offset1:104
	ds_load_2addr_b64 v[148:151], v1 offset0:105 offset1:106
	s_waitcnt lgkmcnt(1)
	v_fma_f64 v[2:3], v[134:135], v[144:145], v[2:3]
	scratch_load_b128 v[132:135], off, off offset:432
	s_waitcnt vmcnt(4)
	v_fma_f64 v[2:3], v[124:125], v[146:147], v[2:3]
	s_waitcnt lgkmcnt(0)
	s_delay_alu instid0(VALU_DEP_1)
	v_fma_f64 v[2:3], v[126:127], v[148:149], v[2:3]
	scratch_load_b128 v[124:127], off, off offset:448
	s_waitcnt vmcnt(4)
	v_fma_f64 v[2:3], v[136:137], v[150:151], v[2:3]
	ds_load_2addr_b64 v[144:147], v1 offset0:107 offset1:108
	ds_load_2addr_b64 v[148:151], v1 offset0:109 offset1:110
	s_waitcnt lgkmcnt(1)
	v_fma_f64 v[2:3], v[138:139], v[144:145], v[2:3]
	s_waitcnt vmcnt(3)
	s_delay_alu instid0(VALU_DEP_1) | instskip(SKIP_1) | instid1(VALU_DEP_1)
	v_fma_f64 v[2:3], v[128:129], v[146:147], v[2:3]
	s_waitcnt lgkmcnt(0)
	v_fma_f64 v[2:3], v[130:131], v[148:149], v[2:3]
	ds_load_2addr_b64 v[128:131], v1 offset0:111 offset1:112
	ds_load_2addr_b64 v[136:139], v1 offset0:113 offset1:114
	s_waitcnt vmcnt(2)
	v_fma_f64 v[2:3], v[140:141], v[150:151], v[2:3]
	s_waitcnt lgkmcnt(1)
	s_delay_alu instid0(VALU_DEP_1) | instskip(SKIP_1) | instid1(VALU_DEP_1)
	v_fma_f64 v[2:3], v[142:143], v[128:129], v[2:3]
	s_waitcnt vmcnt(1)
	v_fma_f64 v[2:3], v[132:133], v[130:131], v[2:3]
	s_waitcnt lgkmcnt(0)
	s_delay_alu instid0(VALU_DEP_1) | instskip(SKIP_1) | instid1(VALU_DEP_1)
	v_fma_f64 v[2:3], v[134:135], v[136:137], v[2:3]
	s_waitcnt vmcnt(0)
	v_fma_f64 v[2:3], v[124:125], v[138:139], v[2:3]
	ds_load_b64 v[124:125], v1 offset:920
	s_waitcnt lgkmcnt(0)
	v_fma_f64 v[2:3], v[126:127], v[124:125], v[2:3]
	s_delay_alu instid0(VALU_DEP_1)
	v_add_f64 v[2:3], v[122:123], -v[2:3]
	scratch_store_b64 off, v[2:3], off offset:192
	v_cmpx_lt_u32_e32 23, v0
	s_cbranch_execz .LBB57_311
; %bb.310:
	scratch_load_b64 v[3:4], off, off offset:184
	v_mov_b32_e32 v2, v1
	scratch_store_b64 off, v[1:2], off offset:184
	s_waitcnt vmcnt(0)
	ds_store_b64 v5, v[3:4]
.LBB57_311:
	s_or_b32 exec_lo, exec_lo, s0
	s_waitcnt lgkmcnt(0)
	s_waitcnt_vscnt null, 0x0
	s_barrier
	buffer_gl0_inv
	s_clause 0x4
	scratch_load_b128 v[122:125], off, off offset:184
	scratch_load_b128 v[126:129], off, off offset:200
	;; [unrolled: 1-line block ×5, first 2 shown]
	ds_load_b128 v[142:145], v1 offset:656
	ds_load_b128 v[146:149], v1 offset:672
	scratch_load_b128 v[150:153], off, off offset:264
	s_mov_b32 s0, exec_lo
	s_waitcnt vmcnt(5) lgkmcnt(1)
	v_fma_f64 v[2:3], v[124:125], v[142:143], 0
	s_waitcnt vmcnt(4)
	s_delay_alu instid0(VALU_DEP_1) | instskip(SKIP_4) | instid1(VALU_DEP_1)
	v_fma_f64 v[2:3], v[126:127], v[144:145], v[2:3]
	scratch_load_b128 v[124:127], off, off offset:280
	s_waitcnt lgkmcnt(0)
	v_fma_f64 v[2:3], v[128:129], v[146:147], v[2:3]
	s_waitcnt vmcnt(4)
	v_fma_f64 v[2:3], v[130:131], v[148:149], v[2:3]
	ds_load_b128 v[128:131], v1 offset:688
	ds_load_b128 v[142:145], v1 offset:704
	scratch_load_b128 v[146:149], off, off offset:296
	s_waitcnt lgkmcnt(1)
	v_fma_f64 v[2:3], v[132:133], v[128:129], v[2:3]
	s_waitcnt vmcnt(4)
	s_delay_alu instid0(VALU_DEP_1) | instskip(SKIP_4) | instid1(VALU_DEP_1)
	v_fma_f64 v[2:3], v[134:135], v[130:131], v[2:3]
	scratch_load_b128 v[128:131], off, off offset:312
	s_waitcnt lgkmcnt(0)
	v_fma_f64 v[2:3], v[136:137], v[142:143], v[2:3]
	s_waitcnt vmcnt(4)
	v_fma_f64 v[2:3], v[138:139], v[144:145], v[2:3]
	ds_load_b128 v[132:135], v1 offset:720
	ds_load_b128 v[136:139], v1 offset:736
	s_waitcnt lgkmcnt(1)
	v_fma_f64 v[2:3], v[140:141], v[132:133], v[2:3]
	scratch_load_b128 v[140:143], off, off offset:328
	s_waitcnt vmcnt(4)
	v_fma_f64 v[2:3], v[150:151], v[134:135], v[2:3]
	scratch_load_b128 v[132:135], off, off offset:344
	s_waitcnt lgkmcnt(0)
	v_fma_f64 v[2:3], v[152:153], v[136:137], v[2:3]
	s_waitcnt vmcnt(4)
	s_delay_alu instid0(VALU_DEP_1)
	v_fma_f64 v[2:3], v[124:125], v[138:139], v[2:3]
	ds_load_b128 v[136:139], v1 offset:752
	ds_load_b128 v[150:153], v1 offset:768
	s_waitcnt lgkmcnt(1)
	v_fma_f64 v[2:3], v[126:127], v[136:137], v[2:3]
	scratch_load_b128 v[124:127], off, off offset:360
	s_waitcnt vmcnt(4)
	v_fma_f64 v[2:3], v[146:147], v[138:139], v[2:3]
	scratch_load_b128 v[136:139], off, off offset:376
	s_waitcnt lgkmcnt(0)
	v_fma_f64 v[2:3], v[148:149], v[150:151], v[2:3]
	ds_load_b128 v[144:147], v1 offset:784
	ds_load_b128 v[148:151], v1 offset:800
	s_waitcnt vmcnt(4)
	v_fma_f64 v[2:3], v[128:129], v[152:153], v[2:3]
	s_waitcnt lgkmcnt(1)
	s_delay_alu instid0(VALU_DEP_1) | instskip(SKIP_4) | instid1(VALU_DEP_1)
	v_fma_f64 v[2:3], v[130:131], v[144:145], v[2:3]
	scratch_load_b128 v[128:131], off, off offset:392
	s_waitcnt vmcnt(4)
	v_fma_f64 v[2:3], v[140:141], v[146:147], v[2:3]
	s_waitcnt lgkmcnt(0)
	v_fma_f64 v[2:3], v[142:143], v[148:149], v[2:3]
	scratch_load_b128 v[140:143], off, off offset:408
	s_waitcnt vmcnt(4)
	v_fma_f64 v[2:3], v[132:133], v[150:151], v[2:3]
	ds_load_b128 v[144:147], v1 offset:816
	ds_load_b128 v[148:151], v1 offset:832
	s_waitcnt lgkmcnt(1)
	v_fma_f64 v[2:3], v[134:135], v[144:145], v[2:3]
	scratch_load_b128 v[132:135], off, off offset:424
	s_waitcnt vmcnt(4)
	v_fma_f64 v[2:3], v[124:125], v[146:147], v[2:3]
	s_waitcnt lgkmcnt(0)
	s_delay_alu instid0(VALU_DEP_1)
	v_fma_f64 v[2:3], v[126:127], v[148:149], v[2:3]
	scratch_load_b128 v[124:127], off, off offset:440
	s_waitcnt vmcnt(4)
	v_fma_f64 v[2:3], v[136:137], v[150:151], v[2:3]
	ds_load_b128 v[144:147], v1 offset:848
	ds_load_b128 v[148:151], v1 offset:864
	s_waitcnt lgkmcnt(1)
	v_fma_f64 v[2:3], v[138:139], v[144:145], v[2:3]
	scratch_load_b64 v[144:145], off, off offset:456
	s_waitcnt vmcnt(4)
	v_fma_f64 v[2:3], v[128:129], v[146:147], v[2:3]
	s_waitcnt lgkmcnt(0)
	s_delay_alu instid0(VALU_DEP_1)
	v_fma_f64 v[2:3], v[130:131], v[148:149], v[2:3]
	ds_load_b128 v[128:131], v1 offset:880
	ds_load_b128 v[136:139], v1 offset:896
	s_waitcnt vmcnt(3)
	v_fma_f64 v[2:3], v[140:141], v[150:151], v[2:3]
	s_waitcnt lgkmcnt(1)
	s_delay_alu instid0(VALU_DEP_1) | instskip(SKIP_1) | instid1(VALU_DEP_1)
	v_fma_f64 v[2:3], v[142:143], v[128:129], v[2:3]
	s_waitcnt vmcnt(2)
	v_fma_f64 v[2:3], v[132:133], v[130:131], v[2:3]
	s_waitcnt lgkmcnt(0)
	s_delay_alu instid0(VALU_DEP_1) | instskip(SKIP_1) | instid1(VALU_DEP_1)
	v_fma_f64 v[2:3], v[134:135], v[136:137], v[2:3]
	s_waitcnt vmcnt(1)
	v_fma_f64 v[124:125], v[124:125], v[138:139], v[2:3]
	ds_load_b128 v[1:4], v1 offset:912
	s_waitcnt lgkmcnt(0)
	v_fma_f64 v[1:2], v[126:127], v[1:2], v[124:125]
	s_waitcnt vmcnt(0)
	s_delay_alu instid0(VALU_DEP_1) | instskip(NEXT) | instid1(VALU_DEP_1)
	v_fma_f64 v[1:2], v[144:145], v[3:4], v[1:2]
	v_add_f64 v[1:2], v[122:123], -v[1:2]
	scratch_store_b64 off, v[1:2], off offset:184
	v_cmpx_lt_u32_e32 22, v0
	s_cbranch_execz .LBB57_313
; %bb.312:
	scratch_load_b64 v[1:2], off, off offset:176
	v_mov_b32_e32 v3, 0
	s_delay_alu instid0(VALU_DEP_1)
	v_mov_b32_e32 v4, v3
	scratch_store_b64 off, v[3:4], off offset:176
	s_waitcnt vmcnt(0)
	ds_store_b64 v5, v[1:2]
.LBB57_313:
	s_or_b32 exec_lo, exec_lo, s0
	s_waitcnt lgkmcnt(0)
	s_waitcnt_vscnt null, 0x0
	s_barrier
	buffer_gl0_inv
	s_clause 0x4
	scratch_load_b128 v[122:125], off, off offset:176
	scratch_load_b128 v[126:129], off, off offset:192
	;; [unrolled: 1-line block ×5, first 2 shown]
	v_mov_b32_e32 v1, 0
	ds_load_2addr_b64 v[142:145], v1 offset0:81 offset1:82
	ds_load_2addr_b64 v[146:149], v1 offset0:83 offset1:84
	scratch_load_b128 v[150:153], off, off offset:256
	s_mov_b32 s0, exec_lo
	s_waitcnt vmcnt(5) lgkmcnt(1)
	v_fma_f64 v[2:3], v[124:125], v[142:143], 0
	s_waitcnt vmcnt(4)
	s_delay_alu instid0(VALU_DEP_1) | instskip(SKIP_4) | instid1(VALU_DEP_1)
	v_fma_f64 v[2:3], v[126:127], v[144:145], v[2:3]
	scratch_load_b128 v[124:127], off, off offset:272
	s_waitcnt lgkmcnt(0)
	v_fma_f64 v[2:3], v[128:129], v[146:147], v[2:3]
	s_waitcnt vmcnt(4)
	v_fma_f64 v[2:3], v[130:131], v[148:149], v[2:3]
	ds_load_2addr_b64 v[128:131], v1 offset0:85 offset1:86
	ds_load_2addr_b64 v[142:145], v1 offset0:87 offset1:88
	scratch_load_b128 v[146:149], off, off offset:288
	s_waitcnt lgkmcnt(1)
	v_fma_f64 v[2:3], v[132:133], v[128:129], v[2:3]
	s_waitcnt vmcnt(4)
	s_delay_alu instid0(VALU_DEP_1) | instskip(SKIP_4) | instid1(VALU_DEP_1)
	v_fma_f64 v[2:3], v[134:135], v[130:131], v[2:3]
	scratch_load_b128 v[128:131], off, off offset:304
	s_waitcnt lgkmcnt(0)
	v_fma_f64 v[2:3], v[136:137], v[142:143], v[2:3]
	s_waitcnt vmcnt(4)
	v_fma_f64 v[2:3], v[138:139], v[144:145], v[2:3]
	ds_load_2addr_b64 v[132:135], v1 offset0:89 offset1:90
	ds_load_2addr_b64 v[136:139], v1 offset0:91 offset1:92
	s_waitcnt lgkmcnt(1)
	v_fma_f64 v[2:3], v[140:141], v[132:133], v[2:3]
	scratch_load_b128 v[140:143], off, off offset:320
	s_waitcnt vmcnt(4)
	v_fma_f64 v[2:3], v[150:151], v[134:135], v[2:3]
	scratch_load_b128 v[132:135], off, off offset:336
	s_waitcnt lgkmcnt(0)
	v_fma_f64 v[2:3], v[152:153], v[136:137], v[2:3]
	s_waitcnt vmcnt(4)
	s_delay_alu instid0(VALU_DEP_1)
	v_fma_f64 v[2:3], v[124:125], v[138:139], v[2:3]
	ds_load_2addr_b64 v[136:139], v1 offset0:93 offset1:94
	ds_load_2addr_b64 v[150:153], v1 offset0:95 offset1:96
	s_waitcnt lgkmcnt(1)
	v_fma_f64 v[2:3], v[126:127], v[136:137], v[2:3]
	scratch_load_b128 v[124:127], off, off offset:352
	s_waitcnt vmcnt(4)
	v_fma_f64 v[2:3], v[146:147], v[138:139], v[2:3]
	scratch_load_b128 v[136:139], off, off offset:368
	s_waitcnt lgkmcnt(0)
	v_fma_f64 v[2:3], v[148:149], v[150:151], v[2:3]
	ds_load_2addr_b64 v[144:147], v1 offset0:97 offset1:98
	ds_load_2addr_b64 v[148:151], v1 offset0:99 offset1:100
	s_waitcnt vmcnt(4)
	v_fma_f64 v[2:3], v[128:129], v[152:153], v[2:3]
	s_waitcnt lgkmcnt(1)
	s_delay_alu instid0(VALU_DEP_1) | instskip(SKIP_4) | instid1(VALU_DEP_1)
	v_fma_f64 v[2:3], v[130:131], v[144:145], v[2:3]
	scratch_load_b128 v[128:131], off, off offset:384
	s_waitcnt vmcnt(4)
	v_fma_f64 v[2:3], v[140:141], v[146:147], v[2:3]
	s_waitcnt lgkmcnt(0)
	v_fma_f64 v[2:3], v[142:143], v[148:149], v[2:3]
	scratch_load_b128 v[140:143], off, off offset:400
	s_waitcnt vmcnt(4)
	v_fma_f64 v[2:3], v[132:133], v[150:151], v[2:3]
	ds_load_2addr_b64 v[144:147], v1 offset0:101 offset1:102
	ds_load_2addr_b64 v[148:151], v1 offset0:103 offset1:104
	s_waitcnt lgkmcnt(1)
	v_fma_f64 v[2:3], v[134:135], v[144:145], v[2:3]
	scratch_load_b128 v[132:135], off, off offset:416
	s_waitcnt vmcnt(4)
	v_fma_f64 v[2:3], v[124:125], v[146:147], v[2:3]
	s_waitcnt lgkmcnt(0)
	s_delay_alu instid0(VALU_DEP_1)
	v_fma_f64 v[2:3], v[126:127], v[148:149], v[2:3]
	scratch_load_b128 v[124:127], off, off offset:432
	s_waitcnt vmcnt(4)
	v_fma_f64 v[2:3], v[136:137], v[150:151], v[2:3]
	ds_load_2addr_b64 v[144:147], v1 offset0:105 offset1:106
	ds_load_2addr_b64 v[148:151], v1 offset0:107 offset1:108
	s_waitcnt lgkmcnt(1)
	v_fma_f64 v[2:3], v[138:139], v[144:145], v[2:3]
	scratch_load_b128 v[136:139], off, off offset:448
	s_waitcnt vmcnt(4)
	v_fma_f64 v[2:3], v[128:129], v[146:147], v[2:3]
	s_waitcnt lgkmcnt(0)
	s_delay_alu instid0(VALU_DEP_1)
	v_fma_f64 v[2:3], v[130:131], v[148:149], v[2:3]
	ds_load_2addr_b64 v[128:131], v1 offset0:109 offset1:110
	ds_load_2addr_b64 v[144:147], v1 offset0:111 offset1:112
	s_waitcnt vmcnt(3)
	v_fma_f64 v[2:3], v[140:141], v[150:151], v[2:3]
	s_waitcnt lgkmcnt(1)
	s_delay_alu instid0(VALU_DEP_1) | instskip(SKIP_1) | instid1(VALU_DEP_1)
	v_fma_f64 v[2:3], v[142:143], v[128:129], v[2:3]
	s_waitcnt vmcnt(2)
	v_fma_f64 v[2:3], v[132:133], v[130:131], v[2:3]
	s_waitcnt lgkmcnt(0)
	s_delay_alu instid0(VALU_DEP_1) | instskip(SKIP_1) | instid1(VALU_DEP_1)
	v_fma_f64 v[2:3], v[134:135], v[144:145], v[2:3]
	s_waitcnt vmcnt(1)
	v_fma_f64 v[2:3], v[124:125], v[146:147], v[2:3]
	ds_load_2addr_b64 v[128:131], v1 offset0:113 offset1:114
	ds_load_b64 v[124:125], v1 offset:920
	s_waitcnt lgkmcnt(1)
	v_fma_f64 v[2:3], v[126:127], v[128:129], v[2:3]
	s_waitcnt vmcnt(0)
	s_delay_alu instid0(VALU_DEP_1) | instskip(SKIP_1) | instid1(VALU_DEP_1)
	v_fma_f64 v[2:3], v[136:137], v[130:131], v[2:3]
	s_waitcnt lgkmcnt(0)
	v_fma_f64 v[2:3], v[138:139], v[124:125], v[2:3]
	s_delay_alu instid0(VALU_DEP_1)
	v_add_f64 v[2:3], v[122:123], -v[2:3]
	scratch_store_b64 off, v[2:3], off offset:176
	v_cmpx_lt_u32_e32 21, v0
	s_cbranch_execz .LBB57_315
; %bb.314:
	scratch_load_b64 v[3:4], off, off offset:168
	v_mov_b32_e32 v2, v1
	scratch_store_b64 off, v[1:2], off offset:168
	s_waitcnt vmcnt(0)
	ds_store_b64 v5, v[3:4]
.LBB57_315:
	s_or_b32 exec_lo, exec_lo, s0
	s_waitcnt lgkmcnt(0)
	s_waitcnt_vscnt null, 0x0
	s_barrier
	buffer_gl0_inv
	s_clause 0x4
	scratch_load_b128 v[122:125], off, off offset:168
	scratch_load_b128 v[126:129], off, off offset:184
	;; [unrolled: 1-line block ×5, first 2 shown]
	ds_load_b128 v[142:145], v1 offset:640
	ds_load_b128 v[146:149], v1 offset:656
	scratch_load_b128 v[150:153], off, off offset:248
	s_mov_b32 s0, exec_lo
	s_waitcnt vmcnt(5) lgkmcnt(1)
	v_fma_f64 v[2:3], v[124:125], v[142:143], 0
	s_waitcnt vmcnt(4)
	s_delay_alu instid0(VALU_DEP_1) | instskip(SKIP_4) | instid1(VALU_DEP_1)
	v_fma_f64 v[2:3], v[126:127], v[144:145], v[2:3]
	scratch_load_b128 v[124:127], off, off offset:264
	s_waitcnt lgkmcnt(0)
	v_fma_f64 v[2:3], v[128:129], v[146:147], v[2:3]
	s_waitcnt vmcnt(4)
	v_fma_f64 v[2:3], v[130:131], v[148:149], v[2:3]
	ds_load_b128 v[128:131], v1 offset:672
	ds_load_b128 v[142:145], v1 offset:688
	scratch_load_b128 v[146:149], off, off offset:280
	s_waitcnt lgkmcnt(1)
	v_fma_f64 v[2:3], v[132:133], v[128:129], v[2:3]
	s_waitcnt vmcnt(4)
	s_delay_alu instid0(VALU_DEP_1) | instskip(SKIP_4) | instid1(VALU_DEP_1)
	v_fma_f64 v[2:3], v[134:135], v[130:131], v[2:3]
	scratch_load_b128 v[128:131], off, off offset:296
	s_waitcnt lgkmcnt(0)
	v_fma_f64 v[2:3], v[136:137], v[142:143], v[2:3]
	s_waitcnt vmcnt(4)
	v_fma_f64 v[2:3], v[138:139], v[144:145], v[2:3]
	ds_load_b128 v[132:135], v1 offset:704
	ds_load_b128 v[136:139], v1 offset:720
	s_waitcnt lgkmcnt(1)
	v_fma_f64 v[2:3], v[140:141], v[132:133], v[2:3]
	scratch_load_b128 v[140:143], off, off offset:312
	s_waitcnt vmcnt(4)
	v_fma_f64 v[2:3], v[150:151], v[134:135], v[2:3]
	scratch_load_b128 v[132:135], off, off offset:328
	s_waitcnt lgkmcnt(0)
	v_fma_f64 v[2:3], v[152:153], v[136:137], v[2:3]
	s_waitcnt vmcnt(4)
	s_delay_alu instid0(VALU_DEP_1)
	v_fma_f64 v[2:3], v[124:125], v[138:139], v[2:3]
	ds_load_b128 v[136:139], v1 offset:736
	ds_load_b128 v[150:153], v1 offset:752
	s_waitcnt lgkmcnt(1)
	v_fma_f64 v[2:3], v[126:127], v[136:137], v[2:3]
	scratch_load_b128 v[124:127], off, off offset:344
	s_waitcnt vmcnt(4)
	v_fma_f64 v[2:3], v[146:147], v[138:139], v[2:3]
	scratch_load_b128 v[136:139], off, off offset:360
	s_waitcnt lgkmcnt(0)
	v_fma_f64 v[2:3], v[148:149], v[150:151], v[2:3]
	ds_load_b128 v[144:147], v1 offset:768
	ds_load_b128 v[148:151], v1 offset:784
	s_waitcnt vmcnt(4)
	v_fma_f64 v[2:3], v[128:129], v[152:153], v[2:3]
	s_waitcnt lgkmcnt(1)
	s_delay_alu instid0(VALU_DEP_1) | instskip(SKIP_4) | instid1(VALU_DEP_1)
	v_fma_f64 v[2:3], v[130:131], v[144:145], v[2:3]
	scratch_load_b128 v[128:131], off, off offset:376
	s_waitcnt vmcnt(4)
	v_fma_f64 v[2:3], v[140:141], v[146:147], v[2:3]
	s_waitcnt lgkmcnt(0)
	v_fma_f64 v[2:3], v[142:143], v[148:149], v[2:3]
	scratch_load_b128 v[140:143], off, off offset:392
	s_waitcnt vmcnt(4)
	v_fma_f64 v[2:3], v[132:133], v[150:151], v[2:3]
	ds_load_b128 v[144:147], v1 offset:800
	ds_load_b128 v[148:151], v1 offset:816
	s_waitcnt lgkmcnt(1)
	v_fma_f64 v[2:3], v[134:135], v[144:145], v[2:3]
	scratch_load_b128 v[132:135], off, off offset:408
	s_waitcnt vmcnt(4)
	v_fma_f64 v[2:3], v[124:125], v[146:147], v[2:3]
	s_waitcnt lgkmcnt(0)
	s_delay_alu instid0(VALU_DEP_1)
	v_fma_f64 v[2:3], v[126:127], v[148:149], v[2:3]
	scratch_load_b128 v[124:127], off, off offset:424
	s_waitcnt vmcnt(4)
	v_fma_f64 v[2:3], v[136:137], v[150:151], v[2:3]
	ds_load_b128 v[144:147], v1 offset:832
	ds_load_b128 v[148:151], v1 offset:848
	s_waitcnt lgkmcnt(1)
	v_fma_f64 v[2:3], v[138:139], v[144:145], v[2:3]
	scratch_load_b128 v[136:139], off, off offset:440
	s_waitcnt vmcnt(4)
	v_fma_f64 v[2:3], v[128:129], v[146:147], v[2:3]
	s_waitcnt lgkmcnt(0)
	s_delay_alu instid0(VALU_DEP_1)
	v_fma_f64 v[2:3], v[130:131], v[148:149], v[2:3]
	scratch_load_b64 v[148:149], off, off offset:456
	ds_load_b128 v[128:131], v1 offset:864
	ds_load_b128 v[144:147], v1 offset:880
	s_waitcnt vmcnt(4)
	v_fma_f64 v[2:3], v[140:141], v[150:151], v[2:3]
	s_waitcnt lgkmcnt(1)
	s_delay_alu instid0(VALU_DEP_1) | instskip(SKIP_1) | instid1(VALU_DEP_1)
	v_fma_f64 v[2:3], v[142:143], v[128:129], v[2:3]
	s_waitcnt vmcnt(3)
	v_fma_f64 v[2:3], v[132:133], v[130:131], v[2:3]
	s_waitcnt lgkmcnt(0)
	s_delay_alu instid0(VALU_DEP_1) | instskip(SKIP_1) | instid1(VALU_DEP_1)
	v_fma_f64 v[2:3], v[134:135], v[144:145], v[2:3]
	s_waitcnt vmcnt(2)
	v_fma_f64 v[124:125], v[124:125], v[146:147], v[2:3]
	ds_load_b128 v[128:131], v1 offset:896
	ds_load_b128 v[1:4], v1 offset:912
	s_waitcnt lgkmcnt(1)
	v_fma_f64 v[124:125], v[126:127], v[128:129], v[124:125]
	s_waitcnt vmcnt(1)
	s_delay_alu instid0(VALU_DEP_1) | instskip(SKIP_1) | instid1(VALU_DEP_1)
	v_fma_f64 v[124:125], v[136:137], v[130:131], v[124:125]
	s_waitcnt lgkmcnt(0)
	v_fma_f64 v[1:2], v[138:139], v[1:2], v[124:125]
	s_waitcnt vmcnt(0)
	s_delay_alu instid0(VALU_DEP_1) | instskip(NEXT) | instid1(VALU_DEP_1)
	v_fma_f64 v[1:2], v[148:149], v[3:4], v[1:2]
	v_add_f64 v[1:2], v[122:123], -v[1:2]
	scratch_store_b64 off, v[1:2], off offset:168
	v_cmpx_lt_u32_e32 20, v0
	s_cbranch_execz .LBB57_317
; %bb.316:
	scratch_load_b64 v[1:2], off, off offset:160
	v_mov_b32_e32 v3, 0
	s_delay_alu instid0(VALU_DEP_1)
	v_mov_b32_e32 v4, v3
	scratch_store_b64 off, v[3:4], off offset:160
	s_waitcnt vmcnt(0)
	ds_store_b64 v5, v[1:2]
.LBB57_317:
	s_or_b32 exec_lo, exec_lo, s0
	s_waitcnt lgkmcnt(0)
	s_waitcnt_vscnt null, 0x0
	s_barrier
	buffer_gl0_inv
	s_clause 0x4
	scratch_load_b128 v[122:125], off, off offset:160
	scratch_load_b128 v[126:129], off, off offset:176
	scratch_load_b128 v[130:133], off, off offset:192
	scratch_load_b128 v[134:137], off, off offset:208
	scratch_load_b128 v[138:141], off, off offset:224
	v_mov_b32_e32 v1, 0
	ds_load_2addr_b64 v[142:145], v1 offset0:79 offset1:80
	ds_load_2addr_b64 v[146:149], v1 offset0:81 offset1:82
	scratch_load_b128 v[150:153], off, off offset:240
	s_mov_b32 s0, exec_lo
	s_waitcnt vmcnt(5) lgkmcnt(1)
	v_fma_f64 v[2:3], v[124:125], v[142:143], 0
	s_waitcnt vmcnt(4)
	s_delay_alu instid0(VALU_DEP_1) | instskip(SKIP_4) | instid1(VALU_DEP_1)
	v_fma_f64 v[2:3], v[126:127], v[144:145], v[2:3]
	scratch_load_b128 v[124:127], off, off offset:256
	s_waitcnt lgkmcnt(0)
	v_fma_f64 v[2:3], v[128:129], v[146:147], v[2:3]
	s_waitcnt vmcnt(4)
	v_fma_f64 v[2:3], v[130:131], v[148:149], v[2:3]
	ds_load_2addr_b64 v[128:131], v1 offset0:83 offset1:84
	ds_load_2addr_b64 v[142:145], v1 offset0:85 offset1:86
	scratch_load_b128 v[146:149], off, off offset:272
	s_waitcnt lgkmcnt(1)
	v_fma_f64 v[2:3], v[132:133], v[128:129], v[2:3]
	s_waitcnt vmcnt(4)
	s_delay_alu instid0(VALU_DEP_1) | instskip(SKIP_4) | instid1(VALU_DEP_1)
	v_fma_f64 v[2:3], v[134:135], v[130:131], v[2:3]
	scratch_load_b128 v[128:131], off, off offset:288
	s_waitcnt lgkmcnt(0)
	v_fma_f64 v[2:3], v[136:137], v[142:143], v[2:3]
	s_waitcnt vmcnt(4)
	v_fma_f64 v[2:3], v[138:139], v[144:145], v[2:3]
	ds_load_2addr_b64 v[132:135], v1 offset0:87 offset1:88
	ds_load_2addr_b64 v[136:139], v1 offset0:89 offset1:90
	s_waitcnt lgkmcnt(1)
	v_fma_f64 v[2:3], v[140:141], v[132:133], v[2:3]
	scratch_load_b128 v[140:143], off, off offset:304
	s_waitcnt vmcnt(4)
	v_fma_f64 v[2:3], v[150:151], v[134:135], v[2:3]
	scratch_load_b128 v[132:135], off, off offset:320
	s_waitcnt lgkmcnt(0)
	v_fma_f64 v[2:3], v[152:153], v[136:137], v[2:3]
	s_waitcnt vmcnt(4)
	s_delay_alu instid0(VALU_DEP_1)
	v_fma_f64 v[2:3], v[124:125], v[138:139], v[2:3]
	ds_load_2addr_b64 v[136:139], v1 offset0:91 offset1:92
	ds_load_2addr_b64 v[150:153], v1 offset0:93 offset1:94
	s_waitcnt lgkmcnt(1)
	v_fma_f64 v[2:3], v[126:127], v[136:137], v[2:3]
	scratch_load_b128 v[124:127], off, off offset:336
	s_waitcnt vmcnt(4)
	v_fma_f64 v[2:3], v[146:147], v[138:139], v[2:3]
	scratch_load_b128 v[136:139], off, off offset:352
	s_waitcnt lgkmcnt(0)
	v_fma_f64 v[2:3], v[148:149], v[150:151], v[2:3]
	ds_load_2addr_b64 v[144:147], v1 offset0:95 offset1:96
	ds_load_2addr_b64 v[148:151], v1 offset0:97 offset1:98
	s_waitcnt vmcnt(4)
	v_fma_f64 v[2:3], v[128:129], v[152:153], v[2:3]
	s_waitcnt lgkmcnt(1)
	s_delay_alu instid0(VALU_DEP_1) | instskip(SKIP_4) | instid1(VALU_DEP_1)
	v_fma_f64 v[2:3], v[130:131], v[144:145], v[2:3]
	scratch_load_b128 v[128:131], off, off offset:368
	s_waitcnt vmcnt(4)
	v_fma_f64 v[2:3], v[140:141], v[146:147], v[2:3]
	s_waitcnt lgkmcnt(0)
	v_fma_f64 v[2:3], v[142:143], v[148:149], v[2:3]
	scratch_load_b128 v[140:143], off, off offset:384
	s_waitcnt vmcnt(4)
	v_fma_f64 v[2:3], v[132:133], v[150:151], v[2:3]
	ds_load_2addr_b64 v[144:147], v1 offset0:99 offset1:100
	ds_load_2addr_b64 v[148:151], v1 offset0:101 offset1:102
	s_waitcnt lgkmcnt(1)
	v_fma_f64 v[2:3], v[134:135], v[144:145], v[2:3]
	scratch_load_b128 v[132:135], off, off offset:400
	s_waitcnt vmcnt(4)
	v_fma_f64 v[2:3], v[124:125], v[146:147], v[2:3]
	s_waitcnt lgkmcnt(0)
	s_delay_alu instid0(VALU_DEP_1)
	v_fma_f64 v[2:3], v[126:127], v[148:149], v[2:3]
	scratch_load_b128 v[124:127], off, off offset:416
	s_waitcnt vmcnt(4)
	v_fma_f64 v[2:3], v[136:137], v[150:151], v[2:3]
	ds_load_2addr_b64 v[144:147], v1 offset0:103 offset1:104
	ds_load_2addr_b64 v[148:151], v1 offset0:105 offset1:106
	s_waitcnt lgkmcnt(1)
	v_fma_f64 v[2:3], v[138:139], v[144:145], v[2:3]
	scratch_load_b128 v[136:139], off, off offset:432
	s_waitcnt vmcnt(4)
	v_fma_f64 v[2:3], v[128:129], v[146:147], v[2:3]
	s_waitcnt lgkmcnt(0)
	s_delay_alu instid0(VALU_DEP_1)
	v_fma_f64 v[2:3], v[130:131], v[148:149], v[2:3]
	scratch_load_b128 v[128:131], off, off offset:448
	s_waitcnt vmcnt(4)
	v_fma_f64 v[2:3], v[140:141], v[150:151], v[2:3]
	ds_load_2addr_b64 v[144:147], v1 offset0:107 offset1:108
	ds_load_2addr_b64 v[148:151], v1 offset0:109 offset1:110
	s_waitcnt lgkmcnt(1)
	v_fma_f64 v[2:3], v[142:143], v[144:145], v[2:3]
	s_waitcnt vmcnt(3)
	s_delay_alu instid0(VALU_DEP_1) | instskip(SKIP_1) | instid1(VALU_DEP_1)
	v_fma_f64 v[2:3], v[132:133], v[146:147], v[2:3]
	s_waitcnt lgkmcnt(0)
	v_fma_f64 v[2:3], v[134:135], v[148:149], v[2:3]
	ds_load_2addr_b64 v[132:135], v1 offset0:111 offset1:112
	ds_load_2addr_b64 v[140:143], v1 offset0:113 offset1:114
	s_waitcnt vmcnt(2)
	v_fma_f64 v[2:3], v[124:125], v[150:151], v[2:3]
	ds_load_b64 v[124:125], v1 offset:920
	s_waitcnt lgkmcnt(2)
	v_fma_f64 v[2:3], v[126:127], v[132:133], v[2:3]
	s_waitcnt vmcnt(1)
	s_delay_alu instid0(VALU_DEP_1) | instskip(SKIP_1) | instid1(VALU_DEP_1)
	v_fma_f64 v[2:3], v[136:137], v[134:135], v[2:3]
	s_waitcnt lgkmcnt(1)
	v_fma_f64 v[2:3], v[138:139], v[140:141], v[2:3]
	s_waitcnt vmcnt(0)
	s_delay_alu instid0(VALU_DEP_1) | instskip(SKIP_1) | instid1(VALU_DEP_1)
	v_fma_f64 v[2:3], v[128:129], v[142:143], v[2:3]
	s_waitcnt lgkmcnt(0)
	v_fma_f64 v[2:3], v[130:131], v[124:125], v[2:3]
	s_delay_alu instid0(VALU_DEP_1)
	v_add_f64 v[2:3], v[122:123], -v[2:3]
	scratch_store_b64 off, v[2:3], off offset:160
	v_cmpx_lt_u32_e32 19, v0
	s_cbranch_execz .LBB57_319
; %bb.318:
	scratch_load_b64 v[3:4], off, off offset:152
	v_mov_b32_e32 v2, v1
	scratch_store_b64 off, v[1:2], off offset:152
	s_waitcnt vmcnt(0)
	ds_store_b64 v5, v[3:4]
.LBB57_319:
	s_or_b32 exec_lo, exec_lo, s0
	s_waitcnt lgkmcnt(0)
	s_waitcnt_vscnt null, 0x0
	s_barrier
	buffer_gl0_inv
	s_clause 0x4
	scratch_load_b128 v[122:125], off, off offset:152
	scratch_load_b128 v[126:129], off, off offset:168
	;; [unrolled: 1-line block ×5, first 2 shown]
	ds_load_b128 v[142:145], v1 offset:624
	ds_load_b128 v[146:149], v1 offset:640
	scratch_load_b128 v[150:153], off, off offset:232
	s_mov_b32 s0, exec_lo
	s_waitcnt vmcnt(5) lgkmcnt(1)
	v_fma_f64 v[2:3], v[124:125], v[142:143], 0
	s_waitcnt vmcnt(4)
	s_delay_alu instid0(VALU_DEP_1) | instskip(SKIP_4) | instid1(VALU_DEP_1)
	v_fma_f64 v[2:3], v[126:127], v[144:145], v[2:3]
	scratch_load_b128 v[124:127], off, off offset:248
	s_waitcnt lgkmcnt(0)
	v_fma_f64 v[2:3], v[128:129], v[146:147], v[2:3]
	s_waitcnt vmcnt(4)
	v_fma_f64 v[2:3], v[130:131], v[148:149], v[2:3]
	ds_load_b128 v[128:131], v1 offset:656
	ds_load_b128 v[142:145], v1 offset:672
	scratch_load_b128 v[146:149], off, off offset:264
	s_waitcnt lgkmcnt(1)
	v_fma_f64 v[2:3], v[132:133], v[128:129], v[2:3]
	s_waitcnt vmcnt(4)
	s_delay_alu instid0(VALU_DEP_1) | instskip(SKIP_4) | instid1(VALU_DEP_1)
	v_fma_f64 v[2:3], v[134:135], v[130:131], v[2:3]
	scratch_load_b128 v[128:131], off, off offset:280
	s_waitcnt lgkmcnt(0)
	v_fma_f64 v[2:3], v[136:137], v[142:143], v[2:3]
	s_waitcnt vmcnt(4)
	v_fma_f64 v[2:3], v[138:139], v[144:145], v[2:3]
	ds_load_b128 v[132:135], v1 offset:688
	ds_load_b128 v[136:139], v1 offset:704
	s_waitcnt lgkmcnt(1)
	v_fma_f64 v[2:3], v[140:141], v[132:133], v[2:3]
	scratch_load_b128 v[140:143], off, off offset:296
	s_waitcnt vmcnt(4)
	v_fma_f64 v[2:3], v[150:151], v[134:135], v[2:3]
	scratch_load_b128 v[132:135], off, off offset:312
	s_waitcnt lgkmcnt(0)
	v_fma_f64 v[2:3], v[152:153], v[136:137], v[2:3]
	s_waitcnt vmcnt(4)
	s_delay_alu instid0(VALU_DEP_1)
	v_fma_f64 v[2:3], v[124:125], v[138:139], v[2:3]
	ds_load_b128 v[136:139], v1 offset:720
	ds_load_b128 v[150:153], v1 offset:736
	s_waitcnt lgkmcnt(1)
	v_fma_f64 v[2:3], v[126:127], v[136:137], v[2:3]
	scratch_load_b128 v[124:127], off, off offset:328
	s_waitcnt vmcnt(4)
	v_fma_f64 v[2:3], v[146:147], v[138:139], v[2:3]
	scratch_load_b128 v[136:139], off, off offset:344
	s_waitcnt lgkmcnt(0)
	v_fma_f64 v[2:3], v[148:149], v[150:151], v[2:3]
	ds_load_b128 v[144:147], v1 offset:752
	ds_load_b128 v[148:151], v1 offset:768
	s_waitcnt vmcnt(4)
	v_fma_f64 v[2:3], v[128:129], v[152:153], v[2:3]
	s_waitcnt lgkmcnt(1)
	s_delay_alu instid0(VALU_DEP_1) | instskip(SKIP_4) | instid1(VALU_DEP_1)
	v_fma_f64 v[2:3], v[130:131], v[144:145], v[2:3]
	scratch_load_b128 v[128:131], off, off offset:360
	s_waitcnt vmcnt(4)
	v_fma_f64 v[2:3], v[140:141], v[146:147], v[2:3]
	s_waitcnt lgkmcnt(0)
	v_fma_f64 v[2:3], v[142:143], v[148:149], v[2:3]
	scratch_load_b128 v[140:143], off, off offset:376
	s_waitcnt vmcnt(4)
	v_fma_f64 v[2:3], v[132:133], v[150:151], v[2:3]
	ds_load_b128 v[144:147], v1 offset:784
	ds_load_b128 v[148:151], v1 offset:800
	s_waitcnt lgkmcnt(1)
	v_fma_f64 v[2:3], v[134:135], v[144:145], v[2:3]
	scratch_load_b128 v[132:135], off, off offset:392
	s_waitcnt vmcnt(4)
	v_fma_f64 v[2:3], v[124:125], v[146:147], v[2:3]
	s_waitcnt lgkmcnt(0)
	s_delay_alu instid0(VALU_DEP_1)
	v_fma_f64 v[2:3], v[126:127], v[148:149], v[2:3]
	scratch_load_b128 v[124:127], off, off offset:408
	s_waitcnt vmcnt(4)
	v_fma_f64 v[2:3], v[136:137], v[150:151], v[2:3]
	ds_load_b128 v[144:147], v1 offset:816
	ds_load_b128 v[148:151], v1 offset:832
	s_waitcnt lgkmcnt(1)
	v_fma_f64 v[2:3], v[138:139], v[144:145], v[2:3]
	scratch_load_b128 v[136:139], off, off offset:424
	s_waitcnt vmcnt(4)
	v_fma_f64 v[2:3], v[128:129], v[146:147], v[2:3]
	s_waitcnt lgkmcnt(0)
	s_delay_alu instid0(VALU_DEP_1)
	v_fma_f64 v[2:3], v[130:131], v[148:149], v[2:3]
	scratch_load_b128 v[128:131], off, off offset:440
	s_waitcnt vmcnt(4)
	v_fma_f64 v[2:3], v[140:141], v[150:151], v[2:3]
	ds_load_b128 v[144:147], v1 offset:848
	ds_load_b128 v[148:151], v1 offset:864
	s_waitcnt lgkmcnt(1)
	v_fma_f64 v[2:3], v[142:143], v[144:145], v[2:3]
	scratch_load_b64 v[144:145], off, off offset:456
	s_waitcnt vmcnt(4)
	v_fma_f64 v[2:3], v[132:133], v[146:147], v[2:3]
	s_waitcnt lgkmcnt(0)
	s_delay_alu instid0(VALU_DEP_1)
	v_fma_f64 v[2:3], v[134:135], v[148:149], v[2:3]
	ds_load_b128 v[132:135], v1 offset:880
	ds_load_b128 v[140:143], v1 offset:896
	s_waitcnt vmcnt(3)
	v_fma_f64 v[2:3], v[124:125], v[150:151], v[2:3]
	s_waitcnt lgkmcnt(1)
	s_delay_alu instid0(VALU_DEP_1) | instskip(SKIP_1) | instid1(VALU_DEP_1)
	v_fma_f64 v[2:3], v[126:127], v[132:133], v[2:3]
	s_waitcnt vmcnt(2)
	v_fma_f64 v[2:3], v[136:137], v[134:135], v[2:3]
	s_waitcnt lgkmcnt(0)
	s_delay_alu instid0(VALU_DEP_1) | instskip(SKIP_1) | instid1(VALU_DEP_1)
	v_fma_f64 v[2:3], v[138:139], v[140:141], v[2:3]
	s_waitcnt vmcnt(1)
	v_fma_f64 v[124:125], v[128:129], v[142:143], v[2:3]
	ds_load_b128 v[1:4], v1 offset:912
	s_waitcnt lgkmcnt(0)
	v_fma_f64 v[1:2], v[130:131], v[1:2], v[124:125]
	s_waitcnt vmcnt(0)
	s_delay_alu instid0(VALU_DEP_1) | instskip(NEXT) | instid1(VALU_DEP_1)
	v_fma_f64 v[1:2], v[144:145], v[3:4], v[1:2]
	v_add_f64 v[1:2], v[122:123], -v[1:2]
	scratch_store_b64 off, v[1:2], off offset:152
	v_cmpx_lt_u32_e32 18, v0
	s_cbranch_execz .LBB57_321
; %bb.320:
	scratch_load_b64 v[1:2], off, off offset:144
	v_mov_b32_e32 v3, 0
	s_delay_alu instid0(VALU_DEP_1)
	v_mov_b32_e32 v4, v3
	scratch_store_b64 off, v[3:4], off offset:144
	s_waitcnt vmcnt(0)
	ds_store_b64 v5, v[1:2]
.LBB57_321:
	s_or_b32 exec_lo, exec_lo, s0
	s_waitcnt lgkmcnt(0)
	s_waitcnt_vscnt null, 0x0
	s_barrier
	buffer_gl0_inv
	s_clause 0x4
	scratch_load_b128 v[122:125], off, off offset:144
	scratch_load_b128 v[126:129], off, off offset:160
	;; [unrolled: 1-line block ×5, first 2 shown]
	v_mov_b32_e32 v1, 0
	ds_load_2addr_b64 v[142:145], v1 offset0:77 offset1:78
	ds_load_2addr_b64 v[146:149], v1 offset0:79 offset1:80
	scratch_load_b128 v[150:153], off, off offset:224
	s_mov_b32 s0, exec_lo
	s_waitcnt vmcnt(5) lgkmcnt(1)
	v_fma_f64 v[2:3], v[124:125], v[142:143], 0
	s_waitcnt vmcnt(4)
	s_delay_alu instid0(VALU_DEP_1) | instskip(SKIP_4) | instid1(VALU_DEP_1)
	v_fma_f64 v[2:3], v[126:127], v[144:145], v[2:3]
	scratch_load_b128 v[124:127], off, off offset:240
	s_waitcnt lgkmcnt(0)
	v_fma_f64 v[2:3], v[128:129], v[146:147], v[2:3]
	s_waitcnt vmcnt(4)
	v_fma_f64 v[2:3], v[130:131], v[148:149], v[2:3]
	ds_load_2addr_b64 v[128:131], v1 offset0:81 offset1:82
	ds_load_2addr_b64 v[142:145], v1 offset0:83 offset1:84
	scratch_load_b128 v[146:149], off, off offset:256
	s_waitcnt lgkmcnt(1)
	v_fma_f64 v[2:3], v[132:133], v[128:129], v[2:3]
	s_waitcnt vmcnt(4)
	s_delay_alu instid0(VALU_DEP_1) | instskip(SKIP_4) | instid1(VALU_DEP_1)
	v_fma_f64 v[2:3], v[134:135], v[130:131], v[2:3]
	scratch_load_b128 v[128:131], off, off offset:272
	s_waitcnt lgkmcnt(0)
	v_fma_f64 v[2:3], v[136:137], v[142:143], v[2:3]
	s_waitcnt vmcnt(4)
	v_fma_f64 v[2:3], v[138:139], v[144:145], v[2:3]
	ds_load_2addr_b64 v[132:135], v1 offset0:85 offset1:86
	ds_load_2addr_b64 v[136:139], v1 offset0:87 offset1:88
	s_waitcnt lgkmcnt(1)
	v_fma_f64 v[2:3], v[140:141], v[132:133], v[2:3]
	scratch_load_b128 v[140:143], off, off offset:288
	s_waitcnt vmcnt(4)
	v_fma_f64 v[2:3], v[150:151], v[134:135], v[2:3]
	scratch_load_b128 v[132:135], off, off offset:304
	s_waitcnt lgkmcnt(0)
	v_fma_f64 v[2:3], v[152:153], v[136:137], v[2:3]
	s_waitcnt vmcnt(4)
	s_delay_alu instid0(VALU_DEP_1)
	v_fma_f64 v[2:3], v[124:125], v[138:139], v[2:3]
	ds_load_2addr_b64 v[136:139], v1 offset0:89 offset1:90
	ds_load_2addr_b64 v[150:153], v1 offset0:91 offset1:92
	s_waitcnt lgkmcnt(1)
	v_fma_f64 v[2:3], v[126:127], v[136:137], v[2:3]
	scratch_load_b128 v[124:127], off, off offset:320
	s_waitcnt vmcnt(4)
	v_fma_f64 v[2:3], v[146:147], v[138:139], v[2:3]
	scratch_load_b128 v[136:139], off, off offset:336
	s_waitcnt lgkmcnt(0)
	v_fma_f64 v[2:3], v[148:149], v[150:151], v[2:3]
	ds_load_2addr_b64 v[144:147], v1 offset0:93 offset1:94
	ds_load_2addr_b64 v[148:151], v1 offset0:95 offset1:96
	s_waitcnt vmcnt(4)
	v_fma_f64 v[2:3], v[128:129], v[152:153], v[2:3]
	s_waitcnt lgkmcnt(1)
	s_delay_alu instid0(VALU_DEP_1) | instskip(SKIP_4) | instid1(VALU_DEP_1)
	v_fma_f64 v[2:3], v[130:131], v[144:145], v[2:3]
	scratch_load_b128 v[128:131], off, off offset:352
	s_waitcnt vmcnt(4)
	v_fma_f64 v[2:3], v[140:141], v[146:147], v[2:3]
	s_waitcnt lgkmcnt(0)
	v_fma_f64 v[2:3], v[142:143], v[148:149], v[2:3]
	scratch_load_b128 v[140:143], off, off offset:368
	s_waitcnt vmcnt(4)
	v_fma_f64 v[2:3], v[132:133], v[150:151], v[2:3]
	ds_load_2addr_b64 v[144:147], v1 offset0:97 offset1:98
	ds_load_2addr_b64 v[148:151], v1 offset0:99 offset1:100
	s_waitcnt lgkmcnt(1)
	v_fma_f64 v[2:3], v[134:135], v[144:145], v[2:3]
	scratch_load_b128 v[132:135], off, off offset:384
	s_waitcnt vmcnt(4)
	v_fma_f64 v[2:3], v[124:125], v[146:147], v[2:3]
	s_waitcnt lgkmcnt(0)
	s_delay_alu instid0(VALU_DEP_1)
	v_fma_f64 v[2:3], v[126:127], v[148:149], v[2:3]
	scratch_load_b128 v[124:127], off, off offset:400
	s_waitcnt vmcnt(4)
	v_fma_f64 v[2:3], v[136:137], v[150:151], v[2:3]
	ds_load_2addr_b64 v[144:147], v1 offset0:101 offset1:102
	ds_load_2addr_b64 v[148:151], v1 offset0:103 offset1:104
	s_waitcnt lgkmcnt(1)
	v_fma_f64 v[2:3], v[138:139], v[144:145], v[2:3]
	scratch_load_b128 v[136:139], off, off offset:416
	s_waitcnt vmcnt(4)
	v_fma_f64 v[2:3], v[128:129], v[146:147], v[2:3]
	s_waitcnt lgkmcnt(0)
	s_delay_alu instid0(VALU_DEP_1)
	;; [unrolled: 13-line block ×3, first 2 shown]
	v_fma_f64 v[2:3], v[134:135], v[148:149], v[2:3]
	ds_load_2addr_b64 v[132:135], v1 offset0:109 offset1:110
	ds_load_2addr_b64 v[144:147], v1 offset0:111 offset1:112
	s_waitcnt vmcnt(3)
	v_fma_f64 v[2:3], v[124:125], v[150:151], v[2:3]
	s_waitcnt lgkmcnt(1)
	s_delay_alu instid0(VALU_DEP_1) | instskip(SKIP_1) | instid1(VALU_DEP_1)
	v_fma_f64 v[2:3], v[126:127], v[132:133], v[2:3]
	s_waitcnt vmcnt(2)
	v_fma_f64 v[2:3], v[136:137], v[134:135], v[2:3]
	s_waitcnt lgkmcnt(0)
	s_delay_alu instid0(VALU_DEP_1) | instskip(SKIP_1) | instid1(VALU_DEP_1)
	v_fma_f64 v[2:3], v[138:139], v[144:145], v[2:3]
	s_waitcnt vmcnt(1)
	v_fma_f64 v[2:3], v[128:129], v[146:147], v[2:3]
	ds_load_2addr_b64 v[124:127], v1 offset0:113 offset1:114
	ds_load_b64 v[128:129], v1 offset:920
	s_waitcnt lgkmcnt(1)
	v_fma_f64 v[2:3], v[130:131], v[124:125], v[2:3]
	s_waitcnt vmcnt(0)
	s_delay_alu instid0(VALU_DEP_1) | instskip(SKIP_1) | instid1(VALU_DEP_1)
	v_fma_f64 v[2:3], v[140:141], v[126:127], v[2:3]
	s_waitcnt lgkmcnt(0)
	v_fma_f64 v[2:3], v[142:143], v[128:129], v[2:3]
	s_delay_alu instid0(VALU_DEP_1)
	v_add_f64 v[2:3], v[122:123], -v[2:3]
	scratch_store_b64 off, v[2:3], off offset:144
	v_cmpx_lt_u32_e32 17, v0
	s_cbranch_execz .LBB57_323
; %bb.322:
	scratch_load_b64 v[3:4], off, off offset:136
	v_mov_b32_e32 v2, v1
	scratch_store_b64 off, v[1:2], off offset:136
	s_waitcnt vmcnt(0)
	ds_store_b64 v5, v[3:4]
.LBB57_323:
	s_or_b32 exec_lo, exec_lo, s0
	s_waitcnt lgkmcnt(0)
	s_waitcnt_vscnt null, 0x0
	s_barrier
	buffer_gl0_inv
	s_clause 0x4
	scratch_load_b128 v[122:125], off, off offset:136
	scratch_load_b128 v[126:129], off, off offset:152
	;; [unrolled: 1-line block ×5, first 2 shown]
	ds_load_b128 v[142:145], v1 offset:608
	ds_load_b128 v[146:149], v1 offset:624
	scratch_load_b128 v[150:153], off, off offset:216
	s_mov_b32 s0, exec_lo
	s_waitcnt vmcnt(5) lgkmcnt(1)
	v_fma_f64 v[2:3], v[124:125], v[142:143], 0
	s_waitcnt vmcnt(4)
	s_delay_alu instid0(VALU_DEP_1) | instskip(SKIP_4) | instid1(VALU_DEP_1)
	v_fma_f64 v[2:3], v[126:127], v[144:145], v[2:3]
	scratch_load_b128 v[124:127], off, off offset:232
	s_waitcnt lgkmcnt(0)
	v_fma_f64 v[2:3], v[128:129], v[146:147], v[2:3]
	s_waitcnt vmcnt(4)
	v_fma_f64 v[2:3], v[130:131], v[148:149], v[2:3]
	ds_load_b128 v[128:131], v1 offset:640
	ds_load_b128 v[142:145], v1 offset:656
	scratch_load_b128 v[146:149], off, off offset:248
	s_waitcnt lgkmcnt(1)
	v_fma_f64 v[2:3], v[132:133], v[128:129], v[2:3]
	s_waitcnt vmcnt(4)
	s_delay_alu instid0(VALU_DEP_1) | instskip(SKIP_4) | instid1(VALU_DEP_1)
	v_fma_f64 v[2:3], v[134:135], v[130:131], v[2:3]
	scratch_load_b128 v[128:131], off, off offset:264
	s_waitcnt lgkmcnt(0)
	v_fma_f64 v[2:3], v[136:137], v[142:143], v[2:3]
	s_waitcnt vmcnt(4)
	v_fma_f64 v[2:3], v[138:139], v[144:145], v[2:3]
	ds_load_b128 v[132:135], v1 offset:672
	ds_load_b128 v[136:139], v1 offset:688
	s_waitcnt lgkmcnt(1)
	v_fma_f64 v[2:3], v[140:141], v[132:133], v[2:3]
	scratch_load_b128 v[140:143], off, off offset:280
	s_waitcnt vmcnt(4)
	v_fma_f64 v[2:3], v[150:151], v[134:135], v[2:3]
	scratch_load_b128 v[132:135], off, off offset:296
	s_waitcnt lgkmcnt(0)
	v_fma_f64 v[2:3], v[152:153], v[136:137], v[2:3]
	s_waitcnt vmcnt(4)
	s_delay_alu instid0(VALU_DEP_1)
	v_fma_f64 v[2:3], v[124:125], v[138:139], v[2:3]
	ds_load_b128 v[136:139], v1 offset:704
	ds_load_b128 v[150:153], v1 offset:720
	s_waitcnt lgkmcnt(1)
	v_fma_f64 v[2:3], v[126:127], v[136:137], v[2:3]
	scratch_load_b128 v[124:127], off, off offset:312
	s_waitcnt vmcnt(4)
	v_fma_f64 v[2:3], v[146:147], v[138:139], v[2:3]
	scratch_load_b128 v[136:139], off, off offset:328
	s_waitcnt lgkmcnt(0)
	v_fma_f64 v[2:3], v[148:149], v[150:151], v[2:3]
	ds_load_b128 v[144:147], v1 offset:736
	ds_load_b128 v[148:151], v1 offset:752
	s_waitcnt vmcnt(4)
	v_fma_f64 v[2:3], v[128:129], v[152:153], v[2:3]
	s_waitcnt lgkmcnt(1)
	s_delay_alu instid0(VALU_DEP_1) | instskip(SKIP_4) | instid1(VALU_DEP_1)
	v_fma_f64 v[2:3], v[130:131], v[144:145], v[2:3]
	scratch_load_b128 v[128:131], off, off offset:344
	s_waitcnt vmcnt(4)
	v_fma_f64 v[2:3], v[140:141], v[146:147], v[2:3]
	s_waitcnt lgkmcnt(0)
	v_fma_f64 v[2:3], v[142:143], v[148:149], v[2:3]
	scratch_load_b128 v[140:143], off, off offset:360
	s_waitcnt vmcnt(4)
	v_fma_f64 v[2:3], v[132:133], v[150:151], v[2:3]
	ds_load_b128 v[144:147], v1 offset:768
	ds_load_b128 v[148:151], v1 offset:784
	s_waitcnt lgkmcnt(1)
	v_fma_f64 v[2:3], v[134:135], v[144:145], v[2:3]
	scratch_load_b128 v[132:135], off, off offset:376
	s_waitcnt vmcnt(4)
	v_fma_f64 v[2:3], v[124:125], v[146:147], v[2:3]
	s_waitcnt lgkmcnt(0)
	s_delay_alu instid0(VALU_DEP_1)
	v_fma_f64 v[2:3], v[126:127], v[148:149], v[2:3]
	scratch_load_b128 v[124:127], off, off offset:392
	s_waitcnt vmcnt(4)
	v_fma_f64 v[2:3], v[136:137], v[150:151], v[2:3]
	ds_load_b128 v[144:147], v1 offset:800
	ds_load_b128 v[148:151], v1 offset:816
	s_waitcnt lgkmcnt(1)
	v_fma_f64 v[2:3], v[138:139], v[144:145], v[2:3]
	scratch_load_b128 v[136:139], off, off offset:408
	s_waitcnt vmcnt(4)
	v_fma_f64 v[2:3], v[128:129], v[146:147], v[2:3]
	s_waitcnt lgkmcnt(0)
	s_delay_alu instid0(VALU_DEP_1)
	v_fma_f64 v[2:3], v[130:131], v[148:149], v[2:3]
	scratch_load_b128 v[128:131], off, off offset:424
	s_waitcnt vmcnt(4)
	v_fma_f64 v[2:3], v[140:141], v[150:151], v[2:3]
	ds_load_b128 v[144:147], v1 offset:832
	ds_load_b128 v[148:151], v1 offset:848
	s_waitcnt lgkmcnt(1)
	v_fma_f64 v[2:3], v[142:143], v[144:145], v[2:3]
	scratch_load_b128 v[140:143], off, off offset:440
	s_waitcnt vmcnt(4)
	v_fma_f64 v[2:3], v[132:133], v[146:147], v[2:3]
	s_waitcnt lgkmcnt(0)
	s_delay_alu instid0(VALU_DEP_1)
	v_fma_f64 v[2:3], v[134:135], v[148:149], v[2:3]
	scratch_load_b64 v[148:149], off, off offset:456
	ds_load_b128 v[132:135], v1 offset:864
	ds_load_b128 v[144:147], v1 offset:880
	s_waitcnt vmcnt(4)
	v_fma_f64 v[2:3], v[124:125], v[150:151], v[2:3]
	s_waitcnt lgkmcnt(1)
	s_delay_alu instid0(VALU_DEP_1) | instskip(SKIP_1) | instid1(VALU_DEP_1)
	v_fma_f64 v[2:3], v[126:127], v[132:133], v[2:3]
	s_waitcnt vmcnt(3)
	v_fma_f64 v[2:3], v[136:137], v[134:135], v[2:3]
	s_waitcnt lgkmcnt(0)
	s_delay_alu instid0(VALU_DEP_1) | instskip(SKIP_1) | instid1(VALU_DEP_1)
	v_fma_f64 v[2:3], v[138:139], v[144:145], v[2:3]
	s_waitcnt vmcnt(2)
	v_fma_f64 v[128:129], v[128:129], v[146:147], v[2:3]
	ds_load_b128 v[124:127], v1 offset:896
	ds_load_b128 v[1:4], v1 offset:912
	s_waitcnt lgkmcnt(1)
	v_fma_f64 v[124:125], v[130:131], v[124:125], v[128:129]
	s_waitcnt vmcnt(1)
	s_delay_alu instid0(VALU_DEP_1) | instskip(SKIP_1) | instid1(VALU_DEP_1)
	v_fma_f64 v[124:125], v[140:141], v[126:127], v[124:125]
	s_waitcnt lgkmcnt(0)
	v_fma_f64 v[1:2], v[142:143], v[1:2], v[124:125]
	s_waitcnt vmcnt(0)
	s_delay_alu instid0(VALU_DEP_1) | instskip(NEXT) | instid1(VALU_DEP_1)
	v_fma_f64 v[1:2], v[148:149], v[3:4], v[1:2]
	v_add_f64 v[1:2], v[122:123], -v[1:2]
	scratch_store_b64 off, v[1:2], off offset:136
	v_cmpx_lt_u32_e32 16, v0
	s_cbranch_execz .LBB57_325
; %bb.324:
	scratch_load_b64 v[1:2], off, off offset:128
	v_mov_b32_e32 v3, 0
	s_delay_alu instid0(VALU_DEP_1)
	v_mov_b32_e32 v4, v3
	scratch_store_b64 off, v[3:4], off offset:128
	s_waitcnt vmcnt(0)
	ds_store_b64 v5, v[1:2]
.LBB57_325:
	s_or_b32 exec_lo, exec_lo, s0
	s_waitcnt lgkmcnt(0)
	s_waitcnt_vscnt null, 0x0
	s_barrier
	buffer_gl0_inv
	s_clause 0x4
	scratch_load_b128 v[122:125], off, off offset:128
	scratch_load_b128 v[126:129], off, off offset:144
	;; [unrolled: 1-line block ×5, first 2 shown]
	v_mov_b32_e32 v1, 0
	ds_load_2addr_b64 v[142:145], v1 offset0:75 offset1:76
	ds_load_2addr_b64 v[146:149], v1 offset0:77 offset1:78
	scratch_load_b128 v[150:153], off, off offset:208
	s_mov_b32 s0, exec_lo
	s_waitcnt vmcnt(5) lgkmcnt(1)
	v_fma_f64 v[2:3], v[124:125], v[142:143], 0
	s_waitcnt vmcnt(4)
	s_delay_alu instid0(VALU_DEP_1) | instskip(SKIP_4) | instid1(VALU_DEP_1)
	v_fma_f64 v[2:3], v[126:127], v[144:145], v[2:3]
	scratch_load_b128 v[124:127], off, off offset:224
	s_waitcnt lgkmcnt(0)
	v_fma_f64 v[2:3], v[128:129], v[146:147], v[2:3]
	s_waitcnt vmcnt(4)
	v_fma_f64 v[2:3], v[130:131], v[148:149], v[2:3]
	ds_load_2addr_b64 v[128:131], v1 offset0:79 offset1:80
	ds_load_2addr_b64 v[142:145], v1 offset0:81 offset1:82
	scratch_load_b128 v[146:149], off, off offset:240
	s_waitcnt lgkmcnt(1)
	v_fma_f64 v[2:3], v[132:133], v[128:129], v[2:3]
	s_waitcnt vmcnt(4)
	s_delay_alu instid0(VALU_DEP_1) | instskip(SKIP_4) | instid1(VALU_DEP_1)
	v_fma_f64 v[2:3], v[134:135], v[130:131], v[2:3]
	scratch_load_b128 v[128:131], off, off offset:256
	s_waitcnt lgkmcnt(0)
	v_fma_f64 v[2:3], v[136:137], v[142:143], v[2:3]
	s_waitcnt vmcnt(4)
	v_fma_f64 v[2:3], v[138:139], v[144:145], v[2:3]
	ds_load_2addr_b64 v[132:135], v1 offset0:83 offset1:84
	ds_load_2addr_b64 v[136:139], v1 offset0:85 offset1:86
	s_waitcnt lgkmcnt(1)
	v_fma_f64 v[2:3], v[140:141], v[132:133], v[2:3]
	scratch_load_b128 v[140:143], off, off offset:272
	s_waitcnt vmcnt(4)
	v_fma_f64 v[2:3], v[150:151], v[134:135], v[2:3]
	scratch_load_b128 v[132:135], off, off offset:288
	s_waitcnt lgkmcnt(0)
	v_fma_f64 v[2:3], v[152:153], v[136:137], v[2:3]
	s_waitcnt vmcnt(4)
	s_delay_alu instid0(VALU_DEP_1)
	v_fma_f64 v[2:3], v[124:125], v[138:139], v[2:3]
	ds_load_2addr_b64 v[136:139], v1 offset0:87 offset1:88
	ds_load_2addr_b64 v[150:153], v1 offset0:89 offset1:90
	s_waitcnt lgkmcnt(1)
	v_fma_f64 v[2:3], v[126:127], v[136:137], v[2:3]
	scratch_load_b128 v[124:127], off, off offset:304
	s_waitcnt vmcnt(4)
	v_fma_f64 v[2:3], v[146:147], v[138:139], v[2:3]
	scratch_load_b128 v[136:139], off, off offset:320
	s_waitcnt lgkmcnt(0)
	v_fma_f64 v[2:3], v[148:149], v[150:151], v[2:3]
	ds_load_2addr_b64 v[144:147], v1 offset0:91 offset1:92
	ds_load_2addr_b64 v[148:151], v1 offset0:93 offset1:94
	s_waitcnt vmcnt(4)
	v_fma_f64 v[2:3], v[128:129], v[152:153], v[2:3]
	s_waitcnt lgkmcnt(1)
	s_delay_alu instid0(VALU_DEP_1) | instskip(SKIP_4) | instid1(VALU_DEP_1)
	v_fma_f64 v[2:3], v[130:131], v[144:145], v[2:3]
	scratch_load_b128 v[128:131], off, off offset:336
	s_waitcnt vmcnt(4)
	v_fma_f64 v[2:3], v[140:141], v[146:147], v[2:3]
	s_waitcnt lgkmcnt(0)
	v_fma_f64 v[2:3], v[142:143], v[148:149], v[2:3]
	scratch_load_b128 v[140:143], off, off offset:352
	s_waitcnt vmcnt(4)
	v_fma_f64 v[2:3], v[132:133], v[150:151], v[2:3]
	ds_load_2addr_b64 v[144:147], v1 offset0:95 offset1:96
	ds_load_2addr_b64 v[148:151], v1 offset0:97 offset1:98
	s_waitcnt lgkmcnt(1)
	v_fma_f64 v[2:3], v[134:135], v[144:145], v[2:3]
	scratch_load_b128 v[132:135], off, off offset:368
	s_waitcnt vmcnt(4)
	v_fma_f64 v[2:3], v[124:125], v[146:147], v[2:3]
	s_waitcnt lgkmcnt(0)
	s_delay_alu instid0(VALU_DEP_1)
	v_fma_f64 v[2:3], v[126:127], v[148:149], v[2:3]
	scratch_load_b128 v[124:127], off, off offset:384
	s_waitcnt vmcnt(4)
	v_fma_f64 v[2:3], v[136:137], v[150:151], v[2:3]
	ds_load_2addr_b64 v[144:147], v1 offset0:99 offset1:100
	ds_load_2addr_b64 v[148:151], v1 offset0:101 offset1:102
	s_waitcnt lgkmcnt(1)
	v_fma_f64 v[2:3], v[138:139], v[144:145], v[2:3]
	scratch_load_b128 v[136:139], off, off offset:400
	s_waitcnt vmcnt(4)
	v_fma_f64 v[2:3], v[128:129], v[146:147], v[2:3]
	s_waitcnt lgkmcnt(0)
	s_delay_alu instid0(VALU_DEP_1)
	v_fma_f64 v[2:3], v[130:131], v[148:149], v[2:3]
	scratch_load_b128 v[128:131], off, off offset:416
	s_waitcnt vmcnt(4)
	v_fma_f64 v[2:3], v[140:141], v[150:151], v[2:3]
	ds_load_2addr_b64 v[144:147], v1 offset0:103 offset1:104
	ds_load_2addr_b64 v[148:151], v1 offset0:105 offset1:106
	s_waitcnt lgkmcnt(1)
	v_fma_f64 v[2:3], v[142:143], v[144:145], v[2:3]
	scratch_load_b128 v[140:143], off, off offset:432
	s_waitcnt vmcnt(4)
	v_fma_f64 v[2:3], v[132:133], v[146:147], v[2:3]
	s_waitcnt lgkmcnt(0)
	s_delay_alu instid0(VALU_DEP_1)
	v_fma_f64 v[2:3], v[134:135], v[148:149], v[2:3]
	scratch_load_b128 v[132:135], off, off offset:448
	s_waitcnt vmcnt(4)
	v_fma_f64 v[2:3], v[124:125], v[150:151], v[2:3]
	ds_load_2addr_b64 v[144:147], v1 offset0:107 offset1:108
	ds_load_2addr_b64 v[148:151], v1 offset0:109 offset1:110
	s_waitcnt lgkmcnt(1)
	v_fma_f64 v[2:3], v[126:127], v[144:145], v[2:3]
	s_waitcnt vmcnt(3)
	s_delay_alu instid0(VALU_DEP_1) | instskip(SKIP_1) | instid1(VALU_DEP_1)
	v_fma_f64 v[2:3], v[136:137], v[146:147], v[2:3]
	s_waitcnt lgkmcnt(0)
	v_fma_f64 v[2:3], v[138:139], v[148:149], v[2:3]
	ds_load_2addr_b64 v[124:127], v1 offset0:111 offset1:112
	ds_load_2addr_b64 v[136:139], v1 offset0:113 offset1:114
	s_waitcnt vmcnt(2)
	v_fma_f64 v[2:3], v[128:129], v[150:151], v[2:3]
	s_waitcnt lgkmcnt(1)
	s_delay_alu instid0(VALU_DEP_1) | instskip(SKIP_4) | instid1(VALU_DEP_1)
	v_fma_f64 v[2:3], v[130:131], v[124:125], v[2:3]
	ds_load_b64 v[124:125], v1 offset:920
	s_waitcnt vmcnt(1)
	v_fma_f64 v[2:3], v[140:141], v[126:127], v[2:3]
	s_waitcnt lgkmcnt(1)
	v_fma_f64 v[2:3], v[142:143], v[136:137], v[2:3]
	s_waitcnt vmcnt(0)
	s_delay_alu instid0(VALU_DEP_1) | instskip(SKIP_1) | instid1(VALU_DEP_1)
	v_fma_f64 v[2:3], v[132:133], v[138:139], v[2:3]
	s_waitcnt lgkmcnt(0)
	v_fma_f64 v[2:3], v[134:135], v[124:125], v[2:3]
	s_delay_alu instid0(VALU_DEP_1)
	v_add_f64 v[2:3], v[122:123], -v[2:3]
	scratch_store_b64 off, v[2:3], off offset:128
	v_cmpx_lt_u32_e32 15, v0
	s_cbranch_execz .LBB57_327
; %bb.326:
	scratch_load_b64 v[3:4], off, off offset:120
	v_mov_b32_e32 v2, v1
	scratch_store_b64 off, v[1:2], off offset:120
	s_waitcnt vmcnt(0)
	ds_store_b64 v5, v[3:4]
.LBB57_327:
	s_or_b32 exec_lo, exec_lo, s0
	s_waitcnt lgkmcnt(0)
	s_waitcnt_vscnt null, 0x0
	s_barrier
	buffer_gl0_inv
	s_clause 0x4
	scratch_load_b128 v[122:125], off, off offset:120
	scratch_load_b128 v[126:129], off, off offset:136
	;; [unrolled: 1-line block ×5, first 2 shown]
	ds_load_b128 v[142:145], v1 offset:592
	ds_load_b128 v[146:149], v1 offset:608
	scratch_load_b128 v[150:153], off, off offset:200
	s_mov_b32 s0, exec_lo
	s_waitcnt vmcnt(5) lgkmcnt(1)
	v_fma_f64 v[2:3], v[124:125], v[142:143], 0
	s_waitcnt vmcnt(4)
	s_delay_alu instid0(VALU_DEP_1) | instskip(SKIP_4) | instid1(VALU_DEP_1)
	v_fma_f64 v[2:3], v[126:127], v[144:145], v[2:3]
	scratch_load_b128 v[124:127], off, off offset:216
	s_waitcnt lgkmcnt(0)
	v_fma_f64 v[2:3], v[128:129], v[146:147], v[2:3]
	s_waitcnt vmcnt(4)
	v_fma_f64 v[2:3], v[130:131], v[148:149], v[2:3]
	ds_load_b128 v[128:131], v1 offset:624
	ds_load_b128 v[142:145], v1 offset:640
	scratch_load_b128 v[146:149], off, off offset:232
	s_waitcnt lgkmcnt(1)
	v_fma_f64 v[2:3], v[132:133], v[128:129], v[2:3]
	s_waitcnt vmcnt(4)
	s_delay_alu instid0(VALU_DEP_1) | instskip(SKIP_4) | instid1(VALU_DEP_1)
	v_fma_f64 v[2:3], v[134:135], v[130:131], v[2:3]
	scratch_load_b128 v[128:131], off, off offset:248
	s_waitcnt lgkmcnt(0)
	v_fma_f64 v[2:3], v[136:137], v[142:143], v[2:3]
	s_waitcnt vmcnt(4)
	v_fma_f64 v[2:3], v[138:139], v[144:145], v[2:3]
	ds_load_b128 v[132:135], v1 offset:656
	ds_load_b128 v[136:139], v1 offset:672
	s_waitcnt lgkmcnt(1)
	v_fma_f64 v[2:3], v[140:141], v[132:133], v[2:3]
	scratch_load_b128 v[140:143], off, off offset:264
	s_waitcnt vmcnt(4)
	v_fma_f64 v[2:3], v[150:151], v[134:135], v[2:3]
	scratch_load_b128 v[132:135], off, off offset:280
	s_waitcnt lgkmcnt(0)
	v_fma_f64 v[2:3], v[152:153], v[136:137], v[2:3]
	s_waitcnt vmcnt(4)
	s_delay_alu instid0(VALU_DEP_1)
	v_fma_f64 v[2:3], v[124:125], v[138:139], v[2:3]
	ds_load_b128 v[136:139], v1 offset:688
	ds_load_b128 v[150:153], v1 offset:704
	s_waitcnt lgkmcnt(1)
	v_fma_f64 v[2:3], v[126:127], v[136:137], v[2:3]
	scratch_load_b128 v[124:127], off, off offset:296
	s_waitcnt vmcnt(4)
	v_fma_f64 v[2:3], v[146:147], v[138:139], v[2:3]
	scratch_load_b128 v[136:139], off, off offset:312
	s_waitcnt lgkmcnt(0)
	v_fma_f64 v[2:3], v[148:149], v[150:151], v[2:3]
	ds_load_b128 v[144:147], v1 offset:720
	ds_load_b128 v[148:151], v1 offset:736
	s_waitcnt vmcnt(4)
	v_fma_f64 v[2:3], v[128:129], v[152:153], v[2:3]
	s_waitcnt lgkmcnt(1)
	s_delay_alu instid0(VALU_DEP_1) | instskip(SKIP_4) | instid1(VALU_DEP_1)
	v_fma_f64 v[2:3], v[130:131], v[144:145], v[2:3]
	scratch_load_b128 v[128:131], off, off offset:328
	s_waitcnt vmcnt(4)
	v_fma_f64 v[2:3], v[140:141], v[146:147], v[2:3]
	s_waitcnt lgkmcnt(0)
	v_fma_f64 v[2:3], v[142:143], v[148:149], v[2:3]
	scratch_load_b128 v[140:143], off, off offset:344
	s_waitcnt vmcnt(4)
	v_fma_f64 v[2:3], v[132:133], v[150:151], v[2:3]
	ds_load_b128 v[144:147], v1 offset:752
	ds_load_b128 v[148:151], v1 offset:768
	s_waitcnt lgkmcnt(1)
	v_fma_f64 v[2:3], v[134:135], v[144:145], v[2:3]
	scratch_load_b128 v[132:135], off, off offset:360
	s_waitcnt vmcnt(4)
	v_fma_f64 v[2:3], v[124:125], v[146:147], v[2:3]
	s_waitcnt lgkmcnt(0)
	s_delay_alu instid0(VALU_DEP_1)
	v_fma_f64 v[2:3], v[126:127], v[148:149], v[2:3]
	scratch_load_b128 v[124:127], off, off offset:376
	s_waitcnt vmcnt(4)
	v_fma_f64 v[2:3], v[136:137], v[150:151], v[2:3]
	ds_load_b128 v[144:147], v1 offset:784
	ds_load_b128 v[148:151], v1 offset:800
	s_waitcnt lgkmcnt(1)
	v_fma_f64 v[2:3], v[138:139], v[144:145], v[2:3]
	scratch_load_b128 v[136:139], off, off offset:392
	s_waitcnt vmcnt(4)
	v_fma_f64 v[2:3], v[128:129], v[146:147], v[2:3]
	s_waitcnt lgkmcnt(0)
	s_delay_alu instid0(VALU_DEP_1)
	;; [unrolled: 13-line block ×3, first 2 shown]
	v_fma_f64 v[2:3], v[134:135], v[148:149], v[2:3]
	scratch_load_b128 v[132:135], off, off offset:440
	s_waitcnt vmcnt(4)
	v_fma_f64 v[2:3], v[124:125], v[150:151], v[2:3]
	ds_load_b128 v[144:147], v1 offset:848
	ds_load_b128 v[148:151], v1 offset:864
	s_waitcnt lgkmcnt(1)
	v_fma_f64 v[2:3], v[126:127], v[144:145], v[2:3]
	scratch_load_b64 v[144:145], off, off offset:456
	s_waitcnt vmcnt(4)
	v_fma_f64 v[2:3], v[136:137], v[146:147], v[2:3]
	s_waitcnt lgkmcnt(0)
	s_delay_alu instid0(VALU_DEP_1)
	v_fma_f64 v[2:3], v[138:139], v[148:149], v[2:3]
	ds_load_b128 v[124:127], v1 offset:880
	ds_load_b128 v[136:139], v1 offset:896
	s_waitcnt vmcnt(3)
	v_fma_f64 v[2:3], v[128:129], v[150:151], v[2:3]
	s_waitcnt lgkmcnt(1)
	s_delay_alu instid0(VALU_DEP_1) | instskip(SKIP_1) | instid1(VALU_DEP_1)
	v_fma_f64 v[2:3], v[130:131], v[124:125], v[2:3]
	s_waitcnt vmcnt(2)
	v_fma_f64 v[2:3], v[140:141], v[126:127], v[2:3]
	s_waitcnt lgkmcnt(0)
	s_delay_alu instid0(VALU_DEP_1) | instskip(SKIP_1) | instid1(VALU_DEP_1)
	v_fma_f64 v[2:3], v[142:143], v[136:137], v[2:3]
	s_waitcnt vmcnt(1)
	v_fma_f64 v[124:125], v[132:133], v[138:139], v[2:3]
	ds_load_b128 v[1:4], v1 offset:912
	s_waitcnt lgkmcnt(0)
	v_fma_f64 v[1:2], v[134:135], v[1:2], v[124:125]
	s_waitcnt vmcnt(0)
	s_delay_alu instid0(VALU_DEP_1) | instskip(NEXT) | instid1(VALU_DEP_1)
	v_fma_f64 v[1:2], v[144:145], v[3:4], v[1:2]
	v_add_f64 v[1:2], v[122:123], -v[1:2]
	scratch_store_b64 off, v[1:2], off offset:120
	v_cmpx_lt_u32_e32 14, v0
	s_cbranch_execz .LBB57_329
; %bb.328:
	scratch_load_b64 v[1:2], off, off offset:112
	v_mov_b32_e32 v3, 0
	s_delay_alu instid0(VALU_DEP_1)
	v_mov_b32_e32 v4, v3
	scratch_store_b64 off, v[3:4], off offset:112
	s_waitcnt vmcnt(0)
	ds_store_b64 v5, v[1:2]
.LBB57_329:
	s_or_b32 exec_lo, exec_lo, s0
	s_waitcnt lgkmcnt(0)
	s_waitcnt_vscnt null, 0x0
	s_barrier
	buffer_gl0_inv
	s_clause 0x4
	scratch_load_b128 v[122:125], off, off offset:112
	scratch_load_b128 v[126:129], off, off offset:128
	;; [unrolled: 1-line block ×5, first 2 shown]
	v_mov_b32_e32 v1, 0
	ds_load_2addr_b64 v[142:145], v1 offset0:73 offset1:74
	ds_load_2addr_b64 v[146:149], v1 offset0:75 offset1:76
	scratch_load_b128 v[150:153], off, off offset:192
	s_mov_b32 s0, exec_lo
	s_waitcnt vmcnt(5) lgkmcnt(1)
	v_fma_f64 v[2:3], v[124:125], v[142:143], 0
	s_waitcnt vmcnt(4)
	s_delay_alu instid0(VALU_DEP_1) | instskip(SKIP_4) | instid1(VALU_DEP_1)
	v_fma_f64 v[2:3], v[126:127], v[144:145], v[2:3]
	scratch_load_b128 v[124:127], off, off offset:208
	s_waitcnt lgkmcnt(0)
	v_fma_f64 v[2:3], v[128:129], v[146:147], v[2:3]
	s_waitcnt vmcnt(4)
	v_fma_f64 v[2:3], v[130:131], v[148:149], v[2:3]
	ds_load_2addr_b64 v[128:131], v1 offset0:77 offset1:78
	ds_load_2addr_b64 v[142:145], v1 offset0:79 offset1:80
	scratch_load_b128 v[146:149], off, off offset:224
	s_waitcnt lgkmcnt(1)
	v_fma_f64 v[2:3], v[132:133], v[128:129], v[2:3]
	s_waitcnt vmcnt(4)
	s_delay_alu instid0(VALU_DEP_1) | instskip(SKIP_4) | instid1(VALU_DEP_1)
	v_fma_f64 v[2:3], v[134:135], v[130:131], v[2:3]
	scratch_load_b128 v[128:131], off, off offset:240
	s_waitcnt lgkmcnt(0)
	v_fma_f64 v[2:3], v[136:137], v[142:143], v[2:3]
	s_waitcnt vmcnt(4)
	v_fma_f64 v[2:3], v[138:139], v[144:145], v[2:3]
	ds_load_2addr_b64 v[132:135], v1 offset0:81 offset1:82
	ds_load_2addr_b64 v[136:139], v1 offset0:83 offset1:84
	s_waitcnt lgkmcnt(1)
	v_fma_f64 v[2:3], v[140:141], v[132:133], v[2:3]
	scratch_load_b128 v[140:143], off, off offset:256
	s_waitcnt vmcnt(4)
	v_fma_f64 v[2:3], v[150:151], v[134:135], v[2:3]
	scratch_load_b128 v[132:135], off, off offset:272
	s_waitcnt lgkmcnt(0)
	v_fma_f64 v[2:3], v[152:153], v[136:137], v[2:3]
	s_waitcnt vmcnt(4)
	s_delay_alu instid0(VALU_DEP_1)
	v_fma_f64 v[2:3], v[124:125], v[138:139], v[2:3]
	ds_load_2addr_b64 v[136:139], v1 offset0:85 offset1:86
	ds_load_2addr_b64 v[150:153], v1 offset0:87 offset1:88
	s_waitcnt lgkmcnt(1)
	v_fma_f64 v[2:3], v[126:127], v[136:137], v[2:3]
	scratch_load_b128 v[124:127], off, off offset:288
	s_waitcnt vmcnt(4)
	v_fma_f64 v[2:3], v[146:147], v[138:139], v[2:3]
	scratch_load_b128 v[136:139], off, off offset:304
	s_waitcnt lgkmcnt(0)
	v_fma_f64 v[2:3], v[148:149], v[150:151], v[2:3]
	ds_load_2addr_b64 v[144:147], v1 offset0:89 offset1:90
	ds_load_2addr_b64 v[148:151], v1 offset0:91 offset1:92
	s_waitcnt vmcnt(4)
	v_fma_f64 v[2:3], v[128:129], v[152:153], v[2:3]
	s_waitcnt lgkmcnt(1)
	s_delay_alu instid0(VALU_DEP_1) | instskip(SKIP_4) | instid1(VALU_DEP_1)
	v_fma_f64 v[2:3], v[130:131], v[144:145], v[2:3]
	scratch_load_b128 v[128:131], off, off offset:320
	s_waitcnt vmcnt(4)
	v_fma_f64 v[2:3], v[140:141], v[146:147], v[2:3]
	s_waitcnt lgkmcnt(0)
	v_fma_f64 v[2:3], v[142:143], v[148:149], v[2:3]
	scratch_load_b128 v[140:143], off, off offset:336
	s_waitcnt vmcnt(4)
	v_fma_f64 v[2:3], v[132:133], v[150:151], v[2:3]
	ds_load_2addr_b64 v[144:147], v1 offset0:93 offset1:94
	ds_load_2addr_b64 v[148:151], v1 offset0:95 offset1:96
	s_waitcnt lgkmcnt(1)
	v_fma_f64 v[2:3], v[134:135], v[144:145], v[2:3]
	scratch_load_b128 v[132:135], off, off offset:352
	s_waitcnt vmcnt(4)
	v_fma_f64 v[2:3], v[124:125], v[146:147], v[2:3]
	s_waitcnt lgkmcnt(0)
	s_delay_alu instid0(VALU_DEP_1)
	v_fma_f64 v[2:3], v[126:127], v[148:149], v[2:3]
	scratch_load_b128 v[124:127], off, off offset:368
	s_waitcnt vmcnt(4)
	v_fma_f64 v[2:3], v[136:137], v[150:151], v[2:3]
	ds_load_2addr_b64 v[144:147], v1 offset0:97 offset1:98
	ds_load_2addr_b64 v[148:151], v1 offset0:99 offset1:100
	s_waitcnt lgkmcnt(1)
	v_fma_f64 v[2:3], v[138:139], v[144:145], v[2:3]
	scratch_load_b128 v[136:139], off, off offset:384
	s_waitcnt vmcnt(4)
	v_fma_f64 v[2:3], v[128:129], v[146:147], v[2:3]
	s_waitcnt lgkmcnt(0)
	s_delay_alu instid0(VALU_DEP_1)
	;; [unrolled: 13-line block ×4, first 2 shown]
	v_fma_f64 v[2:3], v[138:139], v[148:149], v[2:3]
	ds_load_2addr_b64 v[136:139], v1 offset0:109 offset1:110
	ds_load_2addr_b64 v[144:147], v1 offset0:111 offset1:112
	s_waitcnt vmcnt(3)
	v_fma_f64 v[2:3], v[128:129], v[150:151], v[2:3]
	s_waitcnt lgkmcnt(1)
	s_delay_alu instid0(VALU_DEP_1) | instskip(SKIP_1) | instid1(VALU_DEP_1)
	v_fma_f64 v[2:3], v[130:131], v[136:137], v[2:3]
	s_waitcnt vmcnt(2)
	v_fma_f64 v[2:3], v[140:141], v[138:139], v[2:3]
	s_waitcnt lgkmcnt(0)
	s_delay_alu instid0(VALU_DEP_1) | instskip(SKIP_1) | instid1(VALU_DEP_1)
	v_fma_f64 v[2:3], v[142:143], v[144:145], v[2:3]
	s_waitcnt vmcnt(1)
	v_fma_f64 v[2:3], v[132:133], v[146:147], v[2:3]
	ds_load_2addr_b64 v[128:131], v1 offset0:113 offset1:114
	ds_load_b64 v[132:133], v1 offset:920
	s_waitcnt lgkmcnt(1)
	v_fma_f64 v[2:3], v[134:135], v[128:129], v[2:3]
	s_waitcnt vmcnt(0)
	s_delay_alu instid0(VALU_DEP_1) | instskip(SKIP_1) | instid1(VALU_DEP_1)
	v_fma_f64 v[2:3], v[124:125], v[130:131], v[2:3]
	s_waitcnt lgkmcnt(0)
	v_fma_f64 v[2:3], v[126:127], v[132:133], v[2:3]
	s_delay_alu instid0(VALU_DEP_1)
	v_add_f64 v[2:3], v[122:123], -v[2:3]
	scratch_store_b64 off, v[2:3], off offset:112
	v_cmpx_lt_u32_e32 13, v0
	s_cbranch_execz .LBB57_331
; %bb.330:
	scratch_load_b64 v[3:4], off, off offset:104
	v_mov_b32_e32 v2, v1
	scratch_store_b64 off, v[1:2], off offset:104
	s_waitcnt vmcnt(0)
	ds_store_b64 v5, v[3:4]
.LBB57_331:
	s_or_b32 exec_lo, exec_lo, s0
	s_waitcnt lgkmcnt(0)
	s_waitcnt_vscnt null, 0x0
	s_barrier
	buffer_gl0_inv
	s_clause 0x4
	scratch_load_b128 v[122:125], off, off offset:104
	scratch_load_b128 v[126:129], off, off offset:120
	;; [unrolled: 1-line block ×5, first 2 shown]
	ds_load_b128 v[142:145], v1 offset:576
	ds_load_b128 v[146:149], v1 offset:592
	scratch_load_b128 v[150:153], off, off offset:184
	s_mov_b32 s0, exec_lo
	s_waitcnt vmcnt(5) lgkmcnt(1)
	v_fma_f64 v[2:3], v[124:125], v[142:143], 0
	s_waitcnt vmcnt(4)
	s_delay_alu instid0(VALU_DEP_1) | instskip(SKIP_4) | instid1(VALU_DEP_1)
	v_fma_f64 v[2:3], v[126:127], v[144:145], v[2:3]
	scratch_load_b128 v[124:127], off, off offset:200
	s_waitcnt lgkmcnt(0)
	v_fma_f64 v[2:3], v[128:129], v[146:147], v[2:3]
	s_waitcnt vmcnt(4)
	v_fma_f64 v[2:3], v[130:131], v[148:149], v[2:3]
	ds_load_b128 v[128:131], v1 offset:608
	ds_load_b128 v[142:145], v1 offset:624
	scratch_load_b128 v[146:149], off, off offset:216
	s_waitcnt lgkmcnt(1)
	v_fma_f64 v[2:3], v[132:133], v[128:129], v[2:3]
	s_waitcnt vmcnt(4)
	s_delay_alu instid0(VALU_DEP_1) | instskip(SKIP_4) | instid1(VALU_DEP_1)
	v_fma_f64 v[2:3], v[134:135], v[130:131], v[2:3]
	scratch_load_b128 v[128:131], off, off offset:232
	s_waitcnt lgkmcnt(0)
	v_fma_f64 v[2:3], v[136:137], v[142:143], v[2:3]
	s_waitcnt vmcnt(4)
	v_fma_f64 v[2:3], v[138:139], v[144:145], v[2:3]
	ds_load_b128 v[132:135], v1 offset:640
	ds_load_b128 v[136:139], v1 offset:656
	s_waitcnt lgkmcnt(1)
	v_fma_f64 v[2:3], v[140:141], v[132:133], v[2:3]
	scratch_load_b128 v[140:143], off, off offset:248
	s_waitcnt vmcnt(4)
	v_fma_f64 v[2:3], v[150:151], v[134:135], v[2:3]
	scratch_load_b128 v[132:135], off, off offset:264
	s_waitcnt lgkmcnt(0)
	v_fma_f64 v[2:3], v[152:153], v[136:137], v[2:3]
	s_waitcnt vmcnt(4)
	s_delay_alu instid0(VALU_DEP_1)
	v_fma_f64 v[2:3], v[124:125], v[138:139], v[2:3]
	ds_load_b128 v[136:139], v1 offset:672
	ds_load_b128 v[150:153], v1 offset:688
	s_waitcnt lgkmcnt(1)
	v_fma_f64 v[2:3], v[126:127], v[136:137], v[2:3]
	scratch_load_b128 v[124:127], off, off offset:280
	s_waitcnt vmcnt(4)
	v_fma_f64 v[2:3], v[146:147], v[138:139], v[2:3]
	scratch_load_b128 v[136:139], off, off offset:296
	s_waitcnt lgkmcnt(0)
	v_fma_f64 v[2:3], v[148:149], v[150:151], v[2:3]
	ds_load_b128 v[144:147], v1 offset:704
	ds_load_b128 v[148:151], v1 offset:720
	s_waitcnt vmcnt(4)
	v_fma_f64 v[2:3], v[128:129], v[152:153], v[2:3]
	s_waitcnt lgkmcnt(1)
	s_delay_alu instid0(VALU_DEP_1) | instskip(SKIP_4) | instid1(VALU_DEP_1)
	v_fma_f64 v[2:3], v[130:131], v[144:145], v[2:3]
	scratch_load_b128 v[128:131], off, off offset:312
	s_waitcnt vmcnt(4)
	v_fma_f64 v[2:3], v[140:141], v[146:147], v[2:3]
	s_waitcnt lgkmcnt(0)
	v_fma_f64 v[2:3], v[142:143], v[148:149], v[2:3]
	scratch_load_b128 v[140:143], off, off offset:328
	s_waitcnt vmcnt(4)
	v_fma_f64 v[2:3], v[132:133], v[150:151], v[2:3]
	ds_load_b128 v[144:147], v1 offset:736
	ds_load_b128 v[148:151], v1 offset:752
	s_waitcnt lgkmcnt(1)
	v_fma_f64 v[2:3], v[134:135], v[144:145], v[2:3]
	scratch_load_b128 v[132:135], off, off offset:344
	s_waitcnt vmcnt(4)
	v_fma_f64 v[2:3], v[124:125], v[146:147], v[2:3]
	s_waitcnt lgkmcnt(0)
	s_delay_alu instid0(VALU_DEP_1)
	v_fma_f64 v[2:3], v[126:127], v[148:149], v[2:3]
	scratch_load_b128 v[124:127], off, off offset:360
	s_waitcnt vmcnt(4)
	v_fma_f64 v[2:3], v[136:137], v[150:151], v[2:3]
	ds_load_b128 v[144:147], v1 offset:768
	ds_load_b128 v[148:151], v1 offset:784
	s_waitcnt lgkmcnt(1)
	v_fma_f64 v[2:3], v[138:139], v[144:145], v[2:3]
	scratch_load_b128 v[136:139], off, off offset:376
	s_waitcnt vmcnt(4)
	v_fma_f64 v[2:3], v[128:129], v[146:147], v[2:3]
	s_waitcnt lgkmcnt(0)
	s_delay_alu instid0(VALU_DEP_1)
	;; [unrolled: 13-line block ×4, first 2 shown]
	v_fma_f64 v[2:3], v[138:139], v[148:149], v[2:3]
	scratch_load_b64 v[148:149], off, off offset:456
	ds_load_b128 v[136:139], v1 offset:864
	ds_load_b128 v[144:147], v1 offset:880
	s_waitcnt vmcnt(4)
	v_fma_f64 v[2:3], v[128:129], v[150:151], v[2:3]
	s_waitcnt lgkmcnt(1)
	s_delay_alu instid0(VALU_DEP_1) | instskip(SKIP_1) | instid1(VALU_DEP_1)
	v_fma_f64 v[2:3], v[130:131], v[136:137], v[2:3]
	s_waitcnt vmcnt(3)
	v_fma_f64 v[2:3], v[140:141], v[138:139], v[2:3]
	s_waitcnt lgkmcnt(0)
	s_delay_alu instid0(VALU_DEP_1) | instskip(SKIP_1) | instid1(VALU_DEP_1)
	v_fma_f64 v[2:3], v[142:143], v[144:145], v[2:3]
	s_waitcnt vmcnt(2)
	v_fma_f64 v[132:133], v[132:133], v[146:147], v[2:3]
	ds_load_b128 v[128:131], v1 offset:896
	ds_load_b128 v[1:4], v1 offset:912
	s_waitcnt lgkmcnt(1)
	v_fma_f64 v[128:129], v[134:135], v[128:129], v[132:133]
	s_waitcnt vmcnt(1)
	s_delay_alu instid0(VALU_DEP_1) | instskip(SKIP_1) | instid1(VALU_DEP_1)
	v_fma_f64 v[124:125], v[124:125], v[130:131], v[128:129]
	s_waitcnt lgkmcnt(0)
	v_fma_f64 v[1:2], v[126:127], v[1:2], v[124:125]
	s_waitcnt vmcnt(0)
	s_delay_alu instid0(VALU_DEP_1) | instskip(NEXT) | instid1(VALU_DEP_1)
	v_fma_f64 v[1:2], v[148:149], v[3:4], v[1:2]
	v_add_f64 v[1:2], v[122:123], -v[1:2]
	scratch_store_b64 off, v[1:2], off offset:104
	v_cmpx_lt_u32_e32 12, v0
	s_cbranch_execz .LBB57_333
; %bb.332:
	scratch_load_b64 v[1:2], off, off offset:96
	v_mov_b32_e32 v3, 0
	s_delay_alu instid0(VALU_DEP_1)
	v_mov_b32_e32 v4, v3
	scratch_store_b64 off, v[3:4], off offset:96
	s_waitcnt vmcnt(0)
	ds_store_b64 v5, v[1:2]
.LBB57_333:
	s_or_b32 exec_lo, exec_lo, s0
	s_waitcnt lgkmcnt(0)
	s_waitcnt_vscnt null, 0x0
	s_barrier
	buffer_gl0_inv
	s_clause 0x4
	scratch_load_b128 v[1:4], off, off offset:96
	scratch_load_b128 v[123:126], off, off offset:112
	;; [unrolled: 1-line block ×5, first 2 shown]
	v_mov_b32_e32 v122, 0
	ds_load_2addr_b64 v[139:142], v122 offset0:71 offset1:72
	ds_load_2addr_b64 v[143:146], v122 offset0:73 offset1:74
	scratch_load_b128 v[147:150], off, off offset:176
	s_mov_b32 s0, exec_lo
	s_waitcnt vmcnt(5) lgkmcnt(1)
	v_fma_f64 v[3:4], v[3:4], v[139:140], 0
	s_waitcnt vmcnt(4)
	s_delay_alu instid0(VALU_DEP_1) | instskip(SKIP_1) | instid1(VALU_DEP_1)
	v_fma_f64 v[3:4], v[123:124], v[141:142], v[3:4]
	s_waitcnt lgkmcnt(0)
	v_fma_f64 v[3:4], v[125:126], v[143:144], v[3:4]
	scratch_load_b128 v[123:126], off, off offset:192
	s_waitcnt vmcnt(4)
	v_fma_f64 v[3:4], v[127:128], v[145:146], v[3:4]
	ds_load_2addr_b64 v[139:142], v122 offset0:75 offset1:76
	ds_load_2addr_b64 v[143:146], v122 offset0:77 offset1:78
	s_waitcnt lgkmcnt(1)
	v_fma_f64 v[3:4], v[129:130], v[139:140], v[3:4]
	scratch_load_b128 v[127:130], off, off offset:208
	s_waitcnt vmcnt(4)
	v_fma_f64 v[3:4], v[131:132], v[141:142], v[3:4]
	s_waitcnt lgkmcnt(0)
	s_delay_alu instid0(VALU_DEP_1)
	v_fma_f64 v[3:4], v[133:134], v[143:144], v[3:4]
	scratch_load_b128 v[131:134], off, off offset:224
	s_waitcnt vmcnt(4)
	v_fma_f64 v[3:4], v[135:136], v[145:146], v[3:4]
	ds_load_2addr_b64 v[139:142], v122 offset0:79 offset1:80
	ds_load_2addr_b64 v[143:146], v122 offset0:81 offset1:82
	s_waitcnt lgkmcnt(1)
	v_fma_f64 v[3:4], v[137:138], v[139:140], v[3:4]
	scratch_load_b128 v[135:138], off, off offset:240
	s_waitcnt vmcnt(4)
	v_fma_f64 v[3:4], v[147:148], v[141:142], v[3:4]
	scratch_load_b128 v[139:142], off, off offset:256
	s_waitcnt lgkmcnt(0)
	v_fma_f64 v[3:4], v[149:150], v[143:144], v[3:4]
	s_waitcnt vmcnt(4)
	s_delay_alu instid0(VALU_DEP_1)
	v_fma_f64 v[3:4], v[123:124], v[145:146], v[3:4]
	ds_load_2addr_b64 v[143:146], v122 offset0:83 offset1:84
	ds_load_2addr_b64 v[147:150], v122 offset0:85 offset1:86
	s_waitcnt lgkmcnt(1)
	v_fma_f64 v[3:4], v[125:126], v[143:144], v[3:4]
	scratch_load_b128 v[123:126], off, off offset:272
	s_waitcnt vmcnt(4)
	v_fma_f64 v[3:4], v[127:128], v[145:146], v[3:4]
	s_waitcnt lgkmcnt(0)
	s_delay_alu instid0(VALU_DEP_1)
	v_fma_f64 v[3:4], v[129:130], v[147:148], v[3:4]
	scratch_load_b128 v[127:130], off, off offset:288
	s_waitcnt vmcnt(4)
	v_fma_f64 v[3:4], v[131:132], v[149:150], v[3:4]
	ds_load_2addr_b64 v[143:146], v122 offset0:87 offset1:88
	ds_load_2addr_b64 v[147:150], v122 offset0:89 offset1:90
	s_waitcnt lgkmcnt(1)
	v_fma_f64 v[3:4], v[133:134], v[143:144], v[3:4]
	scratch_load_b128 v[131:134], off, off offset:304
	s_waitcnt vmcnt(4)
	v_fma_f64 v[3:4], v[135:136], v[145:146], v[3:4]
	s_waitcnt lgkmcnt(0)
	s_delay_alu instid0(VALU_DEP_1)
	v_fma_f64 v[3:4], v[137:138], v[147:148], v[3:4]
	scratch_load_b128 v[135:138], off, off offset:320
	s_waitcnt vmcnt(4)
	;; [unrolled: 13-line block ×6, first 2 shown]
	v_fma_f64 v[3:4], v[131:132], v[149:150], v[3:4]
	ds_load_2addr_b64 v[143:146], v122 offset0:107 offset1:108
	ds_load_2addr_b64 v[147:150], v122 offset0:109 offset1:110
	s_waitcnt lgkmcnt(1)
	v_fma_f64 v[3:4], v[133:134], v[143:144], v[3:4]
	s_waitcnt vmcnt(3)
	s_delay_alu instid0(VALU_DEP_1) | instskip(SKIP_1) | instid1(VALU_DEP_1)
	v_fma_f64 v[3:4], v[135:136], v[145:146], v[3:4]
	s_waitcnt lgkmcnt(0)
	v_fma_f64 v[3:4], v[137:138], v[147:148], v[3:4]
	ds_load_2addr_b64 v[131:134], v122 offset0:111 offset1:112
	ds_load_2addr_b64 v[135:138], v122 offset0:113 offset1:114
	s_waitcnt vmcnt(2)
	v_fma_f64 v[3:4], v[139:140], v[149:150], v[3:4]
	s_waitcnt lgkmcnt(1)
	s_delay_alu instid0(VALU_DEP_1) | instskip(SKIP_1) | instid1(VALU_DEP_1)
	v_fma_f64 v[3:4], v[141:142], v[131:132], v[3:4]
	s_waitcnt vmcnt(1)
	v_fma_f64 v[3:4], v[123:124], v[133:134], v[3:4]
	ds_load_b64 v[123:124], v122 offset:920
	s_waitcnt lgkmcnt(1)
	v_fma_f64 v[3:4], v[125:126], v[135:136], v[3:4]
	s_waitcnt vmcnt(0)
	s_delay_alu instid0(VALU_DEP_1) | instskip(SKIP_1) | instid1(VALU_DEP_1)
	v_fma_f64 v[3:4], v[127:128], v[137:138], v[3:4]
	s_waitcnt lgkmcnt(0)
	v_fma_f64 v[3:4], v[129:130], v[123:124], v[3:4]
	s_delay_alu instid0(VALU_DEP_1)
	v_add_f64 v[1:2], v[1:2], -v[3:4]
	scratch_store_b64 off, v[1:2], off offset:96
	v_cmpx_lt_u32_e32 11, v0
	s_cbranch_execz .LBB57_335
; %bb.334:
	scratch_load_b64 v[1:2], off, off offset:88
	v_mov_b32_e32 v123, v122
	scratch_store_b64 off, v[122:123], off offset:88
	s_waitcnt vmcnt(0)
	ds_store_b64 v5, v[1:2]
.LBB57_335:
	s_or_b32 exec_lo, exec_lo, s0
	s_waitcnt lgkmcnt(0)
	s_waitcnt_vscnt null, 0x0
	s_barrier
	buffer_gl0_inv
	s_clause 0x4
	scratch_load_b128 v[1:4], off, off offset:88
	scratch_load_b128 v[123:126], off, off offset:104
	;; [unrolled: 1-line block ×5, first 2 shown]
	ds_load_b128 v[139:142], v122 offset:560
	ds_load_b128 v[143:146], v122 offset:576
	scratch_load_b128 v[147:150], off, off offset:168
	s_mov_b32 s0, exec_lo
	s_waitcnt vmcnt(5) lgkmcnt(1)
	v_fma_f64 v[3:4], v[3:4], v[139:140], 0
	s_waitcnt vmcnt(4)
	s_delay_alu instid0(VALU_DEP_1) | instskip(SKIP_1) | instid1(VALU_DEP_1)
	v_fma_f64 v[3:4], v[123:124], v[141:142], v[3:4]
	s_waitcnt lgkmcnt(0)
	v_fma_f64 v[3:4], v[125:126], v[143:144], v[3:4]
	scratch_load_b128 v[123:126], off, off offset:184
	s_waitcnt vmcnt(4)
	v_fma_f64 v[3:4], v[127:128], v[145:146], v[3:4]
	ds_load_b128 v[139:142], v122 offset:592
	ds_load_b128 v[143:146], v122 offset:608
	s_waitcnt lgkmcnt(1)
	v_fma_f64 v[3:4], v[129:130], v[139:140], v[3:4]
	scratch_load_b128 v[127:130], off, off offset:200
	s_waitcnt vmcnt(4)
	v_fma_f64 v[3:4], v[131:132], v[141:142], v[3:4]
	s_waitcnt lgkmcnt(0)
	s_delay_alu instid0(VALU_DEP_1)
	v_fma_f64 v[3:4], v[133:134], v[143:144], v[3:4]
	scratch_load_b128 v[131:134], off, off offset:216
	s_waitcnt vmcnt(4)
	v_fma_f64 v[3:4], v[135:136], v[145:146], v[3:4]
	ds_load_b128 v[139:142], v122 offset:624
	ds_load_b128 v[143:146], v122 offset:640
	s_waitcnt lgkmcnt(1)
	v_fma_f64 v[3:4], v[137:138], v[139:140], v[3:4]
	scratch_load_b128 v[135:138], off, off offset:232
	s_waitcnt vmcnt(4)
	v_fma_f64 v[3:4], v[147:148], v[141:142], v[3:4]
	scratch_load_b128 v[139:142], off, off offset:248
	s_waitcnt lgkmcnt(0)
	v_fma_f64 v[3:4], v[149:150], v[143:144], v[3:4]
	s_waitcnt vmcnt(4)
	s_delay_alu instid0(VALU_DEP_1)
	v_fma_f64 v[3:4], v[123:124], v[145:146], v[3:4]
	ds_load_b128 v[143:146], v122 offset:656
	ds_load_b128 v[147:150], v122 offset:672
	s_waitcnt lgkmcnt(1)
	v_fma_f64 v[3:4], v[125:126], v[143:144], v[3:4]
	scratch_load_b128 v[123:126], off, off offset:264
	s_waitcnt vmcnt(4)
	v_fma_f64 v[3:4], v[127:128], v[145:146], v[3:4]
	s_waitcnt lgkmcnt(0)
	s_delay_alu instid0(VALU_DEP_1)
	v_fma_f64 v[3:4], v[129:130], v[147:148], v[3:4]
	scratch_load_b128 v[127:130], off, off offset:280
	s_waitcnt vmcnt(4)
	v_fma_f64 v[3:4], v[131:132], v[149:150], v[3:4]
	ds_load_b128 v[143:146], v122 offset:688
	ds_load_b128 v[147:150], v122 offset:704
	s_waitcnt lgkmcnt(1)
	v_fma_f64 v[3:4], v[133:134], v[143:144], v[3:4]
	scratch_load_b128 v[131:134], off, off offset:296
	s_waitcnt vmcnt(4)
	v_fma_f64 v[3:4], v[135:136], v[145:146], v[3:4]
	s_waitcnt lgkmcnt(0)
	s_delay_alu instid0(VALU_DEP_1)
	v_fma_f64 v[3:4], v[137:138], v[147:148], v[3:4]
	scratch_load_b128 v[135:138], off, off offset:312
	s_waitcnt vmcnt(4)
	;; [unrolled: 13-line block ×6, first 2 shown]
	v_fma_f64 v[3:4], v[131:132], v[149:150], v[3:4]
	ds_load_b128 v[143:146], v122 offset:848
	ds_load_b128 v[147:150], v122 offset:864
	s_waitcnt lgkmcnt(1)
	v_fma_f64 v[3:4], v[133:134], v[143:144], v[3:4]
	scratch_load_b64 v[143:144], off, off offset:456
	s_waitcnt vmcnt(4)
	v_fma_f64 v[3:4], v[135:136], v[145:146], v[3:4]
	s_waitcnt lgkmcnt(0)
	s_delay_alu instid0(VALU_DEP_1)
	v_fma_f64 v[3:4], v[137:138], v[147:148], v[3:4]
	ds_load_b128 v[131:134], v122 offset:880
	ds_load_b128 v[135:138], v122 offset:896
	s_waitcnt vmcnt(3)
	v_fma_f64 v[3:4], v[139:140], v[149:150], v[3:4]
	s_waitcnt lgkmcnt(1)
	s_delay_alu instid0(VALU_DEP_1) | instskip(SKIP_1) | instid1(VALU_DEP_1)
	v_fma_f64 v[3:4], v[141:142], v[131:132], v[3:4]
	s_waitcnt vmcnt(2)
	v_fma_f64 v[3:4], v[123:124], v[133:134], v[3:4]
	s_waitcnt lgkmcnt(0)
	s_delay_alu instid0(VALU_DEP_1) | instskip(SKIP_4) | instid1(VALU_DEP_1)
	v_fma_f64 v[3:4], v[125:126], v[135:136], v[3:4]
	ds_load_b128 v[122:125], v122 offset:912
	s_waitcnt vmcnt(1)
	v_fma_f64 v[3:4], v[127:128], v[137:138], v[3:4]
	s_waitcnt lgkmcnt(0)
	v_fma_f64 v[3:4], v[129:130], v[122:123], v[3:4]
	s_waitcnt vmcnt(0)
	s_delay_alu instid0(VALU_DEP_1) | instskip(NEXT) | instid1(VALU_DEP_1)
	v_fma_f64 v[3:4], v[143:144], v[124:125], v[3:4]
	v_add_f64 v[1:2], v[1:2], -v[3:4]
	scratch_store_b64 off, v[1:2], off offset:88
	v_cmpx_lt_u32_e32 10, v0
	s_cbranch_execz .LBB57_337
; %bb.336:
	scratch_load_b64 v[1:2], off, off offset:80
	v_mov_b32_e32 v3, 0
	s_delay_alu instid0(VALU_DEP_1)
	v_mov_b32_e32 v4, v3
	scratch_store_b64 off, v[3:4], off offset:80
	s_waitcnt vmcnt(0)
	ds_store_b64 v5, v[1:2]
.LBB57_337:
	s_or_b32 exec_lo, exec_lo, s0
	s_waitcnt lgkmcnt(0)
	s_waitcnt_vscnt null, 0x0
	s_barrier
	buffer_gl0_inv
	s_clause 0x4
	scratch_load_b128 v[1:4], off, off offset:80
	scratch_load_b128 v[123:126], off, off offset:96
	;; [unrolled: 1-line block ×5, first 2 shown]
	v_mov_b32_e32 v122, 0
	ds_load_2addr_b64 v[139:142], v122 offset0:69 offset1:70
	ds_load_2addr_b64 v[143:146], v122 offset0:71 offset1:72
	scratch_load_b128 v[147:150], off, off offset:160
	s_mov_b32 s0, exec_lo
	s_waitcnt vmcnt(5) lgkmcnt(1)
	v_fma_f64 v[3:4], v[3:4], v[139:140], 0
	s_waitcnt vmcnt(4)
	s_delay_alu instid0(VALU_DEP_1) | instskip(SKIP_1) | instid1(VALU_DEP_1)
	v_fma_f64 v[3:4], v[123:124], v[141:142], v[3:4]
	s_waitcnt lgkmcnt(0)
	v_fma_f64 v[3:4], v[125:126], v[143:144], v[3:4]
	scratch_load_b128 v[123:126], off, off offset:176
	s_waitcnt vmcnt(4)
	v_fma_f64 v[3:4], v[127:128], v[145:146], v[3:4]
	ds_load_2addr_b64 v[139:142], v122 offset0:73 offset1:74
	ds_load_2addr_b64 v[143:146], v122 offset0:75 offset1:76
	s_waitcnt lgkmcnt(1)
	v_fma_f64 v[3:4], v[129:130], v[139:140], v[3:4]
	scratch_load_b128 v[127:130], off, off offset:192
	s_waitcnt vmcnt(4)
	v_fma_f64 v[3:4], v[131:132], v[141:142], v[3:4]
	s_waitcnt lgkmcnt(0)
	s_delay_alu instid0(VALU_DEP_1)
	v_fma_f64 v[3:4], v[133:134], v[143:144], v[3:4]
	scratch_load_b128 v[131:134], off, off offset:208
	s_waitcnt vmcnt(4)
	v_fma_f64 v[3:4], v[135:136], v[145:146], v[3:4]
	ds_load_2addr_b64 v[139:142], v122 offset0:77 offset1:78
	ds_load_2addr_b64 v[143:146], v122 offset0:79 offset1:80
	s_waitcnt lgkmcnt(1)
	v_fma_f64 v[3:4], v[137:138], v[139:140], v[3:4]
	scratch_load_b128 v[135:138], off, off offset:224
	s_waitcnt vmcnt(4)
	v_fma_f64 v[3:4], v[147:148], v[141:142], v[3:4]
	scratch_load_b128 v[139:142], off, off offset:240
	s_waitcnt lgkmcnt(0)
	v_fma_f64 v[3:4], v[149:150], v[143:144], v[3:4]
	s_waitcnt vmcnt(4)
	s_delay_alu instid0(VALU_DEP_1)
	v_fma_f64 v[3:4], v[123:124], v[145:146], v[3:4]
	ds_load_2addr_b64 v[143:146], v122 offset0:81 offset1:82
	ds_load_2addr_b64 v[147:150], v122 offset0:83 offset1:84
	s_waitcnt lgkmcnt(1)
	v_fma_f64 v[3:4], v[125:126], v[143:144], v[3:4]
	scratch_load_b128 v[123:126], off, off offset:256
	s_waitcnt vmcnt(4)
	v_fma_f64 v[3:4], v[127:128], v[145:146], v[3:4]
	s_waitcnt lgkmcnt(0)
	s_delay_alu instid0(VALU_DEP_1)
	v_fma_f64 v[3:4], v[129:130], v[147:148], v[3:4]
	scratch_load_b128 v[127:130], off, off offset:272
	s_waitcnt vmcnt(4)
	v_fma_f64 v[3:4], v[131:132], v[149:150], v[3:4]
	ds_load_2addr_b64 v[143:146], v122 offset0:85 offset1:86
	ds_load_2addr_b64 v[147:150], v122 offset0:87 offset1:88
	s_waitcnt lgkmcnt(1)
	v_fma_f64 v[3:4], v[133:134], v[143:144], v[3:4]
	scratch_load_b128 v[131:134], off, off offset:288
	s_waitcnt vmcnt(4)
	v_fma_f64 v[3:4], v[135:136], v[145:146], v[3:4]
	s_waitcnt lgkmcnt(0)
	s_delay_alu instid0(VALU_DEP_1)
	v_fma_f64 v[3:4], v[137:138], v[147:148], v[3:4]
	scratch_load_b128 v[135:138], off, off offset:304
	s_waitcnt vmcnt(4)
	;; [unrolled: 13-line block ×6, first 2 shown]
	v_fma_f64 v[3:4], v[131:132], v[149:150], v[3:4]
	ds_load_2addr_b64 v[143:146], v122 offset0:105 offset1:106
	ds_load_2addr_b64 v[147:150], v122 offset0:107 offset1:108
	s_waitcnt lgkmcnt(1)
	v_fma_f64 v[3:4], v[133:134], v[143:144], v[3:4]
	scratch_load_b128 v[131:134], off, off offset:448
	s_waitcnt vmcnt(4)
	v_fma_f64 v[3:4], v[135:136], v[145:146], v[3:4]
	s_waitcnt lgkmcnt(0)
	s_delay_alu instid0(VALU_DEP_1)
	v_fma_f64 v[3:4], v[137:138], v[147:148], v[3:4]
	ds_load_2addr_b64 v[135:138], v122 offset0:109 offset1:110
	ds_load_2addr_b64 v[143:146], v122 offset0:111 offset1:112
	s_waitcnt vmcnt(3)
	v_fma_f64 v[3:4], v[139:140], v[149:150], v[3:4]
	s_waitcnt lgkmcnt(1)
	s_delay_alu instid0(VALU_DEP_1) | instskip(SKIP_1) | instid1(VALU_DEP_1)
	v_fma_f64 v[3:4], v[141:142], v[135:136], v[3:4]
	s_waitcnt vmcnt(2)
	v_fma_f64 v[3:4], v[123:124], v[137:138], v[3:4]
	s_waitcnt lgkmcnt(0)
	s_delay_alu instid0(VALU_DEP_1) | instskip(SKIP_1) | instid1(VALU_DEP_1)
	v_fma_f64 v[3:4], v[125:126], v[143:144], v[3:4]
	s_waitcnt vmcnt(1)
	v_fma_f64 v[3:4], v[127:128], v[145:146], v[3:4]
	ds_load_2addr_b64 v[123:126], v122 offset0:113 offset1:114
	ds_load_b64 v[127:128], v122 offset:920
	s_waitcnt lgkmcnt(1)
	v_fma_f64 v[3:4], v[129:130], v[123:124], v[3:4]
	s_waitcnt vmcnt(0)
	s_delay_alu instid0(VALU_DEP_1) | instskip(SKIP_1) | instid1(VALU_DEP_1)
	v_fma_f64 v[3:4], v[131:132], v[125:126], v[3:4]
	s_waitcnt lgkmcnt(0)
	v_fma_f64 v[3:4], v[133:134], v[127:128], v[3:4]
	s_delay_alu instid0(VALU_DEP_1)
	v_add_f64 v[1:2], v[1:2], -v[3:4]
	scratch_store_b64 off, v[1:2], off offset:80
	v_cmpx_lt_u32_e32 9, v0
	s_cbranch_execz .LBB57_339
; %bb.338:
	scratch_load_b64 v[1:2], off, off offset:72
	v_mov_b32_e32 v123, v122
	scratch_store_b64 off, v[122:123], off offset:72
	s_waitcnt vmcnt(0)
	ds_store_b64 v5, v[1:2]
.LBB57_339:
	s_or_b32 exec_lo, exec_lo, s0
	s_waitcnt lgkmcnt(0)
	s_waitcnt_vscnt null, 0x0
	s_barrier
	buffer_gl0_inv
	s_clause 0x4
	scratch_load_b128 v[1:4], off, off offset:72
	scratch_load_b128 v[123:126], off, off offset:88
	;; [unrolled: 1-line block ×5, first 2 shown]
	ds_load_b128 v[139:142], v122 offset:544
	ds_load_b128 v[143:146], v122 offset:560
	scratch_load_b128 v[147:150], off, off offset:152
	s_mov_b32 s0, exec_lo
	s_waitcnt vmcnt(5) lgkmcnt(1)
	v_fma_f64 v[3:4], v[3:4], v[139:140], 0
	s_waitcnt vmcnt(4)
	s_delay_alu instid0(VALU_DEP_1) | instskip(SKIP_1) | instid1(VALU_DEP_1)
	v_fma_f64 v[3:4], v[123:124], v[141:142], v[3:4]
	s_waitcnt lgkmcnt(0)
	v_fma_f64 v[3:4], v[125:126], v[143:144], v[3:4]
	scratch_load_b128 v[123:126], off, off offset:168
	s_waitcnt vmcnt(4)
	v_fma_f64 v[3:4], v[127:128], v[145:146], v[3:4]
	ds_load_b128 v[139:142], v122 offset:576
	ds_load_b128 v[143:146], v122 offset:592
	s_waitcnt lgkmcnt(1)
	v_fma_f64 v[3:4], v[129:130], v[139:140], v[3:4]
	scratch_load_b128 v[127:130], off, off offset:184
	s_waitcnt vmcnt(4)
	v_fma_f64 v[3:4], v[131:132], v[141:142], v[3:4]
	s_waitcnt lgkmcnt(0)
	s_delay_alu instid0(VALU_DEP_1)
	v_fma_f64 v[3:4], v[133:134], v[143:144], v[3:4]
	scratch_load_b128 v[131:134], off, off offset:200
	s_waitcnt vmcnt(4)
	v_fma_f64 v[3:4], v[135:136], v[145:146], v[3:4]
	ds_load_b128 v[139:142], v122 offset:608
	ds_load_b128 v[143:146], v122 offset:624
	s_waitcnt lgkmcnt(1)
	v_fma_f64 v[3:4], v[137:138], v[139:140], v[3:4]
	scratch_load_b128 v[135:138], off, off offset:216
	s_waitcnt vmcnt(4)
	v_fma_f64 v[3:4], v[147:148], v[141:142], v[3:4]
	scratch_load_b128 v[139:142], off, off offset:232
	s_waitcnt lgkmcnt(0)
	v_fma_f64 v[3:4], v[149:150], v[143:144], v[3:4]
	s_waitcnt vmcnt(4)
	s_delay_alu instid0(VALU_DEP_1)
	v_fma_f64 v[3:4], v[123:124], v[145:146], v[3:4]
	ds_load_b128 v[143:146], v122 offset:640
	ds_load_b128 v[147:150], v122 offset:656
	s_waitcnt lgkmcnt(1)
	v_fma_f64 v[3:4], v[125:126], v[143:144], v[3:4]
	scratch_load_b128 v[123:126], off, off offset:248
	s_waitcnt vmcnt(4)
	v_fma_f64 v[3:4], v[127:128], v[145:146], v[3:4]
	s_waitcnt lgkmcnt(0)
	s_delay_alu instid0(VALU_DEP_1)
	v_fma_f64 v[3:4], v[129:130], v[147:148], v[3:4]
	scratch_load_b128 v[127:130], off, off offset:264
	s_waitcnt vmcnt(4)
	v_fma_f64 v[3:4], v[131:132], v[149:150], v[3:4]
	ds_load_b128 v[143:146], v122 offset:672
	ds_load_b128 v[147:150], v122 offset:688
	s_waitcnt lgkmcnt(1)
	v_fma_f64 v[3:4], v[133:134], v[143:144], v[3:4]
	scratch_load_b128 v[131:134], off, off offset:280
	s_waitcnt vmcnt(4)
	v_fma_f64 v[3:4], v[135:136], v[145:146], v[3:4]
	s_waitcnt lgkmcnt(0)
	s_delay_alu instid0(VALU_DEP_1)
	v_fma_f64 v[3:4], v[137:138], v[147:148], v[3:4]
	scratch_load_b128 v[135:138], off, off offset:296
	s_waitcnt vmcnt(4)
	;; [unrolled: 13-line block ×6, first 2 shown]
	v_fma_f64 v[3:4], v[131:132], v[149:150], v[3:4]
	ds_load_b128 v[143:146], v122 offset:832
	ds_load_b128 v[147:150], v122 offset:848
	s_waitcnt lgkmcnt(1)
	v_fma_f64 v[3:4], v[133:134], v[143:144], v[3:4]
	scratch_load_b128 v[131:134], off, off offset:440
	s_waitcnt vmcnt(4)
	v_fma_f64 v[3:4], v[135:136], v[145:146], v[3:4]
	s_waitcnt lgkmcnt(0)
	s_delay_alu instid0(VALU_DEP_1)
	v_fma_f64 v[3:4], v[137:138], v[147:148], v[3:4]
	scratch_load_b64 v[147:148], off, off offset:456
	ds_load_b128 v[135:138], v122 offset:864
	ds_load_b128 v[143:146], v122 offset:880
	s_waitcnt vmcnt(4)
	v_fma_f64 v[3:4], v[139:140], v[149:150], v[3:4]
	s_waitcnt lgkmcnt(1)
	s_delay_alu instid0(VALU_DEP_1) | instskip(SKIP_1) | instid1(VALU_DEP_1)
	v_fma_f64 v[3:4], v[141:142], v[135:136], v[3:4]
	s_waitcnt vmcnt(3)
	v_fma_f64 v[3:4], v[123:124], v[137:138], v[3:4]
	s_waitcnt lgkmcnt(0)
	s_delay_alu instid0(VALU_DEP_1)
	v_fma_f64 v[3:4], v[125:126], v[143:144], v[3:4]
	ds_load_b128 v[123:126], v122 offset:896
	ds_load_b128 v[135:138], v122 offset:912
	s_waitcnt vmcnt(2)
	v_fma_f64 v[3:4], v[127:128], v[145:146], v[3:4]
	s_waitcnt lgkmcnt(1)
	s_delay_alu instid0(VALU_DEP_1) | instskip(SKIP_1) | instid1(VALU_DEP_1)
	v_fma_f64 v[3:4], v[129:130], v[123:124], v[3:4]
	s_waitcnt vmcnt(1)
	v_fma_f64 v[3:4], v[131:132], v[125:126], v[3:4]
	s_waitcnt lgkmcnt(0)
	s_delay_alu instid0(VALU_DEP_1) | instskip(SKIP_1) | instid1(VALU_DEP_1)
	v_fma_f64 v[3:4], v[133:134], v[135:136], v[3:4]
	s_waitcnt vmcnt(0)
	v_fma_f64 v[3:4], v[147:148], v[137:138], v[3:4]
	s_delay_alu instid0(VALU_DEP_1)
	v_add_f64 v[1:2], v[1:2], -v[3:4]
	scratch_store_b64 off, v[1:2], off offset:72
	v_cmpx_lt_u32_e32 8, v0
	s_cbranch_execz .LBB57_341
; %bb.340:
	scratch_load_b64 v[1:2], off, off offset:64
	v_mov_b32_e32 v3, 0
	s_delay_alu instid0(VALU_DEP_1)
	v_mov_b32_e32 v4, v3
	scratch_store_b64 off, v[3:4], off offset:64
	s_waitcnt vmcnt(0)
	ds_store_b64 v5, v[1:2]
.LBB57_341:
	s_or_b32 exec_lo, exec_lo, s0
	s_waitcnt lgkmcnt(0)
	s_waitcnt_vscnt null, 0x0
	s_barrier
	buffer_gl0_inv
	s_clause 0x4
	scratch_load_b128 v[1:4], off, off offset:64
	scratch_load_b128 v[123:126], off, off offset:80
	;; [unrolled: 1-line block ×5, first 2 shown]
	v_mov_b32_e32 v122, 0
	ds_load_2addr_b64 v[139:142], v122 offset0:67 offset1:68
	ds_load_2addr_b64 v[143:146], v122 offset0:69 offset1:70
	scratch_load_b128 v[147:150], off, off offset:144
	s_mov_b32 s0, exec_lo
	s_waitcnt vmcnt(5) lgkmcnt(1)
	v_fma_f64 v[3:4], v[3:4], v[139:140], 0
	s_waitcnt vmcnt(4)
	s_delay_alu instid0(VALU_DEP_1) | instskip(SKIP_1) | instid1(VALU_DEP_1)
	v_fma_f64 v[3:4], v[123:124], v[141:142], v[3:4]
	s_waitcnt lgkmcnt(0)
	v_fma_f64 v[3:4], v[125:126], v[143:144], v[3:4]
	scratch_load_b128 v[123:126], off, off offset:160
	s_waitcnt vmcnt(4)
	v_fma_f64 v[3:4], v[127:128], v[145:146], v[3:4]
	ds_load_2addr_b64 v[139:142], v122 offset0:71 offset1:72
	ds_load_2addr_b64 v[143:146], v122 offset0:73 offset1:74
	s_waitcnt lgkmcnt(1)
	v_fma_f64 v[3:4], v[129:130], v[139:140], v[3:4]
	scratch_load_b128 v[127:130], off, off offset:176
	s_waitcnt vmcnt(4)
	v_fma_f64 v[3:4], v[131:132], v[141:142], v[3:4]
	s_waitcnt lgkmcnt(0)
	s_delay_alu instid0(VALU_DEP_1)
	v_fma_f64 v[3:4], v[133:134], v[143:144], v[3:4]
	scratch_load_b128 v[131:134], off, off offset:192
	s_waitcnt vmcnt(4)
	v_fma_f64 v[3:4], v[135:136], v[145:146], v[3:4]
	ds_load_2addr_b64 v[139:142], v122 offset0:75 offset1:76
	ds_load_2addr_b64 v[143:146], v122 offset0:77 offset1:78
	s_waitcnt lgkmcnt(1)
	v_fma_f64 v[3:4], v[137:138], v[139:140], v[3:4]
	scratch_load_b128 v[135:138], off, off offset:208
	s_waitcnt vmcnt(4)
	v_fma_f64 v[3:4], v[147:148], v[141:142], v[3:4]
	scratch_load_b128 v[139:142], off, off offset:224
	s_waitcnt lgkmcnt(0)
	v_fma_f64 v[3:4], v[149:150], v[143:144], v[3:4]
	s_waitcnt vmcnt(4)
	s_delay_alu instid0(VALU_DEP_1)
	v_fma_f64 v[3:4], v[123:124], v[145:146], v[3:4]
	ds_load_2addr_b64 v[143:146], v122 offset0:79 offset1:80
	ds_load_2addr_b64 v[147:150], v122 offset0:81 offset1:82
	s_waitcnt lgkmcnt(1)
	v_fma_f64 v[3:4], v[125:126], v[143:144], v[3:4]
	scratch_load_b128 v[123:126], off, off offset:240
	s_waitcnt vmcnt(4)
	v_fma_f64 v[3:4], v[127:128], v[145:146], v[3:4]
	s_waitcnt lgkmcnt(0)
	s_delay_alu instid0(VALU_DEP_1)
	v_fma_f64 v[3:4], v[129:130], v[147:148], v[3:4]
	scratch_load_b128 v[127:130], off, off offset:256
	s_waitcnt vmcnt(4)
	v_fma_f64 v[3:4], v[131:132], v[149:150], v[3:4]
	ds_load_2addr_b64 v[143:146], v122 offset0:83 offset1:84
	ds_load_2addr_b64 v[147:150], v122 offset0:85 offset1:86
	s_waitcnt lgkmcnt(1)
	v_fma_f64 v[3:4], v[133:134], v[143:144], v[3:4]
	scratch_load_b128 v[131:134], off, off offset:272
	s_waitcnt vmcnt(4)
	v_fma_f64 v[3:4], v[135:136], v[145:146], v[3:4]
	s_waitcnt lgkmcnt(0)
	s_delay_alu instid0(VALU_DEP_1)
	v_fma_f64 v[3:4], v[137:138], v[147:148], v[3:4]
	scratch_load_b128 v[135:138], off, off offset:288
	s_waitcnt vmcnt(4)
	;; [unrolled: 13-line block ×7, first 2 shown]
	v_fma_f64 v[3:4], v[139:140], v[149:150], v[3:4]
	ds_load_2addr_b64 v[143:146], v122 offset0:107 offset1:108
	ds_load_2addr_b64 v[147:150], v122 offset0:109 offset1:110
	s_waitcnt lgkmcnt(1)
	v_fma_f64 v[3:4], v[141:142], v[143:144], v[3:4]
	s_waitcnt vmcnt(3)
	s_delay_alu instid0(VALU_DEP_1) | instskip(SKIP_1) | instid1(VALU_DEP_1)
	v_fma_f64 v[3:4], v[123:124], v[145:146], v[3:4]
	s_waitcnt lgkmcnt(0)
	v_fma_f64 v[3:4], v[125:126], v[147:148], v[3:4]
	ds_load_2addr_b64 v[123:126], v122 offset0:111 offset1:112
	ds_load_2addr_b64 v[139:142], v122 offset0:113 offset1:114
	s_waitcnt vmcnt(2)
	v_fma_f64 v[3:4], v[127:128], v[149:150], v[3:4]
	s_waitcnt lgkmcnt(1)
	s_delay_alu instid0(VALU_DEP_1) | instskip(SKIP_4) | instid1(VALU_DEP_1)
	v_fma_f64 v[3:4], v[129:130], v[123:124], v[3:4]
	ds_load_b64 v[123:124], v122 offset:920
	s_waitcnt vmcnt(1)
	v_fma_f64 v[3:4], v[131:132], v[125:126], v[3:4]
	s_waitcnt lgkmcnt(1)
	v_fma_f64 v[3:4], v[133:134], v[139:140], v[3:4]
	s_waitcnt vmcnt(0)
	s_delay_alu instid0(VALU_DEP_1) | instskip(SKIP_1) | instid1(VALU_DEP_1)
	v_fma_f64 v[3:4], v[135:136], v[141:142], v[3:4]
	s_waitcnt lgkmcnt(0)
	v_fma_f64 v[3:4], v[137:138], v[123:124], v[3:4]
	s_delay_alu instid0(VALU_DEP_1)
	v_add_f64 v[1:2], v[1:2], -v[3:4]
	scratch_store_b64 off, v[1:2], off offset:64
	v_cmpx_lt_u32_e32 7, v0
	s_cbranch_execz .LBB57_343
; %bb.342:
	scratch_load_b64 v[1:2], off, off offset:56
	v_mov_b32_e32 v123, v122
	scratch_store_b64 off, v[122:123], off offset:56
	s_waitcnt vmcnt(0)
	ds_store_b64 v5, v[1:2]
.LBB57_343:
	s_or_b32 exec_lo, exec_lo, s0
	s_waitcnt lgkmcnt(0)
	s_waitcnt_vscnt null, 0x0
	s_barrier
	buffer_gl0_inv
	s_clause 0x4
	scratch_load_b128 v[1:4], off, off offset:56
	scratch_load_b128 v[123:126], off, off offset:72
	;; [unrolled: 1-line block ×5, first 2 shown]
	ds_load_b128 v[139:142], v122 offset:528
	ds_load_b128 v[143:146], v122 offset:544
	scratch_load_b128 v[147:150], off, off offset:136
	s_mov_b32 s0, exec_lo
	s_waitcnt vmcnt(5) lgkmcnt(1)
	v_fma_f64 v[3:4], v[3:4], v[139:140], 0
	s_waitcnt vmcnt(4)
	s_delay_alu instid0(VALU_DEP_1) | instskip(SKIP_1) | instid1(VALU_DEP_1)
	v_fma_f64 v[3:4], v[123:124], v[141:142], v[3:4]
	s_waitcnt lgkmcnt(0)
	v_fma_f64 v[3:4], v[125:126], v[143:144], v[3:4]
	scratch_load_b128 v[123:126], off, off offset:152
	s_waitcnt vmcnt(4)
	v_fma_f64 v[3:4], v[127:128], v[145:146], v[3:4]
	ds_load_b128 v[139:142], v122 offset:560
	ds_load_b128 v[143:146], v122 offset:576
	s_waitcnt lgkmcnt(1)
	v_fma_f64 v[3:4], v[129:130], v[139:140], v[3:4]
	scratch_load_b128 v[127:130], off, off offset:168
	s_waitcnt vmcnt(4)
	v_fma_f64 v[3:4], v[131:132], v[141:142], v[3:4]
	s_waitcnt lgkmcnt(0)
	s_delay_alu instid0(VALU_DEP_1)
	v_fma_f64 v[3:4], v[133:134], v[143:144], v[3:4]
	scratch_load_b128 v[131:134], off, off offset:184
	s_waitcnt vmcnt(4)
	v_fma_f64 v[3:4], v[135:136], v[145:146], v[3:4]
	ds_load_b128 v[139:142], v122 offset:592
	ds_load_b128 v[143:146], v122 offset:608
	s_waitcnt lgkmcnt(1)
	v_fma_f64 v[3:4], v[137:138], v[139:140], v[3:4]
	scratch_load_b128 v[135:138], off, off offset:200
	s_waitcnt vmcnt(4)
	v_fma_f64 v[3:4], v[147:148], v[141:142], v[3:4]
	scratch_load_b128 v[139:142], off, off offset:216
	s_waitcnt lgkmcnt(0)
	v_fma_f64 v[3:4], v[149:150], v[143:144], v[3:4]
	s_waitcnt vmcnt(4)
	s_delay_alu instid0(VALU_DEP_1)
	v_fma_f64 v[3:4], v[123:124], v[145:146], v[3:4]
	ds_load_b128 v[143:146], v122 offset:624
	ds_load_b128 v[147:150], v122 offset:640
	s_waitcnt lgkmcnt(1)
	v_fma_f64 v[3:4], v[125:126], v[143:144], v[3:4]
	scratch_load_b128 v[123:126], off, off offset:232
	s_waitcnt vmcnt(4)
	v_fma_f64 v[3:4], v[127:128], v[145:146], v[3:4]
	s_waitcnt lgkmcnt(0)
	s_delay_alu instid0(VALU_DEP_1)
	v_fma_f64 v[3:4], v[129:130], v[147:148], v[3:4]
	scratch_load_b128 v[127:130], off, off offset:248
	s_waitcnt vmcnt(4)
	v_fma_f64 v[3:4], v[131:132], v[149:150], v[3:4]
	ds_load_b128 v[143:146], v122 offset:656
	ds_load_b128 v[147:150], v122 offset:672
	s_waitcnt lgkmcnt(1)
	v_fma_f64 v[3:4], v[133:134], v[143:144], v[3:4]
	scratch_load_b128 v[131:134], off, off offset:264
	s_waitcnt vmcnt(4)
	v_fma_f64 v[3:4], v[135:136], v[145:146], v[3:4]
	s_waitcnt lgkmcnt(0)
	s_delay_alu instid0(VALU_DEP_1)
	v_fma_f64 v[3:4], v[137:138], v[147:148], v[3:4]
	scratch_load_b128 v[135:138], off, off offset:280
	s_waitcnt vmcnt(4)
	;; [unrolled: 13-line block ×7, first 2 shown]
	v_fma_f64 v[3:4], v[139:140], v[149:150], v[3:4]
	ds_load_b128 v[143:146], v122 offset:848
	ds_load_b128 v[147:150], v122 offset:864
	s_waitcnt lgkmcnt(1)
	v_fma_f64 v[3:4], v[141:142], v[143:144], v[3:4]
	scratch_load_b64 v[143:144], off, off offset:456
	s_waitcnt vmcnt(4)
	v_fma_f64 v[3:4], v[123:124], v[145:146], v[3:4]
	s_waitcnt lgkmcnt(0)
	s_delay_alu instid0(VALU_DEP_1)
	v_fma_f64 v[3:4], v[125:126], v[147:148], v[3:4]
	ds_load_b128 v[123:126], v122 offset:880
	ds_load_b128 v[139:142], v122 offset:896
	s_waitcnt vmcnt(3)
	v_fma_f64 v[3:4], v[127:128], v[149:150], v[3:4]
	s_waitcnt lgkmcnt(1)
	s_delay_alu instid0(VALU_DEP_1) | instskip(SKIP_1) | instid1(VALU_DEP_1)
	v_fma_f64 v[3:4], v[129:130], v[123:124], v[3:4]
	s_waitcnt vmcnt(2)
	v_fma_f64 v[3:4], v[131:132], v[125:126], v[3:4]
	ds_load_b128 v[122:125], v122 offset:912
	s_waitcnt lgkmcnt(1)
	v_fma_f64 v[3:4], v[133:134], v[139:140], v[3:4]
	s_waitcnt vmcnt(1)
	s_delay_alu instid0(VALU_DEP_1) | instskip(SKIP_1) | instid1(VALU_DEP_1)
	v_fma_f64 v[3:4], v[135:136], v[141:142], v[3:4]
	s_waitcnt lgkmcnt(0)
	v_fma_f64 v[3:4], v[137:138], v[122:123], v[3:4]
	s_waitcnt vmcnt(0)
	s_delay_alu instid0(VALU_DEP_1) | instskip(NEXT) | instid1(VALU_DEP_1)
	v_fma_f64 v[3:4], v[143:144], v[124:125], v[3:4]
	v_add_f64 v[1:2], v[1:2], -v[3:4]
	scratch_store_b64 off, v[1:2], off offset:56
	v_cmpx_lt_u32_e32 6, v0
	s_cbranch_execz .LBB57_345
; %bb.344:
	scratch_load_b64 v[1:2], off, off offset:48
	v_mov_b32_e32 v3, 0
	s_delay_alu instid0(VALU_DEP_1)
	v_mov_b32_e32 v4, v3
	scratch_store_b64 off, v[3:4], off offset:48
	s_waitcnt vmcnt(0)
	ds_store_b64 v5, v[1:2]
.LBB57_345:
	s_or_b32 exec_lo, exec_lo, s0
	s_waitcnt lgkmcnt(0)
	s_waitcnt_vscnt null, 0x0
	s_barrier
	buffer_gl0_inv
	s_clause 0x4
	scratch_load_b128 v[1:4], off, off offset:48
	scratch_load_b128 v[123:126], off, off offset:64
	;; [unrolled: 1-line block ×5, first 2 shown]
	v_mov_b32_e32 v122, 0
	ds_load_2addr_b64 v[139:142], v122 offset0:65 offset1:66
	ds_load_2addr_b64 v[143:146], v122 offset0:67 offset1:68
	scratch_load_b128 v[147:150], off, off offset:128
	s_mov_b32 s0, exec_lo
	s_waitcnt vmcnt(5) lgkmcnt(1)
	v_fma_f64 v[3:4], v[3:4], v[139:140], 0
	s_waitcnt vmcnt(4)
	s_delay_alu instid0(VALU_DEP_1) | instskip(SKIP_1) | instid1(VALU_DEP_1)
	v_fma_f64 v[3:4], v[123:124], v[141:142], v[3:4]
	s_waitcnt lgkmcnt(0)
	v_fma_f64 v[3:4], v[125:126], v[143:144], v[3:4]
	scratch_load_b128 v[123:126], off, off offset:144
	s_waitcnt vmcnt(4)
	v_fma_f64 v[3:4], v[127:128], v[145:146], v[3:4]
	ds_load_2addr_b64 v[139:142], v122 offset0:69 offset1:70
	ds_load_2addr_b64 v[143:146], v122 offset0:71 offset1:72
	s_waitcnt lgkmcnt(1)
	v_fma_f64 v[3:4], v[129:130], v[139:140], v[3:4]
	scratch_load_b128 v[127:130], off, off offset:160
	s_waitcnt vmcnt(4)
	v_fma_f64 v[3:4], v[131:132], v[141:142], v[3:4]
	s_waitcnt lgkmcnt(0)
	s_delay_alu instid0(VALU_DEP_1)
	v_fma_f64 v[3:4], v[133:134], v[143:144], v[3:4]
	scratch_load_b128 v[131:134], off, off offset:176
	s_waitcnt vmcnt(4)
	v_fma_f64 v[3:4], v[135:136], v[145:146], v[3:4]
	ds_load_2addr_b64 v[139:142], v122 offset0:73 offset1:74
	ds_load_2addr_b64 v[143:146], v122 offset0:75 offset1:76
	s_waitcnt lgkmcnt(1)
	v_fma_f64 v[3:4], v[137:138], v[139:140], v[3:4]
	scratch_load_b128 v[135:138], off, off offset:192
	s_waitcnt vmcnt(4)
	v_fma_f64 v[3:4], v[147:148], v[141:142], v[3:4]
	scratch_load_b128 v[139:142], off, off offset:208
	s_waitcnt lgkmcnt(0)
	v_fma_f64 v[3:4], v[149:150], v[143:144], v[3:4]
	s_waitcnt vmcnt(4)
	s_delay_alu instid0(VALU_DEP_1)
	v_fma_f64 v[3:4], v[123:124], v[145:146], v[3:4]
	ds_load_2addr_b64 v[143:146], v122 offset0:77 offset1:78
	ds_load_2addr_b64 v[147:150], v122 offset0:79 offset1:80
	s_waitcnt lgkmcnt(1)
	v_fma_f64 v[3:4], v[125:126], v[143:144], v[3:4]
	scratch_load_b128 v[123:126], off, off offset:224
	s_waitcnt vmcnt(4)
	v_fma_f64 v[3:4], v[127:128], v[145:146], v[3:4]
	s_waitcnt lgkmcnt(0)
	s_delay_alu instid0(VALU_DEP_1)
	v_fma_f64 v[3:4], v[129:130], v[147:148], v[3:4]
	scratch_load_b128 v[127:130], off, off offset:240
	s_waitcnt vmcnt(4)
	v_fma_f64 v[3:4], v[131:132], v[149:150], v[3:4]
	ds_load_2addr_b64 v[143:146], v122 offset0:81 offset1:82
	ds_load_2addr_b64 v[147:150], v122 offset0:83 offset1:84
	s_waitcnt lgkmcnt(1)
	v_fma_f64 v[3:4], v[133:134], v[143:144], v[3:4]
	scratch_load_b128 v[131:134], off, off offset:256
	s_waitcnt vmcnt(4)
	v_fma_f64 v[3:4], v[135:136], v[145:146], v[3:4]
	s_waitcnt lgkmcnt(0)
	s_delay_alu instid0(VALU_DEP_1)
	v_fma_f64 v[3:4], v[137:138], v[147:148], v[3:4]
	scratch_load_b128 v[135:138], off, off offset:272
	s_waitcnt vmcnt(4)
	;; [unrolled: 13-line block ×7, first 2 shown]
	v_fma_f64 v[3:4], v[139:140], v[149:150], v[3:4]
	ds_load_2addr_b64 v[143:146], v122 offset0:105 offset1:106
	ds_load_2addr_b64 v[147:150], v122 offset0:107 offset1:108
	s_waitcnt lgkmcnt(1)
	v_fma_f64 v[3:4], v[141:142], v[143:144], v[3:4]
	scratch_load_b128 v[139:142], off, off offset:448
	s_waitcnt vmcnt(4)
	v_fma_f64 v[3:4], v[123:124], v[145:146], v[3:4]
	s_waitcnt lgkmcnt(0)
	s_delay_alu instid0(VALU_DEP_1)
	v_fma_f64 v[3:4], v[125:126], v[147:148], v[3:4]
	ds_load_2addr_b64 v[123:126], v122 offset0:109 offset1:110
	ds_load_2addr_b64 v[143:146], v122 offset0:111 offset1:112
	s_waitcnt vmcnt(3)
	v_fma_f64 v[3:4], v[127:128], v[149:150], v[3:4]
	s_waitcnt lgkmcnt(1)
	s_delay_alu instid0(VALU_DEP_1) | instskip(SKIP_1) | instid1(VALU_DEP_1)
	v_fma_f64 v[3:4], v[129:130], v[123:124], v[3:4]
	s_waitcnt vmcnt(2)
	v_fma_f64 v[3:4], v[131:132], v[125:126], v[3:4]
	ds_load_2addr_b64 v[123:126], v122 offset0:113 offset1:114
	ds_load_b64 v[127:128], v122 offset:920
	s_waitcnt lgkmcnt(2)
	v_fma_f64 v[3:4], v[133:134], v[143:144], v[3:4]
	s_waitcnt vmcnt(1)
	s_delay_alu instid0(VALU_DEP_1) | instskip(SKIP_1) | instid1(VALU_DEP_1)
	v_fma_f64 v[3:4], v[135:136], v[145:146], v[3:4]
	s_waitcnt lgkmcnt(1)
	v_fma_f64 v[3:4], v[137:138], v[123:124], v[3:4]
	s_waitcnt vmcnt(0)
	s_delay_alu instid0(VALU_DEP_1) | instskip(SKIP_1) | instid1(VALU_DEP_1)
	v_fma_f64 v[3:4], v[139:140], v[125:126], v[3:4]
	s_waitcnt lgkmcnt(0)
	v_fma_f64 v[3:4], v[141:142], v[127:128], v[3:4]
	s_delay_alu instid0(VALU_DEP_1)
	v_add_f64 v[1:2], v[1:2], -v[3:4]
	scratch_store_b64 off, v[1:2], off offset:48
	v_cmpx_lt_u32_e32 5, v0
	s_cbranch_execz .LBB57_347
; %bb.346:
	scratch_load_b64 v[1:2], off, off offset:40
	v_mov_b32_e32 v123, v122
	scratch_store_b64 off, v[122:123], off offset:40
	s_waitcnt vmcnt(0)
	ds_store_b64 v5, v[1:2]
.LBB57_347:
	s_or_b32 exec_lo, exec_lo, s0
	s_waitcnt lgkmcnt(0)
	s_waitcnt_vscnt null, 0x0
	s_barrier
	buffer_gl0_inv
	s_clause 0x4
	scratch_load_b128 v[1:4], off, off offset:40
	scratch_load_b128 v[123:126], off, off offset:56
	;; [unrolled: 1-line block ×5, first 2 shown]
	ds_load_b128 v[139:142], v122 offset:512
	ds_load_b128 v[143:146], v122 offset:528
	scratch_load_b128 v[147:150], off, off offset:120
	s_mov_b32 s0, exec_lo
	s_waitcnt vmcnt(5) lgkmcnt(1)
	v_fma_f64 v[3:4], v[3:4], v[139:140], 0
	s_waitcnt vmcnt(4)
	s_delay_alu instid0(VALU_DEP_1) | instskip(SKIP_1) | instid1(VALU_DEP_1)
	v_fma_f64 v[3:4], v[123:124], v[141:142], v[3:4]
	s_waitcnt lgkmcnt(0)
	v_fma_f64 v[3:4], v[125:126], v[143:144], v[3:4]
	scratch_load_b128 v[123:126], off, off offset:136
	s_waitcnt vmcnt(4)
	v_fma_f64 v[3:4], v[127:128], v[145:146], v[3:4]
	ds_load_b128 v[139:142], v122 offset:544
	ds_load_b128 v[143:146], v122 offset:560
	s_waitcnt lgkmcnt(1)
	v_fma_f64 v[3:4], v[129:130], v[139:140], v[3:4]
	scratch_load_b128 v[127:130], off, off offset:152
	s_waitcnt vmcnt(4)
	v_fma_f64 v[3:4], v[131:132], v[141:142], v[3:4]
	s_waitcnt lgkmcnt(0)
	s_delay_alu instid0(VALU_DEP_1)
	v_fma_f64 v[3:4], v[133:134], v[143:144], v[3:4]
	scratch_load_b128 v[131:134], off, off offset:168
	s_waitcnt vmcnt(4)
	v_fma_f64 v[3:4], v[135:136], v[145:146], v[3:4]
	ds_load_b128 v[139:142], v122 offset:576
	ds_load_b128 v[143:146], v122 offset:592
	s_waitcnt lgkmcnt(1)
	v_fma_f64 v[3:4], v[137:138], v[139:140], v[3:4]
	scratch_load_b128 v[135:138], off, off offset:184
	s_waitcnt vmcnt(4)
	v_fma_f64 v[3:4], v[147:148], v[141:142], v[3:4]
	scratch_load_b128 v[139:142], off, off offset:200
	s_waitcnt lgkmcnt(0)
	v_fma_f64 v[3:4], v[149:150], v[143:144], v[3:4]
	s_waitcnt vmcnt(4)
	s_delay_alu instid0(VALU_DEP_1)
	v_fma_f64 v[3:4], v[123:124], v[145:146], v[3:4]
	ds_load_b128 v[143:146], v122 offset:608
	ds_load_b128 v[147:150], v122 offset:624
	s_waitcnt lgkmcnt(1)
	v_fma_f64 v[3:4], v[125:126], v[143:144], v[3:4]
	scratch_load_b128 v[123:126], off, off offset:216
	s_waitcnt vmcnt(4)
	v_fma_f64 v[3:4], v[127:128], v[145:146], v[3:4]
	s_waitcnt lgkmcnt(0)
	s_delay_alu instid0(VALU_DEP_1)
	v_fma_f64 v[3:4], v[129:130], v[147:148], v[3:4]
	scratch_load_b128 v[127:130], off, off offset:232
	s_waitcnt vmcnt(4)
	v_fma_f64 v[3:4], v[131:132], v[149:150], v[3:4]
	ds_load_b128 v[143:146], v122 offset:640
	ds_load_b128 v[147:150], v122 offset:656
	s_waitcnt lgkmcnt(1)
	v_fma_f64 v[3:4], v[133:134], v[143:144], v[3:4]
	scratch_load_b128 v[131:134], off, off offset:248
	s_waitcnt vmcnt(4)
	v_fma_f64 v[3:4], v[135:136], v[145:146], v[3:4]
	s_waitcnt lgkmcnt(0)
	s_delay_alu instid0(VALU_DEP_1)
	v_fma_f64 v[3:4], v[137:138], v[147:148], v[3:4]
	scratch_load_b128 v[135:138], off, off offset:264
	s_waitcnt vmcnt(4)
	;; [unrolled: 13-line block ×7, first 2 shown]
	v_fma_f64 v[3:4], v[139:140], v[149:150], v[3:4]
	ds_load_b128 v[143:146], v122 offset:832
	ds_load_b128 v[147:150], v122 offset:848
	s_waitcnt lgkmcnt(1)
	v_fma_f64 v[3:4], v[141:142], v[143:144], v[3:4]
	scratch_load_b128 v[139:142], off, off offset:440
	s_waitcnt vmcnt(4)
	v_fma_f64 v[3:4], v[123:124], v[145:146], v[3:4]
	s_waitcnt lgkmcnt(0)
	s_delay_alu instid0(VALU_DEP_1)
	v_fma_f64 v[3:4], v[125:126], v[147:148], v[3:4]
	scratch_load_b64 v[147:148], off, off offset:456
	ds_load_b128 v[123:126], v122 offset:864
	ds_load_b128 v[143:146], v122 offset:880
	s_waitcnt vmcnt(4)
	v_fma_f64 v[3:4], v[127:128], v[149:150], v[3:4]
	s_waitcnt lgkmcnt(1)
	s_delay_alu instid0(VALU_DEP_1) | instskip(SKIP_1) | instid1(VALU_DEP_1)
	v_fma_f64 v[3:4], v[129:130], v[123:124], v[3:4]
	s_waitcnt vmcnt(3)
	v_fma_f64 v[3:4], v[131:132], v[125:126], v[3:4]
	ds_load_b128 v[123:126], v122 offset:896
	ds_load_b128 v[127:130], v122 offset:912
	s_waitcnt lgkmcnt(2)
	v_fma_f64 v[3:4], v[133:134], v[143:144], v[3:4]
	s_waitcnt vmcnt(2)
	s_delay_alu instid0(VALU_DEP_1) | instskip(SKIP_1) | instid1(VALU_DEP_1)
	v_fma_f64 v[3:4], v[135:136], v[145:146], v[3:4]
	s_waitcnt lgkmcnt(1)
	v_fma_f64 v[3:4], v[137:138], v[123:124], v[3:4]
	s_waitcnt vmcnt(1)
	s_delay_alu instid0(VALU_DEP_1) | instskip(SKIP_1) | instid1(VALU_DEP_1)
	v_fma_f64 v[3:4], v[139:140], v[125:126], v[3:4]
	s_waitcnt lgkmcnt(0)
	v_fma_f64 v[3:4], v[141:142], v[127:128], v[3:4]
	s_waitcnt vmcnt(0)
	s_delay_alu instid0(VALU_DEP_1) | instskip(NEXT) | instid1(VALU_DEP_1)
	v_fma_f64 v[3:4], v[147:148], v[129:130], v[3:4]
	v_add_f64 v[1:2], v[1:2], -v[3:4]
	scratch_store_b64 off, v[1:2], off offset:40
	v_cmpx_lt_u32_e32 4, v0
	s_cbranch_execz .LBB57_349
; %bb.348:
	scratch_load_b64 v[1:2], off, off offset:32
	v_mov_b32_e32 v3, 0
	s_delay_alu instid0(VALU_DEP_1)
	v_mov_b32_e32 v4, v3
	scratch_store_b64 off, v[3:4], off offset:32
	s_waitcnt vmcnt(0)
	ds_store_b64 v5, v[1:2]
.LBB57_349:
	s_or_b32 exec_lo, exec_lo, s0
	s_waitcnt lgkmcnt(0)
	s_waitcnt_vscnt null, 0x0
	s_barrier
	buffer_gl0_inv
	s_clause 0x4
	scratch_load_b128 v[1:4], off, off offset:32
	scratch_load_b128 v[123:126], off, off offset:48
	;; [unrolled: 1-line block ×5, first 2 shown]
	v_mov_b32_e32 v122, 0
	ds_load_2addr_b64 v[139:142], v122 offset0:63 offset1:64
	ds_load_2addr_b64 v[143:146], v122 offset0:65 offset1:66
	scratch_load_b128 v[147:150], off, off offset:112
	s_mov_b32 s0, exec_lo
	s_waitcnt vmcnt(5) lgkmcnt(1)
	v_fma_f64 v[3:4], v[3:4], v[139:140], 0
	s_waitcnt vmcnt(4)
	s_delay_alu instid0(VALU_DEP_1) | instskip(SKIP_1) | instid1(VALU_DEP_1)
	v_fma_f64 v[3:4], v[123:124], v[141:142], v[3:4]
	s_waitcnt lgkmcnt(0)
	v_fma_f64 v[3:4], v[125:126], v[143:144], v[3:4]
	scratch_load_b128 v[123:126], off, off offset:128
	s_waitcnt vmcnt(4)
	v_fma_f64 v[3:4], v[127:128], v[145:146], v[3:4]
	ds_load_2addr_b64 v[139:142], v122 offset0:67 offset1:68
	ds_load_2addr_b64 v[143:146], v122 offset0:69 offset1:70
	s_waitcnt lgkmcnt(1)
	v_fma_f64 v[3:4], v[129:130], v[139:140], v[3:4]
	scratch_load_b128 v[127:130], off, off offset:144
	s_waitcnt vmcnt(4)
	v_fma_f64 v[3:4], v[131:132], v[141:142], v[3:4]
	s_waitcnt lgkmcnt(0)
	s_delay_alu instid0(VALU_DEP_1)
	v_fma_f64 v[3:4], v[133:134], v[143:144], v[3:4]
	scratch_load_b128 v[131:134], off, off offset:160
	s_waitcnt vmcnt(4)
	v_fma_f64 v[3:4], v[135:136], v[145:146], v[3:4]
	ds_load_2addr_b64 v[139:142], v122 offset0:71 offset1:72
	ds_load_2addr_b64 v[143:146], v122 offset0:73 offset1:74
	s_waitcnt lgkmcnt(1)
	v_fma_f64 v[3:4], v[137:138], v[139:140], v[3:4]
	scratch_load_b128 v[135:138], off, off offset:176
	s_waitcnt vmcnt(4)
	v_fma_f64 v[3:4], v[147:148], v[141:142], v[3:4]
	scratch_load_b128 v[139:142], off, off offset:192
	s_waitcnt lgkmcnt(0)
	v_fma_f64 v[3:4], v[149:150], v[143:144], v[3:4]
	s_waitcnt vmcnt(4)
	s_delay_alu instid0(VALU_DEP_1)
	v_fma_f64 v[3:4], v[123:124], v[145:146], v[3:4]
	ds_load_2addr_b64 v[143:146], v122 offset0:75 offset1:76
	ds_load_2addr_b64 v[147:150], v122 offset0:77 offset1:78
	s_waitcnt lgkmcnt(1)
	v_fma_f64 v[3:4], v[125:126], v[143:144], v[3:4]
	scratch_load_b128 v[123:126], off, off offset:208
	s_waitcnt vmcnt(4)
	v_fma_f64 v[3:4], v[127:128], v[145:146], v[3:4]
	s_waitcnt lgkmcnt(0)
	s_delay_alu instid0(VALU_DEP_1)
	v_fma_f64 v[3:4], v[129:130], v[147:148], v[3:4]
	scratch_load_b128 v[127:130], off, off offset:224
	s_waitcnt vmcnt(4)
	v_fma_f64 v[3:4], v[131:132], v[149:150], v[3:4]
	ds_load_2addr_b64 v[143:146], v122 offset0:79 offset1:80
	ds_load_2addr_b64 v[147:150], v122 offset0:81 offset1:82
	s_waitcnt lgkmcnt(1)
	v_fma_f64 v[3:4], v[133:134], v[143:144], v[3:4]
	scratch_load_b128 v[131:134], off, off offset:240
	s_waitcnt vmcnt(4)
	v_fma_f64 v[3:4], v[135:136], v[145:146], v[3:4]
	s_waitcnt lgkmcnt(0)
	s_delay_alu instid0(VALU_DEP_1)
	v_fma_f64 v[3:4], v[137:138], v[147:148], v[3:4]
	scratch_load_b128 v[135:138], off, off offset:256
	s_waitcnt vmcnt(4)
	v_fma_f64 v[3:4], v[139:140], v[149:150], v[3:4]
	ds_load_2addr_b64 v[143:146], v122 offset0:83 offset1:84
	ds_load_2addr_b64 v[147:150], v122 offset0:85 offset1:86
	s_waitcnt lgkmcnt(1)
	v_fma_f64 v[3:4], v[141:142], v[143:144], v[3:4]
	scratch_load_b128 v[139:142], off, off offset:272
	s_waitcnt vmcnt(4)
	v_fma_f64 v[3:4], v[123:124], v[145:146], v[3:4]
	s_waitcnt lgkmcnt(0)
	s_delay_alu instid0(VALU_DEP_1)
	v_fma_f64 v[3:4], v[125:126], v[147:148], v[3:4]
	scratch_load_b128 v[123:126], off, off offset:288
	s_waitcnt vmcnt(4)
	v_fma_f64 v[3:4], v[127:128], v[149:150], v[3:4]
	ds_load_2addr_b64 v[143:146], v122 offset0:87 offset1:88
	ds_load_2addr_b64 v[147:150], v122 offset0:89 offset1:90
	s_waitcnt lgkmcnt(1)
	v_fma_f64 v[3:4], v[129:130], v[143:144], v[3:4]
	scratch_load_b128 v[127:130], off, off offset:304
	s_waitcnt vmcnt(4)
	v_fma_f64 v[3:4], v[131:132], v[145:146], v[3:4]
	s_waitcnt lgkmcnt(0)
	s_delay_alu instid0(VALU_DEP_1)
	v_fma_f64 v[3:4], v[133:134], v[147:148], v[3:4]
	scratch_load_b128 v[131:134], off, off offset:320
	s_waitcnt vmcnt(4)
	v_fma_f64 v[3:4], v[135:136], v[149:150], v[3:4]
	ds_load_2addr_b64 v[143:146], v122 offset0:91 offset1:92
	ds_load_2addr_b64 v[147:150], v122 offset0:93 offset1:94
	s_waitcnt lgkmcnt(1)
	v_fma_f64 v[3:4], v[137:138], v[143:144], v[3:4]
	scratch_load_b128 v[135:138], off, off offset:336
	s_waitcnt vmcnt(4)
	v_fma_f64 v[3:4], v[139:140], v[145:146], v[3:4]
	s_waitcnt lgkmcnt(0)
	s_delay_alu instid0(VALU_DEP_1)
	v_fma_f64 v[3:4], v[141:142], v[147:148], v[3:4]
	scratch_load_b128 v[139:142], off, off offset:352
	s_waitcnt vmcnt(4)
	v_fma_f64 v[3:4], v[123:124], v[149:150], v[3:4]
	ds_load_2addr_b64 v[143:146], v122 offset0:95 offset1:96
	ds_load_2addr_b64 v[147:150], v122 offset0:97 offset1:98
	s_waitcnt lgkmcnt(1)
	v_fma_f64 v[3:4], v[125:126], v[143:144], v[3:4]
	scratch_load_b128 v[123:126], off, off offset:368
	s_waitcnt vmcnt(4)
	v_fma_f64 v[3:4], v[127:128], v[145:146], v[3:4]
	s_waitcnt lgkmcnt(0)
	s_delay_alu instid0(VALU_DEP_1)
	v_fma_f64 v[3:4], v[129:130], v[147:148], v[3:4]
	scratch_load_b128 v[127:130], off, off offset:384
	s_waitcnt vmcnt(4)
	v_fma_f64 v[3:4], v[131:132], v[149:150], v[3:4]
	ds_load_2addr_b64 v[143:146], v122 offset0:99 offset1:100
	ds_load_2addr_b64 v[147:150], v122 offset0:101 offset1:102
	s_waitcnt lgkmcnt(1)
	v_fma_f64 v[3:4], v[133:134], v[143:144], v[3:4]
	scratch_load_b128 v[131:134], off, off offset:400
	s_waitcnt vmcnt(4)
	v_fma_f64 v[3:4], v[135:136], v[145:146], v[3:4]
	s_waitcnt lgkmcnt(0)
	s_delay_alu instid0(VALU_DEP_1)
	v_fma_f64 v[3:4], v[137:138], v[147:148], v[3:4]
	scratch_load_b128 v[135:138], off, off offset:416
	s_waitcnt vmcnt(4)
	v_fma_f64 v[3:4], v[139:140], v[149:150], v[3:4]
	ds_load_2addr_b64 v[143:146], v122 offset0:103 offset1:104
	ds_load_2addr_b64 v[147:150], v122 offset0:105 offset1:106
	s_waitcnt lgkmcnt(1)
	v_fma_f64 v[3:4], v[141:142], v[143:144], v[3:4]
	scratch_load_b128 v[139:142], off, off offset:432
	s_waitcnt vmcnt(4)
	v_fma_f64 v[3:4], v[123:124], v[145:146], v[3:4]
	s_waitcnt lgkmcnt(0)
	s_delay_alu instid0(VALU_DEP_1)
	v_fma_f64 v[3:4], v[125:126], v[147:148], v[3:4]
	scratch_load_b128 v[123:126], off, off offset:448
	s_waitcnt vmcnt(4)
	v_fma_f64 v[3:4], v[127:128], v[149:150], v[3:4]
	ds_load_2addr_b64 v[143:146], v122 offset0:107 offset1:108
	ds_load_2addr_b64 v[147:150], v122 offset0:109 offset1:110
	s_waitcnt lgkmcnt(1)
	v_fma_f64 v[3:4], v[129:130], v[143:144], v[3:4]
	s_waitcnt vmcnt(3)
	s_delay_alu instid0(VALU_DEP_1) | instskip(SKIP_1) | instid1(VALU_DEP_1)
	v_fma_f64 v[3:4], v[131:132], v[145:146], v[3:4]
	s_waitcnt lgkmcnt(0)
	v_fma_f64 v[3:4], v[133:134], v[147:148], v[3:4]
	ds_load_2addr_b64 v[127:130], v122 offset0:111 offset1:112
	ds_load_2addr_b64 v[131:134], v122 offset0:113 offset1:114
	s_waitcnt vmcnt(2)
	v_fma_f64 v[3:4], v[135:136], v[149:150], v[3:4]
	s_waitcnt lgkmcnt(1)
	s_delay_alu instid0(VALU_DEP_1) | instskip(SKIP_1) | instid1(VALU_DEP_1)
	v_fma_f64 v[3:4], v[137:138], v[127:128], v[3:4]
	s_waitcnt vmcnt(1)
	v_fma_f64 v[3:4], v[139:140], v[129:130], v[3:4]
	s_waitcnt lgkmcnt(0)
	s_delay_alu instid0(VALU_DEP_1) | instskip(SKIP_1) | instid1(VALU_DEP_1)
	v_fma_f64 v[3:4], v[141:142], v[131:132], v[3:4]
	s_waitcnt vmcnt(0)
	v_fma_f64 v[3:4], v[123:124], v[133:134], v[3:4]
	ds_load_b64 v[123:124], v122 offset:920
	s_waitcnt lgkmcnt(0)
	v_fma_f64 v[3:4], v[125:126], v[123:124], v[3:4]
	s_delay_alu instid0(VALU_DEP_1)
	v_add_f64 v[1:2], v[1:2], -v[3:4]
	scratch_store_b64 off, v[1:2], off offset:32
	v_cmpx_lt_u32_e32 3, v0
	s_cbranch_execz .LBB57_351
; %bb.350:
	scratch_load_b64 v[1:2], off, off offset:24
	v_mov_b32_e32 v123, v122
	scratch_store_b64 off, v[122:123], off offset:24
	s_waitcnt vmcnt(0)
	ds_store_b64 v5, v[1:2]
.LBB57_351:
	s_or_b32 exec_lo, exec_lo, s0
	s_waitcnt lgkmcnt(0)
	s_waitcnt_vscnt null, 0x0
	s_barrier
	buffer_gl0_inv
	s_clause 0x4
	scratch_load_b128 v[1:4], off, off offset:24
	scratch_load_b128 v[123:126], off, off offset:40
	;; [unrolled: 1-line block ×5, first 2 shown]
	ds_load_b128 v[139:142], v122 offset:496
	ds_load_b128 v[143:146], v122 offset:512
	scratch_load_b128 v[147:150], off, off offset:104
	s_mov_b32 s0, exec_lo
	s_waitcnt vmcnt(5) lgkmcnt(1)
	v_fma_f64 v[3:4], v[3:4], v[139:140], 0
	s_waitcnt vmcnt(4)
	s_delay_alu instid0(VALU_DEP_1) | instskip(SKIP_1) | instid1(VALU_DEP_1)
	v_fma_f64 v[3:4], v[123:124], v[141:142], v[3:4]
	s_waitcnt lgkmcnt(0)
	v_fma_f64 v[3:4], v[125:126], v[143:144], v[3:4]
	scratch_load_b128 v[123:126], off, off offset:120
	s_waitcnt vmcnt(4)
	v_fma_f64 v[3:4], v[127:128], v[145:146], v[3:4]
	ds_load_b128 v[139:142], v122 offset:528
	ds_load_b128 v[143:146], v122 offset:544
	s_waitcnt lgkmcnt(1)
	v_fma_f64 v[3:4], v[129:130], v[139:140], v[3:4]
	scratch_load_b128 v[127:130], off, off offset:136
	s_waitcnt vmcnt(4)
	v_fma_f64 v[3:4], v[131:132], v[141:142], v[3:4]
	s_waitcnt lgkmcnt(0)
	s_delay_alu instid0(VALU_DEP_1)
	v_fma_f64 v[3:4], v[133:134], v[143:144], v[3:4]
	scratch_load_b128 v[131:134], off, off offset:152
	s_waitcnt vmcnt(4)
	v_fma_f64 v[3:4], v[135:136], v[145:146], v[3:4]
	ds_load_b128 v[139:142], v122 offset:560
	ds_load_b128 v[143:146], v122 offset:576
	s_waitcnt lgkmcnt(1)
	v_fma_f64 v[3:4], v[137:138], v[139:140], v[3:4]
	scratch_load_b128 v[135:138], off, off offset:168
	s_waitcnt vmcnt(4)
	v_fma_f64 v[3:4], v[147:148], v[141:142], v[3:4]
	scratch_load_b128 v[139:142], off, off offset:184
	s_waitcnt lgkmcnt(0)
	v_fma_f64 v[3:4], v[149:150], v[143:144], v[3:4]
	s_waitcnt vmcnt(4)
	s_delay_alu instid0(VALU_DEP_1)
	v_fma_f64 v[3:4], v[123:124], v[145:146], v[3:4]
	ds_load_b128 v[143:146], v122 offset:592
	ds_load_b128 v[147:150], v122 offset:608
	s_waitcnt lgkmcnt(1)
	v_fma_f64 v[3:4], v[125:126], v[143:144], v[3:4]
	scratch_load_b128 v[123:126], off, off offset:200
	s_waitcnt vmcnt(4)
	v_fma_f64 v[3:4], v[127:128], v[145:146], v[3:4]
	s_waitcnt lgkmcnt(0)
	s_delay_alu instid0(VALU_DEP_1)
	v_fma_f64 v[3:4], v[129:130], v[147:148], v[3:4]
	scratch_load_b128 v[127:130], off, off offset:216
	s_waitcnt vmcnt(4)
	v_fma_f64 v[3:4], v[131:132], v[149:150], v[3:4]
	ds_load_b128 v[143:146], v122 offset:624
	ds_load_b128 v[147:150], v122 offset:640
	s_waitcnt lgkmcnt(1)
	v_fma_f64 v[3:4], v[133:134], v[143:144], v[3:4]
	scratch_load_b128 v[131:134], off, off offset:232
	s_waitcnt vmcnt(4)
	v_fma_f64 v[3:4], v[135:136], v[145:146], v[3:4]
	s_waitcnt lgkmcnt(0)
	s_delay_alu instid0(VALU_DEP_1)
	v_fma_f64 v[3:4], v[137:138], v[147:148], v[3:4]
	scratch_load_b128 v[135:138], off, off offset:248
	s_waitcnt vmcnt(4)
	;; [unrolled: 13-line block ×8, first 2 shown]
	v_fma_f64 v[3:4], v[127:128], v[149:150], v[3:4]
	ds_load_b128 v[143:146], v122 offset:848
	ds_load_b128 v[147:150], v122 offset:864
	s_waitcnt lgkmcnt(1)
	v_fma_f64 v[3:4], v[129:130], v[143:144], v[3:4]
	scratch_load_b64 v[143:144], off, off offset:456
	s_waitcnt vmcnt(4)
	v_fma_f64 v[3:4], v[131:132], v[145:146], v[3:4]
	s_waitcnt lgkmcnt(0)
	s_delay_alu instid0(VALU_DEP_1)
	v_fma_f64 v[3:4], v[133:134], v[147:148], v[3:4]
	ds_load_b128 v[127:130], v122 offset:880
	ds_load_b128 v[131:134], v122 offset:896
	s_waitcnt vmcnt(3)
	v_fma_f64 v[3:4], v[135:136], v[149:150], v[3:4]
	s_waitcnt lgkmcnt(1)
	s_delay_alu instid0(VALU_DEP_1) | instskip(SKIP_1) | instid1(VALU_DEP_1)
	v_fma_f64 v[3:4], v[137:138], v[127:128], v[3:4]
	s_waitcnt vmcnt(2)
	v_fma_f64 v[3:4], v[139:140], v[129:130], v[3:4]
	ds_load_b128 v[127:130], v122 offset:912
	s_waitcnt lgkmcnt(1)
	v_fma_f64 v[3:4], v[141:142], v[131:132], v[3:4]
	s_waitcnt vmcnt(1)
	s_delay_alu instid0(VALU_DEP_1) | instskip(SKIP_1) | instid1(VALU_DEP_1)
	v_fma_f64 v[3:4], v[123:124], v[133:134], v[3:4]
	s_waitcnt lgkmcnt(0)
	v_fma_f64 v[3:4], v[125:126], v[127:128], v[3:4]
	s_waitcnt vmcnt(0)
	s_delay_alu instid0(VALU_DEP_1) | instskip(NEXT) | instid1(VALU_DEP_1)
	v_fma_f64 v[3:4], v[143:144], v[129:130], v[3:4]
	v_add_f64 v[1:2], v[1:2], -v[3:4]
	scratch_store_b64 off, v[1:2], off offset:24
	v_cmpx_lt_u32_e32 2, v0
	s_cbranch_execz .LBB57_353
; %bb.352:
	scratch_load_b64 v[1:2], off, off offset:16
	v_mov_b32_e32 v3, 0
	s_delay_alu instid0(VALU_DEP_1)
	v_mov_b32_e32 v4, v3
	scratch_store_b64 off, v[3:4], off offset:16
	s_waitcnt vmcnt(0)
	ds_store_b64 v5, v[1:2]
.LBB57_353:
	s_or_b32 exec_lo, exec_lo, s0
	s_waitcnt lgkmcnt(0)
	s_waitcnt_vscnt null, 0x0
	s_barrier
	buffer_gl0_inv
	s_clause 0x4
	scratch_load_b128 v[1:4], off, off offset:16
	scratch_load_b128 v[123:126], off, off offset:32
	;; [unrolled: 1-line block ×5, first 2 shown]
	v_mov_b32_e32 v122, 0
	ds_load_2addr_b64 v[139:142], v122 offset0:61 offset1:62
	ds_load_2addr_b64 v[143:146], v122 offset0:63 offset1:64
	scratch_load_b128 v[147:150], off, off offset:96
	s_mov_b32 s0, exec_lo
	s_waitcnt vmcnt(5) lgkmcnt(1)
	v_fma_f64 v[3:4], v[3:4], v[139:140], 0
	s_waitcnt vmcnt(4)
	s_delay_alu instid0(VALU_DEP_1) | instskip(SKIP_1) | instid1(VALU_DEP_1)
	v_fma_f64 v[3:4], v[123:124], v[141:142], v[3:4]
	s_waitcnt lgkmcnt(0)
	v_fma_f64 v[3:4], v[125:126], v[143:144], v[3:4]
	scratch_load_b128 v[123:126], off, off offset:112
	s_waitcnt vmcnt(4)
	v_fma_f64 v[3:4], v[127:128], v[145:146], v[3:4]
	ds_load_2addr_b64 v[139:142], v122 offset0:65 offset1:66
	ds_load_2addr_b64 v[143:146], v122 offset0:67 offset1:68
	s_waitcnt lgkmcnt(1)
	v_fma_f64 v[3:4], v[129:130], v[139:140], v[3:4]
	scratch_load_b128 v[127:130], off, off offset:128
	s_waitcnt vmcnt(4)
	v_fma_f64 v[3:4], v[131:132], v[141:142], v[3:4]
	s_waitcnt lgkmcnt(0)
	s_delay_alu instid0(VALU_DEP_1)
	v_fma_f64 v[3:4], v[133:134], v[143:144], v[3:4]
	scratch_load_b128 v[131:134], off, off offset:144
	s_waitcnt vmcnt(4)
	v_fma_f64 v[3:4], v[135:136], v[145:146], v[3:4]
	ds_load_2addr_b64 v[139:142], v122 offset0:69 offset1:70
	ds_load_2addr_b64 v[143:146], v122 offset0:71 offset1:72
	s_waitcnt lgkmcnt(1)
	v_fma_f64 v[3:4], v[137:138], v[139:140], v[3:4]
	scratch_load_b128 v[135:138], off, off offset:160
	s_waitcnt vmcnt(4)
	v_fma_f64 v[3:4], v[147:148], v[141:142], v[3:4]
	scratch_load_b128 v[139:142], off, off offset:176
	s_waitcnt lgkmcnt(0)
	v_fma_f64 v[3:4], v[149:150], v[143:144], v[3:4]
	s_waitcnt vmcnt(4)
	s_delay_alu instid0(VALU_DEP_1)
	v_fma_f64 v[3:4], v[123:124], v[145:146], v[3:4]
	ds_load_2addr_b64 v[143:146], v122 offset0:73 offset1:74
	ds_load_2addr_b64 v[147:150], v122 offset0:75 offset1:76
	s_waitcnt lgkmcnt(1)
	v_fma_f64 v[3:4], v[125:126], v[143:144], v[3:4]
	scratch_load_b128 v[123:126], off, off offset:192
	s_waitcnt vmcnt(4)
	v_fma_f64 v[3:4], v[127:128], v[145:146], v[3:4]
	s_waitcnt lgkmcnt(0)
	s_delay_alu instid0(VALU_DEP_1)
	v_fma_f64 v[3:4], v[129:130], v[147:148], v[3:4]
	scratch_load_b128 v[127:130], off, off offset:208
	s_waitcnt vmcnt(4)
	v_fma_f64 v[3:4], v[131:132], v[149:150], v[3:4]
	ds_load_2addr_b64 v[143:146], v122 offset0:77 offset1:78
	ds_load_2addr_b64 v[147:150], v122 offset0:79 offset1:80
	s_waitcnt lgkmcnt(1)
	v_fma_f64 v[3:4], v[133:134], v[143:144], v[3:4]
	scratch_load_b128 v[131:134], off, off offset:224
	s_waitcnt vmcnt(4)
	v_fma_f64 v[3:4], v[135:136], v[145:146], v[3:4]
	s_waitcnt lgkmcnt(0)
	s_delay_alu instid0(VALU_DEP_1)
	v_fma_f64 v[3:4], v[137:138], v[147:148], v[3:4]
	scratch_load_b128 v[135:138], off, off offset:240
	s_waitcnt vmcnt(4)
	;; [unrolled: 13-line block ×8, first 2 shown]
	v_fma_f64 v[3:4], v[127:128], v[149:150], v[3:4]
	ds_load_2addr_b64 v[143:146], v122 offset0:105 offset1:106
	ds_load_2addr_b64 v[147:150], v122 offset0:107 offset1:108
	s_waitcnt lgkmcnt(1)
	v_fma_f64 v[3:4], v[129:130], v[143:144], v[3:4]
	scratch_load_b128 v[127:130], off, off offset:448
	s_waitcnt vmcnt(4)
	v_fma_f64 v[3:4], v[131:132], v[145:146], v[3:4]
	s_waitcnt lgkmcnt(0)
	s_delay_alu instid0(VALU_DEP_1)
	v_fma_f64 v[3:4], v[133:134], v[147:148], v[3:4]
	ds_load_2addr_b64 v[131:134], v122 offset0:109 offset1:110
	ds_load_2addr_b64 v[143:146], v122 offset0:111 offset1:112
	s_waitcnt vmcnt(3)
	v_fma_f64 v[3:4], v[135:136], v[149:150], v[3:4]
	s_waitcnt lgkmcnt(1)
	s_delay_alu instid0(VALU_DEP_1) | instskip(SKIP_1) | instid1(VALU_DEP_1)
	v_fma_f64 v[3:4], v[137:138], v[131:132], v[3:4]
	s_waitcnt vmcnt(2)
	v_fma_f64 v[3:4], v[139:140], v[133:134], v[3:4]
	s_waitcnt lgkmcnt(0)
	s_delay_alu instid0(VALU_DEP_1) | instskip(SKIP_1) | instid1(VALU_DEP_1)
	v_fma_f64 v[3:4], v[141:142], v[143:144], v[3:4]
	s_waitcnt vmcnt(1)
	v_fma_f64 v[3:4], v[123:124], v[145:146], v[3:4]
	ds_load_2addr_b64 v[131:134], v122 offset0:113 offset1:114
	ds_load_b64 v[123:124], v122 offset:920
	s_waitcnt lgkmcnt(1)
	v_fma_f64 v[3:4], v[125:126], v[131:132], v[3:4]
	s_waitcnt vmcnt(0)
	s_delay_alu instid0(VALU_DEP_1) | instskip(SKIP_1) | instid1(VALU_DEP_1)
	v_fma_f64 v[3:4], v[127:128], v[133:134], v[3:4]
	s_waitcnt lgkmcnt(0)
	v_fma_f64 v[3:4], v[129:130], v[123:124], v[3:4]
	s_delay_alu instid0(VALU_DEP_1)
	v_add_f64 v[1:2], v[1:2], -v[3:4]
	scratch_store_b64 off, v[1:2], off offset:16
	v_cmpx_lt_u32_e32 1, v0
	s_cbranch_execz .LBB57_355
; %bb.354:
	scratch_load_b64 v[1:2], off, off offset:8
	v_mov_b32_e32 v123, v122
	scratch_store_b64 off, v[122:123], off offset:8
	s_waitcnt vmcnt(0)
	ds_store_b64 v5, v[1:2]
.LBB57_355:
	s_or_b32 exec_lo, exec_lo, s0
	s_waitcnt lgkmcnt(0)
	s_waitcnt_vscnt null, 0x0
	s_barrier
	buffer_gl0_inv
	s_clause 0x4
	scratch_load_b128 v[1:4], off, off offset:8
	scratch_load_b128 v[123:126], off, off offset:24
	;; [unrolled: 1-line block ×5, first 2 shown]
	ds_load_b128 v[139:142], v122 offset:480
	ds_load_b128 v[143:146], v122 offset:496
	scratch_load_b128 v[147:150], off, off offset:88
	s_mov_b32 s0, exec_lo
	s_waitcnt vmcnt(5) lgkmcnt(1)
	v_fma_f64 v[3:4], v[3:4], v[139:140], 0
	s_waitcnt vmcnt(4)
	s_delay_alu instid0(VALU_DEP_1) | instskip(SKIP_1) | instid1(VALU_DEP_1)
	v_fma_f64 v[3:4], v[123:124], v[141:142], v[3:4]
	s_waitcnt lgkmcnt(0)
	v_fma_f64 v[3:4], v[125:126], v[143:144], v[3:4]
	scratch_load_b128 v[123:126], off, off offset:104
	s_waitcnt vmcnt(4)
	v_fma_f64 v[3:4], v[127:128], v[145:146], v[3:4]
	ds_load_b128 v[139:142], v122 offset:512
	ds_load_b128 v[143:146], v122 offset:528
	s_waitcnt lgkmcnt(1)
	v_fma_f64 v[3:4], v[129:130], v[139:140], v[3:4]
	scratch_load_b128 v[127:130], off, off offset:120
	s_waitcnt vmcnt(4)
	v_fma_f64 v[3:4], v[131:132], v[141:142], v[3:4]
	s_waitcnt lgkmcnt(0)
	s_delay_alu instid0(VALU_DEP_1)
	v_fma_f64 v[3:4], v[133:134], v[143:144], v[3:4]
	scratch_load_b128 v[131:134], off, off offset:136
	s_waitcnt vmcnt(4)
	v_fma_f64 v[3:4], v[135:136], v[145:146], v[3:4]
	ds_load_b128 v[139:142], v122 offset:544
	ds_load_b128 v[143:146], v122 offset:560
	s_waitcnt lgkmcnt(1)
	v_fma_f64 v[3:4], v[137:138], v[139:140], v[3:4]
	scratch_load_b128 v[135:138], off, off offset:152
	s_waitcnt vmcnt(4)
	v_fma_f64 v[3:4], v[147:148], v[141:142], v[3:4]
	scratch_load_b128 v[139:142], off, off offset:168
	s_waitcnt lgkmcnt(0)
	v_fma_f64 v[3:4], v[149:150], v[143:144], v[3:4]
	s_waitcnt vmcnt(4)
	s_delay_alu instid0(VALU_DEP_1)
	v_fma_f64 v[3:4], v[123:124], v[145:146], v[3:4]
	ds_load_b128 v[143:146], v122 offset:576
	ds_load_b128 v[147:150], v122 offset:592
	s_waitcnt lgkmcnt(1)
	v_fma_f64 v[3:4], v[125:126], v[143:144], v[3:4]
	scratch_load_b128 v[123:126], off, off offset:184
	s_waitcnt vmcnt(4)
	v_fma_f64 v[3:4], v[127:128], v[145:146], v[3:4]
	s_waitcnt lgkmcnt(0)
	s_delay_alu instid0(VALU_DEP_1)
	v_fma_f64 v[3:4], v[129:130], v[147:148], v[3:4]
	scratch_load_b128 v[127:130], off, off offset:200
	s_waitcnt vmcnt(4)
	v_fma_f64 v[3:4], v[131:132], v[149:150], v[3:4]
	ds_load_b128 v[143:146], v122 offset:608
	ds_load_b128 v[147:150], v122 offset:624
	s_waitcnt lgkmcnt(1)
	v_fma_f64 v[3:4], v[133:134], v[143:144], v[3:4]
	scratch_load_b128 v[131:134], off, off offset:216
	s_waitcnt vmcnt(4)
	v_fma_f64 v[3:4], v[135:136], v[145:146], v[3:4]
	s_waitcnt lgkmcnt(0)
	s_delay_alu instid0(VALU_DEP_1)
	v_fma_f64 v[3:4], v[137:138], v[147:148], v[3:4]
	scratch_load_b128 v[135:138], off, off offset:232
	s_waitcnt vmcnt(4)
	;; [unrolled: 13-line block ×8, first 2 shown]
	v_fma_f64 v[3:4], v[127:128], v[149:150], v[3:4]
	ds_load_b128 v[143:146], v122 offset:832
	ds_load_b128 v[147:150], v122 offset:848
	s_waitcnt lgkmcnt(1)
	v_fma_f64 v[3:4], v[129:130], v[143:144], v[3:4]
	scratch_load_b128 v[127:130], off, off offset:440
	s_waitcnt vmcnt(4)
	v_fma_f64 v[3:4], v[131:132], v[145:146], v[3:4]
	s_waitcnt lgkmcnt(0)
	s_delay_alu instid0(VALU_DEP_1)
	v_fma_f64 v[3:4], v[133:134], v[147:148], v[3:4]
	scratch_load_b64 v[147:148], off, off offset:456
	ds_load_b128 v[131:134], v122 offset:864
	ds_load_b128 v[143:146], v122 offset:880
	s_waitcnt vmcnt(4)
	v_fma_f64 v[3:4], v[135:136], v[149:150], v[3:4]
	s_waitcnt lgkmcnt(1)
	s_delay_alu instid0(VALU_DEP_1) | instskip(SKIP_1) | instid1(VALU_DEP_1)
	v_fma_f64 v[3:4], v[137:138], v[131:132], v[3:4]
	s_waitcnt vmcnt(3)
	v_fma_f64 v[3:4], v[139:140], v[133:134], v[3:4]
	ds_load_b128 v[131:134], v122 offset:896
	ds_load_b128 v[135:138], v122 offset:912
	s_waitcnt lgkmcnt(2)
	v_fma_f64 v[3:4], v[141:142], v[143:144], v[3:4]
	s_waitcnt vmcnt(2)
	s_delay_alu instid0(VALU_DEP_1) | instskip(SKIP_1) | instid1(VALU_DEP_1)
	v_fma_f64 v[3:4], v[123:124], v[145:146], v[3:4]
	s_waitcnt lgkmcnt(1)
	v_fma_f64 v[3:4], v[125:126], v[131:132], v[3:4]
	s_waitcnt vmcnt(1)
	s_delay_alu instid0(VALU_DEP_1) | instskip(SKIP_1) | instid1(VALU_DEP_1)
	v_fma_f64 v[3:4], v[127:128], v[133:134], v[3:4]
	s_waitcnt lgkmcnt(0)
	v_fma_f64 v[3:4], v[129:130], v[135:136], v[3:4]
	s_waitcnt vmcnt(0)
	s_delay_alu instid0(VALU_DEP_1) | instskip(NEXT) | instid1(VALU_DEP_1)
	v_fma_f64 v[3:4], v[147:148], v[137:138], v[3:4]
	v_add_f64 v[1:2], v[1:2], -v[3:4]
	scratch_store_b64 off, v[1:2], off offset:8
	v_cmpx_ne_u32_e32 0, v0
	s_cbranch_execz .LBB57_357
; %bb.356:
	scratch_load_b64 v[0:1], off, off
	v_mov_b32_e32 v2, 0
	s_delay_alu instid0(VALU_DEP_1)
	v_mov_b32_e32 v3, v2
	scratch_store_b64 off, v[2:3], off
	s_waitcnt vmcnt(0)
	ds_store_b64 v5, v[0:1]
.LBB57_357:
	s_or_b32 exec_lo, exec_lo, s0
	s_waitcnt lgkmcnt(0)
	s_waitcnt_vscnt null, 0x0
	s_barrier
	buffer_gl0_inv
	s_clause 0x4
	scratch_load_b128 v[0:3], off, off
	scratch_load_b128 v[123:126], off, off offset:16
	scratch_load_b128 v[127:130], off, off offset:32
	;; [unrolled: 1-line block ×4, first 2 shown]
	v_mov_b32_e32 v122, 0
	ds_load_2addr_b64 v[139:142], v122 offset0:59 offset1:60
	ds_load_2addr_b64 v[143:146], v122 offset0:61 offset1:62
	s_and_b32 vcc_lo, exec_lo, s16
	s_waitcnt vmcnt(4) lgkmcnt(1)
	v_fma_f64 v[139:140], v[2:3], v[139:140], 0
	scratch_load_b128 v[2:5], off, off offset:80
	s_waitcnt vmcnt(4)
	v_fma_f64 v[123:124], v[123:124], v[141:142], v[139:140]
	s_waitcnt lgkmcnt(0)
	s_delay_alu instid0(VALU_DEP_1)
	v_fma_f64 v[139:140], v[125:126], v[143:144], v[123:124]
	scratch_load_b128 v[123:126], off, off offset:96
	s_waitcnt vmcnt(4)
	v_fma_f64 v[127:128], v[127:128], v[145:146], v[139:140]
	ds_load_2addr_b64 v[139:142], v122 offset0:63 offset1:64
	ds_load_2addr_b64 v[143:146], v122 offset0:65 offset1:66
	s_waitcnt lgkmcnt(1)
	v_fma_f64 v[139:140], v[129:130], v[139:140], v[127:128]
	scratch_load_b128 v[127:130], off, off offset:112
	s_waitcnt vmcnt(4)
	v_fma_f64 v[131:132], v[131:132], v[141:142], v[139:140]
	s_waitcnt lgkmcnt(0)
	s_delay_alu instid0(VALU_DEP_1)
	v_fma_f64 v[139:140], v[133:134], v[143:144], v[131:132]
	scratch_load_b128 v[131:134], off, off offset:128
	s_waitcnt vmcnt(4)
	v_fma_f64 v[135:136], v[135:136], v[145:146], v[139:140]
	ds_load_2addr_b64 v[139:142], v122 offset0:67 offset1:68
	ds_load_2addr_b64 v[143:146], v122 offset0:69 offset1:70
	s_waitcnt lgkmcnt(1)
	;; [unrolled: 13-line block ×9, first 2 shown]
	v_fma_f64 v[139:140], v[133:134], v[139:140], v[131:132]
	scratch_load_b128 v[131:134], off, off offset:368
	s_waitcnt vmcnt(4)
	v_fma_f64 v[135:136], v[135:136], v[141:142], v[139:140]
	s_waitcnt lgkmcnt(0)
	s_delay_alu instid0(VALU_DEP_1)
	v_fma_f64 v[139:140], v[137:138], v[143:144], v[135:136]
	scratch_load_b128 v[135:138], off, off offset:384
	s_waitcnt vmcnt(4)
	v_fma_f64 v[2:3], v[2:3], v[145:146], v[139:140]
	ds_load_2addr_b64 v[139:142], v122 offset0:99 offset1:100
	ds_load_2addr_b64 v[143:146], v122 offset0:101 offset1:102
	scratch_load_b128 v[147:150], off, off offset:400
	s_waitcnt lgkmcnt(1)
	v_fma_f64 v[2:3], v[4:5], v[139:140], v[2:3]
	s_waitcnt vmcnt(4)
	s_delay_alu instid0(VALU_DEP_1) | instskip(SKIP_1) | instid1(VALU_DEP_1)
	v_fma_f64 v[2:3], v[123:124], v[141:142], v[2:3]
	s_waitcnt lgkmcnt(0)
	v_fma_f64 v[2:3], v[125:126], v[143:144], v[2:3]
	scratch_load_b128 v[123:126], off, off offset:416
	s_waitcnt vmcnt(4)
	v_fma_f64 v[127:128], v[127:128], v[145:146], v[2:3]
	ds_load_2addr_b64 v[2:5], v122 offset0:103 offset1:104
	ds_load_2addr_b64 v[139:142], v122 offset0:105 offset1:106
	s_waitcnt lgkmcnt(1)
	v_fma_f64 v[2:3], v[129:130], v[2:3], v[127:128]
	scratch_load_b128 v[127:130], off, off offset:432
	s_waitcnt vmcnt(4)
	v_fma_f64 v[2:3], v[131:132], v[4:5], v[2:3]
	s_waitcnt lgkmcnt(0)
	s_delay_alu instid0(VALU_DEP_1)
	v_fma_f64 v[131:132], v[133:134], v[139:140], v[2:3]
	scratch_load_b128 v[2:5], off, off offset:448
	s_waitcnt vmcnt(4)
	v_fma_f64 v[135:136], v[135:136], v[141:142], v[131:132]
	ds_load_2addr_b64 v[131:134], v122 offset0:107 offset1:108
	ds_load_2addr_b64 v[139:142], v122 offset0:109 offset1:110
	s_waitcnt lgkmcnt(1)
	v_fma_f64 v[131:132], v[137:138], v[131:132], v[135:136]
	s_waitcnt vmcnt(3)
	s_delay_alu instid0(VALU_DEP_1) | instskip(SKIP_1) | instid1(VALU_DEP_1)
	v_fma_f64 v[131:132], v[147:148], v[133:134], v[131:132]
	s_waitcnt lgkmcnt(0)
	v_fma_f64 v[131:132], v[149:150], v[139:140], v[131:132]
	s_waitcnt vmcnt(2)
	s_delay_alu instid0(VALU_DEP_1)
	v_fma_f64 v[123:124], v[123:124], v[141:142], v[131:132]
	ds_load_2addr_b64 v[131:134], v122 offset0:111 offset1:112
	ds_load_2addr_b64 v[135:138], v122 offset0:113 offset1:114
	s_waitcnt lgkmcnt(1)
	v_fma_f64 v[123:124], v[125:126], v[131:132], v[123:124]
	ds_load_b64 v[125:126], v122 offset:920
	s_waitcnt vmcnt(1)
	v_fma_f64 v[123:124], v[127:128], v[133:134], v[123:124]
	s_waitcnt lgkmcnt(1)
	s_delay_alu instid0(VALU_DEP_1) | instskip(SKIP_1) | instid1(VALU_DEP_1)
	v_fma_f64 v[123:124], v[129:130], v[135:136], v[123:124]
	s_waitcnt vmcnt(0)
	v_fma_f64 v[123:124], v[2:3], v[137:138], v[123:124]
	s_waitcnt lgkmcnt(0)
	s_delay_alu instid0(VALU_DEP_1) | instskip(NEXT) | instid1(VALU_DEP_1)
	v_fma_f64 v[4:5], v[4:5], v[125:126], v[123:124]
	v_add_f64 v[0:1], v[0:1], -v[4:5]
	scratch_store_b64 off, v[0:1], off
	s_cbranch_vccz .LBB57_473
; %bb.358:
	v_dual_mov_b32 v0, s12 :: v_dual_mov_b32 v1, s13
	s_mov_b32 s0, exec_lo
	flat_load_b32 v0, v[0:1] offset:224
	s_waitcnt vmcnt(0) lgkmcnt(0)
	v_cmpx_ne_u32_e32 57, v0
	s_cbranch_execz .LBB57_360
; %bb.359:
	v_lshl_add_u32 v4, v0, 3, 0
	scratch_load_b64 v[0:1], v4, off offset:-8
	s_waitcnt vmcnt(0)
	scratch_store_b64 off, v[0:1], off offset:448
	scratch_store_b64 v4, v[2:3], off offset:-8
.LBB57_360:
	s_or_b32 exec_lo, exec_lo, s0
	v_dual_mov_b32 v0, s12 :: v_dual_mov_b32 v1, s13
	s_mov_b32 s0, exec_lo
	flat_load_b32 v0, v[0:1] offset:220
	s_waitcnt vmcnt(0) lgkmcnt(0)
	v_cmpx_ne_u32_e32 56, v0
	s_cbranch_execz .LBB57_362
; %bb.361:
	v_lshl_add_u32 v4, v0, 3, 0
	scratch_load_b64 v[0:1], v4, off offset:-8
	scratch_load_b64 v[2:3], off, off offset:440
	s_waitcnt vmcnt(1)
	scratch_store_b64 off, v[0:1], off offset:440
	s_waitcnt vmcnt(0)
	scratch_store_b64 v4, v[2:3], off offset:-8
.LBB57_362:
	s_or_b32 exec_lo, exec_lo, s0
	v_dual_mov_b32 v0, s12 :: v_dual_mov_b32 v1, s13
	s_mov_b32 s0, exec_lo
	flat_load_b32 v0, v[0:1] offset:216
	s_waitcnt vmcnt(0) lgkmcnt(0)
	v_cmpx_ne_u32_e32 55, v0
	s_cbranch_execz .LBB57_364
; %bb.363:
	v_lshl_add_u32 v4, v0, 3, 0
	scratch_load_b64 v[0:1], v4, off offset:-8
	scratch_load_b64 v[2:3], off, off offset:432
	s_waitcnt vmcnt(1)
	scratch_store_b64 off, v[0:1], off offset:432
	s_waitcnt vmcnt(0)
	scratch_store_b64 v4, v[2:3], off offset:-8
.LBB57_364:
	s_or_b32 exec_lo, exec_lo, s0
	v_dual_mov_b32 v0, s12 :: v_dual_mov_b32 v1, s13
	s_mov_b32 s0, exec_lo
	flat_load_b32 v0, v[0:1] offset:212
	s_waitcnt vmcnt(0) lgkmcnt(0)
	v_cmpx_ne_u32_e32 54, v0
	s_cbranch_execz .LBB57_366
; %bb.365:
	v_lshl_add_u32 v4, v0, 3, 0
	scratch_load_b64 v[0:1], v4, off offset:-8
	scratch_load_b64 v[2:3], off, off offset:424
	s_waitcnt vmcnt(1)
	scratch_store_b64 off, v[0:1], off offset:424
	s_waitcnt vmcnt(0)
	scratch_store_b64 v4, v[2:3], off offset:-8
.LBB57_366:
	s_or_b32 exec_lo, exec_lo, s0
	v_dual_mov_b32 v0, s12 :: v_dual_mov_b32 v1, s13
	s_mov_b32 s0, exec_lo
	flat_load_b32 v0, v[0:1] offset:208
	s_waitcnt vmcnt(0) lgkmcnt(0)
	v_cmpx_ne_u32_e32 53, v0
	s_cbranch_execz .LBB57_368
; %bb.367:
	v_lshl_add_u32 v4, v0, 3, 0
	scratch_load_b64 v[0:1], v4, off offset:-8
	scratch_load_b64 v[2:3], off, off offset:416
	s_waitcnt vmcnt(1)
	scratch_store_b64 off, v[0:1], off offset:416
	s_waitcnt vmcnt(0)
	scratch_store_b64 v4, v[2:3], off offset:-8
.LBB57_368:
	s_or_b32 exec_lo, exec_lo, s0
	v_dual_mov_b32 v0, s12 :: v_dual_mov_b32 v1, s13
	s_mov_b32 s0, exec_lo
	flat_load_b32 v0, v[0:1] offset:204
	s_waitcnt vmcnt(0) lgkmcnt(0)
	v_cmpx_ne_u32_e32 52, v0
	s_cbranch_execz .LBB57_370
; %bb.369:
	v_lshl_add_u32 v4, v0, 3, 0
	scratch_load_b64 v[0:1], v4, off offset:-8
	scratch_load_b64 v[2:3], off, off offset:408
	s_waitcnt vmcnt(1)
	scratch_store_b64 off, v[0:1], off offset:408
	s_waitcnt vmcnt(0)
	scratch_store_b64 v4, v[2:3], off offset:-8
.LBB57_370:
	s_or_b32 exec_lo, exec_lo, s0
	v_dual_mov_b32 v0, s12 :: v_dual_mov_b32 v1, s13
	s_mov_b32 s0, exec_lo
	flat_load_b32 v0, v[0:1] offset:200
	s_waitcnt vmcnt(0) lgkmcnt(0)
	v_cmpx_ne_u32_e32 51, v0
	s_cbranch_execz .LBB57_372
; %bb.371:
	v_lshl_add_u32 v4, v0, 3, 0
	scratch_load_b64 v[0:1], v4, off offset:-8
	scratch_load_b64 v[2:3], off, off offset:400
	s_waitcnt vmcnt(1)
	scratch_store_b64 off, v[0:1], off offset:400
	s_waitcnt vmcnt(0)
	scratch_store_b64 v4, v[2:3], off offset:-8
.LBB57_372:
	s_or_b32 exec_lo, exec_lo, s0
	v_dual_mov_b32 v0, s12 :: v_dual_mov_b32 v1, s13
	s_mov_b32 s0, exec_lo
	flat_load_b32 v0, v[0:1] offset:196
	s_waitcnt vmcnt(0) lgkmcnt(0)
	v_cmpx_ne_u32_e32 50, v0
	s_cbranch_execz .LBB57_374
; %bb.373:
	v_lshl_add_u32 v4, v0, 3, 0
	scratch_load_b64 v[0:1], v4, off offset:-8
	scratch_load_b64 v[2:3], off, off offset:392
	s_waitcnt vmcnt(1)
	scratch_store_b64 off, v[0:1], off offset:392
	s_waitcnt vmcnt(0)
	scratch_store_b64 v4, v[2:3], off offset:-8
.LBB57_374:
	s_or_b32 exec_lo, exec_lo, s0
	v_dual_mov_b32 v0, s12 :: v_dual_mov_b32 v1, s13
	s_mov_b32 s0, exec_lo
	flat_load_b32 v0, v[0:1] offset:192
	s_waitcnt vmcnt(0) lgkmcnt(0)
	v_cmpx_ne_u32_e32 49, v0
	s_cbranch_execz .LBB57_376
; %bb.375:
	v_lshl_add_u32 v4, v0, 3, 0
	scratch_load_b64 v[0:1], v4, off offset:-8
	scratch_load_b64 v[2:3], off, off offset:384
	s_waitcnt vmcnt(1)
	scratch_store_b64 off, v[0:1], off offset:384
	s_waitcnt vmcnt(0)
	scratch_store_b64 v4, v[2:3], off offset:-8
.LBB57_376:
	s_or_b32 exec_lo, exec_lo, s0
	v_dual_mov_b32 v0, s12 :: v_dual_mov_b32 v1, s13
	s_mov_b32 s0, exec_lo
	flat_load_b32 v0, v[0:1] offset:188
	s_waitcnt vmcnt(0) lgkmcnt(0)
	v_cmpx_ne_u32_e32 48, v0
	s_cbranch_execz .LBB57_378
; %bb.377:
	v_lshl_add_u32 v4, v0, 3, 0
	scratch_load_b64 v[0:1], v4, off offset:-8
	scratch_load_b64 v[2:3], off, off offset:376
	s_waitcnt vmcnt(1)
	scratch_store_b64 off, v[0:1], off offset:376
	s_waitcnt vmcnt(0)
	scratch_store_b64 v4, v[2:3], off offset:-8
.LBB57_378:
	s_or_b32 exec_lo, exec_lo, s0
	v_dual_mov_b32 v0, s12 :: v_dual_mov_b32 v1, s13
	s_mov_b32 s0, exec_lo
	flat_load_b32 v0, v[0:1] offset:184
	s_waitcnt vmcnt(0) lgkmcnt(0)
	v_cmpx_ne_u32_e32 47, v0
	s_cbranch_execz .LBB57_380
; %bb.379:
	v_lshl_add_u32 v4, v0, 3, 0
	scratch_load_b64 v[0:1], v4, off offset:-8
	scratch_load_b64 v[2:3], off, off offset:368
	s_waitcnt vmcnt(1)
	scratch_store_b64 off, v[0:1], off offset:368
	s_waitcnt vmcnt(0)
	scratch_store_b64 v4, v[2:3], off offset:-8
.LBB57_380:
	s_or_b32 exec_lo, exec_lo, s0
	v_dual_mov_b32 v0, s12 :: v_dual_mov_b32 v1, s13
	s_mov_b32 s0, exec_lo
	flat_load_b32 v0, v[0:1] offset:180
	s_waitcnt vmcnt(0) lgkmcnt(0)
	v_cmpx_ne_u32_e32 46, v0
	s_cbranch_execz .LBB57_382
; %bb.381:
	v_lshl_add_u32 v4, v0, 3, 0
	scratch_load_b64 v[0:1], v4, off offset:-8
	scratch_load_b64 v[2:3], off, off offset:360
	s_waitcnt vmcnt(1)
	scratch_store_b64 off, v[0:1], off offset:360
	s_waitcnt vmcnt(0)
	scratch_store_b64 v4, v[2:3], off offset:-8
.LBB57_382:
	s_or_b32 exec_lo, exec_lo, s0
	v_dual_mov_b32 v0, s12 :: v_dual_mov_b32 v1, s13
	s_mov_b32 s0, exec_lo
	flat_load_b32 v0, v[0:1] offset:176
	s_waitcnt vmcnt(0) lgkmcnt(0)
	v_cmpx_ne_u32_e32 45, v0
	s_cbranch_execz .LBB57_384
; %bb.383:
	v_lshl_add_u32 v4, v0, 3, 0
	scratch_load_b64 v[0:1], v4, off offset:-8
	scratch_load_b64 v[2:3], off, off offset:352
	s_waitcnt vmcnt(1)
	scratch_store_b64 off, v[0:1], off offset:352
	s_waitcnt vmcnt(0)
	scratch_store_b64 v4, v[2:3], off offset:-8
.LBB57_384:
	s_or_b32 exec_lo, exec_lo, s0
	v_dual_mov_b32 v0, s12 :: v_dual_mov_b32 v1, s13
	s_mov_b32 s0, exec_lo
	flat_load_b32 v0, v[0:1] offset:172
	s_waitcnt vmcnt(0) lgkmcnt(0)
	v_cmpx_ne_u32_e32 44, v0
	s_cbranch_execz .LBB57_386
; %bb.385:
	v_lshl_add_u32 v4, v0, 3, 0
	scratch_load_b64 v[0:1], v4, off offset:-8
	scratch_load_b64 v[2:3], off, off offset:344
	s_waitcnt vmcnt(1)
	scratch_store_b64 off, v[0:1], off offset:344
	s_waitcnt vmcnt(0)
	scratch_store_b64 v4, v[2:3], off offset:-8
.LBB57_386:
	s_or_b32 exec_lo, exec_lo, s0
	v_dual_mov_b32 v0, s12 :: v_dual_mov_b32 v1, s13
	s_mov_b32 s0, exec_lo
	flat_load_b32 v0, v[0:1] offset:168
	s_waitcnt vmcnt(0) lgkmcnt(0)
	v_cmpx_ne_u32_e32 43, v0
	s_cbranch_execz .LBB57_388
; %bb.387:
	v_lshl_add_u32 v4, v0, 3, 0
	scratch_load_b64 v[0:1], v4, off offset:-8
	scratch_load_b64 v[2:3], off, off offset:336
	s_waitcnt vmcnt(1)
	scratch_store_b64 off, v[0:1], off offset:336
	s_waitcnt vmcnt(0)
	scratch_store_b64 v4, v[2:3], off offset:-8
.LBB57_388:
	s_or_b32 exec_lo, exec_lo, s0
	v_dual_mov_b32 v0, s12 :: v_dual_mov_b32 v1, s13
	s_mov_b32 s0, exec_lo
	flat_load_b32 v0, v[0:1] offset:164
	s_waitcnt vmcnt(0) lgkmcnt(0)
	v_cmpx_ne_u32_e32 42, v0
	s_cbranch_execz .LBB57_390
; %bb.389:
	v_lshl_add_u32 v4, v0, 3, 0
	scratch_load_b64 v[0:1], v4, off offset:-8
	scratch_load_b64 v[2:3], off, off offset:328
	s_waitcnt vmcnt(1)
	scratch_store_b64 off, v[0:1], off offset:328
	s_waitcnt vmcnt(0)
	scratch_store_b64 v4, v[2:3], off offset:-8
.LBB57_390:
	s_or_b32 exec_lo, exec_lo, s0
	v_dual_mov_b32 v0, s12 :: v_dual_mov_b32 v1, s13
	s_mov_b32 s0, exec_lo
	flat_load_b32 v0, v[0:1] offset:160
	s_waitcnt vmcnt(0) lgkmcnt(0)
	v_cmpx_ne_u32_e32 41, v0
	s_cbranch_execz .LBB57_392
; %bb.391:
	v_lshl_add_u32 v4, v0, 3, 0
	scratch_load_b64 v[0:1], v4, off offset:-8
	scratch_load_b64 v[2:3], off, off offset:320
	s_waitcnt vmcnt(1)
	scratch_store_b64 off, v[0:1], off offset:320
	s_waitcnt vmcnt(0)
	scratch_store_b64 v4, v[2:3], off offset:-8
.LBB57_392:
	s_or_b32 exec_lo, exec_lo, s0
	v_dual_mov_b32 v0, s12 :: v_dual_mov_b32 v1, s13
	s_mov_b32 s0, exec_lo
	flat_load_b32 v0, v[0:1] offset:156
	s_waitcnt vmcnt(0) lgkmcnt(0)
	v_cmpx_ne_u32_e32 40, v0
	s_cbranch_execz .LBB57_394
; %bb.393:
	v_lshl_add_u32 v4, v0, 3, 0
	scratch_load_b64 v[0:1], v4, off offset:-8
	scratch_load_b64 v[2:3], off, off offset:312
	s_waitcnt vmcnt(1)
	scratch_store_b64 off, v[0:1], off offset:312
	s_waitcnt vmcnt(0)
	scratch_store_b64 v4, v[2:3], off offset:-8
.LBB57_394:
	s_or_b32 exec_lo, exec_lo, s0
	v_dual_mov_b32 v0, s12 :: v_dual_mov_b32 v1, s13
	s_mov_b32 s0, exec_lo
	flat_load_b32 v0, v[0:1] offset:152
	s_waitcnt vmcnt(0) lgkmcnt(0)
	v_cmpx_ne_u32_e32 39, v0
	s_cbranch_execz .LBB57_396
; %bb.395:
	v_lshl_add_u32 v4, v0, 3, 0
	scratch_load_b64 v[0:1], v4, off offset:-8
	scratch_load_b64 v[2:3], off, off offset:304
	s_waitcnt vmcnt(1)
	scratch_store_b64 off, v[0:1], off offset:304
	s_waitcnt vmcnt(0)
	scratch_store_b64 v4, v[2:3], off offset:-8
.LBB57_396:
	s_or_b32 exec_lo, exec_lo, s0
	v_dual_mov_b32 v0, s12 :: v_dual_mov_b32 v1, s13
	s_mov_b32 s0, exec_lo
	flat_load_b32 v0, v[0:1] offset:148
	s_waitcnt vmcnt(0) lgkmcnt(0)
	v_cmpx_ne_u32_e32 38, v0
	s_cbranch_execz .LBB57_398
; %bb.397:
	v_lshl_add_u32 v4, v0, 3, 0
	scratch_load_b64 v[0:1], v4, off offset:-8
	scratch_load_b64 v[2:3], off, off offset:296
	s_waitcnt vmcnt(1)
	scratch_store_b64 off, v[0:1], off offset:296
	s_waitcnt vmcnt(0)
	scratch_store_b64 v4, v[2:3], off offset:-8
.LBB57_398:
	s_or_b32 exec_lo, exec_lo, s0
	v_dual_mov_b32 v0, s12 :: v_dual_mov_b32 v1, s13
	s_mov_b32 s0, exec_lo
	flat_load_b32 v0, v[0:1] offset:144
	s_waitcnt vmcnt(0) lgkmcnt(0)
	v_cmpx_ne_u32_e32 37, v0
	s_cbranch_execz .LBB57_400
; %bb.399:
	v_lshl_add_u32 v4, v0, 3, 0
	scratch_load_b64 v[0:1], v4, off offset:-8
	scratch_load_b64 v[2:3], off, off offset:288
	s_waitcnt vmcnt(1)
	scratch_store_b64 off, v[0:1], off offset:288
	s_waitcnt vmcnt(0)
	scratch_store_b64 v4, v[2:3], off offset:-8
.LBB57_400:
	s_or_b32 exec_lo, exec_lo, s0
	v_dual_mov_b32 v0, s12 :: v_dual_mov_b32 v1, s13
	s_mov_b32 s0, exec_lo
	flat_load_b32 v0, v[0:1] offset:140
	s_waitcnt vmcnt(0) lgkmcnt(0)
	v_cmpx_ne_u32_e32 36, v0
	s_cbranch_execz .LBB57_402
; %bb.401:
	v_lshl_add_u32 v4, v0, 3, 0
	scratch_load_b64 v[0:1], v4, off offset:-8
	scratch_load_b64 v[2:3], off, off offset:280
	s_waitcnt vmcnt(1)
	scratch_store_b64 off, v[0:1], off offset:280
	s_waitcnt vmcnt(0)
	scratch_store_b64 v4, v[2:3], off offset:-8
.LBB57_402:
	s_or_b32 exec_lo, exec_lo, s0
	v_dual_mov_b32 v0, s12 :: v_dual_mov_b32 v1, s13
	s_mov_b32 s0, exec_lo
	flat_load_b32 v0, v[0:1] offset:136
	s_waitcnt vmcnt(0) lgkmcnt(0)
	v_cmpx_ne_u32_e32 35, v0
	s_cbranch_execz .LBB57_404
; %bb.403:
	v_lshl_add_u32 v4, v0, 3, 0
	scratch_load_b64 v[0:1], v4, off offset:-8
	scratch_load_b64 v[2:3], off, off offset:272
	s_waitcnt vmcnt(1)
	scratch_store_b64 off, v[0:1], off offset:272
	s_waitcnt vmcnt(0)
	scratch_store_b64 v4, v[2:3], off offset:-8
.LBB57_404:
	s_or_b32 exec_lo, exec_lo, s0
	v_dual_mov_b32 v0, s12 :: v_dual_mov_b32 v1, s13
	s_mov_b32 s0, exec_lo
	flat_load_b32 v0, v[0:1] offset:132
	s_waitcnt vmcnt(0) lgkmcnt(0)
	v_cmpx_ne_u32_e32 34, v0
	s_cbranch_execz .LBB57_406
; %bb.405:
	v_lshl_add_u32 v4, v0, 3, 0
	scratch_load_b64 v[0:1], v4, off offset:-8
	scratch_load_b64 v[2:3], off, off offset:264
	s_waitcnt vmcnt(1)
	scratch_store_b64 off, v[0:1], off offset:264
	s_waitcnt vmcnt(0)
	scratch_store_b64 v4, v[2:3], off offset:-8
.LBB57_406:
	s_or_b32 exec_lo, exec_lo, s0
	v_dual_mov_b32 v0, s12 :: v_dual_mov_b32 v1, s13
	s_mov_b32 s0, exec_lo
	flat_load_b32 v0, v[0:1] offset:128
	s_waitcnt vmcnt(0) lgkmcnt(0)
	v_cmpx_ne_u32_e32 33, v0
	s_cbranch_execz .LBB57_408
; %bb.407:
	v_lshl_add_u32 v4, v0, 3, 0
	scratch_load_b64 v[0:1], v4, off offset:-8
	scratch_load_b64 v[2:3], off, off offset:256
	s_waitcnt vmcnt(1)
	scratch_store_b64 off, v[0:1], off offset:256
	s_waitcnt vmcnt(0)
	scratch_store_b64 v4, v[2:3], off offset:-8
.LBB57_408:
	s_or_b32 exec_lo, exec_lo, s0
	v_dual_mov_b32 v0, s12 :: v_dual_mov_b32 v1, s13
	s_mov_b32 s0, exec_lo
	flat_load_b32 v0, v[0:1] offset:124
	s_waitcnt vmcnt(0) lgkmcnt(0)
	v_cmpx_ne_u32_e32 32, v0
	s_cbranch_execz .LBB57_410
; %bb.409:
	v_lshl_add_u32 v4, v0, 3, 0
	scratch_load_b64 v[0:1], v4, off offset:-8
	scratch_load_b64 v[2:3], off, off offset:248
	s_waitcnt vmcnt(1)
	scratch_store_b64 off, v[0:1], off offset:248
	s_waitcnt vmcnt(0)
	scratch_store_b64 v4, v[2:3], off offset:-8
.LBB57_410:
	s_or_b32 exec_lo, exec_lo, s0
	v_dual_mov_b32 v0, s12 :: v_dual_mov_b32 v1, s13
	s_mov_b32 s0, exec_lo
	flat_load_b32 v0, v[0:1] offset:120
	s_waitcnt vmcnt(0) lgkmcnt(0)
	v_cmpx_ne_u32_e32 31, v0
	s_cbranch_execz .LBB57_412
; %bb.411:
	v_lshl_add_u32 v4, v0, 3, 0
	scratch_load_b64 v[0:1], v4, off offset:-8
	scratch_load_b64 v[2:3], off, off offset:240
	s_waitcnt vmcnt(1)
	scratch_store_b64 off, v[0:1], off offset:240
	s_waitcnt vmcnt(0)
	scratch_store_b64 v4, v[2:3], off offset:-8
.LBB57_412:
	s_or_b32 exec_lo, exec_lo, s0
	v_dual_mov_b32 v0, s12 :: v_dual_mov_b32 v1, s13
	s_mov_b32 s0, exec_lo
	flat_load_b32 v0, v[0:1] offset:116
	s_waitcnt vmcnt(0) lgkmcnt(0)
	v_cmpx_ne_u32_e32 30, v0
	s_cbranch_execz .LBB57_414
; %bb.413:
	v_lshl_add_u32 v4, v0, 3, 0
	scratch_load_b64 v[0:1], v4, off offset:-8
	scratch_load_b64 v[2:3], off, off offset:232
	s_waitcnt vmcnt(1)
	scratch_store_b64 off, v[0:1], off offset:232
	s_waitcnt vmcnt(0)
	scratch_store_b64 v4, v[2:3], off offset:-8
.LBB57_414:
	s_or_b32 exec_lo, exec_lo, s0
	v_dual_mov_b32 v0, s12 :: v_dual_mov_b32 v1, s13
	s_mov_b32 s0, exec_lo
	flat_load_b32 v0, v[0:1] offset:112
	s_waitcnt vmcnt(0) lgkmcnt(0)
	v_cmpx_ne_u32_e32 29, v0
	s_cbranch_execz .LBB57_416
; %bb.415:
	v_lshl_add_u32 v4, v0, 3, 0
	scratch_load_b64 v[0:1], v4, off offset:-8
	scratch_load_b64 v[2:3], off, off offset:224
	s_waitcnt vmcnt(1)
	scratch_store_b64 off, v[0:1], off offset:224
	s_waitcnt vmcnt(0)
	scratch_store_b64 v4, v[2:3], off offset:-8
.LBB57_416:
	s_or_b32 exec_lo, exec_lo, s0
	v_dual_mov_b32 v0, s12 :: v_dual_mov_b32 v1, s13
	s_mov_b32 s0, exec_lo
	flat_load_b32 v0, v[0:1] offset:108
	s_waitcnt vmcnt(0) lgkmcnt(0)
	v_cmpx_ne_u32_e32 28, v0
	s_cbranch_execz .LBB57_418
; %bb.417:
	v_lshl_add_u32 v4, v0, 3, 0
	scratch_load_b64 v[0:1], v4, off offset:-8
	scratch_load_b64 v[2:3], off, off offset:216
	s_waitcnt vmcnt(1)
	scratch_store_b64 off, v[0:1], off offset:216
	s_waitcnt vmcnt(0)
	scratch_store_b64 v4, v[2:3], off offset:-8
.LBB57_418:
	s_or_b32 exec_lo, exec_lo, s0
	v_dual_mov_b32 v0, s12 :: v_dual_mov_b32 v1, s13
	s_mov_b32 s0, exec_lo
	flat_load_b32 v0, v[0:1] offset:104
	s_waitcnt vmcnt(0) lgkmcnt(0)
	v_cmpx_ne_u32_e32 27, v0
	s_cbranch_execz .LBB57_420
; %bb.419:
	v_lshl_add_u32 v4, v0, 3, 0
	scratch_load_b64 v[0:1], v4, off offset:-8
	scratch_load_b64 v[2:3], off, off offset:208
	s_waitcnt vmcnt(1)
	scratch_store_b64 off, v[0:1], off offset:208
	s_waitcnt vmcnt(0)
	scratch_store_b64 v4, v[2:3], off offset:-8
.LBB57_420:
	s_or_b32 exec_lo, exec_lo, s0
	v_dual_mov_b32 v0, s12 :: v_dual_mov_b32 v1, s13
	s_mov_b32 s0, exec_lo
	flat_load_b32 v0, v[0:1] offset:100
	s_waitcnt vmcnt(0) lgkmcnt(0)
	v_cmpx_ne_u32_e32 26, v0
	s_cbranch_execz .LBB57_422
; %bb.421:
	v_lshl_add_u32 v4, v0, 3, 0
	scratch_load_b64 v[0:1], v4, off offset:-8
	scratch_load_b64 v[2:3], off, off offset:200
	s_waitcnt vmcnt(1)
	scratch_store_b64 off, v[0:1], off offset:200
	s_waitcnt vmcnt(0)
	scratch_store_b64 v4, v[2:3], off offset:-8
.LBB57_422:
	s_or_b32 exec_lo, exec_lo, s0
	v_dual_mov_b32 v0, s12 :: v_dual_mov_b32 v1, s13
	s_mov_b32 s0, exec_lo
	flat_load_b32 v0, v[0:1] offset:96
	s_waitcnt vmcnt(0) lgkmcnt(0)
	v_cmpx_ne_u32_e32 25, v0
	s_cbranch_execz .LBB57_424
; %bb.423:
	v_lshl_add_u32 v4, v0, 3, 0
	scratch_load_b64 v[0:1], v4, off offset:-8
	scratch_load_b64 v[2:3], off, off offset:192
	s_waitcnt vmcnt(1)
	scratch_store_b64 off, v[0:1], off offset:192
	s_waitcnt vmcnt(0)
	scratch_store_b64 v4, v[2:3], off offset:-8
.LBB57_424:
	s_or_b32 exec_lo, exec_lo, s0
	v_dual_mov_b32 v0, s12 :: v_dual_mov_b32 v1, s13
	s_mov_b32 s0, exec_lo
	flat_load_b32 v0, v[0:1] offset:92
	s_waitcnt vmcnt(0) lgkmcnt(0)
	v_cmpx_ne_u32_e32 24, v0
	s_cbranch_execz .LBB57_426
; %bb.425:
	v_lshl_add_u32 v4, v0, 3, 0
	scratch_load_b64 v[0:1], v4, off offset:-8
	scratch_load_b64 v[2:3], off, off offset:184
	s_waitcnt vmcnt(1)
	scratch_store_b64 off, v[0:1], off offset:184
	s_waitcnt vmcnt(0)
	scratch_store_b64 v4, v[2:3], off offset:-8
.LBB57_426:
	s_or_b32 exec_lo, exec_lo, s0
	v_dual_mov_b32 v0, s12 :: v_dual_mov_b32 v1, s13
	s_mov_b32 s0, exec_lo
	flat_load_b32 v0, v[0:1] offset:88
	s_waitcnt vmcnt(0) lgkmcnt(0)
	v_cmpx_ne_u32_e32 23, v0
	s_cbranch_execz .LBB57_428
; %bb.427:
	v_lshl_add_u32 v4, v0, 3, 0
	scratch_load_b64 v[0:1], v4, off offset:-8
	scratch_load_b64 v[2:3], off, off offset:176
	s_waitcnt vmcnt(1)
	scratch_store_b64 off, v[0:1], off offset:176
	s_waitcnt vmcnt(0)
	scratch_store_b64 v4, v[2:3], off offset:-8
.LBB57_428:
	s_or_b32 exec_lo, exec_lo, s0
	v_dual_mov_b32 v0, s12 :: v_dual_mov_b32 v1, s13
	s_mov_b32 s0, exec_lo
	flat_load_b32 v0, v[0:1] offset:84
	s_waitcnt vmcnt(0) lgkmcnt(0)
	v_cmpx_ne_u32_e32 22, v0
	s_cbranch_execz .LBB57_430
; %bb.429:
	v_lshl_add_u32 v4, v0, 3, 0
	scratch_load_b64 v[0:1], v4, off offset:-8
	scratch_load_b64 v[2:3], off, off offset:168
	s_waitcnt vmcnt(1)
	scratch_store_b64 off, v[0:1], off offset:168
	s_waitcnt vmcnt(0)
	scratch_store_b64 v4, v[2:3], off offset:-8
.LBB57_430:
	s_or_b32 exec_lo, exec_lo, s0
	v_dual_mov_b32 v0, s12 :: v_dual_mov_b32 v1, s13
	s_mov_b32 s0, exec_lo
	flat_load_b32 v0, v[0:1] offset:80
	s_waitcnt vmcnt(0) lgkmcnt(0)
	v_cmpx_ne_u32_e32 21, v0
	s_cbranch_execz .LBB57_432
; %bb.431:
	v_lshl_add_u32 v4, v0, 3, 0
	scratch_load_b64 v[0:1], v4, off offset:-8
	scratch_load_b64 v[2:3], off, off offset:160
	s_waitcnt vmcnt(1)
	scratch_store_b64 off, v[0:1], off offset:160
	s_waitcnt vmcnt(0)
	scratch_store_b64 v4, v[2:3], off offset:-8
.LBB57_432:
	s_or_b32 exec_lo, exec_lo, s0
	v_dual_mov_b32 v0, s12 :: v_dual_mov_b32 v1, s13
	s_mov_b32 s0, exec_lo
	flat_load_b32 v0, v[0:1] offset:76
	s_waitcnt vmcnt(0) lgkmcnt(0)
	v_cmpx_ne_u32_e32 20, v0
	s_cbranch_execz .LBB57_434
; %bb.433:
	v_lshl_add_u32 v4, v0, 3, 0
	scratch_load_b64 v[0:1], v4, off offset:-8
	scratch_load_b64 v[2:3], off, off offset:152
	s_waitcnt vmcnt(1)
	scratch_store_b64 off, v[0:1], off offset:152
	s_waitcnt vmcnt(0)
	scratch_store_b64 v4, v[2:3], off offset:-8
.LBB57_434:
	s_or_b32 exec_lo, exec_lo, s0
	v_dual_mov_b32 v0, s12 :: v_dual_mov_b32 v1, s13
	s_mov_b32 s0, exec_lo
	flat_load_b32 v0, v[0:1] offset:72
	s_waitcnt vmcnt(0) lgkmcnt(0)
	v_cmpx_ne_u32_e32 19, v0
	s_cbranch_execz .LBB57_436
; %bb.435:
	v_lshl_add_u32 v4, v0, 3, 0
	scratch_load_b64 v[0:1], v4, off offset:-8
	scratch_load_b64 v[2:3], off, off offset:144
	s_waitcnt vmcnt(1)
	scratch_store_b64 off, v[0:1], off offset:144
	s_waitcnt vmcnt(0)
	scratch_store_b64 v4, v[2:3], off offset:-8
.LBB57_436:
	s_or_b32 exec_lo, exec_lo, s0
	v_dual_mov_b32 v0, s12 :: v_dual_mov_b32 v1, s13
	s_mov_b32 s0, exec_lo
	flat_load_b32 v0, v[0:1] offset:68
	s_waitcnt vmcnt(0) lgkmcnt(0)
	v_cmpx_ne_u32_e32 18, v0
	s_cbranch_execz .LBB57_438
; %bb.437:
	v_lshl_add_u32 v4, v0, 3, 0
	scratch_load_b64 v[0:1], v4, off offset:-8
	scratch_load_b64 v[2:3], off, off offset:136
	s_waitcnt vmcnt(1)
	scratch_store_b64 off, v[0:1], off offset:136
	s_waitcnt vmcnt(0)
	scratch_store_b64 v4, v[2:3], off offset:-8
.LBB57_438:
	s_or_b32 exec_lo, exec_lo, s0
	v_dual_mov_b32 v0, s12 :: v_dual_mov_b32 v1, s13
	s_mov_b32 s0, exec_lo
	flat_load_b32 v0, v[0:1] offset:64
	s_waitcnt vmcnt(0) lgkmcnt(0)
	v_cmpx_ne_u32_e32 17, v0
	s_cbranch_execz .LBB57_440
; %bb.439:
	v_lshl_add_u32 v4, v0, 3, 0
	scratch_load_b64 v[0:1], v4, off offset:-8
	scratch_load_b64 v[2:3], off, off offset:128
	s_waitcnt vmcnt(1)
	scratch_store_b64 off, v[0:1], off offset:128
	s_waitcnt vmcnt(0)
	scratch_store_b64 v4, v[2:3], off offset:-8
.LBB57_440:
	s_or_b32 exec_lo, exec_lo, s0
	v_dual_mov_b32 v0, s12 :: v_dual_mov_b32 v1, s13
	s_mov_b32 s0, exec_lo
	flat_load_b32 v0, v[0:1] offset:60
	s_waitcnt vmcnt(0) lgkmcnt(0)
	v_cmpx_ne_u32_e32 16, v0
	s_cbranch_execz .LBB57_442
; %bb.441:
	v_lshl_add_u32 v4, v0, 3, 0
	scratch_load_b64 v[0:1], v4, off offset:-8
	scratch_load_b64 v[2:3], off, off offset:120
	s_waitcnt vmcnt(1)
	scratch_store_b64 off, v[0:1], off offset:120
	s_waitcnt vmcnt(0)
	scratch_store_b64 v4, v[2:3], off offset:-8
.LBB57_442:
	s_or_b32 exec_lo, exec_lo, s0
	v_dual_mov_b32 v0, s12 :: v_dual_mov_b32 v1, s13
	s_mov_b32 s0, exec_lo
	flat_load_b32 v0, v[0:1] offset:56
	s_waitcnt vmcnt(0) lgkmcnt(0)
	v_cmpx_ne_u32_e32 15, v0
	s_cbranch_execz .LBB57_444
; %bb.443:
	v_lshl_add_u32 v4, v0, 3, 0
	scratch_load_b64 v[0:1], v4, off offset:-8
	scratch_load_b64 v[2:3], off, off offset:112
	s_waitcnt vmcnt(1)
	scratch_store_b64 off, v[0:1], off offset:112
	s_waitcnt vmcnt(0)
	scratch_store_b64 v4, v[2:3], off offset:-8
.LBB57_444:
	s_or_b32 exec_lo, exec_lo, s0
	v_dual_mov_b32 v0, s12 :: v_dual_mov_b32 v1, s13
	s_mov_b32 s0, exec_lo
	flat_load_b32 v0, v[0:1] offset:52
	s_waitcnt vmcnt(0) lgkmcnt(0)
	v_cmpx_ne_u32_e32 14, v0
	s_cbranch_execz .LBB57_446
; %bb.445:
	v_lshl_add_u32 v4, v0, 3, 0
	scratch_load_b64 v[0:1], v4, off offset:-8
	scratch_load_b64 v[2:3], off, off offset:104
	s_waitcnt vmcnt(1)
	scratch_store_b64 off, v[0:1], off offset:104
	s_waitcnt vmcnt(0)
	scratch_store_b64 v4, v[2:3], off offset:-8
.LBB57_446:
	s_or_b32 exec_lo, exec_lo, s0
	v_dual_mov_b32 v0, s12 :: v_dual_mov_b32 v1, s13
	s_mov_b32 s0, exec_lo
	flat_load_b32 v0, v[0:1] offset:48
	s_waitcnt vmcnt(0) lgkmcnt(0)
	v_cmpx_ne_u32_e32 13, v0
	s_cbranch_execz .LBB57_448
; %bb.447:
	v_lshl_add_u32 v4, v0, 3, 0
	scratch_load_b64 v[0:1], v4, off offset:-8
	scratch_load_b64 v[2:3], off, off offset:96
	s_waitcnt vmcnt(1)
	scratch_store_b64 off, v[0:1], off offset:96
	s_waitcnt vmcnt(0)
	scratch_store_b64 v4, v[2:3], off offset:-8
.LBB57_448:
	s_or_b32 exec_lo, exec_lo, s0
	v_dual_mov_b32 v0, s12 :: v_dual_mov_b32 v1, s13
	s_mov_b32 s0, exec_lo
	flat_load_b32 v0, v[0:1] offset:44
	s_waitcnt vmcnt(0) lgkmcnt(0)
	v_cmpx_ne_u32_e32 12, v0
	s_cbranch_execz .LBB57_450
; %bb.449:
	v_lshl_add_u32 v4, v0, 3, 0
	scratch_load_b64 v[0:1], v4, off offset:-8
	scratch_load_b64 v[2:3], off, off offset:88
	s_waitcnt vmcnt(1)
	scratch_store_b64 off, v[0:1], off offset:88
	s_waitcnt vmcnt(0)
	scratch_store_b64 v4, v[2:3], off offset:-8
.LBB57_450:
	s_or_b32 exec_lo, exec_lo, s0
	v_dual_mov_b32 v0, s12 :: v_dual_mov_b32 v1, s13
	s_mov_b32 s0, exec_lo
	flat_load_b32 v0, v[0:1] offset:40
	s_waitcnt vmcnt(0) lgkmcnt(0)
	v_cmpx_ne_u32_e32 11, v0
	s_cbranch_execz .LBB57_452
; %bb.451:
	v_lshl_add_u32 v4, v0, 3, 0
	scratch_load_b64 v[0:1], v4, off offset:-8
	scratch_load_b64 v[2:3], off, off offset:80
	s_waitcnt vmcnt(1)
	scratch_store_b64 off, v[0:1], off offset:80
	s_waitcnt vmcnt(0)
	scratch_store_b64 v4, v[2:3], off offset:-8
.LBB57_452:
	s_or_b32 exec_lo, exec_lo, s0
	v_dual_mov_b32 v0, s12 :: v_dual_mov_b32 v1, s13
	s_mov_b32 s0, exec_lo
	flat_load_b32 v0, v[0:1] offset:36
	s_waitcnt vmcnt(0) lgkmcnt(0)
	v_cmpx_ne_u32_e32 10, v0
	s_cbranch_execz .LBB57_454
; %bb.453:
	v_lshl_add_u32 v4, v0, 3, 0
	scratch_load_b64 v[0:1], v4, off offset:-8
	scratch_load_b64 v[2:3], off, off offset:72
	s_waitcnt vmcnt(1)
	scratch_store_b64 off, v[0:1], off offset:72
	s_waitcnt vmcnt(0)
	scratch_store_b64 v4, v[2:3], off offset:-8
.LBB57_454:
	s_or_b32 exec_lo, exec_lo, s0
	v_dual_mov_b32 v0, s12 :: v_dual_mov_b32 v1, s13
	s_mov_b32 s0, exec_lo
	flat_load_b32 v0, v[0:1] offset:32
	s_waitcnt vmcnt(0) lgkmcnt(0)
	v_cmpx_ne_u32_e32 9, v0
	s_cbranch_execz .LBB57_456
; %bb.455:
	v_lshl_add_u32 v4, v0, 3, 0
	scratch_load_b64 v[0:1], v4, off offset:-8
	scratch_load_b64 v[2:3], off, off offset:64
	s_waitcnt vmcnt(1)
	scratch_store_b64 off, v[0:1], off offset:64
	s_waitcnt vmcnt(0)
	scratch_store_b64 v4, v[2:3], off offset:-8
.LBB57_456:
	s_or_b32 exec_lo, exec_lo, s0
	v_dual_mov_b32 v0, s12 :: v_dual_mov_b32 v1, s13
	s_mov_b32 s0, exec_lo
	flat_load_b32 v0, v[0:1] offset:28
	s_waitcnt vmcnt(0) lgkmcnt(0)
	v_cmpx_ne_u32_e32 8, v0
	s_cbranch_execz .LBB57_458
; %bb.457:
	v_lshl_add_u32 v4, v0, 3, 0
	scratch_load_b64 v[0:1], v4, off offset:-8
	scratch_load_b64 v[2:3], off, off offset:56
	s_waitcnt vmcnt(1)
	scratch_store_b64 off, v[0:1], off offset:56
	s_waitcnt vmcnt(0)
	scratch_store_b64 v4, v[2:3], off offset:-8
.LBB57_458:
	s_or_b32 exec_lo, exec_lo, s0
	v_dual_mov_b32 v0, s12 :: v_dual_mov_b32 v1, s13
	s_mov_b32 s0, exec_lo
	flat_load_b32 v0, v[0:1] offset:24
	s_waitcnt vmcnt(0) lgkmcnt(0)
	v_cmpx_ne_u32_e32 7, v0
	s_cbranch_execz .LBB57_460
; %bb.459:
	v_lshl_add_u32 v4, v0, 3, 0
	scratch_load_b64 v[0:1], v4, off offset:-8
	scratch_load_b64 v[2:3], off, off offset:48
	s_waitcnt vmcnt(1)
	scratch_store_b64 off, v[0:1], off offset:48
	s_waitcnt vmcnt(0)
	scratch_store_b64 v4, v[2:3], off offset:-8
.LBB57_460:
	s_or_b32 exec_lo, exec_lo, s0
	v_dual_mov_b32 v0, s12 :: v_dual_mov_b32 v1, s13
	s_mov_b32 s0, exec_lo
	flat_load_b32 v0, v[0:1] offset:20
	s_waitcnt vmcnt(0) lgkmcnt(0)
	v_cmpx_ne_u32_e32 6, v0
	s_cbranch_execz .LBB57_462
; %bb.461:
	v_lshl_add_u32 v4, v0, 3, 0
	scratch_load_b64 v[0:1], v4, off offset:-8
	scratch_load_b64 v[2:3], off, off offset:40
	s_waitcnt vmcnt(1)
	scratch_store_b64 off, v[0:1], off offset:40
	s_waitcnt vmcnt(0)
	scratch_store_b64 v4, v[2:3], off offset:-8
.LBB57_462:
	s_or_b32 exec_lo, exec_lo, s0
	v_dual_mov_b32 v0, s12 :: v_dual_mov_b32 v1, s13
	s_mov_b32 s0, exec_lo
	flat_load_b32 v0, v[0:1] offset:16
	s_waitcnt vmcnt(0) lgkmcnt(0)
	v_cmpx_ne_u32_e32 5, v0
	s_cbranch_execz .LBB57_464
; %bb.463:
	v_lshl_add_u32 v4, v0, 3, 0
	scratch_load_b64 v[0:1], v4, off offset:-8
	scratch_load_b64 v[2:3], off, off offset:32
	s_waitcnt vmcnt(1)
	scratch_store_b64 off, v[0:1], off offset:32
	s_waitcnt vmcnt(0)
	scratch_store_b64 v4, v[2:3], off offset:-8
.LBB57_464:
	s_or_b32 exec_lo, exec_lo, s0
	v_dual_mov_b32 v0, s12 :: v_dual_mov_b32 v1, s13
	s_mov_b32 s0, exec_lo
	flat_load_b32 v0, v[0:1] offset:12
	s_waitcnt vmcnt(0) lgkmcnt(0)
	v_cmpx_ne_u32_e32 4, v0
	s_cbranch_execz .LBB57_466
; %bb.465:
	v_lshl_add_u32 v4, v0, 3, 0
	scratch_load_b64 v[0:1], v4, off offset:-8
	scratch_load_b64 v[2:3], off, off offset:24
	s_waitcnt vmcnt(1)
	scratch_store_b64 off, v[0:1], off offset:24
	s_waitcnt vmcnt(0)
	scratch_store_b64 v4, v[2:3], off offset:-8
.LBB57_466:
	s_or_b32 exec_lo, exec_lo, s0
	v_dual_mov_b32 v0, s12 :: v_dual_mov_b32 v1, s13
	s_mov_b32 s0, exec_lo
	flat_load_b32 v0, v[0:1] offset:8
	s_waitcnt vmcnt(0) lgkmcnt(0)
	v_cmpx_ne_u32_e32 3, v0
	s_cbranch_execz .LBB57_468
; %bb.467:
	v_lshl_add_u32 v4, v0, 3, 0
	scratch_load_b64 v[0:1], v4, off offset:-8
	scratch_load_b64 v[2:3], off, off offset:16
	s_waitcnt vmcnt(1)
	scratch_store_b64 off, v[0:1], off offset:16
	s_waitcnt vmcnt(0)
	scratch_store_b64 v4, v[2:3], off offset:-8
.LBB57_468:
	s_or_b32 exec_lo, exec_lo, s0
	v_dual_mov_b32 v0, s12 :: v_dual_mov_b32 v1, s13
	s_mov_b32 s0, exec_lo
	flat_load_b32 v0, v[0:1] offset:4
	s_waitcnt vmcnt(0) lgkmcnt(0)
	v_cmpx_ne_u32_e32 2, v0
	s_cbranch_execz .LBB57_470
; %bb.469:
	v_lshl_add_u32 v4, v0, 3, 0
	scratch_load_b64 v[0:1], v4, off offset:-8
	scratch_load_b64 v[2:3], off, off offset:8
	s_waitcnt vmcnt(1)
	scratch_store_b64 off, v[0:1], off offset:8
	s_waitcnt vmcnt(0)
	scratch_store_b64 v4, v[2:3], off offset:-8
.LBB57_470:
	s_or_b32 exec_lo, exec_lo, s0
	v_dual_mov_b32 v0, s12 :: v_dual_mov_b32 v1, s13
	s_mov_b32 s0, exec_lo
	flat_load_b32 v2, v[0:1]
	scratch_load_b64 v[0:1], off, off
	s_waitcnt vmcnt(1) lgkmcnt(0)
	v_cmpx_ne_u32_e32 1, v2
	s_cbranch_execz .LBB57_472
; %bb.471:
	v_lshl_add_u32 v4, v2, 3, 0
	scratch_load_b64 v[2:3], v4, off offset:-8
	s_waitcnt vmcnt(0)
	scratch_store_b64 off, v[2:3], off
	scratch_store_b64 v4, v[0:1], off offset:-8
	scratch_load_b64 v[0:1], off, off
.LBB57_472:
	s_or_b32 exec_lo, exec_lo, s0
.LBB57_473:
	s_clause 0xa
	scratch_load_b128 v[2:5], off, off offset:8
	scratch_load_b128 v[122:125], off, off offset:24
	;; [unrolled: 1-line block ×11, first 2 shown]
	s_waitcnt vmcnt(11)
	global_store_b64 v[44:45], v[0:1], off
	s_clause 0x3
	scratch_load_b128 v[162:165], off, off offset:184
	scratch_load_b128 v[166:169], off, off offset:216
	;; [unrolled: 1-line block ×4, first 2 shown]
	s_waitcnt vmcnt(14)
	s_clause 0x1
	global_store_b64 v[40:41], v[2:3], off
	global_store_b64 v[36:37], v[4:5], off
	s_waitcnt vmcnt(13)
	global_store_b64 v[38:39], v[122:123], off
	scratch_load_b128 v[36:39], off, off offset:232
	global_store_b64 v[30:31], v[124:125], off
	s_waitcnt vmcnt(13)
	s_clause 0x1
	global_store_b64 v[24:25], v[126:127], off
	global_store_b64 v[32:33], v[128:129], off
	s_waitcnt vmcnt(12)
	s_clause 0x1
	global_store_b64 v[28:29], v[130:131], off
	;; [unrolled: 4-line block ×6, first 2 shown]
	global_store_b64 v[42:43], v[148:149], off
	s_clause 0xc
	scratch_load_b128 v[0:3], off, off offset:200
	scratch_load_b128 v[122:125], off, off offset:248
	;; [unrolled: 1-line block ×12, first 2 shown]
	scratch_load_b64 v[8:9], off, off offset:456
	s_waitcnt vmcnt(20)
	s_clause 0x1
	global_store_b64 v[26:27], v[150:151], off
	global_store_b64 v[34:35], v[152:153], off
	s_waitcnt vmcnt(19)
	s_clause 0x1
	global_store_b64 v[46:47], v[154:155], off
	global_store_b64 v[48:49], v[156:157], off
	;; [unrolled: 4-line block ×5, first 2 shown]
	global_store_b64 v[62:63], v[166:167], off
	global_store_b64 v[64:65], v[168:169], off
	;; [unrolled: 1-line block ×4, first 2 shown]
	s_waitcnt vmcnt(11)
	s_clause 0x3
	global_store_b64 v[70:71], v[122:123], off
	global_store_b64 v[72:73], v[124:125], off
	;; [unrolled: 1-line block ×4, first 2 shown]
	s_waitcnt vmcnt(10)
	s_clause 0x1
	global_store_b64 v[78:79], v[30:31], off
	global_store_b64 v[80:81], v[32:33], off
	s_waitcnt vmcnt(9)
	s_clause 0x1
	global_store_b64 v[82:83], v[126:127], off
	global_store_b64 v[84:85], v[128:129], off
	;; [unrolled: 4-line block ×3, first 2 shown]
	global_store_b64 v[90:91], v[174:175], off
	global_store_b64 v[92:93], v[176:177], off
	s_waitcnt vmcnt(7)
	s_clause 0x1
	global_store_b64 v[94:95], v[20:21], off
	global_store_b64 v[96:97], v[22:23], off
	s_waitcnt vmcnt(6)
	s_clause 0x1
	global_store_b64 v[98:99], v[134:135], off
	global_store_b64 v[100:101], v[136:137], off
	s_waitcnt vmcnt(5)
	s_clause 0x1
	global_store_b64 v[102:103], v[10:11], off
	global_store_b64 v[104:105], v[12:13], off
	s_waitcnt vmcnt(4)
	s_clause 0x1
	global_store_b64 v[106:107], v[4:5], off
	global_store_b64 v[108:109], v[6:7], off
	s_waitcnt vmcnt(3)
	s_clause 0x1
	global_store_b64 v[110:111], v[14:15], off
	global_store_b64 v[112:113], v[16:17], off
	s_waitcnt vmcnt(2)
	s_clause 0x1
	global_store_b64 v[114:115], v[138:139], off
	global_store_b64 v[116:117], v[140:141], off
	s_waitcnt vmcnt(1)
	s_clause 0x1
	global_store_b64 v[118:119], v[40:41], off
	global_store_b64 v[120:121], v[42:43], off
	s_waitcnt vmcnt(0)
	global_store_b64 v[18:19], v[8:9], off
	s_endpgm
	.section	.rodata,"a",@progbits
	.p2align	6, 0x0
	.amdhsa_kernel _ZN9rocsolver6v33100L18getri_kernel_smallILi58EdPdEEvT1_iilPiilS4_bb
		.amdhsa_group_segment_fixed_size 936
		.amdhsa_private_segment_fixed_size 480
		.amdhsa_kernarg_size 60
		.amdhsa_user_sgpr_count 15
		.amdhsa_user_sgpr_dispatch_ptr 0
		.amdhsa_user_sgpr_queue_ptr 0
		.amdhsa_user_sgpr_kernarg_segment_ptr 1
		.amdhsa_user_sgpr_dispatch_id 0
		.amdhsa_user_sgpr_private_segment_size 0
		.amdhsa_wavefront_size32 1
		.amdhsa_uses_dynamic_stack 0
		.amdhsa_enable_private_segment 1
		.amdhsa_system_sgpr_workgroup_id_x 1
		.amdhsa_system_sgpr_workgroup_id_y 0
		.amdhsa_system_sgpr_workgroup_id_z 0
		.amdhsa_system_sgpr_workgroup_info 0
		.amdhsa_system_vgpr_workitem_id 0
		.amdhsa_next_free_vgpr 178
		.amdhsa_next_free_sgpr 18
		.amdhsa_reserve_vcc 1
		.amdhsa_float_round_mode_32 0
		.amdhsa_float_round_mode_16_64 0
		.amdhsa_float_denorm_mode_32 3
		.amdhsa_float_denorm_mode_16_64 3
		.amdhsa_dx10_clamp 1
		.amdhsa_ieee_mode 1
		.amdhsa_fp16_overflow 0
		.amdhsa_workgroup_processor_mode 1
		.amdhsa_memory_ordered 1
		.amdhsa_forward_progress 0
		.amdhsa_shared_vgpr_count 0
		.amdhsa_exception_fp_ieee_invalid_op 0
		.amdhsa_exception_fp_denorm_src 0
		.amdhsa_exception_fp_ieee_div_zero 0
		.amdhsa_exception_fp_ieee_overflow 0
		.amdhsa_exception_fp_ieee_underflow 0
		.amdhsa_exception_fp_ieee_inexact 0
		.amdhsa_exception_int_div_zero 0
	.end_amdhsa_kernel
	.section	.text._ZN9rocsolver6v33100L18getri_kernel_smallILi58EdPdEEvT1_iilPiilS4_bb,"axG",@progbits,_ZN9rocsolver6v33100L18getri_kernel_smallILi58EdPdEEvT1_iilPiilS4_bb,comdat
.Lfunc_end57:
	.size	_ZN9rocsolver6v33100L18getri_kernel_smallILi58EdPdEEvT1_iilPiilS4_bb, .Lfunc_end57-_ZN9rocsolver6v33100L18getri_kernel_smallILi58EdPdEEvT1_iilPiilS4_bb
                                        ; -- End function
	.section	.AMDGPU.csdata,"",@progbits
; Kernel info:
; codeLenInByte = 60744
; NumSgprs: 20
; NumVgprs: 178
; ScratchSize: 480
; MemoryBound: 0
; FloatMode: 240
; IeeeMode: 1
; LDSByteSize: 936 bytes/workgroup (compile time only)
; SGPRBlocks: 2
; VGPRBlocks: 22
; NumSGPRsForWavesPerEU: 20
; NumVGPRsForWavesPerEU: 178
; Occupancy: 8
; WaveLimiterHint : 1
; COMPUTE_PGM_RSRC2:SCRATCH_EN: 1
; COMPUTE_PGM_RSRC2:USER_SGPR: 15
; COMPUTE_PGM_RSRC2:TRAP_HANDLER: 0
; COMPUTE_PGM_RSRC2:TGID_X_EN: 1
; COMPUTE_PGM_RSRC2:TGID_Y_EN: 0
; COMPUTE_PGM_RSRC2:TGID_Z_EN: 0
; COMPUTE_PGM_RSRC2:TIDIG_COMP_CNT: 0
	.section	.text._ZN9rocsolver6v33100L18getri_kernel_smallILi59EdPdEEvT1_iilPiilS4_bb,"axG",@progbits,_ZN9rocsolver6v33100L18getri_kernel_smallILi59EdPdEEvT1_iilPiilS4_bb,comdat
	.globl	_ZN9rocsolver6v33100L18getri_kernel_smallILi59EdPdEEvT1_iilPiilS4_bb ; -- Begin function _ZN9rocsolver6v33100L18getri_kernel_smallILi59EdPdEEvT1_iilPiilS4_bb
	.p2align	8
	.type	_ZN9rocsolver6v33100L18getri_kernel_smallILi59EdPdEEvT1_iilPiilS4_bb,@function
_ZN9rocsolver6v33100L18getri_kernel_smallILi59EdPdEEvT1_iilPiilS4_bb: ; @_ZN9rocsolver6v33100L18getri_kernel_smallILi59EdPdEEvT1_iilPiilS4_bb
; %bb.0:
	s_mov_b32 s2, exec_lo
	v_cmpx_gt_u32_e32 59, v0
	s_cbranch_execz .LBB58_246
; %bb.1:
	s_clause 0x2
	s_load_b32 s17, s[0:1], 0x38
	s_load_b128 s[8:11], s[0:1], 0x10
	s_load_b128 s[4:7], s[0:1], 0x28
	s_mov_b32 s14, s15
                                        ; implicit-def: $sgpr12_sgpr13
	s_waitcnt lgkmcnt(0)
	s_bitcmp1_b32 s17, 8
	s_cselect_b32 s16, -1, 0
	s_bfe_u32 s2, s17, 0x10008
	s_ashr_i32 s15, s15, 31
	s_cmp_eq_u32 s2, 0
	s_cbranch_scc1 .LBB58_3
; %bb.2:
	s_load_b32 s2, s[0:1], 0x20
	s_mul_i32 s3, s14, s5
	s_mul_hi_u32 s5, s14, s4
	s_mul_i32 s12, s15, s4
	s_add_i32 s3, s5, s3
	s_mul_i32 s4, s14, s4
	s_add_i32 s5, s3, s12
	s_delay_alu instid0(SALU_CYCLE_1)
	s_lshl_b64 s[4:5], s[4:5], 2
	s_waitcnt lgkmcnt(0)
	s_ashr_i32 s3, s2, 31
	s_add_u32 s4, s10, s4
	s_addc_u32 s5, s11, s5
	s_lshl_b64 s[2:3], s[2:3], 2
	s_delay_alu instid0(SALU_CYCLE_1)
	s_add_u32 s12, s4, s2
	s_addc_u32 s13, s5, s3
.LBB58_3:
	s_load_b128 s[0:3], s[0:1], 0x0
	s_mul_i32 s4, s14, s9
	s_mul_hi_u32 s5, s14, s8
	s_mul_i32 s9, s15, s8
	s_add_i32 s5, s5, s4
	s_mul_i32 s4, s14, s8
	s_add_i32 s5, s5, s9
	v_lshlrev_b32_e32 v3, 3, v0
	s_lshl_b64 s[4:5], s[4:5], 3
	s_waitcnt lgkmcnt(0)
	v_add3_u32 v1, s3, s3, v0
	s_ashr_i32 s9, s2, 31
	s_mov_b32 s8, s2
	s_add_u32 s2, s0, s4
	s_addc_u32 s4, s1, s5
	v_add_nc_u32_e32 v4, s3, v1
	s_lshl_b64 s[0:1], s[8:9], 3
	v_ashrrev_i32_e32 v2, 31, v1
	s_add_u32 s0, s2, s0
	s_addc_u32 s1, s4, s1
	v_add_nc_u32_e32 v6, s3, v4
	v_add_co_u32 v48, s2, s0, v3
	s_mov_b32 s10, s3
	s_ashr_i32 s11, s3, 31
	s_delay_alu instid0(VALU_DEP_2) | instskip(SKIP_3) | instid1(VALU_DEP_4)
	v_add_nc_u32_e32 v8, s3, v6
	v_add_co_ci_u32_e64 v49, null, s1, 0, s2
	v_ashrrev_i32_e32 v5, 31, v4
	v_lshlrev_b64 v[1:2], 3, v[1:2]
	v_add_nc_u32_e32 v10, s3, v8
	s_lshl_b64 s[4:5], s[10:11], 3
	v_ashrrev_i32_e32 v7, 31, v6
	v_add_co_u32 v34, vcc_lo, v48, s4
	s_delay_alu instid0(VALU_DEP_3) | instskip(SKIP_3) | instid1(VALU_DEP_4)
	v_add_nc_u32_e32 v12, s3, v10
	v_add_co_ci_u32_e32 v35, vcc_lo, s5, v49, vcc_lo
	v_lshlrev_b64 v[4:5], 3, v[4:5]
	v_add_co_u32 v40, vcc_lo, s0, v1
	v_add_nc_u32_e32 v14, s3, v12
	v_add_co_ci_u32_e32 v41, vcc_lo, s1, v2, vcc_lo
	v_lshlrev_b64 v[1:2], 3, v[6:7]
	v_ashrrev_i32_e32 v9, 31, v8
	v_add_co_u32 v32, vcc_lo, s0, v4
	v_ashrrev_i32_e32 v11, 31, v10
	s_clause 0x1
	global_load_b64 v[52:53], v3, s[0:1]
	global_load_b64 v[54:55], v[34:35], off
	v_add_nc_u32_e32 v16, s3, v14
	v_add_co_ci_u32_e32 v33, vcc_lo, s1, v5, vcc_lo
	v_lshlrev_b64 v[4:5], 3, v[8:9]
	v_add_co_u32 v38, vcc_lo, s0, v1
	v_add_co_ci_u32_e32 v39, vcc_lo, s1, v2, vcc_lo
	v_lshlrev_b64 v[1:2], 3, v[10:11]
	v_ashrrev_i32_e32 v13, 31, v12
	v_add_nc_u32_e32 v18, s3, v16
	v_add_co_u32 v24, vcc_lo, s0, v4
	v_ashrrev_i32_e32 v15, 31, v14
	v_add_co_ci_u32_e32 v25, vcc_lo, s1, v5, vcc_lo
	v_lshlrev_b64 v[11:12], 3, v[12:13]
	v_add_co_u32 v36, vcc_lo, s0, v1
	v_add_nc_u32_e32 v6, s3, v18
	v_add_co_ci_u32_e32 v37, vcc_lo, s1, v2, vcc_lo
	v_lshlrev_b64 v[1:2], 3, v[14:15]
	v_ashrrev_i32_e32 v17, 31, v16
	v_add_co_u32 v26, vcc_lo, s0, v11
	v_ashrrev_i32_e32 v19, 31, v18
	v_add_nc_u32_e32 v8, s3, v6
	s_clause 0x2
	global_load_b64 v[60:61], v[40:41], off
	global_load_b64 v[62:63], v[32:33], off
	;; [unrolled: 1-line block ×3, first 2 shown]
	v_add_co_ci_u32_e32 v27, vcc_lo, s1, v12, vcc_lo
	v_lshlrev_b64 v[11:12], 3, v[16:17]
	global_load_b64 v[66:67], v[24:25], off
	v_add_co_u32 v28, vcc_lo, s0, v1
	v_ashrrev_i32_e32 v7, 31, v6
	v_add_co_ci_u32_e32 v29, vcc_lo, s1, v2, vcc_lo
	v_lshlrev_b64 v[1:2], 3, v[18:19]
	v_add_nc_u32_e32 v10, s3, v8
	v_add_co_u32 v16, vcc_lo, s0, v11
	v_lshlrev_b64 v[5:6], 3, v[6:7]
	v_ashrrev_i32_e32 v9, 31, v8
	v_add_co_ci_u32_e32 v17, vcc_lo, s1, v12, vcc_lo
	v_add_co_u32 v30, vcc_lo, s0, v1
	v_ashrrev_i32_e32 v11, 31, v10
	v_add_nc_u32_e32 v4, s3, v10
	v_add_co_ci_u32_e32 v31, vcc_lo, s1, v2, vcc_lo
	v_lshlrev_b64 v[1:2], 3, v[8:9]
	v_add_co_u32 v18, vcc_lo, s0, v5
	v_add_co_ci_u32_e32 v19, vcc_lo, s1, v6, vcc_lo
	v_lshlrev_b64 v[5:6], 3, v[10:11]
	v_add_nc_u32_e32 v13, s3, v4
	s_clause 0x3
	global_load_b64 v[68:69], v[36:37], off
	global_load_b64 v[70:71], v[26:27], off
	;; [unrolled: 1-line block ×4, first 2 shown]
	v_add_co_u32 v20, vcc_lo, s0, v1
	v_add_co_ci_u32_e32 v21, vcc_lo, s1, v2, vcc_lo
	v_add_co_u32 v8, vcc_lo, s0, v5
	v_ashrrev_i32_e32 v5, 31, v4
	v_add_nc_u32_e32 v42, s3, v13
	v_ashrrev_i32_e32 v14, 31, v13
	v_add_co_ci_u32_e32 v9, vcc_lo, s1, v6, vcc_lo
	s_delay_alu instid0(VALU_DEP_4) | instskip(NEXT) | instid1(VALU_DEP_4)
	v_lshlrev_b64 v[1:2], 3, v[4:5]
	v_add_nc_u32_e32 v44, s3, v42
	s_delay_alu instid0(VALU_DEP_4)
	v_lshlrev_b64 v[5:6], 3, v[13:14]
	v_ashrrev_i32_e32 v43, 31, v42
	s_clause 0x3
	global_load_b64 v[76:77], v[30:31], off
	global_load_b64 v[78:79], v[18:19], off
	;; [unrolled: 1-line block ×4, first 2 shown]
	s_bitcmp0_b32 s17, 0
	v_add_co_u32 v22, vcc_lo, s0, v1
	v_ashrrev_i32_e32 v45, 31, v44
	v_add_co_ci_u32_e32 v23, vcc_lo, s1, v2, vcc_lo
	v_lshlrev_b64 v[1:2], 3, v[42:43]
	v_add_co_u32 v10, vcc_lo, s0, v5
	v_add_co_ci_u32_e32 v11, vcc_lo, s1, v6, vcc_lo
	v_lshlrev_b64 v[6:7], 3, v[44:45]
	s_delay_alu instid0(VALU_DEP_4) | instskip(SKIP_2) | instid1(VALU_DEP_4)
	v_add_co_u32 v12, vcc_lo, s0, v1
	v_add_co_ci_u32_e32 v13, vcc_lo, s1, v2, vcc_lo
	v_add_nc_u32_e32 v46, s3, v44
	v_add_co_u32 v6, vcc_lo, s0, v6
	v_add_co_ci_u32_e32 v7, vcc_lo, s1, v7, vcc_lo
	s_clause 0x3
	global_load_b64 v[84:85], v[22:23], off
	global_load_b64 v[86:87], v[10:11], off
	;; [unrolled: 1-line block ×4, first 2 shown]
	v_add_nc_u32_e32 v50, s3, v46
	v_ashrrev_i32_e32 v47, 31, v46
	s_delay_alu instid0(VALU_DEP_2) | instskip(SKIP_1) | instid1(VALU_DEP_3)
	v_add_nc_u32_e32 v56, s3, v50
	v_ashrrev_i32_e32 v51, 31, v50
	v_lshlrev_b64 v[14:15], 3, v[46:47]
	s_delay_alu instid0(VALU_DEP_3) | instskip(SKIP_1) | instid1(VALU_DEP_4)
	v_add_nc_u32_e32 v58, s3, v56
	v_ashrrev_i32_e32 v57, 31, v56
	v_lshlrev_b64 v[42:43], 3, v[50:51]
	s_delay_alu instid0(VALU_DEP_4) | instskip(NEXT) | instid1(VALU_DEP_4)
	v_add_co_u32 v44, vcc_lo, s0, v14
	v_add_nc_u32_e32 v92, s3, v58
	v_add_co_ci_u32_e32 v45, vcc_lo, s1, v15, vcc_lo
	v_lshlrev_b64 v[14:15], 3, v[56:57]
	v_ashrrev_i32_e32 v59, 31, v58
	s_delay_alu instid0(VALU_DEP_4) | instskip(SKIP_2) | instid1(VALU_DEP_3)
	v_add_nc_u32_e32 v4, s3, v92
	v_add_co_u32 v42, vcc_lo, s0, v42
	v_add_co_ci_u32_e32 v43, vcc_lo, s1, v43, vcc_lo
	v_add_nc_u32_e32 v1, s3, v4
	v_ashrrev_i32_e32 v93, 31, v92
	v_lshlrev_b64 v[50:51], 3, v[58:59]
	v_ashrrev_i32_e32 v5, 31, v4
	s_delay_alu instid0(VALU_DEP_4) | instskip(NEXT) | instid1(VALU_DEP_4)
	v_add_nc_u32_e32 v100, s3, v1
	v_lshlrev_b64 v[58:59], 3, v[92:93]
	v_ashrrev_i32_e32 v2, 31, v1
	s_delay_alu instid0(VALU_DEP_4) | instskip(NEXT) | instid1(VALU_DEP_4)
	v_lshlrev_b64 v[4:5], 3, v[4:5]
	v_add_nc_u32_e32 v102, s3, v100
	v_ashrrev_i32_e32 v101, 31, v100
	s_delay_alu instid0(VALU_DEP_4) | instskip(NEXT) | instid1(VALU_DEP_3)
	v_lshlrev_b64 v[1:2], 3, v[1:2]
	v_add_nc_u32_e32 v108, s3, v102
	v_ashrrev_i32_e32 v103, 31, v102
	s_delay_alu instid0(VALU_DEP_2) | instskip(SKIP_1) | instid1(VALU_DEP_2)
	v_add_nc_u32_e32 v110, s3, v108
	v_ashrrev_i32_e32 v109, 31, v108
	v_add_nc_u32_e32 v112, s3, v110
	v_ashrrev_i32_e32 v111, 31, v110
	s_delay_alu instid0(VALU_DEP_2) | instskip(SKIP_1) | instid1(VALU_DEP_2)
	v_add_nc_u32_e32 v114, s3, v112
	v_ashrrev_i32_e32 v113, 31, v112
	;; [unrolled: 5-line block ×16, first 2 shown]
	v_ashrrev_i32_e32 v47, 31, v46
	s_delay_alu instid0(VALU_DEP_1) | instskip(SKIP_2) | instid1(VALU_DEP_3)
	v_lshlrev_b64 v[56:57], 3, v[46:47]
	v_add_co_u32 v46, vcc_lo, s0, v14
	v_add_co_ci_u32_e32 v47, vcc_lo, s1, v15, vcc_lo
	v_add_co_u32 v14, vcc_lo, s0, v56
	s_delay_alu instid0(VALU_DEP_4)
	v_add_co_ci_u32_e32 v15, vcc_lo, s1, v57, vcc_lo
	v_add_co_u32 v50, vcc_lo, s0, v50
	v_add_co_ci_u32_e32 v51, vcc_lo, s1, v51, vcc_lo
	global_load_b64 v[172:173], v[14:15], off
	s_waitcnt vmcnt(17)
	scratch_store_b128 off, v[52:55], off
	v_add_co_u32 v52, vcc_lo, s0, v58
	s_clause 0x2
	global_load_b64 v[92:93], v[44:45], off
	global_load_b64 v[94:95], v[42:43], off
	;; [unrolled: 1-line block ×3, first 2 shown]
	v_add_co_ci_u32_e32 v53, vcc_lo, s1, v59, vcc_lo
	global_load_b64 v[98:99], v[50:51], off
	v_add_co_u32 v54, vcc_lo, s0, v4
	v_add_co_ci_u32_e32 v55, vcc_lo, s1, v5, vcc_lo
	v_lshlrev_b64 v[4:5], 3, v[100:101]
	v_add_co_u32 v56, vcc_lo, s0, v1
	v_add_co_ci_u32_e32 v57, vcc_lo, s1, v2, vcc_lo
	v_lshlrev_b64 v[1:2], 3, v[102:103]
	s_delay_alu instid0(VALU_DEP_4)
	v_add_co_u32 v58, vcc_lo, s0, v4
	v_add_co_ci_u32_e32 v59, vcc_lo, s1, v5, vcc_lo
	v_lshlrev_b64 v[4:5], 3, v[108:109]
	s_waitcnt vmcnt(19)
	scratch_store_b128 off, v[60:63], off offset:16
	s_waitcnt vmcnt(17)
	scratch_store_b128 off, v[64:67], off offset:32
	v_add_co_u32 v60, vcc_lo, s0, v1
	s_clause 0x3
	global_load_b64 v[100:101], v[52:53], off
	global_load_b64 v[102:103], v[54:55], off
	;; [unrolled: 1-line block ×4, first 2 shown]
	v_add_co_ci_u32_e32 v61, vcc_lo, s1, v2, vcc_lo
	v_lshlrev_b64 v[1:2], 3, v[110:111]
	v_add_co_u32 v62, vcc_lo, s0, v4
	v_add_co_ci_u32_e32 v63, vcc_lo, s1, v5, vcc_lo
	v_lshlrev_b64 v[4:5], 3, v[112:113]
	s_delay_alu instid0(VALU_DEP_4) | instskip(SKIP_2) | instid1(VALU_DEP_4)
	v_add_co_u32 v64, vcc_lo, s0, v1
	v_add_co_ci_u32_e32 v65, vcc_lo, s1, v2, vcc_lo
	v_lshlrev_b64 v[1:2], 3, v[114:115]
	v_add_co_u32 v66, vcc_lo, s0, v4
	v_add_co_ci_u32_e32 v67, vcc_lo, s1, v5, vcc_lo
	v_lshlrev_b64 v[4:5], 3, v[116:117]
	s_waitcnt vmcnt(19)
	scratch_store_b128 off, v[68:71], off offset:48
	s_waitcnt vmcnt(17)
	scratch_store_b128 off, v[72:75], off offset:64
	v_add_co_u32 v68, vcc_lo, s0, v1
	s_clause 0x3
	global_load_b64 v[108:109], v[60:61], off
	global_load_b64 v[110:111], v[62:63], off
	;; [unrolled: 1-line block ×4, first 2 shown]
	v_add_co_ci_u32_e32 v69, vcc_lo, s1, v2, vcc_lo
	v_lshlrev_b64 v[1:2], 3, v[118:119]
	v_add_co_u32 v70, vcc_lo, s0, v4
	v_add_co_ci_u32_e32 v71, vcc_lo, s1, v5, vcc_lo
	v_lshlrev_b64 v[4:5], 3, v[120:121]
	s_delay_alu instid0(VALU_DEP_4) | instskip(SKIP_2) | instid1(VALU_DEP_4)
	v_add_co_u32 v72, vcc_lo, s0, v1
	v_add_co_ci_u32_e32 v73, vcc_lo, s1, v2, vcc_lo
	v_lshlrev_b64 v[1:2], 3, v[124:125]
	v_add_co_u32 v74, vcc_lo, s0, v4
	v_add_co_ci_u32_e32 v75, vcc_lo, s1, v5, vcc_lo
	v_lshlrev_b64 v[4:5], 3, v[126:127]
	s_waitcnt vmcnt(19)
	scratch_store_b128 off, v[76:79], off offset:80
	s_waitcnt vmcnt(17)
	scratch_store_b128 off, v[80:83], off offset:96
	v_add_co_u32 v76, vcc_lo, s0, v1
	s_clause 0x3
	global_load_b64 v[116:117], v[68:69], off
	global_load_b64 v[118:119], v[70:71], off
	;; [unrolled: 1-line block ×4, first 2 shown]
	v_add_co_ci_u32_e32 v77, vcc_lo, s1, v2, vcc_lo
	v_lshlrev_b64 v[1:2], 3, v[128:129]
	v_add_co_u32 v78, vcc_lo, s0, v4
	v_add_co_ci_u32_e32 v79, vcc_lo, s1, v5, vcc_lo
	v_lshlrev_b64 v[4:5], 3, v[130:131]
	s_delay_alu instid0(VALU_DEP_4)
	v_add_co_u32 v80, vcc_lo, s0, v1
	v_add_co_ci_u32_e32 v81, vcc_lo, s1, v2, vcc_lo
	s_waitcnt vmcnt(19)
	scratch_store_b128 off, v[84:87], off offset:112
	s_waitcnt vmcnt(17)
	scratch_store_b128 off, v[88:91], off offset:128
	v_add_co_u32 v82, vcc_lo, s0, v4
	v_add_co_ci_u32_e32 v83, vcc_lo, s1, v5, vcc_lo
	s_clause 0x3
	global_load_b64 v[124:125], v[76:77], off
	global_load_b64 v[126:127], v[78:79], off
	;; [unrolled: 1-line block ×4, first 2 shown]
	v_lshlrev_b64 v[1:2], 3, v[132:133]
	v_lshlrev_b64 v[4:5], 3, v[134:135]
	s_waitcnt vmcnt(18)
	scratch_store_b128 off, v[92:95], off offset:144
	s_waitcnt vmcnt(16)
	scratch_store_b128 off, v[96:99], off offset:160
	v_add_co_u32 v84, vcc_lo, s0, v1
	v_add_co_ci_u32_e32 v85, vcc_lo, s1, v2, vcc_lo
	v_lshlrev_b64 v[1:2], 3, v[136:137]
	v_add_co_u32 v86, vcc_lo, s0, v4
	v_add_co_ci_u32_e32 v87, vcc_lo, s1, v5, vcc_lo
	v_lshlrev_b64 v[4:5], 3, v[138:139]
	s_delay_alu instid0(VALU_DEP_4) | instskip(SKIP_2) | instid1(VALU_DEP_4)
	v_add_co_u32 v88, vcc_lo, s0, v1
	v_add_co_ci_u32_e32 v89, vcc_lo, s1, v2, vcc_lo
	v_lshlrev_b64 v[1:2], 3, v[140:141]
	v_add_co_u32 v90, vcc_lo, s0, v4
	v_add_co_ci_u32_e32 v91, vcc_lo, s1, v5, vcc_lo
	v_lshlrev_b64 v[4:5], 3, v[142:143]
	s_delay_alu instid0(VALU_DEP_4) | instskip(SKIP_2) | instid1(VALU_DEP_4)
	;; [unrolled: 7-line block ×3, first 2 shown]
	v_add_co_u32 v96, vcc_lo, s0, v1
	v_add_co_ci_u32_e32 v97, vcc_lo, s1, v2, vcc_lo
	v_lshlrev_b64 v[1:2], 3, v[148:149]
	v_add_co_u32 v98, vcc_lo, s0, v4
	v_add_co_ci_u32_e32 v99, vcc_lo, s1, v5, vcc_lo
	v_lshlrev_b64 v[4:5], 3, v[150:151]
	s_clause 0x2
	global_load_b64 v[132:133], v[84:85], off
	global_load_b64 v[134:135], v[86:87], off
	;; [unrolled: 1-line block ×3, first 2 shown]
	s_waitcnt vmcnt(17)
	scratch_store_b128 off, v[100:103], off offset:176
	s_waitcnt vmcnt(15)
	scratch_store_b128 off, v[104:107], off offset:192
	v_add_co_u32 v100, vcc_lo, s0, v1
	v_add_co_ci_u32_e32 v101, vcc_lo, s1, v2, vcc_lo
	v_lshlrev_b64 v[1:2], 3, v[152:153]
	v_add_co_u32 v102, vcc_lo, s0, v4
	v_add_co_ci_u32_e32 v103, vcc_lo, s1, v5, vcc_lo
	v_lshlrev_b64 v[4:5], 3, v[154:155]
	s_delay_alu instid0(VALU_DEP_4) | instskip(SKIP_2) | instid1(VALU_DEP_4)
	v_add_co_u32 v104, vcc_lo, s0, v1
	v_add_co_ci_u32_e32 v105, vcc_lo, s1, v2, vcc_lo
	v_lshlrev_b64 v[1:2], 3, v[156:157]
	v_add_co_u32 v106, vcc_lo, s0, v4
	v_add_co_ci_u32_e32 v107, vcc_lo, s1, v5, vcc_lo
	v_lshlrev_b64 v[4:5], 3, v[158:159]
	s_clause 0x3
	global_load_b64 v[138:139], v[90:91], off
	global_load_b64 v[140:141], v[92:93], off
	global_load_b64 v[142:143], v[94:95], off
	global_load_b64 v[144:145], v[96:97], off
	s_waitcnt vmcnt(17)
	scratch_store_b128 off, v[108:111], off offset:208
	s_waitcnt vmcnt(15)
	scratch_store_b128 off, v[112:115], off offset:224
	v_add_co_u32 v108, vcc_lo, s0, v1
	v_add_co_ci_u32_e32 v109, vcc_lo, s1, v2, vcc_lo
	v_lshlrev_b64 v[1:2], 3, v[160:161]
	v_add_co_u32 v110, vcc_lo, s0, v4
	v_add_co_ci_u32_e32 v111, vcc_lo, s1, v5, vcc_lo
	v_lshlrev_b64 v[4:5], 3, v[162:163]
	s_delay_alu instid0(VALU_DEP_4) | instskip(SKIP_2) | instid1(VALU_DEP_4)
	v_add_co_u32 v112, vcc_lo, s0, v1
	v_add_co_ci_u32_e32 v113, vcc_lo, s1, v2, vcc_lo
	v_lshlrev_b64 v[1:2], 3, v[164:165]
	v_add_co_u32 v114, vcc_lo, s0, v4
	v_add_co_ci_u32_e32 v115, vcc_lo, s1, v5, vcc_lo
	v_lshlrev_b64 v[4:5], 3, v[166:167]
	s_clause 0x3
	global_load_b64 v[146:147], v[98:99], off
	global_load_b64 v[148:149], v[100:101], off
	;; [unrolled: 1-line block ×4, first 2 shown]
	s_waitcnt vmcnt(17)
	scratch_store_b128 off, v[116:119], off offset:240
	s_waitcnt vmcnt(15)
	scratch_store_b128 off, v[120:123], off offset:256
	v_add_co_u32 v116, vcc_lo, s0, v1
	v_add_co_ci_u32_e32 v117, vcc_lo, s1, v2, vcc_lo
	v_lshlrev_b64 v[1:2], 3, v[168:169]
	v_add_co_u32 v120, vcc_lo, s0, v4
	v_add_co_ci_u32_e32 v121, vcc_lo, s1, v5, vcc_lo
	v_lshlrev_b64 v[4:5], 3, v[170:171]
	s_delay_alu instid0(VALU_DEP_4)
	v_add_co_u32 v122, vcc_lo, s0, v1
	v_add_co_ci_u32_e32 v123, vcc_lo, s1, v2, vcc_lo
	s_clause 0x3
	global_load_b64 v[154:155], v[106:107], off
	global_load_b64 v[156:157], v[108:109], off
	global_load_b64 v[158:159], v[110:111], off
	global_load_b64 v[160:161], v[112:113], off
	v_add_co_u32 v118, vcc_lo, s0, v4
	v_add_co_ci_u32_e32 v119, vcc_lo, s1, v5, vcc_lo
	s_waitcnt vmcnt(17)
	scratch_store_b128 off, v[124:127], off offset:272
	s_waitcnt vmcnt(15)
	scratch_store_b128 off, v[128:131], off offset:288
	s_clause 0x4
	global_load_b64 v[162:163], v[114:115], off
	global_load_b64 v[124:125], v[116:117], off
	global_load_b64 v[126:127], v[120:121], off
	global_load_b64 v[128:129], v[122:123], off
	global_load_b64 v[130:131], v[118:119], off
	s_mov_b32 s1, -1
	s_waitcnt vmcnt(18)
	scratch_store_b128 off, v[132:135], off offset:304
	s_waitcnt vmcnt(16)
	scratch_store_b128 off, v[136:139], off offset:320
	;; [unrolled: 2-line block ×9, first 2 shown]
	s_waitcnt vmcnt(0)
	s_clause 0x1
	scratch_store_b128 off, v[128:131], off offset:448
	scratch_store_b64 off, v[172:173], off offset:464
	s_cbranch_scc1 .LBB58_244
; %bb.4:
	v_cmp_eq_u32_e64 s0, 0, v0
	s_delay_alu instid0(VALU_DEP_1)
	s_and_saveexec_b32 s1, s0
	s_cbranch_execz .LBB58_6
; %bb.5:
	v_mov_b32_e32 v1, 0
	ds_store_b32 v1, v1 offset:472
.LBB58_6:
	s_or_b32 exec_lo, exec_lo, s1
	s_waitcnt lgkmcnt(0)
	s_waitcnt_vscnt null, 0x0
	s_barrier
	buffer_gl0_inv
	scratch_load_b64 v[1:2], v3, off
	s_mov_b32 s2, exec_lo
	s_waitcnt vmcnt(0)
	v_cmpx_eq_f64_e32 0, v[1:2]
	s_cbranch_execz .LBB58_10
; %bb.7:
	v_mov_b32_e32 v1, 0
	s_mov_b32 s3, 0
	ds_load_b32 v2, v1 offset:472
	s_waitcnt lgkmcnt(0)
	v_readfirstlane_b32 s1, v2
	v_add_nc_u32_e32 v2, 1, v0
	s_delay_alu instid0(VALU_DEP_2) | instskip(NEXT) | instid1(VALU_DEP_1)
	s_cmp_eq_u32 s1, 0
	v_cmp_gt_i32_e32 vcc_lo, s1, v2
	s_cselect_b32 s4, -1, 0
	s_delay_alu instid0(SALU_CYCLE_1) | instskip(NEXT) | instid1(SALU_CYCLE_1)
	s_or_b32 s4, s4, vcc_lo
	s_and_b32 exec_lo, exec_lo, s4
	s_cbranch_execz .LBB58_10
; %bb.8:
	v_mov_b32_e32 v4, s1
.LBB58_9:                               ; =>This Inner Loop Header: Depth=1
	ds_cmpstore_rtn_b32 v4, v1, v2, v4 offset:472
	s_waitcnt lgkmcnt(0)
	v_cmp_ne_u32_e32 vcc_lo, 0, v4
	v_cmp_le_i32_e64 s1, v4, v2
	s_delay_alu instid0(VALU_DEP_1) | instskip(NEXT) | instid1(SALU_CYCLE_1)
	s_and_b32 s1, vcc_lo, s1
	s_and_b32 s1, exec_lo, s1
	s_delay_alu instid0(SALU_CYCLE_1) | instskip(NEXT) | instid1(SALU_CYCLE_1)
	s_or_b32 s3, s1, s3
	s_and_not1_b32 exec_lo, exec_lo, s3
	s_cbranch_execnz .LBB58_9
.LBB58_10:
	s_or_b32 exec_lo, exec_lo, s2
	v_mov_b32_e32 v1, 0
	s_barrier
	buffer_gl0_inv
	ds_load_b32 v2, v1 offset:472
	s_and_saveexec_b32 s1, s0
	s_cbranch_execz .LBB58_12
; %bb.11:
	s_lshl_b64 s[2:3], s[14:15], 2
	s_delay_alu instid0(SALU_CYCLE_1)
	s_add_u32 s2, s6, s2
	s_addc_u32 s3, s7, s3
	s_waitcnt lgkmcnt(0)
	global_store_b32 v1, v2, s[2:3]
.LBB58_12:
	s_or_b32 exec_lo, exec_lo, s1
	s_waitcnt lgkmcnt(0)
	v_cmp_ne_u32_e32 vcc_lo, 0, v2
	s_mov_b32 s1, 0
	s_cbranch_vccnz .LBB58_244
; %bb.13:
	v_add_nc_u32_e32 v4, 0, v3
	v_add_nc_u32_e32 v5, 0x1e0, v3
	scratch_load_b64 v[1:2], v4, off
	s_waitcnt vmcnt(0)
	v_div_scale_f64 v[124:125], null, v[1:2], v[1:2], 1.0
	v_div_scale_f64 v[130:131], vcc_lo, 1.0, v[1:2], 1.0
	s_delay_alu instid0(VALU_DEP_2) | instskip(SKIP_2) | instid1(VALU_DEP_1)
	v_rcp_f64_e32 v[126:127], v[124:125]
	s_waitcnt_depctr 0xfff
	v_fma_f64 v[128:129], -v[124:125], v[126:127], 1.0
	v_fma_f64 v[126:127], v[126:127], v[128:129], v[126:127]
	s_delay_alu instid0(VALU_DEP_1) | instskip(NEXT) | instid1(VALU_DEP_1)
	v_fma_f64 v[128:129], -v[124:125], v[126:127], 1.0
	v_fma_f64 v[126:127], v[126:127], v[128:129], v[126:127]
	s_delay_alu instid0(VALU_DEP_1) | instskip(NEXT) | instid1(VALU_DEP_1)
	v_mul_f64 v[128:129], v[130:131], v[126:127]
	v_fma_f64 v[124:125], -v[124:125], v[128:129], v[130:131]
	s_delay_alu instid0(VALU_DEP_1) | instskip(NEXT) | instid1(VALU_DEP_1)
	v_div_fmas_f64 v[124:125], v[124:125], v[126:127], v[128:129]
	v_div_fixup_f64 v[1:2], v[124:125], v[1:2], 1.0
	scratch_store_b64 v4, v[1:2], off
	scratch_load_b64 v[124:125], off, off offset:8
	v_xor_b32_e32 v2, 0x80000000, v2
	s_waitcnt vmcnt(0)
	ds_store_2addr_b64 v3, v[1:2], v[124:125] offset1:60
	s_waitcnt lgkmcnt(0)
	s_waitcnt_vscnt null, 0x0
	s_barrier
	buffer_gl0_inv
	s_and_saveexec_b32 s1, s0
	s_cbranch_execz .LBB58_15
; %bb.14:
	scratch_load_b64 v[1:2], v4, off
	ds_load_b64 v[124:125], v5
	s_waitcnt vmcnt(0) lgkmcnt(0)
	v_fma_f64 v[1:2], v[1:2], v[124:125], 0
	v_mov_b32_e32 v124, 0
	ds_load_b64 v[124:125], v124 offset:8
	s_waitcnt lgkmcnt(0)
	v_mul_f64 v[1:2], v[1:2], v[124:125]
	scratch_store_b64 off, v[1:2], off offset:8
.LBB58_15:
	s_or_b32 exec_lo, exec_lo, s1
	s_waitcnt_vscnt null, 0x0
	s_barrier
	buffer_gl0_inv
	scratch_load_b64 v[1:2], off, off offset:16
	s_mov_b32 s1, exec_lo
	s_waitcnt vmcnt(0)
	ds_store_b64 v5, v[1:2]
	s_waitcnt lgkmcnt(0)
	s_barrier
	buffer_gl0_inv
	v_cmpx_gt_u32_e32 2, v0
	s_cbranch_execz .LBB58_19
; %bb.16:
	scratch_load_b64 v[1:2], v4, off
	ds_load_b64 v[124:125], v5
	s_waitcnt vmcnt(0) lgkmcnt(0)
	v_fma_f64 v[1:2], v[1:2], v[124:125], 0
	s_and_saveexec_b32 s2, s0
	s_cbranch_execz .LBB58_18
; %bb.17:
	scratch_load_b64 v[124:125], off, off offset:8
	v_mov_b32_e32 v126, 0
	ds_load_b64 v[126:127], v126 offset:488
	s_waitcnt vmcnt(0) lgkmcnt(0)
	v_fma_f64 v[1:2], v[124:125], v[126:127], v[1:2]
.LBB58_18:
	s_or_b32 exec_lo, exec_lo, s2
	v_mov_b32_e32 v124, 0
	ds_load_b64 v[124:125], v124 offset:16
	s_waitcnt lgkmcnt(0)
	v_mul_f64 v[1:2], v[1:2], v[124:125]
	scratch_store_b64 off, v[1:2], off offset:16
.LBB58_19:
	s_or_b32 exec_lo, exec_lo, s1
	s_waitcnt_vscnt null, 0x0
	s_barrier
	buffer_gl0_inv
	scratch_load_b64 v[1:2], off, off offset:24
	v_add_nc_u32_e32 v124, -1, v0
	s_mov_b32 s0, exec_lo
	s_waitcnt vmcnt(0)
	ds_store_b64 v5, v[1:2]
	s_waitcnt lgkmcnt(0)
	s_barrier
	buffer_gl0_inv
	v_cmpx_gt_u32_e32 3, v0
	s_cbranch_execz .LBB58_23
; %bb.20:
	v_dual_mov_b32 v1, 0 :: v_dual_add_nc_u32 v126, 0x1e0, v3
	v_dual_mov_b32 v2, 0 :: v_dual_add_nc_u32 v125, -1, v0
	v_add_nc_u32_e32 v127, 0, v3
	s_mov_b32 s1, 0
.LBB58_21:                              ; =>This Inner Loop Header: Depth=1
	scratch_load_b64 v[128:129], v127, off
	ds_load_b64 v[130:131], v126
	v_add_nc_u32_e32 v125, 1, v125
	v_add_nc_u32_e32 v126, 8, v126
	v_add_nc_u32_e32 v127, 8, v127
	s_delay_alu instid0(VALU_DEP_3)
	v_cmp_lt_u32_e32 vcc_lo, 1, v125
	s_or_b32 s1, vcc_lo, s1
	s_waitcnt vmcnt(0) lgkmcnt(0)
	v_fma_f64 v[1:2], v[128:129], v[130:131], v[1:2]
	s_and_not1_b32 exec_lo, exec_lo, s1
	s_cbranch_execnz .LBB58_21
; %bb.22:
	s_or_b32 exec_lo, exec_lo, s1
	v_mov_b32_e32 v125, 0
	ds_load_b64 v[125:126], v125 offset:24
	s_waitcnt lgkmcnt(0)
	v_mul_f64 v[1:2], v[1:2], v[125:126]
	scratch_store_b64 off, v[1:2], off offset:24
.LBB58_23:
	s_or_b32 exec_lo, exec_lo, s0
	s_waitcnt_vscnt null, 0x0
	s_barrier
	buffer_gl0_inv
	scratch_load_b64 v[1:2], off, off offset:32
	s_mov_b32 s0, exec_lo
	s_waitcnt vmcnt(0)
	ds_store_b64 v5, v[1:2]
	s_waitcnt lgkmcnt(0)
	s_barrier
	buffer_gl0_inv
	v_cmpx_gt_u32_e32 4, v0
	s_cbranch_execz .LBB58_27
; %bb.24:
	v_dual_mov_b32 v1, 0 :: v_dual_add_nc_u32 v126, 0x1e0, v3
	v_dual_mov_b32 v2, 0 :: v_dual_add_nc_u32 v125, -1, v0
	v_add_nc_u32_e32 v127, 0, v3
	s_mov_b32 s1, 0
.LBB58_25:                              ; =>This Inner Loop Header: Depth=1
	scratch_load_b64 v[128:129], v127, off
	ds_load_b64 v[130:131], v126
	v_add_nc_u32_e32 v125, 1, v125
	v_add_nc_u32_e32 v126, 8, v126
	v_add_nc_u32_e32 v127, 8, v127
	s_delay_alu instid0(VALU_DEP_3)
	v_cmp_lt_u32_e32 vcc_lo, 2, v125
	s_or_b32 s1, vcc_lo, s1
	s_waitcnt vmcnt(0) lgkmcnt(0)
	v_fma_f64 v[1:2], v[128:129], v[130:131], v[1:2]
	s_and_not1_b32 exec_lo, exec_lo, s1
	s_cbranch_execnz .LBB58_25
; %bb.26:
	s_or_b32 exec_lo, exec_lo, s1
	v_mov_b32_e32 v125, 0
	ds_load_b64 v[125:126], v125 offset:32
	s_waitcnt lgkmcnt(0)
	v_mul_f64 v[1:2], v[1:2], v[125:126]
	scratch_store_b64 off, v[1:2], off offset:32
.LBB58_27:
	s_or_b32 exec_lo, exec_lo, s0
	s_waitcnt_vscnt null, 0x0
	s_barrier
	buffer_gl0_inv
	scratch_load_b64 v[1:2], off, off offset:40
	;; [unrolled: 39-line block ×20, first 2 shown]
	s_mov_b32 s0, exec_lo
	s_waitcnt vmcnt(0)
	ds_store_b64 v5, v[1:2]
	s_waitcnt lgkmcnt(0)
	s_barrier
	buffer_gl0_inv
	v_cmpx_gt_u32_e32 23, v0
	s_cbranch_execz .LBB58_103
; %bb.100:
	v_dual_mov_b32 v1, 0 :: v_dual_add_nc_u32 v126, 0x1e0, v3
	v_dual_mov_b32 v2, 0 :: v_dual_add_nc_u32 v125, -1, v0
	v_add_nc_u32_e32 v127, 0, v3
	s_mov_b32 s1, 0
.LBB58_101:                             ; =>This Inner Loop Header: Depth=1
	scratch_load_b64 v[128:129], v127, off
	ds_load_b64 v[130:131], v126
	v_add_nc_u32_e32 v125, 1, v125
	v_add_nc_u32_e32 v126, 8, v126
	v_add_nc_u32_e32 v127, 8, v127
	s_delay_alu instid0(VALU_DEP_3)
	v_cmp_lt_u32_e32 vcc_lo, 21, v125
	s_or_b32 s1, vcc_lo, s1
	s_waitcnt vmcnt(0) lgkmcnt(0)
	v_fma_f64 v[1:2], v[128:129], v[130:131], v[1:2]
	s_and_not1_b32 exec_lo, exec_lo, s1
	s_cbranch_execnz .LBB58_101
; %bb.102:
	s_or_b32 exec_lo, exec_lo, s1
	v_mov_b32_e32 v125, 0
	ds_load_b64 v[125:126], v125 offset:184
	s_waitcnt lgkmcnt(0)
	v_mul_f64 v[1:2], v[1:2], v[125:126]
	scratch_store_b64 off, v[1:2], off offset:184
.LBB58_103:
	s_or_b32 exec_lo, exec_lo, s0
	s_waitcnt_vscnt null, 0x0
	s_barrier
	buffer_gl0_inv
	scratch_load_b64 v[1:2], off, off offset:192
	s_mov_b32 s0, exec_lo
	s_waitcnt vmcnt(0)
	ds_store_b64 v5, v[1:2]
	s_waitcnt lgkmcnt(0)
	s_barrier
	buffer_gl0_inv
	v_cmpx_gt_u32_e32 24, v0
	s_cbranch_execz .LBB58_107
; %bb.104:
	v_dual_mov_b32 v1, 0 :: v_dual_add_nc_u32 v126, 0x1e0, v3
	v_dual_mov_b32 v2, 0 :: v_dual_add_nc_u32 v125, -1, v0
	v_add_nc_u32_e32 v127, 0, v3
	s_mov_b32 s1, 0
.LBB58_105:                             ; =>This Inner Loop Header: Depth=1
	scratch_load_b64 v[128:129], v127, off
	ds_load_b64 v[130:131], v126
	v_add_nc_u32_e32 v125, 1, v125
	v_add_nc_u32_e32 v126, 8, v126
	v_add_nc_u32_e32 v127, 8, v127
	s_delay_alu instid0(VALU_DEP_3)
	v_cmp_lt_u32_e32 vcc_lo, 22, v125
	s_or_b32 s1, vcc_lo, s1
	s_waitcnt vmcnt(0) lgkmcnt(0)
	v_fma_f64 v[1:2], v[128:129], v[130:131], v[1:2]
	s_and_not1_b32 exec_lo, exec_lo, s1
	s_cbranch_execnz .LBB58_105
; %bb.106:
	s_or_b32 exec_lo, exec_lo, s1
	v_mov_b32_e32 v125, 0
	ds_load_b64 v[125:126], v125 offset:192
	s_waitcnt lgkmcnt(0)
	v_mul_f64 v[1:2], v[1:2], v[125:126]
	scratch_store_b64 off, v[1:2], off offset:192
.LBB58_107:
	s_or_b32 exec_lo, exec_lo, s0
	s_waitcnt_vscnt null, 0x0
	s_barrier
	buffer_gl0_inv
	scratch_load_b64 v[1:2], off, off offset:200
	;; [unrolled: 39-line block ×35, first 2 shown]
	s_mov_b32 s0, exec_lo
	s_waitcnt vmcnt(0)
	ds_store_b64 v5, v[1:2]
	s_waitcnt lgkmcnt(0)
	s_barrier
	buffer_gl0_inv
	v_cmpx_ne_u32_e32 58, v0
	s_cbranch_execz .LBB58_243
; %bb.240:
	v_mov_b32_e32 v1, 0
	v_mov_b32_e32 v2, 0
	s_mov_b32 s1, 0
.LBB58_241:                             ; =>This Inner Loop Header: Depth=1
	scratch_load_b64 v[125:126], v4, off
	ds_load_b64 v[127:128], v5
	v_add_nc_u32_e32 v124, 1, v124
	v_add_nc_u32_e32 v5, 8, v5
	;; [unrolled: 1-line block ×3, first 2 shown]
	s_delay_alu instid0(VALU_DEP_3)
	v_cmp_lt_u32_e32 vcc_lo, 56, v124
	s_or_b32 s1, vcc_lo, s1
	s_waitcnt vmcnt(0) lgkmcnt(0)
	v_fma_f64 v[1:2], v[125:126], v[127:128], v[1:2]
	s_and_not1_b32 exec_lo, exec_lo, s1
	s_cbranch_execnz .LBB58_241
; %bb.242:
	s_or_b32 exec_lo, exec_lo, s1
	v_mov_b32_e32 v3, 0
	ds_load_b64 v[3:4], v3 offset:464
	s_waitcnt lgkmcnt(0)
	v_mul_f64 v[1:2], v[1:2], v[3:4]
	scratch_store_b64 off, v[1:2], off offset:464
.LBB58_243:
	s_or_b32 exec_lo, exec_lo, s0
	s_mov_b32 s1, -1
	s_waitcnt_vscnt null, 0x0
	s_barrier
	buffer_gl0_inv
.LBB58_244:
	s_and_b32 vcc_lo, exec_lo, s1
	s_cbranch_vccz .LBB58_246
; %bb.245:
	s_lshl_b64 s[0:1], s[14:15], 2
	v_mov_b32_e32 v1, 0
	s_add_u32 s0, s6, s0
	s_addc_u32 s1, s7, s1
	global_load_b32 v1, v1, s[0:1]
	s_waitcnt vmcnt(0)
	v_cmp_ne_u32_e32 vcc_lo, 0, v1
	s_cbranch_vccz .LBB58_247
.LBB58_246:
	s_endpgm
.LBB58_247:
	v_lshl_add_u32 v5, v0, 3, 0x1e0
	s_mov_b32 s0, exec_lo
	v_cmpx_eq_u32_e32 58, v0
	s_cbranch_execz .LBB58_249
; %bb.248:
	scratch_load_b64 v[1:2], off, off offset:456
	v_mov_b32_e32 v3, 0
	s_delay_alu instid0(VALU_DEP_1)
	v_mov_b32_e32 v4, v3
	scratch_store_b64 off, v[3:4], off offset:456
	s_waitcnt vmcnt(0)
	ds_store_b64 v5, v[1:2]
.LBB58_249:
	s_or_b32 exec_lo, exec_lo, s0
	s_waitcnt lgkmcnt(0)
	s_waitcnt_vscnt null, 0x0
	s_barrier
	buffer_gl0_inv
	scratch_load_b128 v[124:127], off, off offset:456
	v_mov_b32_e32 v1, 0
	s_mov_b32 s0, exec_lo
	ds_load_b64 v[2:3], v1 offset:944
	s_waitcnt vmcnt(0) lgkmcnt(0)
	v_fma_f64 v[2:3], v[126:127], v[2:3], 0
	s_delay_alu instid0(VALU_DEP_1)
	v_add_f64 v[2:3], v[124:125], -v[2:3]
	scratch_store_b64 off, v[2:3], off offset:456
	v_cmpx_lt_u32_e32 56, v0
	s_cbranch_execz .LBB58_251
; %bb.250:
	scratch_load_b64 v[3:4], off, off offset:448
	v_mov_b32_e32 v2, v1
	scratch_store_b64 off, v[1:2], off offset:448
	s_waitcnt vmcnt(0)
	ds_store_b64 v5, v[3:4]
.LBB58_251:
	s_or_b32 exec_lo, exec_lo, s0
	s_waitcnt lgkmcnt(0)
	s_waitcnt_vscnt null, 0x0
	s_barrier
	buffer_gl0_inv
	s_clause 0x1
	scratch_load_b128 v[124:127], off, off offset:448
	scratch_load_b64 v[128:129], off, off offset:464
	ds_load_2addr_b64 v[1:4], v1 offset0:117 offset1:118
	s_mov_b32 s0, exec_lo
	s_waitcnt vmcnt(1) lgkmcnt(0)
	v_fma_f64 v[1:2], v[126:127], v[1:2], 0
	s_waitcnt vmcnt(0)
	s_delay_alu instid0(VALU_DEP_1) | instskip(NEXT) | instid1(VALU_DEP_1)
	v_fma_f64 v[1:2], v[128:129], v[3:4], v[1:2]
	v_add_f64 v[1:2], v[124:125], -v[1:2]
	scratch_store_b64 off, v[1:2], off offset:448
	v_cmpx_lt_u32_e32 55, v0
	s_cbranch_execz .LBB58_253
; %bb.252:
	scratch_load_b64 v[1:2], off, off offset:440
	v_mov_b32_e32 v3, 0
	s_delay_alu instid0(VALU_DEP_1)
	v_mov_b32_e32 v4, v3
	scratch_store_b64 off, v[3:4], off offset:440
	s_waitcnt vmcnt(0)
	ds_store_b64 v5, v[1:2]
.LBB58_253:
	s_or_b32 exec_lo, exec_lo, s0
	s_waitcnt lgkmcnt(0)
	s_waitcnt_vscnt null, 0x0
	s_barrier
	buffer_gl0_inv
	s_clause 0x1
	scratch_load_b128 v[124:127], off, off offset:440
	scratch_load_b128 v[128:131], off, off offset:456
	v_mov_b32_e32 v1, 0
	ds_load_b128 v[132:135], v1 offset:928
	ds_load_b64 v[2:3], v1 offset:944
	s_mov_b32 s0, exec_lo
	s_waitcnt vmcnt(1) lgkmcnt(1)
	v_fma_f64 v[126:127], v[126:127], v[132:133], 0
	s_waitcnt vmcnt(0)
	s_delay_alu instid0(VALU_DEP_1) | instskip(SKIP_1) | instid1(VALU_DEP_1)
	v_fma_f64 v[126:127], v[128:129], v[134:135], v[126:127]
	s_waitcnt lgkmcnt(0)
	v_fma_f64 v[2:3], v[130:131], v[2:3], v[126:127]
	s_delay_alu instid0(VALU_DEP_1)
	v_add_f64 v[2:3], v[124:125], -v[2:3]
	scratch_store_b64 off, v[2:3], off offset:440
	v_cmpx_lt_u32_e32 54, v0
	s_cbranch_execz .LBB58_255
; %bb.254:
	scratch_load_b64 v[3:4], off, off offset:432
	v_mov_b32_e32 v2, v1
	scratch_store_b64 off, v[1:2], off offset:432
	s_waitcnt vmcnt(0)
	ds_store_b64 v5, v[3:4]
.LBB58_255:
	s_or_b32 exec_lo, exec_lo, s0
	s_waitcnt lgkmcnt(0)
	s_waitcnt_vscnt null, 0x0
	s_barrier
	buffer_gl0_inv
	s_clause 0x2
	scratch_load_b128 v[124:127], off, off offset:432
	scratch_load_b128 v[128:131], off, off offset:448
	scratch_load_b64 v[136:137], off, off offset:464
	ds_load_2addr_b64 v[132:135], v1 offset0:115 offset1:116
	ds_load_2addr_b64 v[1:4], v1 offset0:117 offset1:118
	s_mov_b32 s0, exec_lo
	s_waitcnt vmcnt(2) lgkmcnt(1)
	v_fma_f64 v[126:127], v[126:127], v[132:133], 0
	s_waitcnt vmcnt(1)
	s_delay_alu instid0(VALU_DEP_1) | instskip(SKIP_1) | instid1(VALU_DEP_1)
	v_fma_f64 v[126:127], v[128:129], v[134:135], v[126:127]
	s_waitcnt lgkmcnt(0)
	v_fma_f64 v[1:2], v[130:131], v[1:2], v[126:127]
	s_waitcnt vmcnt(0)
	s_delay_alu instid0(VALU_DEP_1) | instskip(NEXT) | instid1(VALU_DEP_1)
	v_fma_f64 v[1:2], v[136:137], v[3:4], v[1:2]
	v_add_f64 v[1:2], v[124:125], -v[1:2]
	scratch_store_b64 off, v[1:2], off offset:432
	v_cmpx_lt_u32_e32 53, v0
	s_cbranch_execz .LBB58_257
; %bb.256:
	scratch_load_b64 v[1:2], off, off offset:424
	v_mov_b32_e32 v3, 0
	s_delay_alu instid0(VALU_DEP_1)
	v_mov_b32_e32 v4, v3
	scratch_store_b64 off, v[3:4], off offset:424
	s_waitcnt vmcnt(0)
	ds_store_b64 v5, v[1:2]
.LBB58_257:
	s_or_b32 exec_lo, exec_lo, s0
	s_waitcnt lgkmcnt(0)
	s_waitcnt_vscnt null, 0x0
	s_barrier
	buffer_gl0_inv
	s_clause 0x2
	scratch_load_b128 v[124:127], off, off offset:424
	scratch_load_b128 v[128:131], off, off offset:440
	;; [unrolled: 1-line block ×3, first 2 shown]
	v_mov_b32_e32 v1, 0
	ds_load_b128 v[136:139], v1 offset:912
	ds_load_b128 v[140:143], v1 offset:928
	s_mov_b32 s0, exec_lo
	s_waitcnt vmcnt(2) lgkmcnt(1)
	v_fma_f64 v[2:3], v[126:127], v[136:137], 0
	ds_load_b64 v[126:127], v1 offset:944
	s_waitcnt vmcnt(1)
	v_fma_f64 v[2:3], v[128:129], v[138:139], v[2:3]
	s_waitcnt lgkmcnt(1)
	s_delay_alu instid0(VALU_DEP_1) | instskip(SKIP_1) | instid1(VALU_DEP_1)
	v_fma_f64 v[2:3], v[130:131], v[140:141], v[2:3]
	s_waitcnt vmcnt(0)
	v_fma_f64 v[2:3], v[132:133], v[142:143], v[2:3]
	s_waitcnt lgkmcnt(0)
	s_delay_alu instid0(VALU_DEP_1) | instskip(NEXT) | instid1(VALU_DEP_1)
	v_fma_f64 v[2:3], v[134:135], v[126:127], v[2:3]
	v_add_f64 v[2:3], v[124:125], -v[2:3]
	scratch_store_b64 off, v[2:3], off offset:424
	v_cmpx_lt_u32_e32 52, v0
	s_cbranch_execz .LBB58_259
; %bb.258:
	scratch_load_b64 v[3:4], off, off offset:416
	v_mov_b32_e32 v2, v1
	scratch_store_b64 off, v[1:2], off offset:416
	s_waitcnt vmcnt(0)
	ds_store_b64 v5, v[3:4]
.LBB58_259:
	s_or_b32 exec_lo, exec_lo, s0
	s_waitcnt lgkmcnt(0)
	s_waitcnt_vscnt null, 0x0
	s_barrier
	buffer_gl0_inv
	s_clause 0x3
	scratch_load_b128 v[124:127], off, off offset:416
	scratch_load_b128 v[128:131], off, off offset:432
	;; [unrolled: 1-line block ×3, first 2 shown]
	scratch_load_b64 v[140:141], off, off offset:464
	ds_load_2addr_b64 v[136:139], v1 offset0:113 offset1:114
	s_mov_b32 s0, exec_lo
	s_waitcnt vmcnt(3) lgkmcnt(0)
	v_fma_f64 v[2:3], v[126:127], v[136:137], 0
	s_waitcnt vmcnt(2)
	s_delay_alu instid0(VALU_DEP_1) | instskip(SKIP_4) | instid1(VALU_DEP_1)
	v_fma_f64 v[2:3], v[128:129], v[138:139], v[2:3]
	ds_load_2addr_b64 v[126:129], v1 offset0:115 offset1:116
	s_waitcnt lgkmcnt(0)
	v_fma_f64 v[2:3], v[130:131], v[126:127], v[2:3]
	s_waitcnt vmcnt(1)
	v_fma_f64 v[126:127], v[132:133], v[128:129], v[2:3]
	ds_load_2addr_b64 v[1:4], v1 offset0:117 offset1:118
	s_waitcnt lgkmcnt(0)
	v_fma_f64 v[1:2], v[134:135], v[1:2], v[126:127]
	s_waitcnt vmcnt(0)
	s_delay_alu instid0(VALU_DEP_1) | instskip(NEXT) | instid1(VALU_DEP_1)
	v_fma_f64 v[1:2], v[140:141], v[3:4], v[1:2]
	v_add_f64 v[1:2], v[124:125], -v[1:2]
	scratch_store_b64 off, v[1:2], off offset:416
	v_cmpx_lt_u32_e32 51, v0
	s_cbranch_execz .LBB58_261
; %bb.260:
	scratch_load_b64 v[1:2], off, off offset:408
	v_mov_b32_e32 v3, 0
	s_delay_alu instid0(VALU_DEP_1)
	v_mov_b32_e32 v4, v3
	scratch_store_b64 off, v[3:4], off offset:408
	s_waitcnt vmcnt(0)
	ds_store_b64 v5, v[1:2]
.LBB58_261:
	s_or_b32 exec_lo, exec_lo, s0
	s_waitcnt lgkmcnt(0)
	s_waitcnt_vscnt null, 0x0
	s_barrier
	buffer_gl0_inv
	s_clause 0x3
	scratch_load_b128 v[124:127], off, off offset:408
	scratch_load_b128 v[128:131], off, off offset:424
	;; [unrolled: 1-line block ×4, first 2 shown]
	v_mov_b32_e32 v1, 0
	s_mov_b32 s0, exec_lo
	ds_load_b128 v[140:143], v1 offset:896
	s_waitcnt vmcnt(3) lgkmcnt(0)
	v_fma_f64 v[2:3], v[126:127], v[140:141], 0
	s_waitcnt vmcnt(2)
	s_delay_alu instid0(VALU_DEP_1) | instskip(SKIP_4) | instid1(VALU_DEP_1)
	v_fma_f64 v[2:3], v[128:129], v[142:143], v[2:3]
	ds_load_b128 v[126:129], v1 offset:912
	s_waitcnt lgkmcnt(0)
	v_fma_f64 v[2:3], v[130:131], v[126:127], v[2:3]
	s_waitcnt vmcnt(1)
	v_fma_f64 v[2:3], v[132:133], v[128:129], v[2:3]
	ds_load_b128 v[126:129], v1 offset:928
	s_waitcnt lgkmcnt(0)
	v_fma_f64 v[2:3], v[134:135], v[126:127], v[2:3]
	ds_load_b64 v[126:127], v1 offset:944
	s_waitcnt vmcnt(0)
	v_fma_f64 v[2:3], v[136:137], v[128:129], v[2:3]
	s_waitcnt lgkmcnt(0)
	s_delay_alu instid0(VALU_DEP_1) | instskip(NEXT) | instid1(VALU_DEP_1)
	v_fma_f64 v[2:3], v[138:139], v[126:127], v[2:3]
	v_add_f64 v[2:3], v[124:125], -v[2:3]
	scratch_store_b64 off, v[2:3], off offset:408
	v_cmpx_lt_u32_e32 50, v0
	s_cbranch_execz .LBB58_263
; %bb.262:
	scratch_load_b64 v[3:4], off, off offset:400
	v_mov_b32_e32 v2, v1
	scratch_store_b64 off, v[1:2], off offset:400
	s_waitcnt vmcnt(0)
	ds_store_b64 v5, v[3:4]
.LBB58_263:
	s_or_b32 exec_lo, exec_lo, s0
	s_waitcnt lgkmcnt(0)
	s_waitcnt_vscnt null, 0x0
	s_barrier
	buffer_gl0_inv
	s_clause 0x4
	scratch_load_b128 v[124:127], off, off offset:400
	scratch_load_b128 v[128:131], off, off offset:416
	;; [unrolled: 1-line block ×4, first 2 shown]
	scratch_load_b64 v[144:145], off, off offset:464
	ds_load_2addr_b64 v[140:143], v1 offset0:111 offset1:112
	s_mov_b32 s0, exec_lo
	s_waitcnt vmcnt(4) lgkmcnt(0)
	v_fma_f64 v[2:3], v[126:127], v[140:141], 0
	s_waitcnt vmcnt(3)
	s_delay_alu instid0(VALU_DEP_1) | instskip(SKIP_4) | instid1(VALU_DEP_1)
	v_fma_f64 v[2:3], v[128:129], v[142:143], v[2:3]
	ds_load_2addr_b64 v[126:129], v1 offset0:113 offset1:114
	s_waitcnt lgkmcnt(0)
	v_fma_f64 v[2:3], v[130:131], v[126:127], v[2:3]
	s_waitcnt vmcnt(2)
	v_fma_f64 v[2:3], v[132:133], v[128:129], v[2:3]
	ds_load_2addr_b64 v[126:129], v1 offset0:115 offset1:116
	s_waitcnt lgkmcnt(0)
	v_fma_f64 v[2:3], v[134:135], v[126:127], v[2:3]
	s_waitcnt vmcnt(1)
	s_delay_alu instid0(VALU_DEP_1) | instskip(SKIP_4) | instid1(VALU_DEP_1)
	v_fma_f64 v[126:127], v[136:137], v[128:129], v[2:3]
	ds_load_2addr_b64 v[1:4], v1 offset0:117 offset1:118
	s_waitcnt lgkmcnt(0)
	v_fma_f64 v[1:2], v[138:139], v[1:2], v[126:127]
	s_waitcnt vmcnt(0)
	v_fma_f64 v[1:2], v[144:145], v[3:4], v[1:2]
	s_delay_alu instid0(VALU_DEP_1)
	v_add_f64 v[1:2], v[124:125], -v[1:2]
	scratch_store_b64 off, v[1:2], off offset:400
	v_cmpx_lt_u32_e32 49, v0
	s_cbranch_execz .LBB58_265
; %bb.264:
	scratch_load_b64 v[1:2], off, off offset:392
	v_mov_b32_e32 v3, 0
	s_delay_alu instid0(VALU_DEP_1)
	v_mov_b32_e32 v4, v3
	scratch_store_b64 off, v[3:4], off offset:392
	s_waitcnt vmcnt(0)
	ds_store_b64 v5, v[1:2]
.LBB58_265:
	s_or_b32 exec_lo, exec_lo, s0
	s_waitcnt lgkmcnt(0)
	s_waitcnt_vscnt null, 0x0
	s_barrier
	buffer_gl0_inv
	s_clause 0x4
	scratch_load_b128 v[124:127], off, off offset:392
	scratch_load_b128 v[128:131], off, off offset:408
	;; [unrolled: 1-line block ×5, first 2 shown]
	v_mov_b32_e32 v1, 0
	ds_load_b128 v[144:147], v1 offset:880
	ds_load_b128 v[148:151], v1 offset:896
	s_mov_b32 s0, exec_lo
	s_waitcnt vmcnt(4) lgkmcnt(1)
	v_fma_f64 v[2:3], v[126:127], v[144:145], 0
	s_waitcnt vmcnt(3)
	s_delay_alu instid0(VALU_DEP_1) | instskip(SKIP_1) | instid1(VALU_DEP_1)
	v_fma_f64 v[2:3], v[128:129], v[146:147], v[2:3]
	s_waitcnt lgkmcnt(0)
	v_fma_f64 v[2:3], v[130:131], v[148:149], v[2:3]
	s_waitcnt vmcnt(2)
	s_delay_alu instid0(VALU_DEP_1)
	v_fma_f64 v[2:3], v[132:133], v[150:151], v[2:3]
	ds_load_b128 v[126:129], v1 offset:912
	ds_load_b128 v[130:133], v1 offset:928
	s_waitcnt lgkmcnt(1)
	v_fma_f64 v[2:3], v[134:135], v[126:127], v[2:3]
	ds_load_b64 v[126:127], v1 offset:944
	s_waitcnt vmcnt(1)
	v_fma_f64 v[2:3], v[136:137], v[128:129], v[2:3]
	s_waitcnt lgkmcnt(1)
	s_delay_alu instid0(VALU_DEP_1) | instskip(SKIP_1) | instid1(VALU_DEP_1)
	v_fma_f64 v[2:3], v[138:139], v[130:131], v[2:3]
	s_waitcnt vmcnt(0)
	v_fma_f64 v[2:3], v[140:141], v[132:133], v[2:3]
	s_waitcnt lgkmcnt(0)
	s_delay_alu instid0(VALU_DEP_1) | instskip(NEXT) | instid1(VALU_DEP_1)
	v_fma_f64 v[2:3], v[142:143], v[126:127], v[2:3]
	v_add_f64 v[2:3], v[124:125], -v[2:3]
	scratch_store_b64 off, v[2:3], off offset:392
	v_cmpx_lt_u32_e32 48, v0
	s_cbranch_execz .LBB58_267
; %bb.266:
	scratch_load_b64 v[3:4], off, off offset:384
	v_mov_b32_e32 v2, v1
	scratch_store_b64 off, v[1:2], off offset:384
	s_waitcnt vmcnt(0)
	ds_store_b64 v5, v[3:4]
.LBB58_267:
	s_or_b32 exec_lo, exec_lo, s0
	s_waitcnt lgkmcnt(0)
	s_waitcnt_vscnt null, 0x0
	s_barrier
	buffer_gl0_inv
	s_clause 0x4
	scratch_load_b128 v[124:127], off, off offset:384
	scratch_load_b128 v[128:131], off, off offset:400
	;; [unrolled: 1-line block ×5, first 2 shown]
	ds_load_2addr_b64 v[144:147], v1 offset0:109 offset1:110
	ds_load_2addr_b64 v[148:151], v1 offset0:111 offset1:112
	s_mov_b32 s0, exec_lo
	s_waitcnt vmcnt(4) lgkmcnt(1)
	v_fma_f64 v[2:3], v[126:127], v[144:145], 0
	scratch_load_b64 v[144:145], off, off offset:464
	s_waitcnt vmcnt(4)
	v_fma_f64 v[2:3], v[128:129], v[146:147], v[2:3]
	s_waitcnt lgkmcnt(0)
	s_delay_alu instid0(VALU_DEP_1) | instskip(SKIP_1) | instid1(VALU_DEP_1)
	v_fma_f64 v[2:3], v[130:131], v[148:149], v[2:3]
	s_waitcnt vmcnt(3)
	v_fma_f64 v[2:3], v[132:133], v[150:151], v[2:3]
	ds_load_2addr_b64 v[126:129], v1 offset0:113 offset1:114
	ds_load_2addr_b64 v[130:133], v1 offset0:115 offset1:116
	s_waitcnt lgkmcnt(1)
	v_fma_f64 v[2:3], v[134:135], v[126:127], v[2:3]
	s_waitcnt vmcnt(2)
	s_delay_alu instid0(VALU_DEP_1) | instskip(SKIP_1) | instid1(VALU_DEP_1)
	v_fma_f64 v[2:3], v[136:137], v[128:129], v[2:3]
	s_waitcnt lgkmcnt(0)
	v_fma_f64 v[2:3], v[138:139], v[130:131], v[2:3]
	s_waitcnt vmcnt(1)
	s_delay_alu instid0(VALU_DEP_1) | instskip(SKIP_4) | instid1(VALU_DEP_1)
	v_fma_f64 v[126:127], v[140:141], v[132:133], v[2:3]
	ds_load_2addr_b64 v[1:4], v1 offset0:117 offset1:118
	s_waitcnt lgkmcnt(0)
	v_fma_f64 v[1:2], v[142:143], v[1:2], v[126:127]
	s_waitcnt vmcnt(0)
	v_fma_f64 v[1:2], v[144:145], v[3:4], v[1:2]
	s_delay_alu instid0(VALU_DEP_1)
	v_add_f64 v[1:2], v[124:125], -v[1:2]
	scratch_store_b64 off, v[1:2], off offset:384
	v_cmpx_lt_u32_e32 47, v0
	s_cbranch_execz .LBB58_269
; %bb.268:
	scratch_load_b64 v[1:2], off, off offset:376
	v_mov_b32_e32 v3, 0
	s_delay_alu instid0(VALU_DEP_1)
	v_mov_b32_e32 v4, v3
	scratch_store_b64 off, v[3:4], off offset:376
	s_waitcnt vmcnt(0)
	ds_store_b64 v5, v[1:2]
.LBB58_269:
	s_or_b32 exec_lo, exec_lo, s0
	s_waitcnt lgkmcnt(0)
	s_waitcnt_vscnt null, 0x0
	s_barrier
	buffer_gl0_inv
	s_clause 0x4
	scratch_load_b128 v[124:127], off, off offset:376
	scratch_load_b128 v[128:131], off, off offset:392
	;; [unrolled: 1-line block ×5, first 2 shown]
	v_mov_b32_e32 v1, 0
	ds_load_b128 v[144:147], v1 offset:864
	ds_load_b128 v[148:151], v1 offset:880
	scratch_load_b128 v[152:155], off, off offset:456
	s_mov_b32 s0, exec_lo
	s_waitcnt vmcnt(5) lgkmcnt(1)
	v_fma_f64 v[2:3], v[126:127], v[144:145], 0
	s_waitcnt vmcnt(4)
	s_delay_alu instid0(VALU_DEP_1) | instskip(SKIP_1) | instid1(VALU_DEP_1)
	v_fma_f64 v[2:3], v[128:129], v[146:147], v[2:3]
	s_waitcnt lgkmcnt(0)
	v_fma_f64 v[2:3], v[130:131], v[148:149], v[2:3]
	s_waitcnt vmcnt(3)
	s_delay_alu instid0(VALU_DEP_1)
	v_fma_f64 v[2:3], v[132:133], v[150:151], v[2:3]
	ds_load_b128 v[126:129], v1 offset:896
	ds_load_b128 v[130:133], v1 offset:912
	s_waitcnt lgkmcnt(1)
	v_fma_f64 v[2:3], v[134:135], v[126:127], v[2:3]
	s_waitcnt vmcnt(2)
	s_delay_alu instid0(VALU_DEP_1) | instskip(SKIP_1) | instid1(VALU_DEP_1)
	v_fma_f64 v[2:3], v[136:137], v[128:129], v[2:3]
	s_waitcnt lgkmcnt(0)
	v_fma_f64 v[2:3], v[138:139], v[130:131], v[2:3]
	ds_load_b128 v[126:129], v1 offset:928
	ds_load_b64 v[130:131], v1 offset:944
	s_waitcnt vmcnt(1)
	v_fma_f64 v[2:3], v[140:141], v[132:133], v[2:3]
	s_waitcnt lgkmcnt(1)
	s_delay_alu instid0(VALU_DEP_1) | instskip(SKIP_1) | instid1(VALU_DEP_1)
	v_fma_f64 v[2:3], v[142:143], v[126:127], v[2:3]
	s_waitcnt vmcnt(0)
	v_fma_f64 v[2:3], v[152:153], v[128:129], v[2:3]
	s_waitcnt lgkmcnt(0)
	s_delay_alu instid0(VALU_DEP_1) | instskip(NEXT) | instid1(VALU_DEP_1)
	v_fma_f64 v[2:3], v[154:155], v[130:131], v[2:3]
	v_add_f64 v[2:3], v[124:125], -v[2:3]
	scratch_store_b64 off, v[2:3], off offset:376
	v_cmpx_lt_u32_e32 46, v0
	s_cbranch_execz .LBB58_271
; %bb.270:
	scratch_load_b64 v[3:4], off, off offset:368
	v_mov_b32_e32 v2, v1
	scratch_store_b64 off, v[1:2], off offset:368
	s_waitcnt vmcnt(0)
	ds_store_b64 v5, v[3:4]
.LBB58_271:
	s_or_b32 exec_lo, exec_lo, s0
	s_waitcnt lgkmcnt(0)
	s_waitcnt_vscnt null, 0x0
	s_barrier
	buffer_gl0_inv
	s_clause 0x4
	scratch_load_b128 v[124:127], off, off offset:368
	scratch_load_b128 v[128:131], off, off offset:384
	;; [unrolled: 1-line block ×5, first 2 shown]
	ds_load_2addr_b64 v[144:147], v1 offset0:107 offset1:108
	ds_load_2addr_b64 v[148:151], v1 offset0:109 offset1:110
	scratch_load_b128 v[152:155], off, off offset:448
	s_mov_b32 s0, exec_lo
	s_waitcnt vmcnt(5) lgkmcnt(1)
	v_fma_f64 v[2:3], v[126:127], v[144:145], 0
	scratch_load_b64 v[144:145], off, off offset:464
	s_waitcnt vmcnt(5)
	v_fma_f64 v[2:3], v[128:129], v[146:147], v[2:3]
	s_waitcnt lgkmcnt(0)
	s_delay_alu instid0(VALU_DEP_1) | instskip(SKIP_1) | instid1(VALU_DEP_1)
	v_fma_f64 v[2:3], v[130:131], v[148:149], v[2:3]
	s_waitcnt vmcnt(4)
	v_fma_f64 v[2:3], v[132:133], v[150:151], v[2:3]
	ds_load_2addr_b64 v[126:129], v1 offset0:111 offset1:112
	ds_load_2addr_b64 v[130:133], v1 offset0:113 offset1:114
	s_waitcnt lgkmcnt(1)
	v_fma_f64 v[2:3], v[134:135], v[126:127], v[2:3]
	s_waitcnt vmcnt(3)
	s_delay_alu instid0(VALU_DEP_1) | instskip(SKIP_1) | instid1(VALU_DEP_1)
	v_fma_f64 v[2:3], v[136:137], v[128:129], v[2:3]
	s_waitcnt lgkmcnt(0)
	v_fma_f64 v[2:3], v[138:139], v[130:131], v[2:3]
	s_waitcnt vmcnt(2)
	s_delay_alu instid0(VALU_DEP_1)
	v_fma_f64 v[130:131], v[140:141], v[132:133], v[2:3]
	ds_load_2addr_b64 v[126:129], v1 offset0:115 offset1:116
	ds_load_2addr_b64 v[1:4], v1 offset0:117 offset1:118
	s_waitcnt lgkmcnt(1)
	v_fma_f64 v[126:127], v[142:143], v[126:127], v[130:131]
	s_waitcnt vmcnt(1)
	s_delay_alu instid0(VALU_DEP_1) | instskip(SKIP_1) | instid1(VALU_DEP_1)
	v_fma_f64 v[126:127], v[152:153], v[128:129], v[126:127]
	s_waitcnt lgkmcnt(0)
	v_fma_f64 v[1:2], v[154:155], v[1:2], v[126:127]
	s_waitcnt vmcnt(0)
	s_delay_alu instid0(VALU_DEP_1) | instskip(NEXT) | instid1(VALU_DEP_1)
	v_fma_f64 v[1:2], v[144:145], v[3:4], v[1:2]
	v_add_f64 v[1:2], v[124:125], -v[1:2]
	scratch_store_b64 off, v[1:2], off offset:368
	v_cmpx_lt_u32_e32 45, v0
	s_cbranch_execz .LBB58_273
; %bb.272:
	scratch_load_b64 v[1:2], off, off offset:360
	v_mov_b32_e32 v3, 0
	s_delay_alu instid0(VALU_DEP_1)
	v_mov_b32_e32 v4, v3
	scratch_store_b64 off, v[3:4], off offset:360
	s_waitcnt vmcnt(0)
	ds_store_b64 v5, v[1:2]
.LBB58_273:
	s_or_b32 exec_lo, exec_lo, s0
	s_waitcnt lgkmcnt(0)
	s_waitcnt_vscnt null, 0x0
	s_barrier
	buffer_gl0_inv
	s_clause 0x4
	scratch_load_b128 v[124:127], off, off offset:360
	scratch_load_b128 v[128:131], off, off offset:376
	;; [unrolled: 1-line block ×5, first 2 shown]
	v_mov_b32_e32 v1, 0
	ds_load_b128 v[144:147], v1 offset:848
	ds_load_b128 v[148:151], v1 offset:864
	scratch_load_b128 v[152:155], off, off offset:440
	s_mov_b32 s0, exec_lo
	s_waitcnt vmcnt(5) lgkmcnt(1)
	v_fma_f64 v[2:3], v[126:127], v[144:145], 0
	s_waitcnt vmcnt(4)
	s_delay_alu instid0(VALU_DEP_1) | instskip(SKIP_4) | instid1(VALU_DEP_1)
	v_fma_f64 v[2:3], v[128:129], v[146:147], v[2:3]
	scratch_load_b128 v[126:129], off, off offset:456
	s_waitcnt lgkmcnt(0)
	v_fma_f64 v[2:3], v[130:131], v[148:149], v[2:3]
	s_waitcnt vmcnt(4)
	v_fma_f64 v[2:3], v[132:133], v[150:151], v[2:3]
	ds_load_b128 v[130:133], v1 offset:880
	ds_load_b128 v[144:147], v1 offset:896
	s_waitcnt lgkmcnt(1)
	v_fma_f64 v[2:3], v[134:135], v[130:131], v[2:3]
	s_waitcnt vmcnt(3)
	s_delay_alu instid0(VALU_DEP_1)
	v_fma_f64 v[2:3], v[136:137], v[132:133], v[2:3]
	ds_load_b128 v[130:133], v1 offset:912
	ds_load_b128 v[134:137], v1 offset:928
	s_waitcnt lgkmcnt(2)
	v_fma_f64 v[2:3], v[138:139], v[144:145], v[2:3]
	s_waitcnt vmcnt(2)
	s_delay_alu instid0(VALU_DEP_1) | instskip(SKIP_1) | instid1(VALU_DEP_1)
	v_fma_f64 v[2:3], v[140:141], v[146:147], v[2:3]
	s_waitcnt lgkmcnt(1)
	v_fma_f64 v[2:3], v[142:143], v[130:131], v[2:3]
	s_waitcnt vmcnt(1)
	s_delay_alu instid0(VALU_DEP_1) | instskip(SKIP_1) | instid1(VALU_DEP_1)
	v_fma_f64 v[2:3], v[152:153], v[132:133], v[2:3]
	s_waitcnt lgkmcnt(0)
	v_fma_f64 v[2:3], v[154:155], v[134:135], v[2:3]
	s_waitcnt vmcnt(0)
	s_delay_alu instid0(VALU_DEP_1) | instskip(SKIP_3) | instid1(VALU_DEP_1)
	v_fma_f64 v[2:3], v[126:127], v[136:137], v[2:3]
	ds_load_b64 v[126:127], v1 offset:944
	s_waitcnt lgkmcnt(0)
	v_fma_f64 v[2:3], v[128:129], v[126:127], v[2:3]
	v_add_f64 v[2:3], v[124:125], -v[2:3]
	scratch_store_b64 off, v[2:3], off offset:360
	v_cmpx_lt_u32_e32 44, v0
	s_cbranch_execz .LBB58_275
; %bb.274:
	scratch_load_b64 v[3:4], off, off offset:352
	v_mov_b32_e32 v2, v1
	scratch_store_b64 off, v[1:2], off offset:352
	s_waitcnt vmcnt(0)
	ds_store_b64 v5, v[3:4]
.LBB58_275:
	s_or_b32 exec_lo, exec_lo, s0
	s_waitcnt lgkmcnt(0)
	s_waitcnt_vscnt null, 0x0
	s_barrier
	buffer_gl0_inv
	s_clause 0x4
	scratch_load_b128 v[124:127], off, off offset:352
	scratch_load_b128 v[128:131], off, off offset:368
	scratch_load_b128 v[132:135], off, off offset:384
	scratch_load_b128 v[136:139], off, off offset:400
	scratch_load_b128 v[140:143], off, off offset:416
	ds_load_2addr_b64 v[144:147], v1 offset0:105 offset1:106
	ds_load_2addr_b64 v[148:151], v1 offset0:107 offset1:108
	scratch_load_b128 v[152:155], off, off offset:432
	s_mov_b32 s0, exec_lo
	s_waitcnt vmcnt(5) lgkmcnt(1)
	v_fma_f64 v[2:3], v[126:127], v[144:145], 0
	s_waitcnt vmcnt(4)
	s_delay_alu instid0(VALU_DEP_1) | instskip(SKIP_4) | instid1(VALU_DEP_1)
	v_fma_f64 v[2:3], v[128:129], v[146:147], v[2:3]
	scratch_load_b128 v[126:129], off, off offset:448
	s_waitcnt lgkmcnt(0)
	v_fma_f64 v[2:3], v[130:131], v[148:149], v[2:3]
	s_waitcnt vmcnt(4)
	v_fma_f64 v[2:3], v[132:133], v[150:151], v[2:3]
	ds_load_2addr_b64 v[130:133], v1 offset0:109 offset1:110
	ds_load_2addr_b64 v[144:147], v1 offset0:111 offset1:112
	scratch_load_b64 v[148:149], off, off offset:464
	s_waitcnt lgkmcnt(1)
	v_fma_f64 v[2:3], v[134:135], v[130:131], v[2:3]
	s_waitcnt vmcnt(4)
	s_delay_alu instid0(VALU_DEP_1)
	v_fma_f64 v[2:3], v[136:137], v[132:133], v[2:3]
	ds_load_2addr_b64 v[130:133], v1 offset0:113 offset1:114
	ds_load_2addr_b64 v[134:137], v1 offset0:115 offset1:116
	s_waitcnt lgkmcnt(2)
	v_fma_f64 v[2:3], v[138:139], v[144:145], v[2:3]
	s_waitcnt vmcnt(3)
	s_delay_alu instid0(VALU_DEP_1) | instskip(SKIP_1) | instid1(VALU_DEP_1)
	v_fma_f64 v[2:3], v[140:141], v[146:147], v[2:3]
	s_waitcnt lgkmcnt(1)
	v_fma_f64 v[2:3], v[142:143], v[130:131], v[2:3]
	s_waitcnt vmcnt(2)
	s_delay_alu instid0(VALU_DEP_1) | instskip(SKIP_1) | instid1(VALU_DEP_1)
	v_fma_f64 v[2:3], v[152:153], v[132:133], v[2:3]
	s_waitcnt lgkmcnt(0)
	v_fma_f64 v[2:3], v[154:155], v[134:135], v[2:3]
	s_waitcnt vmcnt(1)
	s_delay_alu instid0(VALU_DEP_1) | instskip(SKIP_4) | instid1(VALU_DEP_1)
	v_fma_f64 v[126:127], v[126:127], v[136:137], v[2:3]
	ds_load_2addr_b64 v[1:4], v1 offset0:117 offset1:118
	s_waitcnt lgkmcnt(0)
	v_fma_f64 v[1:2], v[128:129], v[1:2], v[126:127]
	s_waitcnt vmcnt(0)
	v_fma_f64 v[1:2], v[148:149], v[3:4], v[1:2]
	s_delay_alu instid0(VALU_DEP_1)
	v_add_f64 v[1:2], v[124:125], -v[1:2]
	scratch_store_b64 off, v[1:2], off offset:352
	v_cmpx_lt_u32_e32 43, v0
	s_cbranch_execz .LBB58_277
; %bb.276:
	scratch_load_b64 v[1:2], off, off offset:344
	v_mov_b32_e32 v3, 0
	s_delay_alu instid0(VALU_DEP_1)
	v_mov_b32_e32 v4, v3
	scratch_store_b64 off, v[3:4], off offset:344
	s_waitcnt vmcnt(0)
	ds_store_b64 v5, v[1:2]
.LBB58_277:
	s_or_b32 exec_lo, exec_lo, s0
	s_waitcnt lgkmcnt(0)
	s_waitcnt_vscnt null, 0x0
	s_barrier
	buffer_gl0_inv
	s_clause 0x4
	scratch_load_b128 v[124:127], off, off offset:344
	scratch_load_b128 v[128:131], off, off offset:360
	;; [unrolled: 1-line block ×5, first 2 shown]
	v_mov_b32_e32 v1, 0
	ds_load_b128 v[144:147], v1 offset:832
	ds_load_b128 v[148:151], v1 offset:848
	scratch_load_b128 v[152:155], off, off offset:424
	s_mov_b32 s0, exec_lo
	s_waitcnt vmcnt(5) lgkmcnt(1)
	v_fma_f64 v[2:3], v[126:127], v[144:145], 0
	s_waitcnt vmcnt(4)
	s_delay_alu instid0(VALU_DEP_1) | instskip(SKIP_4) | instid1(VALU_DEP_1)
	v_fma_f64 v[2:3], v[128:129], v[146:147], v[2:3]
	scratch_load_b128 v[126:129], off, off offset:440
	s_waitcnt lgkmcnt(0)
	v_fma_f64 v[2:3], v[130:131], v[148:149], v[2:3]
	s_waitcnt vmcnt(4)
	v_fma_f64 v[2:3], v[132:133], v[150:151], v[2:3]
	ds_load_b128 v[130:133], v1 offset:864
	ds_load_b128 v[144:147], v1 offset:880
	scratch_load_b128 v[148:151], off, off offset:456
	s_waitcnt lgkmcnt(1)
	v_fma_f64 v[2:3], v[134:135], v[130:131], v[2:3]
	s_waitcnt vmcnt(4)
	s_delay_alu instid0(VALU_DEP_1)
	v_fma_f64 v[2:3], v[136:137], v[132:133], v[2:3]
	ds_load_b128 v[130:133], v1 offset:896
	ds_load_b128 v[134:137], v1 offset:912
	s_waitcnt lgkmcnt(2)
	v_fma_f64 v[2:3], v[138:139], v[144:145], v[2:3]
	s_waitcnt vmcnt(3)
	s_delay_alu instid0(VALU_DEP_1) | instskip(SKIP_1) | instid1(VALU_DEP_1)
	v_fma_f64 v[2:3], v[140:141], v[146:147], v[2:3]
	s_waitcnt lgkmcnt(1)
	v_fma_f64 v[2:3], v[142:143], v[130:131], v[2:3]
	s_waitcnt vmcnt(2)
	s_delay_alu instid0(VALU_DEP_1) | instskip(SKIP_1) | instid1(VALU_DEP_1)
	v_fma_f64 v[2:3], v[152:153], v[132:133], v[2:3]
	s_waitcnt lgkmcnt(0)
	v_fma_f64 v[2:3], v[154:155], v[134:135], v[2:3]
	s_waitcnt vmcnt(1)
	s_delay_alu instid0(VALU_DEP_1)
	v_fma_f64 v[2:3], v[126:127], v[136:137], v[2:3]
	ds_load_b128 v[130:133], v1 offset:928
	ds_load_b64 v[126:127], v1 offset:944
	s_waitcnt lgkmcnt(1)
	v_fma_f64 v[2:3], v[128:129], v[130:131], v[2:3]
	s_waitcnt vmcnt(0)
	s_delay_alu instid0(VALU_DEP_1) | instskip(SKIP_1) | instid1(VALU_DEP_1)
	v_fma_f64 v[2:3], v[148:149], v[132:133], v[2:3]
	s_waitcnt lgkmcnt(0)
	v_fma_f64 v[2:3], v[150:151], v[126:127], v[2:3]
	s_delay_alu instid0(VALU_DEP_1)
	v_add_f64 v[2:3], v[124:125], -v[2:3]
	scratch_store_b64 off, v[2:3], off offset:344
	v_cmpx_lt_u32_e32 42, v0
	s_cbranch_execz .LBB58_279
; %bb.278:
	scratch_load_b64 v[3:4], off, off offset:336
	v_mov_b32_e32 v2, v1
	scratch_store_b64 off, v[1:2], off offset:336
	s_waitcnt vmcnt(0)
	ds_store_b64 v5, v[3:4]
.LBB58_279:
	s_or_b32 exec_lo, exec_lo, s0
	s_waitcnt lgkmcnt(0)
	s_waitcnt_vscnt null, 0x0
	s_barrier
	buffer_gl0_inv
	s_clause 0x4
	scratch_load_b128 v[124:127], off, off offset:336
	scratch_load_b128 v[128:131], off, off offset:352
	;; [unrolled: 1-line block ×5, first 2 shown]
	ds_load_2addr_b64 v[144:147], v1 offset0:103 offset1:104
	ds_load_2addr_b64 v[148:151], v1 offset0:105 offset1:106
	scratch_load_b128 v[152:155], off, off offset:416
	s_mov_b32 s0, exec_lo
	s_waitcnt vmcnt(5) lgkmcnt(1)
	v_fma_f64 v[2:3], v[126:127], v[144:145], 0
	s_waitcnt vmcnt(4)
	s_delay_alu instid0(VALU_DEP_1) | instskip(SKIP_4) | instid1(VALU_DEP_1)
	v_fma_f64 v[2:3], v[128:129], v[146:147], v[2:3]
	scratch_load_b128 v[126:129], off, off offset:432
	s_waitcnt lgkmcnt(0)
	v_fma_f64 v[2:3], v[130:131], v[148:149], v[2:3]
	s_waitcnt vmcnt(4)
	v_fma_f64 v[2:3], v[132:133], v[150:151], v[2:3]
	ds_load_2addr_b64 v[130:133], v1 offset0:107 offset1:108
	ds_load_2addr_b64 v[144:147], v1 offset0:109 offset1:110
	scratch_load_b128 v[148:151], off, off offset:448
	s_waitcnt lgkmcnt(1)
	v_fma_f64 v[2:3], v[134:135], v[130:131], v[2:3]
	s_waitcnt vmcnt(4)
	s_delay_alu instid0(VALU_DEP_1) | instskip(SKIP_1) | instid1(VALU_DEP_1)
	v_fma_f64 v[2:3], v[136:137], v[132:133], v[2:3]
	s_waitcnt lgkmcnt(0)
	v_fma_f64 v[2:3], v[138:139], v[144:145], v[2:3]
	scratch_load_b64 v[138:139], off, off offset:464
	ds_load_2addr_b64 v[130:133], v1 offset0:111 offset1:112
	ds_load_2addr_b64 v[134:137], v1 offset0:113 offset1:114
	s_waitcnt vmcnt(4)
	v_fma_f64 v[2:3], v[140:141], v[146:147], v[2:3]
	s_waitcnt lgkmcnt(1)
	s_delay_alu instid0(VALU_DEP_1) | instskip(SKIP_1) | instid1(VALU_DEP_1)
	v_fma_f64 v[2:3], v[142:143], v[130:131], v[2:3]
	s_waitcnt vmcnt(3)
	v_fma_f64 v[2:3], v[152:153], v[132:133], v[2:3]
	s_waitcnt lgkmcnt(0)
	s_delay_alu instid0(VALU_DEP_1) | instskip(SKIP_1) | instid1(VALU_DEP_1)
	v_fma_f64 v[2:3], v[154:155], v[134:135], v[2:3]
	s_waitcnt vmcnt(2)
	v_fma_f64 v[126:127], v[126:127], v[136:137], v[2:3]
	ds_load_2addr_b64 v[130:133], v1 offset0:115 offset1:116
	ds_load_2addr_b64 v[1:4], v1 offset0:117 offset1:118
	s_waitcnt lgkmcnt(1)
	v_fma_f64 v[126:127], v[128:129], v[130:131], v[126:127]
	s_waitcnt vmcnt(1)
	s_delay_alu instid0(VALU_DEP_1) | instskip(SKIP_1) | instid1(VALU_DEP_1)
	v_fma_f64 v[126:127], v[148:149], v[132:133], v[126:127]
	s_waitcnt lgkmcnt(0)
	v_fma_f64 v[1:2], v[150:151], v[1:2], v[126:127]
	s_waitcnt vmcnt(0)
	s_delay_alu instid0(VALU_DEP_1) | instskip(NEXT) | instid1(VALU_DEP_1)
	v_fma_f64 v[1:2], v[138:139], v[3:4], v[1:2]
	v_add_f64 v[1:2], v[124:125], -v[1:2]
	scratch_store_b64 off, v[1:2], off offset:336
	v_cmpx_lt_u32_e32 41, v0
	s_cbranch_execz .LBB58_281
; %bb.280:
	scratch_load_b64 v[1:2], off, off offset:328
	v_mov_b32_e32 v3, 0
	s_delay_alu instid0(VALU_DEP_1)
	v_mov_b32_e32 v4, v3
	scratch_store_b64 off, v[3:4], off offset:328
	s_waitcnt vmcnt(0)
	ds_store_b64 v5, v[1:2]
.LBB58_281:
	s_or_b32 exec_lo, exec_lo, s0
	s_waitcnt lgkmcnt(0)
	s_waitcnt_vscnt null, 0x0
	s_barrier
	buffer_gl0_inv
	s_clause 0x4
	scratch_load_b128 v[124:127], off, off offset:328
	scratch_load_b128 v[128:131], off, off offset:344
	;; [unrolled: 1-line block ×5, first 2 shown]
	v_mov_b32_e32 v1, 0
	ds_load_b128 v[144:147], v1 offset:816
	ds_load_b128 v[148:151], v1 offset:832
	scratch_load_b128 v[152:155], off, off offset:408
	s_mov_b32 s0, exec_lo
	s_waitcnt vmcnt(5) lgkmcnt(1)
	v_fma_f64 v[2:3], v[126:127], v[144:145], 0
	s_waitcnt vmcnt(4)
	s_delay_alu instid0(VALU_DEP_1) | instskip(SKIP_4) | instid1(VALU_DEP_1)
	v_fma_f64 v[2:3], v[128:129], v[146:147], v[2:3]
	scratch_load_b128 v[126:129], off, off offset:424
	s_waitcnt lgkmcnt(0)
	v_fma_f64 v[2:3], v[130:131], v[148:149], v[2:3]
	s_waitcnt vmcnt(4)
	v_fma_f64 v[2:3], v[132:133], v[150:151], v[2:3]
	ds_load_b128 v[130:133], v1 offset:848
	ds_load_b128 v[144:147], v1 offset:864
	scratch_load_b128 v[148:151], off, off offset:440
	s_waitcnt lgkmcnt(1)
	v_fma_f64 v[2:3], v[134:135], v[130:131], v[2:3]
	s_waitcnt vmcnt(4)
	s_delay_alu instid0(VALU_DEP_1) | instskip(SKIP_4) | instid1(VALU_DEP_1)
	v_fma_f64 v[2:3], v[136:137], v[132:133], v[2:3]
	scratch_load_b128 v[130:133], off, off offset:456
	s_waitcnt lgkmcnt(0)
	v_fma_f64 v[2:3], v[138:139], v[144:145], v[2:3]
	s_waitcnt vmcnt(4)
	v_fma_f64 v[2:3], v[140:141], v[146:147], v[2:3]
	ds_load_b128 v[134:137], v1 offset:880
	ds_load_b128 v[138:141], v1 offset:896
	s_waitcnt lgkmcnt(1)
	v_fma_f64 v[2:3], v[142:143], v[134:135], v[2:3]
	s_waitcnt vmcnt(3)
	s_delay_alu instid0(VALU_DEP_1) | instskip(SKIP_1) | instid1(VALU_DEP_1)
	v_fma_f64 v[2:3], v[152:153], v[136:137], v[2:3]
	s_waitcnt lgkmcnt(0)
	v_fma_f64 v[2:3], v[154:155], v[138:139], v[2:3]
	s_waitcnt vmcnt(2)
	s_delay_alu instid0(VALU_DEP_1)
	v_fma_f64 v[2:3], v[126:127], v[140:141], v[2:3]
	ds_load_b128 v[134:137], v1 offset:912
	ds_load_b128 v[138:141], v1 offset:928
	ds_load_b64 v[126:127], v1 offset:944
	s_waitcnt lgkmcnt(2)
	v_fma_f64 v[2:3], v[128:129], v[134:135], v[2:3]
	s_waitcnt vmcnt(1)
	s_delay_alu instid0(VALU_DEP_1) | instskip(SKIP_1) | instid1(VALU_DEP_1)
	v_fma_f64 v[2:3], v[148:149], v[136:137], v[2:3]
	s_waitcnt lgkmcnt(1)
	v_fma_f64 v[2:3], v[150:151], v[138:139], v[2:3]
	s_waitcnt vmcnt(0)
	s_delay_alu instid0(VALU_DEP_1) | instskip(SKIP_1) | instid1(VALU_DEP_1)
	v_fma_f64 v[2:3], v[130:131], v[140:141], v[2:3]
	s_waitcnt lgkmcnt(0)
	v_fma_f64 v[2:3], v[132:133], v[126:127], v[2:3]
	s_delay_alu instid0(VALU_DEP_1)
	v_add_f64 v[2:3], v[124:125], -v[2:3]
	scratch_store_b64 off, v[2:3], off offset:328
	v_cmpx_lt_u32_e32 40, v0
	s_cbranch_execz .LBB58_283
; %bb.282:
	scratch_load_b64 v[3:4], off, off offset:320
	v_mov_b32_e32 v2, v1
	scratch_store_b64 off, v[1:2], off offset:320
	s_waitcnt vmcnt(0)
	ds_store_b64 v5, v[3:4]
.LBB58_283:
	s_or_b32 exec_lo, exec_lo, s0
	s_waitcnt lgkmcnt(0)
	s_waitcnt_vscnt null, 0x0
	s_barrier
	buffer_gl0_inv
	s_clause 0x4
	scratch_load_b128 v[124:127], off, off offset:320
	scratch_load_b128 v[128:131], off, off offset:336
	;; [unrolled: 1-line block ×5, first 2 shown]
	ds_load_2addr_b64 v[144:147], v1 offset0:101 offset1:102
	ds_load_2addr_b64 v[148:151], v1 offset0:103 offset1:104
	scratch_load_b128 v[152:155], off, off offset:400
	s_mov_b32 s0, exec_lo
	s_waitcnt vmcnt(5) lgkmcnt(1)
	v_fma_f64 v[2:3], v[126:127], v[144:145], 0
	s_waitcnt vmcnt(4)
	s_delay_alu instid0(VALU_DEP_1) | instskip(SKIP_4) | instid1(VALU_DEP_1)
	v_fma_f64 v[2:3], v[128:129], v[146:147], v[2:3]
	scratch_load_b128 v[126:129], off, off offset:416
	s_waitcnt lgkmcnt(0)
	v_fma_f64 v[2:3], v[130:131], v[148:149], v[2:3]
	s_waitcnt vmcnt(4)
	v_fma_f64 v[2:3], v[132:133], v[150:151], v[2:3]
	ds_load_2addr_b64 v[130:133], v1 offset0:105 offset1:106
	ds_load_2addr_b64 v[144:147], v1 offset0:107 offset1:108
	scratch_load_b128 v[148:151], off, off offset:432
	s_waitcnt lgkmcnt(1)
	v_fma_f64 v[2:3], v[134:135], v[130:131], v[2:3]
	s_waitcnt vmcnt(4)
	s_delay_alu instid0(VALU_DEP_1) | instskip(SKIP_4) | instid1(VALU_DEP_1)
	v_fma_f64 v[2:3], v[136:137], v[132:133], v[2:3]
	scratch_load_b128 v[130:133], off, off offset:448
	s_waitcnt lgkmcnt(0)
	v_fma_f64 v[2:3], v[138:139], v[144:145], v[2:3]
	s_waitcnt vmcnt(4)
	v_fma_f64 v[2:3], v[140:141], v[146:147], v[2:3]
	ds_load_2addr_b64 v[134:137], v1 offset0:109 offset1:110
	ds_load_2addr_b64 v[138:141], v1 offset0:111 offset1:112
	s_waitcnt lgkmcnt(1)
	v_fma_f64 v[2:3], v[142:143], v[134:135], v[2:3]
	scratch_load_b64 v[142:143], off, off offset:464
	s_waitcnt vmcnt(4)
	v_fma_f64 v[2:3], v[152:153], v[136:137], v[2:3]
	s_waitcnt lgkmcnt(0)
	s_delay_alu instid0(VALU_DEP_1) | instskip(SKIP_1) | instid1(VALU_DEP_1)
	v_fma_f64 v[2:3], v[154:155], v[138:139], v[2:3]
	s_waitcnt vmcnt(3)
	v_fma_f64 v[2:3], v[126:127], v[140:141], v[2:3]
	ds_load_2addr_b64 v[134:137], v1 offset0:113 offset1:114
	ds_load_2addr_b64 v[138:141], v1 offset0:115 offset1:116
	s_waitcnt lgkmcnt(1)
	v_fma_f64 v[2:3], v[128:129], v[134:135], v[2:3]
	s_waitcnt vmcnt(2)
	s_delay_alu instid0(VALU_DEP_1) | instskip(SKIP_1) | instid1(VALU_DEP_1)
	v_fma_f64 v[2:3], v[148:149], v[136:137], v[2:3]
	s_waitcnt lgkmcnt(0)
	v_fma_f64 v[2:3], v[150:151], v[138:139], v[2:3]
	s_waitcnt vmcnt(1)
	s_delay_alu instid0(VALU_DEP_1) | instskip(SKIP_4) | instid1(VALU_DEP_1)
	v_fma_f64 v[126:127], v[130:131], v[140:141], v[2:3]
	ds_load_2addr_b64 v[1:4], v1 offset0:117 offset1:118
	s_waitcnt lgkmcnt(0)
	v_fma_f64 v[1:2], v[132:133], v[1:2], v[126:127]
	s_waitcnt vmcnt(0)
	v_fma_f64 v[1:2], v[142:143], v[3:4], v[1:2]
	s_delay_alu instid0(VALU_DEP_1)
	v_add_f64 v[1:2], v[124:125], -v[1:2]
	scratch_store_b64 off, v[1:2], off offset:320
	v_cmpx_lt_u32_e32 39, v0
	s_cbranch_execz .LBB58_285
; %bb.284:
	scratch_load_b64 v[1:2], off, off offset:312
	v_mov_b32_e32 v3, 0
	s_delay_alu instid0(VALU_DEP_1)
	v_mov_b32_e32 v4, v3
	scratch_store_b64 off, v[3:4], off offset:312
	s_waitcnt vmcnt(0)
	ds_store_b64 v5, v[1:2]
.LBB58_285:
	s_or_b32 exec_lo, exec_lo, s0
	s_waitcnt lgkmcnt(0)
	s_waitcnt_vscnt null, 0x0
	s_barrier
	buffer_gl0_inv
	s_clause 0x4
	scratch_load_b128 v[124:127], off, off offset:312
	scratch_load_b128 v[128:131], off, off offset:328
	;; [unrolled: 1-line block ×5, first 2 shown]
	v_mov_b32_e32 v1, 0
	ds_load_b128 v[144:147], v1 offset:800
	ds_load_b128 v[148:151], v1 offset:816
	scratch_load_b128 v[152:155], off, off offset:392
	s_mov_b32 s0, exec_lo
	s_waitcnt vmcnt(5) lgkmcnt(1)
	v_fma_f64 v[2:3], v[126:127], v[144:145], 0
	s_waitcnt vmcnt(4)
	s_delay_alu instid0(VALU_DEP_1) | instskip(SKIP_4) | instid1(VALU_DEP_1)
	v_fma_f64 v[2:3], v[128:129], v[146:147], v[2:3]
	scratch_load_b128 v[126:129], off, off offset:408
	s_waitcnt lgkmcnt(0)
	v_fma_f64 v[2:3], v[130:131], v[148:149], v[2:3]
	s_waitcnt vmcnt(4)
	v_fma_f64 v[2:3], v[132:133], v[150:151], v[2:3]
	ds_load_b128 v[130:133], v1 offset:832
	ds_load_b128 v[144:147], v1 offset:848
	scratch_load_b128 v[148:151], off, off offset:424
	s_waitcnt lgkmcnt(1)
	v_fma_f64 v[2:3], v[134:135], v[130:131], v[2:3]
	s_waitcnt vmcnt(4)
	s_delay_alu instid0(VALU_DEP_1) | instskip(SKIP_4) | instid1(VALU_DEP_1)
	v_fma_f64 v[2:3], v[136:137], v[132:133], v[2:3]
	scratch_load_b128 v[130:133], off, off offset:440
	s_waitcnt lgkmcnt(0)
	v_fma_f64 v[2:3], v[138:139], v[144:145], v[2:3]
	s_waitcnt vmcnt(4)
	v_fma_f64 v[2:3], v[140:141], v[146:147], v[2:3]
	ds_load_b128 v[134:137], v1 offset:864
	ds_load_b128 v[138:141], v1 offset:880
	s_waitcnt lgkmcnt(1)
	v_fma_f64 v[2:3], v[142:143], v[134:135], v[2:3]
	scratch_load_b128 v[142:145], off, off offset:456
	s_waitcnt vmcnt(4)
	v_fma_f64 v[2:3], v[152:153], v[136:137], v[2:3]
	s_waitcnt lgkmcnt(0)
	s_delay_alu instid0(VALU_DEP_1) | instskip(SKIP_1) | instid1(VALU_DEP_1)
	v_fma_f64 v[2:3], v[154:155], v[138:139], v[2:3]
	s_waitcnt vmcnt(3)
	v_fma_f64 v[2:3], v[126:127], v[140:141], v[2:3]
	ds_load_b128 v[134:137], v1 offset:896
	ds_load_b128 v[138:141], v1 offset:912
	s_waitcnt lgkmcnt(1)
	v_fma_f64 v[2:3], v[128:129], v[134:135], v[2:3]
	s_waitcnt vmcnt(2)
	s_delay_alu instid0(VALU_DEP_1) | instskip(SKIP_1) | instid1(VALU_DEP_1)
	v_fma_f64 v[2:3], v[148:149], v[136:137], v[2:3]
	s_waitcnt lgkmcnt(0)
	v_fma_f64 v[2:3], v[150:151], v[138:139], v[2:3]
	s_waitcnt vmcnt(1)
	s_delay_alu instid0(VALU_DEP_1)
	v_fma_f64 v[2:3], v[130:131], v[140:141], v[2:3]
	ds_load_b128 v[126:129], v1 offset:928
	ds_load_b64 v[130:131], v1 offset:944
	s_waitcnt lgkmcnt(1)
	v_fma_f64 v[2:3], v[132:133], v[126:127], v[2:3]
	s_waitcnt vmcnt(0)
	s_delay_alu instid0(VALU_DEP_1) | instskip(SKIP_1) | instid1(VALU_DEP_1)
	v_fma_f64 v[2:3], v[142:143], v[128:129], v[2:3]
	s_waitcnt lgkmcnt(0)
	v_fma_f64 v[2:3], v[144:145], v[130:131], v[2:3]
	s_delay_alu instid0(VALU_DEP_1)
	v_add_f64 v[2:3], v[124:125], -v[2:3]
	scratch_store_b64 off, v[2:3], off offset:312
	v_cmpx_lt_u32_e32 38, v0
	s_cbranch_execz .LBB58_287
; %bb.286:
	scratch_load_b64 v[3:4], off, off offset:304
	v_mov_b32_e32 v2, v1
	scratch_store_b64 off, v[1:2], off offset:304
	s_waitcnt vmcnt(0)
	ds_store_b64 v5, v[3:4]
.LBB58_287:
	s_or_b32 exec_lo, exec_lo, s0
	s_waitcnt lgkmcnt(0)
	s_waitcnt_vscnt null, 0x0
	s_barrier
	buffer_gl0_inv
	s_clause 0x4
	scratch_load_b128 v[124:127], off, off offset:304
	scratch_load_b128 v[128:131], off, off offset:320
	;; [unrolled: 1-line block ×5, first 2 shown]
	ds_load_2addr_b64 v[144:147], v1 offset0:99 offset1:100
	ds_load_2addr_b64 v[148:151], v1 offset0:101 offset1:102
	scratch_load_b128 v[152:155], off, off offset:384
	s_mov_b32 s0, exec_lo
	s_waitcnt vmcnt(5) lgkmcnt(1)
	v_fma_f64 v[2:3], v[126:127], v[144:145], 0
	s_waitcnt vmcnt(4)
	s_delay_alu instid0(VALU_DEP_1) | instskip(SKIP_4) | instid1(VALU_DEP_1)
	v_fma_f64 v[2:3], v[128:129], v[146:147], v[2:3]
	scratch_load_b128 v[126:129], off, off offset:400
	s_waitcnt lgkmcnt(0)
	v_fma_f64 v[2:3], v[130:131], v[148:149], v[2:3]
	s_waitcnt vmcnt(4)
	v_fma_f64 v[2:3], v[132:133], v[150:151], v[2:3]
	ds_load_2addr_b64 v[130:133], v1 offset0:103 offset1:104
	ds_load_2addr_b64 v[144:147], v1 offset0:105 offset1:106
	scratch_load_b128 v[148:151], off, off offset:416
	s_waitcnt lgkmcnt(1)
	v_fma_f64 v[2:3], v[134:135], v[130:131], v[2:3]
	s_waitcnt vmcnt(4)
	s_delay_alu instid0(VALU_DEP_1) | instskip(SKIP_4) | instid1(VALU_DEP_1)
	v_fma_f64 v[2:3], v[136:137], v[132:133], v[2:3]
	scratch_load_b128 v[130:133], off, off offset:432
	s_waitcnt lgkmcnt(0)
	v_fma_f64 v[2:3], v[138:139], v[144:145], v[2:3]
	s_waitcnt vmcnt(4)
	v_fma_f64 v[2:3], v[140:141], v[146:147], v[2:3]
	ds_load_2addr_b64 v[134:137], v1 offset0:107 offset1:108
	ds_load_2addr_b64 v[138:141], v1 offset0:109 offset1:110
	scratch_load_b64 v[146:147], off, off offset:464
	s_waitcnt lgkmcnt(1)
	v_fma_f64 v[2:3], v[142:143], v[134:135], v[2:3]
	scratch_load_b128 v[142:145], off, off offset:448
	s_waitcnt vmcnt(5)
	v_fma_f64 v[2:3], v[152:153], v[136:137], v[2:3]
	s_waitcnt lgkmcnt(0)
	s_delay_alu instid0(VALU_DEP_1) | instskip(SKIP_1) | instid1(VALU_DEP_1)
	v_fma_f64 v[2:3], v[154:155], v[138:139], v[2:3]
	s_waitcnt vmcnt(4)
	v_fma_f64 v[2:3], v[126:127], v[140:141], v[2:3]
	ds_load_2addr_b64 v[134:137], v1 offset0:111 offset1:112
	ds_load_2addr_b64 v[138:141], v1 offset0:113 offset1:114
	s_waitcnt lgkmcnt(1)
	v_fma_f64 v[2:3], v[128:129], v[134:135], v[2:3]
	s_waitcnt vmcnt(3)
	s_delay_alu instid0(VALU_DEP_1) | instskip(SKIP_1) | instid1(VALU_DEP_1)
	v_fma_f64 v[2:3], v[148:149], v[136:137], v[2:3]
	s_waitcnt lgkmcnt(0)
	v_fma_f64 v[2:3], v[150:151], v[138:139], v[2:3]
	s_waitcnt vmcnt(2)
	s_delay_alu instid0(VALU_DEP_1)
	v_fma_f64 v[130:131], v[130:131], v[140:141], v[2:3]
	ds_load_2addr_b64 v[126:129], v1 offset0:115 offset1:116
	ds_load_2addr_b64 v[1:4], v1 offset0:117 offset1:118
	s_waitcnt lgkmcnt(1)
	v_fma_f64 v[126:127], v[132:133], v[126:127], v[130:131]
	s_waitcnt vmcnt(0)
	s_delay_alu instid0(VALU_DEP_1) | instskip(SKIP_1) | instid1(VALU_DEP_1)
	v_fma_f64 v[126:127], v[142:143], v[128:129], v[126:127]
	s_waitcnt lgkmcnt(0)
	v_fma_f64 v[1:2], v[144:145], v[1:2], v[126:127]
	s_delay_alu instid0(VALU_DEP_1) | instskip(NEXT) | instid1(VALU_DEP_1)
	v_fma_f64 v[1:2], v[146:147], v[3:4], v[1:2]
	v_add_f64 v[1:2], v[124:125], -v[1:2]
	scratch_store_b64 off, v[1:2], off offset:304
	v_cmpx_lt_u32_e32 37, v0
	s_cbranch_execz .LBB58_289
; %bb.288:
	scratch_load_b64 v[1:2], off, off offset:296
	v_mov_b32_e32 v3, 0
	s_delay_alu instid0(VALU_DEP_1)
	v_mov_b32_e32 v4, v3
	scratch_store_b64 off, v[3:4], off offset:296
	s_waitcnt vmcnt(0)
	ds_store_b64 v5, v[1:2]
.LBB58_289:
	s_or_b32 exec_lo, exec_lo, s0
	s_waitcnt lgkmcnt(0)
	s_waitcnt_vscnt null, 0x0
	s_barrier
	buffer_gl0_inv
	s_clause 0x4
	scratch_load_b128 v[124:127], off, off offset:296
	scratch_load_b128 v[128:131], off, off offset:312
	;; [unrolled: 1-line block ×5, first 2 shown]
	v_mov_b32_e32 v1, 0
	ds_load_b128 v[144:147], v1 offset:784
	ds_load_b128 v[148:151], v1 offset:800
	scratch_load_b128 v[152:155], off, off offset:376
	s_mov_b32 s0, exec_lo
	s_waitcnt vmcnt(5) lgkmcnt(1)
	v_fma_f64 v[2:3], v[126:127], v[144:145], 0
	s_waitcnt vmcnt(4)
	s_delay_alu instid0(VALU_DEP_1) | instskip(SKIP_4) | instid1(VALU_DEP_1)
	v_fma_f64 v[2:3], v[128:129], v[146:147], v[2:3]
	scratch_load_b128 v[126:129], off, off offset:392
	s_waitcnt lgkmcnt(0)
	v_fma_f64 v[2:3], v[130:131], v[148:149], v[2:3]
	s_waitcnt vmcnt(4)
	v_fma_f64 v[2:3], v[132:133], v[150:151], v[2:3]
	ds_load_b128 v[130:133], v1 offset:816
	ds_load_b128 v[144:147], v1 offset:832
	scratch_load_b128 v[148:151], off, off offset:408
	s_waitcnt lgkmcnt(1)
	v_fma_f64 v[2:3], v[134:135], v[130:131], v[2:3]
	s_waitcnt vmcnt(4)
	s_delay_alu instid0(VALU_DEP_1) | instskip(SKIP_4) | instid1(VALU_DEP_1)
	v_fma_f64 v[2:3], v[136:137], v[132:133], v[2:3]
	scratch_load_b128 v[130:133], off, off offset:424
	s_waitcnt lgkmcnt(0)
	v_fma_f64 v[2:3], v[138:139], v[144:145], v[2:3]
	s_waitcnt vmcnt(4)
	v_fma_f64 v[2:3], v[140:141], v[146:147], v[2:3]
	ds_load_b128 v[134:137], v1 offset:848
	ds_load_b128 v[138:141], v1 offset:864
	s_waitcnt lgkmcnt(1)
	v_fma_f64 v[2:3], v[142:143], v[134:135], v[2:3]
	scratch_load_b128 v[142:145], off, off offset:440
	s_waitcnt vmcnt(4)
	v_fma_f64 v[2:3], v[152:153], v[136:137], v[2:3]
	scratch_load_b128 v[134:137], off, off offset:456
	s_waitcnt lgkmcnt(0)
	v_fma_f64 v[2:3], v[154:155], v[138:139], v[2:3]
	s_waitcnt vmcnt(4)
	s_delay_alu instid0(VALU_DEP_1)
	v_fma_f64 v[2:3], v[126:127], v[140:141], v[2:3]
	ds_load_b128 v[138:141], v1 offset:880
	ds_load_b128 v[152:155], v1 offset:896
	s_waitcnt lgkmcnt(1)
	v_fma_f64 v[2:3], v[128:129], v[138:139], v[2:3]
	s_waitcnt vmcnt(3)
	s_delay_alu instid0(VALU_DEP_1)
	v_fma_f64 v[2:3], v[148:149], v[140:141], v[2:3]
	ds_load_b128 v[126:129], v1 offset:912
	ds_load_b128 v[138:141], v1 offset:928
	s_waitcnt lgkmcnt(2)
	v_fma_f64 v[2:3], v[150:151], v[152:153], v[2:3]
	s_waitcnt vmcnt(2)
	s_delay_alu instid0(VALU_DEP_1) | instskip(SKIP_1) | instid1(VALU_DEP_1)
	v_fma_f64 v[2:3], v[130:131], v[154:155], v[2:3]
	s_waitcnt lgkmcnt(1)
	v_fma_f64 v[2:3], v[132:133], v[126:127], v[2:3]
	ds_load_b64 v[126:127], v1 offset:944
	s_waitcnt vmcnt(1)
	v_fma_f64 v[2:3], v[142:143], v[128:129], v[2:3]
	s_waitcnt lgkmcnt(1)
	s_delay_alu instid0(VALU_DEP_1) | instskip(SKIP_1) | instid1(VALU_DEP_1)
	v_fma_f64 v[2:3], v[144:145], v[138:139], v[2:3]
	s_waitcnt vmcnt(0)
	v_fma_f64 v[2:3], v[134:135], v[140:141], v[2:3]
	s_waitcnt lgkmcnt(0)
	s_delay_alu instid0(VALU_DEP_1) | instskip(NEXT) | instid1(VALU_DEP_1)
	v_fma_f64 v[2:3], v[136:137], v[126:127], v[2:3]
	v_add_f64 v[2:3], v[124:125], -v[2:3]
	scratch_store_b64 off, v[2:3], off offset:296
	v_cmpx_lt_u32_e32 36, v0
	s_cbranch_execz .LBB58_291
; %bb.290:
	scratch_load_b64 v[3:4], off, off offset:288
	v_mov_b32_e32 v2, v1
	scratch_store_b64 off, v[1:2], off offset:288
	s_waitcnt vmcnt(0)
	ds_store_b64 v5, v[3:4]
.LBB58_291:
	s_or_b32 exec_lo, exec_lo, s0
	s_waitcnt lgkmcnt(0)
	s_waitcnt_vscnt null, 0x0
	s_barrier
	buffer_gl0_inv
	s_clause 0x4
	scratch_load_b128 v[124:127], off, off offset:288
	scratch_load_b128 v[128:131], off, off offset:304
	;; [unrolled: 1-line block ×5, first 2 shown]
	ds_load_2addr_b64 v[144:147], v1 offset0:97 offset1:98
	ds_load_2addr_b64 v[148:151], v1 offset0:99 offset1:100
	scratch_load_b128 v[152:155], off, off offset:368
	s_mov_b32 s0, exec_lo
	s_waitcnt vmcnt(5) lgkmcnt(1)
	v_fma_f64 v[2:3], v[126:127], v[144:145], 0
	s_waitcnt vmcnt(4)
	s_delay_alu instid0(VALU_DEP_1) | instskip(SKIP_4) | instid1(VALU_DEP_1)
	v_fma_f64 v[2:3], v[128:129], v[146:147], v[2:3]
	scratch_load_b128 v[126:129], off, off offset:384
	s_waitcnt lgkmcnt(0)
	v_fma_f64 v[2:3], v[130:131], v[148:149], v[2:3]
	s_waitcnt vmcnt(4)
	v_fma_f64 v[2:3], v[132:133], v[150:151], v[2:3]
	ds_load_2addr_b64 v[130:133], v1 offset0:101 offset1:102
	ds_load_2addr_b64 v[144:147], v1 offset0:103 offset1:104
	scratch_load_b128 v[148:151], off, off offset:400
	s_waitcnt lgkmcnt(1)
	v_fma_f64 v[2:3], v[134:135], v[130:131], v[2:3]
	s_waitcnt vmcnt(4)
	s_delay_alu instid0(VALU_DEP_1) | instskip(SKIP_4) | instid1(VALU_DEP_1)
	v_fma_f64 v[2:3], v[136:137], v[132:133], v[2:3]
	scratch_load_b128 v[130:133], off, off offset:416
	s_waitcnt lgkmcnt(0)
	v_fma_f64 v[2:3], v[138:139], v[144:145], v[2:3]
	s_waitcnt vmcnt(4)
	v_fma_f64 v[2:3], v[140:141], v[146:147], v[2:3]
	ds_load_2addr_b64 v[134:137], v1 offset0:105 offset1:106
	ds_load_2addr_b64 v[138:141], v1 offset0:107 offset1:108
	s_waitcnt lgkmcnt(1)
	v_fma_f64 v[2:3], v[142:143], v[134:135], v[2:3]
	scratch_load_b128 v[142:145], off, off offset:432
	s_waitcnt vmcnt(4)
	v_fma_f64 v[2:3], v[152:153], v[136:137], v[2:3]
	scratch_load_b128 v[134:137], off, off offset:448
	s_waitcnt lgkmcnt(0)
	v_fma_f64 v[2:3], v[154:155], v[138:139], v[2:3]
	s_waitcnt vmcnt(4)
	s_delay_alu instid0(VALU_DEP_1)
	v_fma_f64 v[2:3], v[126:127], v[140:141], v[2:3]
	ds_load_2addr_b64 v[138:141], v1 offset0:109 offset1:110
	ds_load_2addr_b64 v[152:155], v1 offset0:111 offset1:112
	scratch_load_b64 v[146:147], off, off offset:464
	s_waitcnt lgkmcnt(1)
	v_fma_f64 v[2:3], v[128:129], v[138:139], v[2:3]
	s_waitcnt vmcnt(4)
	s_delay_alu instid0(VALU_DEP_1)
	v_fma_f64 v[2:3], v[148:149], v[140:141], v[2:3]
	ds_load_2addr_b64 v[126:129], v1 offset0:113 offset1:114
	ds_load_2addr_b64 v[138:141], v1 offset0:115 offset1:116
	s_waitcnt lgkmcnt(2)
	v_fma_f64 v[2:3], v[150:151], v[152:153], v[2:3]
	s_waitcnt vmcnt(3)
	s_delay_alu instid0(VALU_DEP_1) | instskip(SKIP_1) | instid1(VALU_DEP_1)
	v_fma_f64 v[2:3], v[130:131], v[154:155], v[2:3]
	s_waitcnt lgkmcnt(1)
	v_fma_f64 v[2:3], v[132:133], v[126:127], v[2:3]
	s_waitcnt vmcnt(2)
	s_delay_alu instid0(VALU_DEP_1) | instskip(SKIP_1) | instid1(VALU_DEP_1)
	v_fma_f64 v[2:3], v[142:143], v[128:129], v[2:3]
	s_waitcnt lgkmcnt(0)
	v_fma_f64 v[2:3], v[144:145], v[138:139], v[2:3]
	s_waitcnt vmcnt(1)
	s_delay_alu instid0(VALU_DEP_1) | instskip(SKIP_4) | instid1(VALU_DEP_1)
	v_fma_f64 v[126:127], v[134:135], v[140:141], v[2:3]
	ds_load_2addr_b64 v[1:4], v1 offset0:117 offset1:118
	s_waitcnt lgkmcnt(0)
	v_fma_f64 v[1:2], v[136:137], v[1:2], v[126:127]
	s_waitcnt vmcnt(0)
	v_fma_f64 v[1:2], v[146:147], v[3:4], v[1:2]
	s_delay_alu instid0(VALU_DEP_1)
	v_add_f64 v[1:2], v[124:125], -v[1:2]
	scratch_store_b64 off, v[1:2], off offset:288
	v_cmpx_lt_u32_e32 35, v0
	s_cbranch_execz .LBB58_293
; %bb.292:
	scratch_load_b64 v[1:2], off, off offset:280
	v_mov_b32_e32 v3, 0
	s_delay_alu instid0(VALU_DEP_1)
	v_mov_b32_e32 v4, v3
	scratch_store_b64 off, v[3:4], off offset:280
	s_waitcnt vmcnt(0)
	ds_store_b64 v5, v[1:2]
.LBB58_293:
	s_or_b32 exec_lo, exec_lo, s0
	s_waitcnt lgkmcnt(0)
	s_waitcnt_vscnt null, 0x0
	s_barrier
	buffer_gl0_inv
	s_clause 0x4
	scratch_load_b128 v[124:127], off, off offset:280
	scratch_load_b128 v[128:131], off, off offset:296
	;; [unrolled: 1-line block ×5, first 2 shown]
	v_mov_b32_e32 v1, 0
	ds_load_b128 v[144:147], v1 offset:768
	ds_load_b128 v[148:151], v1 offset:784
	scratch_load_b128 v[152:155], off, off offset:360
	s_mov_b32 s0, exec_lo
	s_waitcnt vmcnt(5) lgkmcnt(1)
	v_fma_f64 v[2:3], v[126:127], v[144:145], 0
	s_waitcnt vmcnt(4)
	s_delay_alu instid0(VALU_DEP_1) | instskip(SKIP_4) | instid1(VALU_DEP_1)
	v_fma_f64 v[2:3], v[128:129], v[146:147], v[2:3]
	scratch_load_b128 v[126:129], off, off offset:376
	s_waitcnt lgkmcnt(0)
	v_fma_f64 v[2:3], v[130:131], v[148:149], v[2:3]
	s_waitcnt vmcnt(4)
	v_fma_f64 v[2:3], v[132:133], v[150:151], v[2:3]
	ds_load_b128 v[130:133], v1 offset:800
	ds_load_b128 v[144:147], v1 offset:816
	scratch_load_b128 v[148:151], off, off offset:392
	s_waitcnt lgkmcnt(1)
	v_fma_f64 v[2:3], v[134:135], v[130:131], v[2:3]
	s_waitcnt vmcnt(4)
	s_delay_alu instid0(VALU_DEP_1) | instskip(SKIP_4) | instid1(VALU_DEP_1)
	v_fma_f64 v[2:3], v[136:137], v[132:133], v[2:3]
	scratch_load_b128 v[130:133], off, off offset:408
	s_waitcnt lgkmcnt(0)
	v_fma_f64 v[2:3], v[138:139], v[144:145], v[2:3]
	s_waitcnt vmcnt(4)
	v_fma_f64 v[2:3], v[140:141], v[146:147], v[2:3]
	ds_load_b128 v[134:137], v1 offset:832
	ds_load_b128 v[138:141], v1 offset:848
	s_waitcnt lgkmcnt(1)
	v_fma_f64 v[2:3], v[142:143], v[134:135], v[2:3]
	scratch_load_b128 v[142:145], off, off offset:424
	s_waitcnt vmcnt(4)
	v_fma_f64 v[2:3], v[152:153], v[136:137], v[2:3]
	scratch_load_b128 v[134:137], off, off offset:440
	s_waitcnt lgkmcnt(0)
	v_fma_f64 v[2:3], v[154:155], v[138:139], v[2:3]
	s_waitcnt vmcnt(4)
	s_delay_alu instid0(VALU_DEP_1)
	v_fma_f64 v[2:3], v[126:127], v[140:141], v[2:3]
	ds_load_b128 v[138:141], v1 offset:864
	ds_load_b128 v[152:155], v1 offset:880
	s_waitcnt lgkmcnt(1)
	v_fma_f64 v[2:3], v[128:129], v[138:139], v[2:3]
	scratch_load_b128 v[126:129], off, off offset:456
	s_waitcnt vmcnt(4)
	v_fma_f64 v[2:3], v[148:149], v[140:141], v[2:3]
	ds_load_b128 v[138:141], v1 offset:896
	ds_load_b128 v[146:149], v1 offset:912
	s_waitcnt lgkmcnt(2)
	v_fma_f64 v[2:3], v[150:151], v[152:153], v[2:3]
	s_waitcnt vmcnt(3)
	s_delay_alu instid0(VALU_DEP_1) | instskip(SKIP_1) | instid1(VALU_DEP_1)
	v_fma_f64 v[2:3], v[130:131], v[154:155], v[2:3]
	s_waitcnt lgkmcnt(1)
	v_fma_f64 v[2:3], v[132:133], v[138:139], v[2:3]
	s_waitcnt vmcnt(2)
	s_delay_alu instid0(VALU_DEP_1) | instskip(SKIP_1) | instid1(VALU_DEP_1)
	v_fma_f64 v[2:3], v[142:143], v[140:141], v[2:3]
	s_waitcnt lgkmcnt(0)
	v_fma_f64 v[2:3], v[144:145], v[146:147], v[2:3]
	s_waitcnt vmcnt(1)
	s_delay_alu instid0(VALU_DEP_1)
	v_fma_f64 v[2:3], v[134:135], v[148:149], v[2:3]
	ds_load_b128 v[130:133], v1 offset:928
	ds_load_b64 v[134:135], v1 offset:944
	s_waitcnt lgkmcnt(1)
	v_fma_f64 v[2:3], v[136:137], v[130:131], v[2:3]
	s_waitcnt vmcnt(0)
	s_delay_alu instid0(VALU_DEP_1) | instskip(SKIP_1) | instid1(VALU_DEP_1)
	v_fma_f64 v[2:3], v[126:127], v[132:133], v[2:3]
	s_waitcnt lgkmcnt(0)
	v_fma_f64 v[2:3], v[128:129], v[134:135], v[2:3]
	s_delay_alu instid0(VALU_DEP_1)
	v_add_f64 v[2:3], v[124:125], -v[2:3]
	scratch_store_b64 off, v[2:3], off offset:280
	v_cmpx_lt_u32_e32 34, v0
	s_cbranch_execz .LBB58_295
; %bb.294:
	scratch_load_b64 v[3:4], off, off offset:272
	v_mov_b32_e32 v2, v1
	scratch_store_b64 off, v[1:2], off offset:272
	s_waitcnt vmcnt(0)
	ds_store_b64 v5, v[3:4]
.LBB58_295:
	s_or_b32 exec_lo, exec_lo, s0
	s_waitcnt lgkmcnt(0)
	s_waitcnt_vscnt null, 0x0
	s_barrier
	buffer_gl0_inv
	s_clause 0x4
	scratch_load_b128 v[124:127], off, off offset:272
	scratch_load_b128 v[128:131], off, off offset:288
	;; [unrolled: 1-line block ×5, first 2 shown]
	ds_load_2addr_b64 v[144:147], v1 offset0:95 offset1:96
	ds_load_2addr_b64 v[148:151], v1 offset0:97 offset1:98
	scratch_load_b128 v[152:155], off, off offset:352
	s_mov_b32 s0, exec_lo
	s_waitcnt vmcnt(5) lgkmcnt(1)
	v_fma_f64 v[2:3], v[126:127], v[144:145], 0
	s_waitcnt vmcnt(4)
	s_delay_alu instid0(VALU_DEP_1) | instskip(SKIP_4) | instid1(VALU_DEP_1)
	v_fma_f64 v[2:3], v[128:129], v[146:147], v[2:3]
	scratch_load_b128 v[126:129], off, off offset:368
	s_waitcnt lgkmcnt(0)
	v_fma_f64 v[2:3], v[130:131], v[148:149], v[2:3]
	s_waitcnt vmcnt(4)
	v_fma_f64 v[2:3], v[132:133], v[150:151], v[2:3]
	ds_load_2addr_b64 v[130:133], v1 offset0:99 offset1:100
	ds_load_2addr_b64 v[144:147], v1 offset0:101 offset1:102
	scratch_load_b128 v[148:151], off, off offset:384
	s_waitcnt lgkmcnt(1)
	v_fma_f64 v[2:3], v[134:135], v[130:131], v[2:3]
	s_waitcnt vmcnt(4)
	s_delay_alu instid0(VALU_DEP_1) | instskip(SKIP_4) | instid1(VALU_DEP_1)
	v_fma_f64 v[2:3], v[136:137], v[132:133], v[2:3]
	scratch_load_b128 v[130:133], off, off offset:400
	s_waitcnt lgkmcnt(0)
	v_fma_f64 v[2:3], v[138:139], v[144:145], v[2:3]
	s_waitcnt vmcnt(4)
	v_fma_f64 v[2:3], v[140:141], v[146:147], v[2:3]
	ds_load_2addr_b64 v[134:137], v1 offset0:103 offset1:104
	ds_load_2addr_b64 v[138:141], v1 offset0:105 offset1:106
	s_waitcnt lgkmcnt(1)
	v_fma_f64 v[2:3], v[142:143], v[134:135], v[2:3]
	scratch_load_b128 v[142:145], off, off offset:416
	s_waitcnt vmcnt(4)
	v_fma_f64 v[2:3], v[152:153], v[136:137], v[2:3]
	scratch_load_b128 v[134:137], off, off offset:432
	s_waitcnt lgkmcnt(0)
	v_fma_f64 v[2:3], v[154:155], v[138:139], v[2:3]
	s_waitcnt vmcnt(4)
	s_delay_alu instid0(VALU_DEP_1)
	v_fma_f64 v[2:3], v[126:127], v[140:141], v[2:3]
	ds_load_2addr_b64 v[138:141], v1 offset0:107 offset1:108
	ds_load_2addr_b64 v[152:155], v1 offset0:109 offset1:110
	s_waitcnt lgkmcnt(1)
	v_fma_f64 v[2:3], v[128:129], v[138:139], v[2:3]
	scratch_load_b128 v[126:129], off, off offset:448
	s_waitcnt vmcnt(4)
	v_fma_f64 v[2:3], v[148:149], v[140:141], v[2:3]
	s_waitcnt lgkmcnt(0)
	s_delay_alu instid0(VALU_DEP_1)
	v_fma_f64 v[2:3], v[150:151], v[152:153], v[2:3]
	scratch_load_b64 v[150:151], off, off offset:464
	ds_load_2addr_b64 v[138:141], v1 offset0:111 offset1:112
	ds_load_2addr_b64 v[146:149], v1 offset0:113 offset1:114
	s_waitcnt vmcnt(4)
	v_fma_f64 v[2:3], v[130:131], v[154:155], v[2:3]
	s_waitcnt lgkmcnt(1)
	s_delay_alu instid0(VALU_DEP_1) | instskip(SKIP_1) | instid1(VALU_DEP_1)
	v_fma_f64 v[2:3], v[132:133], v[138:139], v[2:3]
	s_waitcnt vmcnt(3)
	v_fma_f64 v[2:3], v[142:143], v[140:141], v[2:3]
	s_waitcnt lgkmcnt(0)
	s_delay_alu instid0(VALU_DEP_1) | instskip(SKIP_1) | instid1(VALU_DEP_1)
	v_fma_f64 v[2:3], v[144:145], v[146:147], v[2:3]
	s_waitcnt vmcnt(2)
	v_fma_f64 v[134:135], v[134:135], v[148:149], v[2:3]
	ds_load_2addr_b64 v[130:133], v1 offset0:115 offset1:116
	ds_load_2addr_b64 v[1:4], v1 offset0:117 offset1:118
	s_waitcnt lgkmcnt(1)
	v_fma_f64 v[130:131], v[136:137], v[130:131], v[134:135]
	s_waitcnt vmcnt(1)
	s_delay_alu instid0(VALU_DEP_1) | instskip(SKIP_1) | instid1(VALU_DEP_1)
	v_fma_f64 v[126:127], v[126:127], v[132:133], v[130:131]
	s_waitcnt lgkmcnt(0)
	v_fma_f64 v[1:2], v[128:129], v[1:2], v[126:127]
	s_waitcnt vmcnt(0)
	s_delay_alu instid0(VALU_DEP_1) | instskip(NEXT) | instid1(VALU_DEP_1)
	v_fma_f64 v[1:2], v[150:151], v[3:4], v[1:2]
	v_add_f64 v[1:2], v[124:125], -v[1:2]
	scratch_store_b64 off, v[1:2], off offset:272
	v_cmpx_lt_u32_e32 33, v0
	s_cbranch_execz .LBB58_297
; %bb.296:
	scratch_load_b64 v[1:2], off, off offset:264
	v_mov_b32_e32 v3, 0
	s_delay_alu instid0(VALU_DEP_1)
	v_mov_b32_e32 v4, v3
	scratch_store_b64 off, v[3:4], off offset:264
	s_waitcnt vmcnt(0)
	ds_store_b64 v5, v[1:2]
.LBB58_297:
	s_or_b32 exec_lo, exec_lo, s0
	s_waitcnt lgkmcnt(0)
	s_waitcnt_vscnt null, 0x0
	s_barrier
	buffer_gl0_inv
	s_clause 0x4
	scratch_load_b128 v[124:127], off, off offset:264
	scratch_load_b128 v[128:131], off, off offset:280
	;; [unrolled: 1-line block ×5, first 2 shown]
	v_mov_b32_e32 v1, 0
	ds_load_b128 v[144:147], v1 offset:752
	ds_load_b128 v[148:151], v1 offset:768
	scratch_load_b128 v[152:155], off, off offset:344
	s_mov_b32 s0, exec_lo
	s_waitcnt vmcnt(5) lgkmcnt(1)
	v_fma_f64 v[2:3], v[126:127], v[144:145], 0
	s_waitcnt vmcnt(4)
	s_delay_alu instid0(VALU_DEP_1) | instskip(SKIP_4) | instid1(VALU_DEP_1)
	v_fma_f64 v[2:3], v[128:129], v[146:147], v[2:3]
	scratch_load_b128 v[126:129], off, off offset:360
	s_waitcnt lgkmcnt(0)
	v_fma_f64 v[2:3], v[130:131], v[148:149], v[2:3]
	s_waitcnt vmcnt(4)
	v_fma_f64 v[2:3], v[132:133], v[150:151], v[2:3]
	ds_load_b128 v[130:133], v1 offset:784
	ds_load_b128 v[144:147], v1 offset:800
	scratch_load_b128 v[148:151], off, off offset:376
	s_waitcnt lgkmcnt(1)
	v_fma_f64 v[2:3], v[134:135], v[130:131], v[2:3]
	s_waitcnt vmcnt(4)
	s_delay_alu instid0(VALU_DEP_1) | instskip(SKIP_4) | instid1(VALU_DEP_1)
	v_fma_f64 v[2:3], v[136:137], v[132:133], v[2:3]
	scratch_load_b128 v[130:133], off, off offset:392
	s_waitcnt lgkmcnt(0)
	v_fma_f64 v[2:3], v[138:139], v[144:145], v[2:3]
	s_waitcnt vmcnt(4)
	v_fma_f64 v[2:3], v[140:141], v[146:147], v[2:3]
	ds_load_b128 v[134:137], v1 offset:816
	ds_load_b128 v[138:141], v1 offset:832
	s_waitcnt lgkmcnt(1)
	v_fma_f64 v[2:3], v[142:143], v[134:135], v[2:3]
	scratch_load_b128 v[142:145], off, off offset:408
	s_waitcnt vmcnt(4)
	v_fma_f64 v[2:3], v[152:153], v[136:137], v[2:3]
	scratch_load_b128 v[134:137], off, off offset:424
	s_waitcnt lgkmcnt(0)
	v_fma_f64 v[2:3], v[154:155], v[138:139], v[2:3]
	s_waitcnt vmcnt(4)
	s_delay_alu instid0(VALU_DEP_1)
	v_fma_f64 v[2:3], v[126:127], v[140:141], v[2:3]
	ds_load_b128 v[138:141], v1 offset:848
	ds_load_b128 v[152:155], v1 offset:864
	s_waitcnt lgkmcnt(1)
	v_fma_f64 v[2:3], v[128:129], v[138:139], v[2:3]
	scratch_load_b128 v[126:129], off, off offset:440
	s_waitcnt vmcnt(4)
	v_fma_f64 v[2:3], v[148:149], v[140:141], v[2:3]
	scratch_load_b128 v[138:141], off, off offset:456
	s_waitcnt lgkmcnt(0)
	v_fma_f64 v[2:3], v[150:151], v[152:153], v[2:3]
	ds_load_b128 v[146:149], v1 offset:880
	ds_load_b128 v[150:153], v1 offset:896
	s_waitcnt vmcnt(4)
	v_fma_f64 v[2:3], v[130:131], v[154:155], v[2:3]
	s_waitcnt lgkmcnt(1)
	s_delay_alu instid0(VALU_DEP_1) | instskip(SKIP_1) | instid1(VALU_DEP_1)
	v_fma_f64 v[2:3], v[132:133], v[146:147], v[2:3]
	s_waitcnt vmcnt(3)
	v_fma_f64 v[2:3], v[142:143], v[148:149], v[2:3]
	s_waitcnt lgkmcnt(0)
	s_delay_alu instid0(VALU_DEP_1)
	v_fma_f64 v[2:3], v[144:145], v[150:151], v[2:3]
	ds_load_b128 v[130:133], v1 offset:912
	ds_load_b128 v[142:145], v1 offset:928
	s_waitcnt vmcnt(2)
	v_fma_f64 v[2:3], v[134:135], v[152:153], v[2:3]
	s_waitcnt lgkmcnt(1)
	s_delay_alu instid0(VALU_DEP_1) | instskip(SKIP_1) | instid1(VALU_DEP_1)
	v_fma_f64 v[2:3], v[136:137], v[130:131], v[2:3]
	s_waitcnt vmcnt(1)
	v_fma_f64 v[2:3], v[126:127], v[132:133], v[2:3]
	ds_load_b64 v[126:127], v1 offset:944
	s_waitcnt lgkmcnt(1)
	v_fma_f64 v[2:3], v[128:129], v[142:143], v[2:3]
	s_waitcnt vmcnt(0)
	s_delay_alu instid0(VALU_DEP_1) | instskip(SKIP_1) | instid1(VALU_DEP_1)
	v_fma_f64 v[2:3], v[138:139], v[144:145], v[2:3]
	s_waitcnt lgkmcnt(0)
	v_fma_f64 v[2:3], v[140:141], v[126:127], v[2:3]
	s_delay_alu instid0(VALU_DEP_1)
	v_add_f64 v[2:3], v[124:125], -v[2:3]
	scratch_store_b64 off, v[2:3], off offset:264
	v_cmpx_lt_u32_e32 32, v0
	s_cbranch_execz .LBB58_299
; %bb.298:
	scratch_load_b64 v[3:4], off, off offset:256
	v_mov_b32_e32 v2, v1
	scratch_store_b64 off, v[1:2], off offset:256
	s_waitcnt vmcnt(0)
	ds_store_b64 v5, v[3:4]
.LBB58_299:
	s_or_b32 exec_lo, exec_lo, s0
	s_waitcnt lgkmcnt(0)
	s_waitcnt_vscnt null, 0x0
	s_barrier
	buffer_gl0_inv
	s_clause 0x4
	scratch_load_b128 v[124:127], off, off offset:256
	scratch_load_b128 v[128:131], off, off offset:272
	;; [unrolled: 1-line block ×5, first 2 shown]
	ds_load_2addr_b64 v[144:147], v1 offset0:93 offset1:94
	ds_load_2addr_b64 v[148:151], v1 offset0:95 offset1:96
	scratch_load_b128 v[152:155], off, off offset:336
	s_mov_b32 s0, exec_lo
	s_waitcnt vmcnt(5) lgkmcnt(1)
	v_fma_f64 v[2:3], v[126:127], v[144:145], 0
	s_waitcnt vmcnt(4)
	s_delay_alu instid0(VALU_DEP_1) | instskip(SKIP_4) | instid1(VALU_DEP_1)
	v_fma_f64 v[2:3], v[128:129], v[146:147], v[2:3]
	scratch_load_b128 v[126:129], off, off offset:352
	s_waitcnt lgkmcnt(0)
	v_fma_f64 v[2:3], v[130:131], v[148:149], v[2:3]
	s_waitcnt vmcnt(4)
	v_fma_f64 v[2:3], v[132:133], v[150:151], v[2:3]
	ds_load_2addr_b64 v[130:133], v1 offset0:97 offset1:98
	ds_load_2addr_b64 v[144:147], v1 offset0:99 offset1:100
	scratch_load_b128 v[148:151], off, off offset:368
	s_waitcnt lgkmcnt(1)
	v_fma_f64 v[2:3], v[134:135], v[130:131], v[2:3]
	s_waitcnt vmcnt(4)
	s_delay_alu instid0(VALU_DEP_1) | instskip(SKIP_4) | instid1(VALU_DEP_1)
	v_fma_f64 v[2:3], v[136:137], v[132:133], v[2:3]
	scratch_load_b128 v[130:133], off, off offset:384
	s_waitcnt lgkmcnt(0)
	v_fma_f64 v[2:3], v[138:139], v[144:145], v[2:3]
	s_waitcnt vmcnt(4)
	v_fma_f64 v[2:3], v[140:141], v[146:147], v[2:3]
	ds_load_2addr_b64 v[134:137], v1 offset0:101 offset1:102
	ds_load_2addr_b64 v[138:141], v1 offset0:103 offset1:104
	s_waitcnt lgkmcnt(1)
	v_fma_f64 v[2:3], v[142:143], v[134:135], v[2:3]
	scratch_load_b128 v[142:145], off, off offset:400
	s_waitcnt vmcnt(4)
	v_fma_f64 v[2:3], v[152:153], v[136:137], v[2:3]
	scratch_load_b128 v[134:137], off, off offset:416
	s_waitcnt lgkmcnt(0)
	v_fma_f64 v[2:3], v[154:155], v[138:139], v[2:3]
	s_waitcnt vmcnt(4)
	s_delay_alu instid0(VALU_DEP_1)
	v_fma_f64 v[2:3], v[126:127], v[140:141], v[2:3]
	ds_load_2addr_b64 v[138:141], v1 offset0:105 offset1:106
	ds_load_2addr_b64 v[152:155], v1 offset0:107 offset1:108
	s_waitcnt lgkmcnt(1)
	v_fma_f64 v[2:3], v[128:129], v[138:139], v[2:3]
	scratch_load_b128 v[126:129], off, off offset:432
	s_waitcnt vmcnt(4)
	v_fma_f64 v[2:3], v[148:149], v[140:141], v[2:3]
	scratch_load_b128 v[138:141], off, off offset:448
	s_waitcnt lgkmcnt(0)
	v_fma_f64 v[2:3], v[150:151], v[152:153], v[2:3]
	ds_load_2addr_b64 v[146:149], v1 offset0:109 offset1:110
	ds_load_2addr_b64 v[150:153], v1 offset0:111 offset1:112
	s_waitcnt vmcnt(4)
	v_fma_f64 v[2:3], v[130:131], v[154:155], v[2:3]
	s_waitcnt lgkmcnt(1)
	s_delay_alu instid0(VALU_DEP_1) | instskip(SKIP_4) | instid1(VALU_DEP_1)
	v_fma_f64 v[2:3], v[132:133], v[146:147], v[2:3]
	scratch_load_b64 v[146:147], off, off offset:464
	s_waitcnt vmcnt(4)
	v_fma_f64 v[2:3], v[142:143], v[148:149], v[2:3]
	s_waitcnt lgkmcnt(0)
	v_fma_f64 v[2:3], v[144:145], v[150:151], v[2:3]
	ds_load_2addr_b64 v[130:133], v1 offset0:113 offset1:114
	ds_load_2addr_b64 v[142:145], v1 offset0:115 offset1:116
	s_waitcnt vmcnt(3)
	v_fma_f64 v[2:3], v[134:135], v[152:153], v[2:3]
	s_waitcnt lgkmcnt(1)
	s_delay_alu instid0(VALU_DEP_1) | instskip(SKIP_1) | instid1(VALU_DEP_1)
	v_fma_f64 v[2:3], v[136:137], v[130:131], v[2:3]
	s_waitcnt vmcnt(2)
	v_fma_f64 v[2:3], v[126:127], v[132:133], v[2:3]
	s_waitcnt lgkmcnt(0)
	s_delay_alu instid0(VALU_DEP_1) | instskip(SKIP_1) | instid1(VALU_DEP_1)
	v_fma_f64 v[2:3], v[128:129], v[142:143], v[2:3]
	s_waitcnt vmcnt(1)
	v_fma_f64 v[126:127], v[138:139], v[144:145], v[2:3]
	ds_load_2addr_b64 v[1:4], v1 offset0:117 offset1:118
	s_waitcnt lgkmcnt(0)
	v_fma_f64 v[1:2], v[140:141], v[1:2], v[126:127]
	s_waitcnt vmcnt(0)
	s_delay_alu instid0(VALU_DEP_1) | instskip(NEXT) | instid1(VALU_DEP_1)
	v_fma_f64 v[1:2], v[146:147], v[3:4], v[1:2]
	v_add_f64 v[1:2], v[124:125], -v[1:2]
	scratch_store_b64 off, v[1:2], off offset:256
	v_cmpx_lt_u32_e32 31, v0
	s_cbranch_execz .LBB58_301
; %bb.300:
	scratch_load_b64 v[1:2], off, off offset:248
	v_mov_b32_e32 v3, 0
	s_delay_alu instid0(VALU_DEP_1)
	v_mov_b32_e32 v4, v3
	scratch_store_b64 off, v[3:4], off offset:248
	s_waitcnt vmcnt(0)
	ds_store_b64 v5, v[1:2]
.LBB58_301:
	s_or_b32 exec_lo, exec_lo, s0
	s_waitcnt lgkmcnt(0)
	s_waitcnt_vscnt null, 0x0
	s_barrier
	buffer_gl0_inv
	s_clause 0x4
	scratch_load_b128 v[124:127], off, off offset:248
	scratch_load_b128 v[128:131], off, off offset:264
	;; [unrolled: 1-line block ×5, first 2 shown]
	v_mov_b32_e32 v1, 0
	ds_load_b128 v[144:147], v1 offset:736
	ds_load_b128 v[148:151], v1 offset:752
	scratch_load_b128 v[152:155], off, off offset:328
	s_mov_b32 s0, exec_lo
	s_waitcnt vmcnt(5) lgkmcnt(1)
	v_fma_f64 v[2:3], v[126:127], v[144:145], 0
	s_waitcnt vmcnt(4)
	s_delay_alu instid0(VALU_DEP_1) | instskip(SKIP_4) | instid1(VALU_DEP_1)
	v_fma_f64 v[2:3], v[128:129], v[146:147], v[2:3]
	scratch_load_b128 v[126:129], off, off offset:344
	s_waitcnt lgkmcnt(0)
	v_fma_f64 v[2:3], v[130:131], v[148:149], v[2:3]
	s_waitcnt vmcnt(4)
	v_fma_f64 v[2:3], v[132:133], v[150:151], v[2:3]
	ds_load_b128 v[130:133], v1 offset:768
	ds_load_b128 v[144:147], v1 offset:784
	scratch_load_b128 v[148:151], off, off offset:360
	s_waitcnt lgkmcnt(1)
	v_fma_f64 v[2:3], v[134:135], v[130:131], v[2:3]
	s_waitcnt vmcnt(4)
	s_delay_alu instid0(VALU_DEP_1) | instskip(SKIP_4) | instid1(VALU_DEP_1)
	v_fma_f64 v[2:3], v[136:137], v[132:133], v[2:3]
	scratch_load_b128 v[130:133], off, off offset:376
	s_waitcnt lgkmcnt(0)
	v_fma_f64 v[2:3], v[138:139], v[144:145], v[2:3]
	s_waitcnt vmcnt(4)
	v_fma_f64 v[2:3], v[140:141], v[146:147], v[2:3]
	ds_load_b128 v[134:137], v1 offset:800
	ds_load_b128 v[138:141], v1 offset:816
	s_waitcnt lgkmcnt(1)
	v_fma_f64 v[2:3], v[142:143], v[134:135], v[2:3]
	scratch_load_b128 v[142:145], off, off offset:392
	s_waitcnt vmcnt(4)
	v_fma_f64 v[2:3], v[152:153], v[136:137], v[2:3]
	scratch_load_b128 v[134:137], off, off offset:408
	s_waitcnt lgkmcnt(0)
	v_fma_f64 v[2:3], v[154:155], v[138:139], v[2:3]
	s_waitcnt vmcnt(4)
	s_delay_alu instid0(VALU_DEP_1)
	v_fma_f64 v[2:3], v[126:127], v[140:141], v[2:3]
	ds_load_b128 v[138:141], v1 offset:832
	ds_load_b128 v[152:155], v1 offset:848
	s_waitcnt lgkmcnt(1)
	v_fma_f64 v[2:3], v[128:129], v[138:139], v[2:3]
	scratch_load_b128 v[126:129], off, off offset:424
	s_waitcnt vmcnt(4)
	v_fma_f64 v[2:3], v[148:149], v[140:141], v[2:3]
	scratch_load_b128 v[138:141], off, off offset:440
	s_waitcnt lgkmcnt(0)
	v_fma_f64 v[2:3], v[150:151], v[152:153], v[2:3]
	ds_load_b128 v[146:149], v1 offset:864
	ds_load_b128 v[150:153], v1 offset:880
	s_waitcnt vmcnt(4)
	v_fma_f64 v[2:3], v[130:131], v[154:155], v[2:3]
	s_waitcnt lgkmcnt(1)
	s_delay_alu instid0(VALU_DEP_1) | instskip(SKIP_4) | instid1(VALU_DEP_1)
	v_fma_f64 v[2:3], v[132:133], v[146:147], v[2:3]
	scratch_load_b128 v[130:133], off, off offset:456
	s_waitcnt vmcnt(4)
	v_fma_f64 v[2:3], v[142:143], v[148:149], v[2:3]
	s_waitcnt lgkmcnt(0)
	v_fma_f64 v[2:3], v[144:145], v[150:151], v[2:3]
	ds_load_b128 v[142:145], v1 offset:896
	ds_load_b128 v[146:149], v1 offset:912
	s_waitcnt vmcnt(3)
	v_fma_f64 v[2:3], v[134:135], v[152:153], v[2:3]
	s_waitcnt lgkmcnt(1)
	s_delay_alu instid0(VALU_DEP_1) | instskip(SKIP_1) | instid1(VALU_DEP_1)
	v_fma_f64 v[2:3], v[136:137], v[142:143], v[2:3]
	s_waitcnt vmcnt(2)
	v_fma_f64 v[2:3], v[126:127], v[144:145], v[2:3]
	s_waitcnt lgkmcnt(0)
	s_delay_alu instid0(VALU_DEP_1)
	v_fma_f64 v[2:3], v[128:129], v[146:147], v[2:3]
	ds_load_b128 v[126:129], v1 offset:928
	ds_load_b64 v[134:135], v1 offset:944
	s_waitcnt vmcnt(1)
	v_fma_f64 v[2:3], v[138:139], v[148:149], v[2:3]
	s_waitcnt lgkmcnt(1)
	s_delay_alu instid0(VALU_DEP_1) | instskip(SKIP_1) | instid1(VALU_DEP_1)
	v_fma_f64 v[2:3], v[140:141], v[126:127], v[2:3]
	s_waitcnt vmcnt(0)
	v_fma_f64 v[2:3], v[130:131], v[128:129], v[2:3]
	s_waitcnt lgkmcnt(0)
	s_delay_alu instid0(VALU_DEP_1) | instskip(NEXT) | instid1(VALU_DEP_1)
	v_fma_f64 v[2:3], v[132:133], v[134:135], v[2:3]
	v_add_f64 v[2:3], v[124:125], -v[2:3]
	scratch_store_b64 off, v[2:3], off offset:248
	v_cmpx_lt_u32_e32 30, v0
	s_cbranch_execz .LBB58_303
; %bb.302:
	scratch_load_b64 v[3:4], off, off offset:240
	v_mov_b32_e32 v2, v1
	scratch_store_b64 off, v[1:2], off offset:240
	s_waitcnt vmcnt(0)
	ds_store_b64 v5, v[3:4]
.LBB58_303:
	s_or_b32 exec_lo, exec_lo, s0
	s_waitcnt lgkmcnt(0)
	s_waitcnt_vscnt null, 0x0
	s_barrier
	buffer_gl0_inv
	s_clause 0x4
	scratch_load_b128 v[124:127], off, off offset:240
	scratch_load_b128 v[128:131], off, off offset:256
	;; [unrolled: 1-line block ×5, first 2 shown]
	ds_load_2addr_b64 v[144:147], v1 offset0:91 offset1:92
	ds_load_2addr_b64 v[148:151], v1 offset0:93 offset1:94
	scratch_load_b128 v[152:155], off, off offset:320
	s_mov_b32 s0, exec_lo
	s_waitcnt vmcnt(5) lgkmcnt(1)
	v_fma_f64 v[2:3], v[126:127], v[144:145], 0
	s_waitcnt vmcnt(4)
	s_delay_alu instid0(VALU_DEP_1) | instskip(SKIP_4) | instid1(VALU_DEP_1)
	v_fma_f64 v[2:3], v[128:129], v[146:147], v[2:3]
	scratch_load_b128 v[126:129], off, off offset:336
	s_waitcnt lgkmcnt(0)
	v_fma_f64 v[2:3], v[130:131], v[148:149], v[2:3]
	s_waitcnt vmcnt(4)
	v_fma_f64 v[2:3], v[132:133], v[150:151], v[2:3]
	ds_load_2addr_b64 v[130:133], v1 offset0:95 offset1:96
	ds_load_2addr_b64 v[144:147], v1 offset0:97 offset1:98
	scratch_load_b128 v[148:151], off, off offset:352
	s_waitcnt lgkmcnt(1)
	v_fma_f64 v[2:3], v[134:135], v[130:131], v[2:3]
	s_waitcnt vmcnt(4)
	s_delay_alu instid0(VALU_DEP_1) | instskip(SKIP_4) | instid1(VALU_DEP_1)
	v_fma_f64 v[2:3], v[136:137], v[132:133], v[2:3]
	scratch_load_b128 v[130:133], off, off offset:368
	s_waitcnt lgkmcnt(0)
	v_fma_f64 v[2:3], v[138:139], v[144:145], v[2:3]
	s_waitcnt vmcnt(4)
	v_fma_f64 v[2:3], v[140:141], v[146:147], v[2:3]
	ds_load_2addr_b64 v[134:137], v1 offset0:99 offset1:100
	ds_load_2addr_b64 v[138:141], v1 offset0:101 offset1:102
	s_waitcnt lgkmcnt(1)
	v_fma_f64 v[2:3], v[142:143], v[134:135], v[2:3]
	scratch_load_b128 v[142:145], off, off offset:384
	s_waitcnt vmcnt(4)
	v_fma_f64 v[2:3], v[152:153], v[136:137], v[2:3]
	scratch_load_b128 v[134:137], off, off offset:400
	s_waitcnt lgkmcnt(0)
	v_fma_f64 v[2:3], v[154:155], v[138:139], v[2:3]
	s_waitcnt vmcnt(4)
	s_delay_alu instid0(VALU_DEP_1)
	v_fma_f64 v[2:3], v[126:127], v[140:141], v[2:3]
	ds_load_2addr_b64 v[138:141], v1 offset0:103 offset1:104
	ds_load_2addr_b64 v[152:155], v1 offset0:105 offset1:106
	s_waitcnt lgkmcnt(1)
	v_fma_f64 v[2:3], v[128:129], v[138:139], v[2:3]
	scratch_load_b128 v[126:129], off, off offset:416
	s_waitcnt vmcnt(4)
	v_fma_f64 v[2:3], v[148:149], v[140:141], v[2:3]
	scratch_load_b128 v[138:141], off, off offset:432
	s_waitcnt lgkmcnt(0)
	v_fma_f64 v[2:3], v[150:151], v[152:153], v[2:3]
	ds_load_2addr_b64 v[146:149], v1 offset0:107 offset1:108
	ds_load_2addr_b64 v[150:153], v1 offset0:109 offset1:110
	s_waitcnt vmcnt(4)
	v_fma_f64 v[2:3], v[130:131], v[154:155], v[2:3]
	s_waitcnt lgkmcnt(1)
	s_delay_alu instid0(VALU_DEP_1) | instskip(SKIP_4) | instid1(VALU_DEP_1)
	v_fma_f64 v[2:3], v[132:133], v[146:147], v[2:3]
	scratch_load_b128 v[130:133], off, off offset:448
	s_waitcnt vmcnt(4)
	v_fma_f64 v[2:3], v[142:143], v[148:149], v[2:3]
	s_waitcnt lgkmcnt(0)
	v_fma_f64 v[2:3], v[144:145], v[150:151], v[2:3]
	scratch_load_b64 v[150:151], off, off offset:464
	ds_load_2addr_b64 v[142:145], v1 offset0:111 offset1:112
	ds_load_2addr_b64 v[146:149], v1 offset0:113 offset1:114
	s_waitcnt vmcnt(4)
	v_fma_f64 v[2:3], v[134:135], v[152:153], v[2:3]
	s_waitcnt lgkmcnt(1)
	s_delay_alu instid0(VALU_DEP_1) | instskip(SKIP_1) | instid1(VALU_DEP_1)
	v_fma_f64 v[2:3], v[136:137], v[142:143], v[2:3]
	s_waitcnt vmcnt(3)
	v_fma_f64 v[2:3], v[126:127], v[144:145], v[2:3]
	s_waitcnt lgkmcnt(0)
	s_delay_alu instid0(VALU_DEP_1) | instskip(SKIP_1) | instid1(VALU_DEP_1)
	v_fma_f64 v[2:3], v[128:129], v[146:147], v[2:3]
	s_waitcnt vmcnt(2)
	v_fma_f64 v[134:135], v[138:139], v[148:149], v[2:3]
	ds_load_2addr_b64 v[126:129], v1 offset0:115 offset1:116
	ds_load_2addr_b64 v[1:4], v1 offset0:117 offset1:118
	s_waitcnt lgkmcnt(1)
	v_fma_f64 v[126:127], v[140:141], v[126:127], v[134:135]
	s_waitcnt vmcnt(1)
	s_delay_alu instid0(VALU_DEP_1) | instskip(SKIP_1) | instid1(VALU_DEP_1)
	v_fma_f64 v[126:127], v[130:131], v[128:129], v[126:127]
	s_waitcnt lgkmcnt(0)
	v_fma_f64 v[1:2], v[132:133], v[1:2], v[126:127]
	s_waitcnt vmcnt(0)
	s_delay_alu instid0(VALU_DEP_1) | instskip(NEXT) | instid1(VALU_DEP_1)
	v_fma_f64 v[1:2], v[150:151], v[3:4], v[1:2]
	v_add_f64 v[1:2], v[124:125], -v[1:2]
	scratch_store_b64 off, v[1:2], off offset:240
	v_cmpx_lt_u32_e32 29, v0
	s_cbranch_execz .LBB58_305
; %bb.304:
	scratch_load_b64 v[1:2], off, off offset:232
	v_mov_b32_e32 v3, 0
	s_delay_alu instid0(VALU_DEP_1)
	v_mov_b32_e32 v4, v3
	scratch_store_b64 off, v[3:4], off offset:232
	s_waitcnt vmcnt(0)
	ds_store_b64 v5, v[1:2]
.LBB58_305:
	s_or_b32 exec_lo, exec_lo, s0
	s_waitcnt lgkmcnt(0)
	s_waitcnt_vscnt null, 0x0
	s_barrier
	buffer_gl0_inv
	s_clause 0x4
	scratch_load_b128 v[124:127], off, off offset:232
	scratch_load_b128 v[128:131], off, off offset:248
	;; [unrolled: 1-line block ×5, first 2 shown]
	v_mov_b32_e32 v1, 0
	ds_load_b128 v[144:147], v1 offset:720
	ds_load_b128 v[148:151], v1 offset:736
	scratch_load_b128 v[152:155], off, off offset:312
	s_mov_b32 s0, exec_lo
	s_waitcnt vmcnt(5) lgkmcnt(1)
	v_fma_f64 v[2:3], v[126:127], v[144:145], 0
	s_waitcnt vmcnt(4)
	s_delay_alu instid0(VALU_DEP_1) | instskip(SKIP_4) | instid1(VALU_DEP_1)
	v_fma_f64 v[2:3], v[128:129], v[146:147], v[2:3]
	scratch_load_b128 v[126:129], off, off offset:328
	s_waitcnt lgkmcnt(0)
	v_fma_f64 v[2:3], v[130:131], v[148:149], v[2:3]
	s_waitcnt vmcnt(4)
	v_fma_f64 v[2:3], v[132:133], v[150:151], v[2:3]
	ds_load_b128 v[130:133], v1 offset:752
	ds_load_b128 v[144:147], v1 offset:768
	scratch_load_b128 v[148:151], off, off offset:344
	s_waitcnt lgkmcnt(1)
	v_fma_f64 v[2:3], v[134:135], v[130:131], v[2:3]
	s_waitcnt vmcnt(4)
	s_delay_alu instid0(VALU_DEP_1) | instskip(SKIP_4) | instid1(VALU_DEP_1)
	v_fma_f64 v[2:3], v[136:137], v[132:133], v[2:3]
	scratch_load_b128 v[130:133], off, off offset:360
	s_waitcnt lgkmcnt(0)
	v_fma_f64 v[2:3], v[138:139], v[144:145], v[2:3]
	s_waitcnt vmcnt(4)
	v_fma_f64 v[2:3], v[140:141], v[146:147], v[2:3]
	ds_load_b128 v[134:137], v1 offset:784
	ds_load_b128 v[138:141], v1 offset:800
	s_waitcnt lgkmcnt(1)
	v_fma_f64 v[2:3], v[142:143], v[134:135], v[2:3]
	scratch_load_b128 v[142:145], off, off offset:376
	s_waitcnt vmcnt(4)
	v_fma_f64 v[2:3], v[152:153], v[136:137], v[2:3]
	scratch_load_b128 v[134:137], off, off offset:392
	s_waitcnt lgkmcnt(0)
	v_fma_f64 v[2:3], v[154:155], v[138:139], v[2:3]
	s_waitcnt vmcnt(4)
	s_delay_alu instid0(VALU_DEP_1)
	v_fma_f64 v[2:3], v[126:127], v[140:141], v[2:3]
	ds_load_b128 v[138:141], v1 offset:816
	ds_load_b128 v[152:155], v1 offset:832
	s_waitcnt lgkmcnt(1)
	v_fma_f64 v[2:3], v[128:129], v[138:139], v[2:3]
	scratch_load_b128 v[126:129], off, off offset:408
	s_waitcnt vmcnt(4)
	v_fma_f64 v[2:3], v[148:149], v[140:141], v[2:3]
	scratch_load_b128 v[138:141], off, off offset:424
	s_waitcnt lgkmcnt(0)
	v_fma_f64 v[2:3], v[150:151], v[152:153], v[2:3]
	ds_load_b128 v[146:149], v1 offset:848
	ds_load_b128 v[150:153], v1 offset:864
	s_waitcnt vmcnt(4)
	v_fma_f64 v[2:3], v[130:131], v[154:155], v[2:3]
	s_waitcnt lgkmcnt(1)
	s_delay_alu instid0(VALU_DEP_1) | instskip(SKIP_4) | instid1(VALU_DEP_1)
	v_fma_f64 v[2:3], v[132:133], v[146:147], v[2:3]
	scratch_load_b128 v[130:133], off, off offset:440
	s_waitcnt vmcnt(4)
	v_fma_f64 v[2:3], v[142:143], v[148:149], v[2:3]
	s_waitcnt lgkmcnt(0)
	v_fma_f64 v[2:3], v[144:145], v[150:151], v[2:3]
	scratch_load_b128 v[142:145], off, off offset:456
	s_waitcnt vmcnt(4)
	v_fma_f64 v[2:3], v[134:135], v[152:153], v[2:3]
	ds_load_b128 v[146:149], v1 offset:880
	ds_load_b128 v[150:153], v1 offset:896
	s_waitcnt lgkmcnt(1)
	v_fma_f64 v[2:3], v[136:137], v[146:147], v[2:3]
	s_waitcnt vmcnt(3)
	s_delay_alu instid0(VALU_DEP_1) | instskip(SKIP_1) | instid1(VALU_DEP_1)
	v_fma_f64 v[2:3], v[126:127], v[148:149], v[2:3]
	s_waitcnt lgkmcnt(0)
	v_fma_f64 v[2:3], v[128:129], v[150:151], v[2:3]
	ds_load_b128 v[126:129], v1 offset:912
	ds_load_b128 v[134:137], v1 offset:928
	s_waitcnt vmcnt(2)
	v_fma_f64 v[2:3], v[138:139], v[152:153], v[2:3]
	s_waitcnt lgkmcnt(1)
	s_delay_alu instid0(VALU_DEP_1) | instskip(SKIP_4) | instid1(VALU_DEP_1)
	v_fma_f64 v[2:3], v[140:141], v[126:127], v[2:3]
	ds_load_b64 v[126:127], v1 offset:944
	s_waitcnt vmcnt(1)
	v_fma_f64 v[2:3], v[130:131], v[128:129], v[2:3]
	s_waitcnt lgkmcnt(1)
	v_fma_f64 v[2:3], v[132:133], v[134:135], v[2:3]
	s_waitcnt vmcnt(0)
	s_delay_alu instid0(VALU_DEP_1) | instskip(SKIP_1) | instid1(VALU_DEP_1)
	v_fma_f64 v[2:3], v[142:143], v[136:137], v[2:3]
	s_waitcnt lgkmcnt(0)
	v_fma_f64 v[2:3], v[144:145], v[126:127], v[2:3]
	s_delay_alu instid0(VALU_DEP_1)
	v_add_f64 v[2:3], v[124:125], -v[2:3]
	scratch_store_b64 off, v[2:3], off offset:232
	v_cmpx_lt_u32_e32 28, v0
	s_cbranch_execz .LBB58_307
; %bb.306:
	scratch_load_b64 v[3:4], off, off offset:224
	v_mov_b32_e32 v2, v1
	scratch_store_b64 off, v[1:2], off offset:224
	s_waitcnt vmcnt(0)
	ds_store_b64 v5, v[3:4]
.LBB58_307:
	s_or_b32 exec_lo, exec_lo, s0
	s_waitcnt lgkmcnt(0)
	s_waitcnt_vscnt null, 0x0
	s_barrier
	buffer_gl0_inv
	s_clause 0x4
	scratch_load_b128 v[124:127], off, off offset:224
	scratch_load_b128 v[128:131], off, off offset:240
	;; [unrolled: 1-line block ×5, first 2 shown]
	ds_load_2addr_b64 v[144:147], v1 offset0:89 offset1:90
	ds_load_2addr_b64 v[148:151], v1 offset0:91 offset1:92
	scratch_load_b128 v[152:155], off, off offset:304
	s_mov_b32 s0, exec_lo
	s_waitcnt vmcnt(5) lgkmcnt(1)
	v_fma_f64 v[2:3], v[126:127], v[144:145], 0
	s_waitcnt vmcnt(4)
	s_delay_alu instid0(VALU_DEP_1) | instskip(SKIP_4) | instid1(VALU_DEP_1)
	v_fma_f64 v[2:3], v[128:129], v[146:147], v[2:3]
	scratch_load_b128 v[126:129], off, off offset:320
	s_waitcnt lgkmcnt(0)
	v_fma_f64 v[2:3], v[130:131], v[148:149], v[2:3]
	s_waitcnt vmcnt(4)
	v_fma_f64 v[2:3], v[132:133], v[150:151], v[2:3]
	ds_load_2addr_b64 v[130:133], v1 offset0:93 offset1:94
	ds_load_2addr_b64 v[144:147], v1 offset0:95 offset1:96
	scratch_load_b128 v[148:151], off, off offset:336
	s_waitcnt lgkmcnt(1)
	v_fma_f64 v[2:3], v[134:135], v[130:131], v[2:3]
	s_waitcnt vmcnt(4)
	s_delay_alu instid0(VALU_DEP_1) | instskip(SKIP_4) | instid1(VALU_DEP_1)
	v_fma_f64 v[2:3], v[136:137], v[132:133], v[2:3]
	scratch_load_b128 v[130:133], off, off offset:352
	s_waitcnt lgkmcnt(0)
	v_fma_f64 v[2:3], v[138:139], v[144:145], v[2:3]
	s_waitcnt vmcnt(4)
	v_fma_f64 v[2:3], v[140:141], v[146:147], v[2:3]
	ds_load_2addr_b64 v[134:137], v1 offset0:97 offset1:98
	ds_load_2addr_b64 v[138:141], v1 offset0:99 offset1:100
	s_waitcnt lgkmcnt(1)
	v_fma_f64 v[2:3], v[142:143], v[134:135], v[2:3]
	scratch_load_b128 v[142:145], off, off offset:368
	s_waitcnt vmcnt(4)
	v_fma_f64 v[2:3], v[152:153], v[136:137], v[2:3]
	scratch_load_b128 v[134:137], off, off offset:384
	s_waitcnt lgkmcnt(0)
	v_fma_f64 v[2:3], v[154:155], v[138:139], v[2:3]
	s_waitcnt vmcnt(4)
	s_delay_alu instid0(VALU_DEP_1)
	v_fma_f64 v[2:3], v[126:127], v[140:141], v[2:3]
	ds_load_2addr_b64 v[138:141], v1 offset0:101 offset1:102
	ds_load_2addr_b64 v[152:155], v1 offset0:103 offset1:104
	s_waitcnt lgkmcnt(1)
	v_fma_f64 v[2:3], v[128:129], v[138:139], v[2:3]
	scratch_load_b128 v[126:129], off, off offset:400
	s_waitcnt vmcnt(4)
	v_fma_f64 v[2:3], v[148:149], v[140:141], v[2:3]
	scratch_load_b128 v[138:141], off, off offset:416
	s_waitcnt lgkmcnt(0)
	v_fma_f64 v[2:3], v[150:151], v[152:153], v[2:3]
	ds_load_2addr_b64 v[146:149], v1 offset0:105 offset1:106
	ds_load_2addr_b64 v[150:153], v1 offset0:107 offset1:108
	s_waitcnt vmcnt(4)
	v_fma_f64 v[2:3], v[130:131], v[154:155], v[2:3]
	s_waitcnt lgkmcnt(1)
	s_delay_alu instid0(VALU_DEP_1) | instskip(SKIP_4) | instid1(VALU_DEP_1)
	v_fma_f64 v[2:3], v[132:133], v[146:147], v[2:3]
	scratch_load_b128 v[130:133], off, off offset:432
	s_waitcnt vmcnt(4)
	v_fma_f64 v[2:3], v[142:143], v[148:149], v[2:3]
	s_waitcnt lgkmcnt(0)
	v_fma_f64 v[2:3], v[144:145], v[150:151], v[2:3]
	scratch_load_b128 v[142:145], off, off offset:448
	s_waitcnt vmcnt(4)
	v_fma_f64 v[2:3], v[134:135], v[152:153], v[2:3]
	ds_load_2addr_b64 v[146:149], v1 offset0:109 offset1:110
	ds_load_2addr_b64 v[150:153], v1 offset0:111 offset1:112
	s_waitcnt lgkmcnt(1)
	v_fma_f64 v[2:3], v[136:137], v[146:147], v[2:3]
	scratch_load_b64 v[146:147], off, off offset:464
	s_waitcnt vmcnt(4)
	v_fma_f64 v[2:3], v[126:127], v[148:149], v[2:3]
	s_waitcnt lgkmcnt(0)
	s_delay_alu instid0(VALU_DEP_1)
	v_fma_f64 v[2:3], v[128:129], v[150:151], v[2:3]
	ds_load_2addr_b64 v[126:129], v1 offset0:113 offset1:114
	ds_load_2addr_b64 v[134:137], v1 offset0:115 offset1:116
	s_waitcnt vmcnt(3)
	v_fma_f64 v[2:3], v[138:139], v[152:153], v[2:3]
	s_waitcnt lgkmcnt(1)
	s_delay_alu instid0(VALU_DEP_1) | instskip(SKIP_1) | instid1(VALU_DEP_1)
	v_fma_f64 v[2:3], v[140:141], v[126:127], v[2:3]
	s_waitcnt vmcnt(2)
	v_fma_f64 v[2:3], v[130:131], v[128:129], v[2:3]
	s_waitcnt lgkmcnt(0)
	s_delay_alu instid0(VALU_DEP_1) | instskip(SKIP_1) | instid1(VALU_DEP_1)
	v_fma_f64 v[2:3], v[132:133], v[134:135], v[2:3]
	s_waitcnt vmcnt(1)
	v_fma_f64 v[126:127], v[142:143], v[136:137], v[2:3]
	ds_load_2addr_b64 v[1:4], v1 offset0:117 offset1:118
	s_waitcnt lgkmcnt(0)
	v_fma_f64 v[1:2], v[144:145], v[1:2], v[126:127]
	s_waitcnt vmcnt(0)
	s_delay_alu instid0(VALU_DEP_1) | instskip(NEXT) | instid1(VALU_DEP_1)
	v_fma_f64 v[1:2], v[146:147], v[3:4], v[1:2]
	v_add_f64 v[1:2], v[124:125], -v[1:2]
	scratch_store_b64 off, v[1:2], off offset:224
	v_cmpx_lt_u32_e32 27, v0
	s_cbranch_execz .LBB58_309
; %bb.308:
	scratch_load_b64 v[1:2], off, off offset:216
	v_mov_b32_e32 v3, 0
	s_delay_alu instid0(VALU_DEP_1)
	v_mov_b32_e32 v4, v3
	scratch_store_b64 off, v[3:4], off offset:216
	s_waitcnt vmcnt(0)
	ds_store_b64 v5, v[1:2]
.LBB58_309:
	s_or_b32 exec_lo, exec_lo, s0
	s_waitcnt lgkmcnt(0)
	s_waitcnt_vscnt null, 0x0
	s_barrier
	buffer_gl0_inv
	s_clause 0x4
	scratch_load_b128 v[124:127], off, off offset:216
	scratch_load_b128 v[128:131], off, off offset:232
	;; [unrolled: 1-line block ×5, first 2 shown]
	v_mov_b32_e32 v1, 0
	ds_load_b128 v[144:147], v1 offset:704
	ds_load_b128 v[148:151], v1 offset:720
	scratch_load_b128 v[152:155], off, off offset:296
	s_mov_b32 s0, exec_lo
	s_waitcnt vmcnt(5) lgkmcnt(1)
	v_fma_f64 v[2:3], v[126:127], v[144:145], 0
	s_waitcnt vmcnt(4)
	s_delay_alu instid0(VALU_DEP_1) | instskip(SKIP_4) | instid1(VALU_DEP_1)
	v_fma_f64 v[2:3], v[128:129], v[146:147], v[2:3]
	scratch_load_b128 v[126:129], off, off offset:312
	s_waitcnt lgkmcnt(0)
	v_fma_f64 v[2:3], v[130:131], v[148:149], v[2:3]
	s_waitcnt vmcnt(4)
	v_fma_f64 v[2:3], v[132:133], v[150:151], v[2:3]
	ds_load_b128 v[130:133], v1 offset:736
	ds_load_b128 v[144:147], v1 offset:752
	scratch_load_b128 v[148:151], off, off offset:328
	s_waitcnt lgkmcnt(1)
	v_fma_f64 v[2:3], v[134:135], v[130:131], v[2:3]
	s_waitcnt vmcnt(4)
	s_delay_alu instid0(VALU_DEP_1) | instskip(SKIP_4) | instid1(VALU_DEP_1)
	v_fma_f64 v[2:3], v[136:137], v[132:133], v[2:3]
	scratch_load_b128 v[130:133], off, off offset:344
	s_waitcnt lgkmcnt(0)
	v_fma_f64 v[2:3], v[138:139], v[144:145], v[2:3]
	s_waitcnt vmcnt(4)
	v_fma_f64 v[2:3], v[140:141], v[146:147], v[2:3]
	ds_load_b128 v[134:137], v1 offset:768
	ds_load_b128 v[138:141], v1 offset:784
	s_waitcnt lgkmcnt(1)
	v_fma_f64 v[2:3], v[142:143], v[134:135], v[2:3]
	scratch_load_b128 v[142:145], off, off offset:360
	s_waitcnt vmcnt(4)
	v_fma_f64 v[2:3], v[152:153], v[136:137], v[2:3]
	scratch_load_b128 v[134:137], off, off offset:376
	s_waitcnt lgkmcnt(0)
	v_fma_f64 v[2:3], v[154:155], v[138:139], v[2:3]
	s_waitcnt vmcnt(4)
	s_delay_alu instid0(VALU_DEP_1)
	v_fma_f64 v[2:3], v[126:127], v[140:141], v[2:3]
	ds_load_b128 v[138:141], v1 offset:800
	ds_load_b128 v[152:155], v1 offset:816
	s_waitcnt lgkmcnt(1)
	v_fma_f64 v[2:3], v[128:129], v[138:139], v[2:3]
	scratch_load_b128 v[126:129], off, off offset:392
	s_waitcnt vmcnt(4)
	v_fma_f64 v[2:3], v[148:149], v[140:141], v[2:3]
	scratch_load_b128 v[138:141], off, off offset:408
	s_waitcnt lgkmcnt(0)
	v_fma_f64 v[2:3], v[150:151], v[152:153], v[2:3]
	ds_load_b128 v[146:149], v1 offset:832
	ds_load_b128 v[150:153], v1 offset:848
	s_waitcnt vmcnt(4)
	v_fma_f64 v[2:3], v[130:131], v[154:155], v[2:3]
	s_waitcnt lgkmcnt(1)
	s_delay_alu instid0(VALU_DEP_1) | instskip(SKIP_4) | instid1(VALU_DEP_1)
	v_fma_f64 v[2:3], v[132:133], v[146:147], v[2:3]
	scratch_load_b128 v[130:133], off, off offset:424
	s_waitcnt vmcnt(4)
	v_fma_f64 v[2:3], v[142:143], v[148:149], v[2:3]
	s_waitcnt lgkmcnt(0)
	v_fma_f64 v[2:3], v[144:145], v[150:151], v[2:3]
	scratch_load_b128 v[142:145], off, off offset:440
	s_waitcnt vmcnt(4)
	v_fma_f64 v[2:3], v[134:135], v[152:153], v[2:3]
	ds_load_b128 v[146:149], v1 offset:864
	ds_load_b128 v[150:153], v1 offset:880
	s_waitcnt lgkmcnt(1)
	v_fma_f64 v[2:3], v[136:137], v[146:147], v[2:3]
	scratch_load_b128 v[134:137], off, off offset:456
	s_waitcnt vmcnt(4)
	v_fma_f64 v[2:3], v[126:127], v[148:149], v[2:3]
	s_waitcnt lgkmcnt(0)
	s_delay_alu instid0(VALU_DEP_1)
	v_fma_f64 v[2:3], v[128:129], v[150:151], v[2:3]
	ds_load_b128 v[126:129], v1 offset:896
	ds_load_b128 v[146:149], v1 offset:912
	s_waitcnt vmcnt(3)
	v_fma_f64 v[2:3], v[138:139], v[152:153], v[2:3]
	s_waitcnt lgkmcnt(1)
	s_delay_alu instid0(VALU_DEP_1) | instskip(SKIP_1) | instid1(VALU_DEP_1)
	v_fma_f64 v[2:3], v[140:141], v[126:127], v[2:3]
	s_waitcnt vmcnt(2)
	v_fma_f64 v[2:3], v[130:131], v[128:129], v[2:3]
	ds_load_b128 v[126:129], v1 offset:928
	ds_load_b64 v[130:131], v1 offset:944
	s_waitcnt lgkmcnt(2)
	v_fma_f64 v[2:3], v[132:133], v[146:147], v[2:3]
	s_waitcnt vmcnt(1)
	s_delay_alu instid0(VALU_DEP_1) | instskip(SKIP_1) | instid1(VALU_DEP_1)
	v_fma_f64 v[2:3], v[142:143], v[148:149], v[2:3]
	s_waitcnt lgkmcnt(1)
	v_fma_f64 v[2:3], v[144:145], v[126:127], v[2:3]
	s_waitcnt vmcnt(0)
	s_delay_alu instid0(VALU_DEP_1) | instskip(SKIP_1) | instid1(VALU_DEP_1)
	v_fma_f64 v[2:3], v[134:135], v[128:129], v[2:3]
	s_waitcnt lgkmcnt(0)
	v_fma_f64 v[2:3], v[136:137], v[130:131], v[2:3]
	s_delay_alu instid0(VALU_DEP_1)
	v_add_f64 v[2:3], v[124:125], -v[2:3]
	scratch_store_b64 off, v[2:3], off offset:216
	v_cmpx_lt_u32_e32 26, v0
	s_cbranch_execz .LBB58_311
; %bb.310:
	scratch_load_b64 v[3:4], off, off offset:208
	v_mov_b32_e32 v2, v1
	scratch_store_b64 off, v[1:2], off offset:208
	s_waitcnt vmcnt(0)
	ds_store_b64 v5, v[3:4]
.LBB58_311:
	s_or_b32 exec_lo, exec_lo, s0
	s_waitcnt lgkmcnt(0)
	s_waitcnt_vscnt null, 0x0
	s_barrier
	buffer_gl0_inv
	s_clause 0x4
	scratch_load_b128 v[124:127], off, off offset:208
	scratch_load_b128 v[128:131], off, off offset:224
	;; [unrolled: 1-line block ×5, first 2 shown]
	ds_load_2addr_b64 v[144:147], v1 offset0:87 offset1:88
	ds_load_2addr_b64 v[148:151], v1 offset0:89 offset1:90
	scratch_load_b128 v[152:155], off, off offset:288
	s_mov_b32 s0, exec_lo
	s_waitcnt vmcnt(5) lgkmcnt(1)
	v_fma_f64 v[2:3], v[126:127], v[144:145], 0
	s_waitcnt vmcnt(4)
	s_delay_alu instid0(VALU_DEP_1) | instskip(SKIP_4) | instid1(VALU_DEP_1)
	v_fma_f64 v[2:3], v[128:129], v[146:147], v[2:3]
	scratch_load_b128 v[126:129], off, off offset:304
	s_waitcnt lgkmcnt(0)
	v_fma_f64 v[2:3], v[130:131], v[148:149], v[2:3]
	s_waitcnt vmcnt(4)
	v_fma_f64 v[2:3], v[132:133], v[150:151], v[2:3]
	ds_load_2addr_b64 v[130:133], v1 offset0:91 offset1:92
	ds_load_2addr_b64 v[144:147], v1 offset0:93 offset1:94
	scratch_load_b128 v[148:151], off, off offset:320
	s_waitcnt lgkmcnt(1)
	v_fma_f64 v[2:3], v[134:135], v[130:131], v[2:3]
	s_waitcnt vmcnt(4)
	s_delay_alu instid0(VALU_DEP_1) | instskip(SKIP_4) | instid1(VALU_DEP_1)
	v_fma_f64 v[2:3], v[136:137], v[132:133], v[2:3]
	scratch_load_b128 v[130:133], off, off offset:336
	s_waitcnt lgkmcnt(0)
	v_fma_f64 v[2:3], v[138:139], v[144:145], v[2:3]
	s_waitcnt vmcnt(4)
	v_fma_f64 v[2:3], v[140:141], v[146:147], v[2:3]
	ds_load_2addr_b64 v[134:137], v1 offset0:95 offset1:96
	ds_load_2addr_b64 v[138:141], v1 offset0:97 offset1:98
	s_waitcnt lgkmcnt(1)
	v_fma_f64 v[2:3], v[142:143], v[134:135], v[2:3]
	scratch_load_b128 v[142:145], off, off offset:352
	s_waitcnt vmcnt(4)
	v_fma_f64 v[2:3], v[152:153], v[136:137], v[2:3]
	scratch_load_b128 v[134:137], off, off offset:368
	s_waitcnt lgkmcnt(0)
	v_fma_f64 v[2:3], v[154:155], v[138:139], v[2:3]
	s_waitcnt vmcnt(4)
	s_delay_alu instid0(VALU_DEP_1)
	v_fma_f64 v[2:3], v[126:127], v[140:141], v[2:3]
	ds_load_2addr_b64 v[138:141], v1 offset0:99 offset1:100
	ds_load_2addr_b64 v[152:155], v1 offset0:101 offset1:102
	s_waitcnt lgkmcnt(1)
	v_fma_f64 v[2:3], v[128:129], v[138:139], v[2:3]
	scratch_load_b128 v[126:129], off, off offset:384
	s_waitcnt vmcnt(4)
	v_fma_f64 v[2:3], v[148:149], v[140:141], v[2:3]
	scratch_load_b128 v[138:141], off, off offset:400
	s_waitcnt lgkmcnt(0)
	v_fma_f64 v[2:3], v[150:151], v[152:153], v[2:3]
	ds_load_2addr_b64 v[146:149], v1 offset0:103 offset1:104
	ds_load_2addr_b64 v[150:153], v1 offset0:105 offset1:106
	s_waitcnt vmcnt(4)
	v_fma_f64 v[2:3], v[130:131], v[154:155], v[2:3]
	s_waitcnt lgkmcnt(1)
	s_delay_alu instid0(VALU_DEP_1) | instskip(SKIP_4) | instid1(VALU_DEP_1)
	v_fma_f64 v[2:3], v[132:133], v[146:147], v[2:3]
	scratch_load_b128 v[130:133], off, off offset:416
	s_waitcnt vmcnt(4)
	v_fma_f64 v[2:3], v[142:143], v[148:149], v[2:3]
	s_waitcnt lgkmcnt(0)
	v_fma_f64 v[2:3], v[144:145], v[150:151], v[2:3]
	scratch_load_b128 v[142:145], off, off offset:432
	s_waitcnt vmcnt(4)
	v_fma_f64 v[2:3], v[134:135], v[152:153], v[2:3]
	ds_load_2addr_b64 v[146:149], v1 offset0:107 offset1:108
	ds_load_2addr_b64 v[150:153], v1 offset0:109 offset1:110
	s_waitcnt lgkmcnt(1)
	v_fma_f64 v[2:3], v[136:137], v[146:147], v[2:3]
	scratch_load_b128 v[134:137], off, off offset:448
	s_waitcnt vmcnt(4)
	v_fma_f64 v[2:3], v[126:127], v[148:149], v[2:3]
	s_waitcnt lgkmcnt(0)
	s_delay_alu instid0(VALU_DEP_1)
	v_fma_f64 v[2:3], v[128:129], v[150:151], v[2:3]
	scratch_load_b64 v[150:151], off, off offset:464
	ds_load_2addr_b64 v[126:129], v1 offset0:111 offset1:112
	ds_load_2addr_b64 v[146:149], v1 offset0:113 offset1:114
	s_waitcnt vmcnt(4)
	v_fma_f64 v[2:3], v[138:139], v[152:153], v[2:3]
	s_waitcnt lgkmcnt(1)
	s_delay_alu instid0(VALU_DEP_1) | instskip(SKIP_1) | instid1(VALU_DEP_1)
	v_fma_f64 v[2:3], v[140:141], v[126:127], v[2:3]
	s_waitcnt vmcnt(3)
	v_fma_f64 v[2:3], v[130:131], v[128:129], v[2:3]
	s_waitcnt lgkmcnt(0)
	s_delay_alu instid0(VALU_DEP_1) | instskip(SKIP_1) | instid1(VALU_DEP_1)
	v_fma_f64 v[2:3], v[132:133], v[146:147], v[2:3]
	s_waitcnt vmcnt(2)
	v_fma_f64 v[130:131], v[142:143], v[148:149], v[2:3]
	ds_load_2addr_b64 v[126:129], v1 offset0:115 offset1:116
	ds_load_2addr_b64 v[1:4], v1 offset0:117 offset1:118
	s_waitcnt lgkmcnt(1)
	v_fma_f64 v[126:127], v[144:145], v[126:127], v[130:131]
	s_waitcnt vmcnt(1)
	s_delay_alu instid0(VALU_DEP_1) | instskip(SKIP_1) | instid1(VALU_DEP_1)
	v_fma_f64 v[126:127], v[134:135], v[128:129], v[126:127]
	s_waitcnt lgkmcnt(0)
	v_fma_f64 v[1:2], v[136:137], v[1:2], v[126:127]
	s_waitcnt vmcnt(0)
	s_delay_alu instid0(VALU_DEP_1) | instskip(NEXT) | instid1(VALU_DEP_1)
	v_fma_f64 v[1:2], v[150:151], v[3:4], v[1:2]
	v_add_f64 v[1:2], v[124:125], -v[1:2]
	scratch_store_b64 off, v[1:2], off offset:208
	v_cmpx_lt_u32_e32 25, v0
	s_cbranch_execz .LBB58_313
; %bb.312:
	scratch_load_b64 v[1:2], off, off offset:200
	v_mov_b32_e32 v3, 0
	s_delay_alu instid0(VALU_DEP_1)
	v_mov_b32_e32 v4, v3
	scratch_store_b64 off, v[3:4], off offset:200
	s_waitcnt vmcnt(0)
	ds_store_b64 v5, v[1:2]
.LBB58_313:
	s_or_b32 exec_lo, exec_lo, s0
	s_waitcnt lgkmcnt(0)
	s_waitcnt_vscnt null, 0x0
	s_barrier
	buffer_gl0_inv
	s_clause 0x4
	scratch_load_b128 v[124:127], off, off offset:200
	scratch_load_b128 v[128:131], off, off offset:216
	;; [unrolled: 1-line block ×5, first 2 shown]
	v_mov_b32_e32 v1, 0
	ds_load_b128 v[144:147], v1 offset:688
	ds_load_b128 v[148:151], v1 offset:704
	scratch_load_b128 v[152:155], off, off offset:280
	s_mov_b32 s0, exec_lo
	s_waitcnt vmcnt(5) lgkmcnt(1)
	v_fma_f64 v[2:3], v[126:127], v[144:145], 0
	s_waitcnt vmcnt(4)
	s_delay_alu instid0(VALU_DEP_1) | instskip(SKIP_4) | instid1(VALU_DEP_1)
	v_fma_f64 v[2:3], v[128:129], v[146:147], v[2:3]
	scratch_load_b128 v[126:129], off, off offset:296
	s_waitcnt lgkmcnt(0)
	v_fma_f64 v[2:3], v[130:131], v[148:149], v[2:3]
	s_waitcnt vmcnt(4)
	v_fma_f64 v[2:3], v[132:133], v[150:151], v[2:3]
	ds_load_b128 v[130:133], v1 offset:720
	ds_load_b128 v[144:147], v1 offset:736
	scratch_load_b128 v[148:151], off, off offset:312
	s_waitcnt lgkmcnt(1)
	v_fma_f64 v[2:3], v[134:135], v[130:131], v[2:3]
	s_waitcnt vmcnt(4)
	s_delay_alu instid0(VALU_DEP_1) | instskip(SKIP_4) | instid1(VALU_DEP_1)
	v_fma_f64 v[2:3], v[136:137], v[132:133], v[2:3]
	scratch_load_b128 v[130:133], off, off offset:328
	s_waitcnt lgkmcnt(0)
	v_fma_f64 v[2:3], v[138:139], v[144:145], v[2:3]
	s_waitcnt vmcnt(4)
	v_fma_f64 v[2:3], v[140:141], v[146:147], v[2:3]
	ds_load_b128 v[134:137], v1 offset:752
	ds_load_b128 v[138:141], v1 offset:768
	s_waitcnt lgkmcnt(1)
	v_fma_f64 v[2:3], v[142:143], v[134:135], v[2:3]
	scratch_load_b128 v[142:145], off, off offset:344
	s_waitcnt vmcnt(4)
	v_fma_f64 v[2:3], v[152:153], v[136:137], v[2:3]
	scratch_load_b128 v[134:137], off, off offset:360
	s_waitcnt lgkmcnt(0)
	v_fma_f64 v[2:3], v[154:155], v[138:139], v[2:3]
	s_waitcnt vmcnt(4)
	s_delay_alu instid0(VALU_DEP_1)
	v_fma_f64 v[2:3], v[126:127], v[140:141], v[2:3]
	ds_load_b128 v[138:141], v1 offset:784
	ds_load_b128 v[152:155], v1 offset:800
	s_waitcnt lgkmcnt(1)
	v_fma_f64 v[2:3], v[128:129], v[138:139], v[2:3]
	scratch_load_b128 v[126:129], off, off offset:376
	s_waitcnt vmcnt(4)
	v_fma_f64 v[2:3], v[148:149], v[140:141], v[2:3]
	scratch_load_b128 v[138:141], off, off offset:392
	s_waitcnt lgkmcnt(0)
	v_fma_f64 v[2:3], v[150:151], v[152:153], v[2:3]
	ds_load_b128 v[146:149], v1 offset:816
	ds_load_b128 v[150:153], v1 offset:832
	s_waitcnt vmcnt(4)
	v_fma_f64 v[2:3], v[130:131], v[154:155], v[2:3]
	s_waitcnt lgkmcnt(1)
	s_delay_alu instid0(VALU_DEP_1) | instskip(SKIP_4) | instid1(VALU_DEP_1)
	v_fma_f64 v[2:3], v[132:133], v[146:147], v[2:3]
	scratch_load_b128 v[130:133], off, off offset:408
	s_waitcnt vmcnt(4)
	v_fma_f64 v[2:3], v[142:143], v[148:149], v[2:3]
	s_waitcnt lgkmcnt(0)
	v_fma_f64 v[2:3], v[144:145], v[150:151], v[2:3]
	scratch_load_b128 v[142:145], off, off offset:424
	s_waitcnt vmcnt(4)
	v_fma_f64 v[2:3], v[134:135], v[152:153], v[2:3]
	ds_load_b128 v[146:149], v1 offset:848
	ds_load_b128 v[150:153], v1 offset:864
	s_waitcnt lgkmcnt(1)
	v_fma_f64 v[2:3], v[136:137], v[146:147], v[2:3]
	scratch_load_b128 v[134:137], off, off offset:440
	s_waitcnt vmcnt(4)
	v_fma_f64 v[2:3], v[126:127], v[148:149], v[2:3]
	s_waitcnt lgkmcnt(0)
	s_delay_alu instid0(VALU_DEP_1)
	v_fma_f64 v[2:3], v[128:129], v[150:151], v[2:3]
	scratch_load_b128 v[126:129], off, off offset:456
	s_waitcnt vmcnt(4)
	v_fma_f64 v[2:3], v[138:139], v[152:153], v[2:3]
	ds_load_b128 v[146:149], v1 offset:880
	ds_load_b128 v[150:153], v1 offset:896
	s_waitcnt lgkmcnt(1)
	v_fma_f64 v[2:3], v[140:141], v[146:147], v[2:3]
	s_waitcnt vmcnt(3)
	s_delay_alu instid0(VALU_DEP_1) | instskip(SKIP_1) | instid1(VALU_DEP_1)
	v_fma_f64 v[2:3], v[130:131], v[148:149], v[2:3]
	s_waitcnt lgkmcnt(0)
	v_fma_f64 v[2:3], v[132:133], v[150:151], v[2:3]
	ds_load_b128 v[130:133], v1 offset:912
	ds_load_b128 v[138:141], v1 offset:928
	s_waitcnt vmcnt(2)
	v_fma_f64 v[2:3], v[142:143], v[152:153], v[2:3]
	s_waitcnt lgkmcnt(1)
	s_delay_alu instid0(VALU_DEP_1) | instskip(SKIP_1) | instid1(VALU_DEP_1)
	v_fma_f64 v[2:3], v[144:145], v[130:131], v[2:3]
	s_waitcnt vmcnt(1)
	v_fma_f64 v[2:3], v[134:135], v[132:133], v[2:3]
	s_waitcnt lgkmcnt(0)
	s_delay_alu instid0(VALU_DEP_1) | instskip(SKIP_1) | instid1(VALU_DEP_1)
	v_fma_f64 v[2:3], v[136:137], v[138:139], v[2:3]
	s_waitcnt vmcnt(0)
	v_fma_f64 v[2:3], v[126:127], v[140:141], v[2:3]
	ds_load_b64 v[126:127], v1 offset:944
	s_waitcnt lgkmcnt(0)
	v_fma_f64 v[2:3], v[128:129], v[126:127], v[2:3]
	s_delay_alu instid0(VALU_DEP_1)
	v_add_f64 v[2:3], v[124:125], -v[2:3]
	scratch_store_b64 off, v[2:3], off offset:200
	v_cmpx_lt_u32_e32 24, v0
	s_cbranch_execz .LBB58_315
; %bb.314:
	scratch_load_b64 v[3:4], off, off offset:192
	v_mov_b32_e32 v2, v1
	scratch_store_b64 off, v[1:2], off offset:192
	s_waitcnt vmcnt(0)
	ds_store_b64 v5, v[3:4]
.LBB58_315:
	s_or_b32 exec_lo, exec_lo, s0
	s_waitcnt lgkmcnt(0)
	s_waitcnt_vscnt null, 0x0
	s_barrier
	buffer_gl0_inv
	s_clause 0x4
	scratch_load_b128 v[124:127], off, off offset:192
	scratch_load_b128 v[128:131], off, off offset:208
	;; [unrolled: 1-line block ×5, first 2 shown]
	ds_load_2addr_b64 v[144:147], v1 offset0:85 offset1:86
	ds_load_2addr_b64 v[148:151], v1 offset0:87 offset1:88
	scratch_load_b128 v[152:155], off, off offset:272
	s_mov_b32 s0, exec_lo
	s_waitcnt vmcnt(5) lgkmcnt(1)
	v_fma_f64 v[2:3], v[126:127], v[144:145], 0
	s_waitcnt vmcnt(4)
	s_delay_alu instid0(VALU_DEP_1) | instskip(SKIP_4) | instid1(VALU_DEP_1)
	v_fma_f64 v[2:3], v[128:129], v[146:147], v[2:3]
	scratch_load_b128 v[126:129], off, off offset:288
	s_waitcnt lgkmcnt(0)
	v_fma_f64 v[2:3], v[130:131], v[148:149], v[2:3]
	s_waitcnt vmcnt(4)
	v_fma_f64 v[2:3], v[132:133], v[150:151], v[2:3]
	ds_load_2addr_b64 v[130:133], v1 offset0:89 offset1:90
	ds_load_2addr_b64 v[144:147], v1 offset0:91 offset1:92
	scratch_load_b128 v[148:151], off, off offset:304
	s_waitcnt lgkmcnt(1)
	v_fma_f64 v[2:3], v[134:135], v[130:131], v[2:3]
	s_waitcnt vmcnt(4)
	s_delay_alu instid0(VALU_DEP_1) | instskip(SKIP_4) | instid1(VALU_DEP_1)
	v_fma_f64 v[2:3], v[136:137], v[132:133], v[2:3]
	scratch_load_b128 v[130:133], off, off offset:320
	s_waitcnt lgkmcnt(0)
	v_fma_f64 v[2:3], v[138:139], v[144:145], v[2:3]
	s_waitcnt vmcnt(4)
	v_fma_f64 v[2:3], v[140:141], v[146:147], v[2:3]
	ds_load_2addr_b64 v[134:137], v1 offset0:93 offset1:94
	ds_load_2addr_b64 v[138:141], v1 offset0:95 offset1:96
	s_waitcnt lgkmcnt(1)
	v_fma_f64 v[2:3], v[142:143], v[134:135], v[2:3]
	scratch_load_b128 v[142:145], off, off offset:336
	s_waitcnt vmcnt(4)
	v_fma_f64 v[2:3], v[152:153], v[136:137], v[2:3]
	scratch_load_b128 v[134:137], off, off offset:352
	s_waitcnt lgkmcnt(0)
	v_fma_f64 v[2:3], v[154:155], v[138:139], v[2:3]
	s_waitcnt vmcnt(4)
	s_delay_alu instid0(VALU_DEP_1)
	v_fma_f64 v[2:3], v[126:127], v[140:141], v[2:3]
	ds_load_2addr_b64 v[138:141], v1 offset0:97 offset1:98
	ds_load_2addr_b64 v[152:155], v1 offset0:99 offset1:100
	s_waitcnt lgkmcnt(1)
	v_fma_f64 v[2:3], v[128:129], v[138:139], v[2:3]
	scratch_load_b128 v[126:129], off, off offset:368
	s_waitcnt vmcnt(4)
	v_fma_f64 v[2:3], v[148:149], v[140:141], v[2:3]
	scratch_load_b128 v[138:141], off, off offset:384
	s_waitcnt lgkmcnt(0)
	v_fma_f64 v[2:3], v[150:151], v[152:153], v[2:3]
	ds_load_2addr_b64 v[146:149], v1 offset0:101 offset1:102
	ds_load_2addr_b64 v[150:153], v1 offset0:103 offset1:104
	s_waitcnt vmcnt(4)
	v_fma_f64 v[2:3], v[130:131], v[154:155], v[2:3]
	s_waitcnt lgkmcnt(1)
	s_delay_alu instid0(VALU_DEP_1) | instskip(SKIP_4) | instid1(VALU_DEP_1)
	v_fma_f64 v[2:3], v[132:133], v[146:147], v[2:3]
	scratch_load_b128 v[130:133], off, off offset:400
	s_waitcnt vmcnt(4)
	v_fma_f64 v[2:3], v[142:143], v[148:149], v[2:3]
	s_waitcnt lgkmcnt(0)
	v_fma_f64 v[2:3], v[144:145], v[150:151], v[2:3]
	scratch_load_b128 v[142:145], off, off offset:416
	s_waitcnt vmcnt(4)
	v_fma_f64 v[2:3], v[134:135], v[152:153], v[2:3]
	ds_load_2addr_b64 v[146:149], v1 offset0:105 offset1:106
	ds_load_2addr_b64 v[150:153], v1 offset0:107 offset1:108
	s_waitcnt lgkmcnt(1)
	v_fma_f64 v[2:3], v[136:137], v[146:147], v[2:3]
	scratch_load_b128 v[134:137], off, off offset:432
	s_waitcnt vmcnt(4)
	v_fma_f64 v[2:3], v[126:127], v[148:149], v[2:3]
	s_waitcnt lgkmcnt(0)
	s_delay_alu instid0(VALU_DEP_1)
	v_fma_f64 v[2:3], v[128:129], v[150:151], v[2:3]
	scratch_load_b128 v[126:129], off, off offset:448
	s_waitcnt vmcnt(4)
	v_fma_f64 v[2:3], v[138:139], v[152:153], v[2:3]
	ds_load_2addr_b64 v[146:149], v1 offset0:109 offset1:110
	ds_load_2addr_b64 v[150:153], v1 offset0:111 offset1:112
	s_waitcnt lgkmcnt(1)
	v_fma_f64 v[2:3], v[140:141], v[146:147], v[2:3]
	scratch_load_b64 v[146:147], off, off offset:464
	s_waitcnt vmcnt(4)
	v_fma_f64 v[2:3], v[130:131], v[148:149], v[2:3]
	s_waitcnt lgkmcnt(0)
	s_delay_alu instid0(VALU_DEP_1)
	v_fma_f64 v[2:3], v[132:133], v[150:151], v[2:3]
	ds_load_2addr_b64 v[130:133], v1 offset0:113 offset1:114
	ds_load_2addr_b64 v[138:141], v1 offset0:115 offset1:116
	s_waitcnt vmcnt(3)
	v_fma_f64 v[2:3], v[142:143], v[152:153], v[2:3]
	s_waitcnt lgkmcnt(1)
	s_delay_alu instid0(VALU_DEP_1) | instskip(SKIP_1) | instid1(VALU_DEP_1)
	v_fma_f64 v[2:3], v[144:145], v[130:131], v[2:3]
	s_waitcnt vmcnt(2)
	v_fma_f64 v[2:3], v[134:135], v[132:133], v[2:3]
	s_waitcnt lgkmcnt(0)
	s_delay_alu instid0(VALU_DEP_1) | instskip(SKIP_1) | instid1(VALU_DEP_1)
	v_fma_f64 v[2:3], v[136:137], v[138:139], v[2:3]
	s_waitcnt vmcnt(1)
	v_fma_f64 v[126:127], v[126:127], v[140:141], v[2:3]
	ds_load_2addr_b64 v[1:4], v1 offset0:117 offset1:118
	s_waitcnt lgkmcnt(0)
	v_fma_f64 v[1:2], v[128:129], v[1:2], v[126:127]
	s_waitcnt vmcnt(0)
	s_delay_alu instid0(VALU_DEP_1) | instskip(NEXT) | instid1(VALU_DEP_1)
	v_fma_f64 v[1:2], v[146:147], v[3:4], v[1:2]
	v_add_f64 v[1:2], v[124:125], -v[1:2]
	scratch_store_b64 off, v[1:2], off offset:192
	v_cmpx_lt_u32_e32 23, v0
	s_cbranch_execz .LBB58_317
; %bb.316:
	scratch_load_b64 v[1:2], off, off offset:184
	v_mov_b32_e32 v3, 0
	s_delay_alu instid0(VALU_DEP_1)
	v_mov_b32_e32 v4, v3
	scratch_store_b64 off, v[3:4], off offset:184
	s_waitcnt vmcnt(0)
	ds_store_b64 v5, v[1:2]
.LBB58_317:
	s_or_b32 exec_lo, exec_lo, s0
	s_waitcnt lgkmcnt(0)
	s_waitcnt_vscnt null, 0x0
	s_barrier
	buffer_gl0_inv
	s_clause 0x4
	scratch_load_b128 v[124:127], off, off offset:184
	scratch_load_b128 v[128:131], off, off offset:200
	;; [unrolled: 1-line block ×5, first 2 shown]
	v_mov_b32_e32 v1, 0
	ds_load_b128 v[144:147], v1 offset:672
	ds_load_b128 v[148:151], v1 offset:688
	scratch_load_b128 v[152:155], off, off offset:264
	s_mov_b32 s0, exec_lo
	s_waitcnt vmcnt(5) lgkmcnt(1)
	v_fma_f64 v[2:3], v[126:127], v[144:145], 0
	s_waitcnt vmcnt(4)
	s_delay_alu instid0(VALU_DEP_1) | instskip(SKIP_4) | instid1(VALU_DEP_1)
	v_fma_f64 v[2:3], v[128:129], v[146:147], v[2:3]
	scratch_load_b128 v[126:129], off, off offset:280
	s_waitcnt lgkmcnt(0)
	v_fma_f64 v[2:3], v[130:131], v[148:149], v[2:3]
	s_waitcnt vmcnt(4)
	v_fma_f64 v[2:3], v[132:133], v[150:151], v[2:3]
	ds_load_b128 v[130:133], v1 offset:704
	ds_load_b128 v[144:147], v1 offset:720
	scratch_load_b128 v[148:151], off, off offset:296
	s_waitcnt lgkmcnt(1)
	v_fma_f64 v[2:3], v[134:135], v[130:131], v[2:3]
	s_waitcnt vmcnt(4)
	s_delay_alu instid0(VALU_DEP_1) | instskip(SKIP_4) | instid1(VALU_DEP_1)
	v_fma_f64 v[2:3], v[136:137], v[132:133], v[2:3]
	scratch_load_b128 v[130:133], off, off offset:312
	s_waitcnt lgkmcnt(0)
	v_fma_f64 v[2:3], v[138:139], v[144:145], v[2:3]
	s_waitcnt vmcnt(4)
	v_fma_f64 v[2:3], v[140:141], v[146:147], v[2:3]
	ds_load_b128 v[134:137], v1 offset:736
	ds_load_b128 v[138:141], v1 offset:752
	s_waitcnt lgkmcnt(1)
	v_fma_f64 v[2:3], v[142:143], v[134:135], v[2:3]
	scratch_load_b128 v[142:145], off, off offset:328
	s_waitcnt vmcnt(4)
	v_fma_f64 v[2:3], v[152:153], v[136:137], v[2:3]
	scratch_load_b128 v[134:137], off, off offset:344
	s_waitcnt lgkmcnt(0)
	v_fma_f64 v[2:3], v[154:155], v[138:139], v[2:3]
	s_waitcnt vmcnt(4)
	s_delay_alu instid0(VALU_DEP_1)
	v_fma_f64 v[2:3], v[126:127], v[140:141], v[2:3]
	ds_load_b128 v[138:141], v1 offset:768
	ds_load_b128 v[152:155], v1 offset:784
	s_waitcnt lgkmcnt(1)
	v_fma_f64 v[2:3], v[128:129], v[138:139], v[2:3]
	scratch_load_b128 v[126:129], off, off offset:360
	s_waitcnt vmcnt(4)
	v_fma_f64 v[2:3], v[148:149], v[140:141], v[2:3]
	scratch_load_b128 v[138:141], off, off offset:376
	s_waitcnt lgkmcnt(0)
	v_fma_f64 v[2:3], v[150:151], v[152:153], v[2:3]
	ds_load_b128 v[146:149], v1 offset:800
	ds_load_b128 v[150:153], v1 offset:816
	s_waitcnt vmcnt(4)
	v_fma_f64 v[2:3], v[130:131], v[154:155], v[2:3]
	s_waitcnt lgkmcnt(1)
	s_delay_alu instid0(VALU_DEP_1) | instskip(SKIP_4) | instid1(VALU_DEP_1)
	v_fma_f64 v[2:3], v[132:133], v[146:147], v[2:3]
	scratch_load_b128 v[130:133], off, off offset:392
	s_waitcnt vmcnt(4)
	v_fma_f64 v[2:3], v[142:143], v[148:149], v[2:3]
	s_waitcnt lgkmcnt(0)
	v_fma_f64 v[2:3], v[144:145], v[150:151], v[2:3]
	scratch_load_b128 v[142:145], off, off offset:408
	s_waitcnt vmcnt(4)
	v_fma_f64 v[2:3], v[134:135], v[152:153], v[2:3]
	ds_load_b128 v[146:149], v1 offset:832
	ds_load_b128 v[150:153], v1 offset:848
	s_waitcnt lgkmcnt(1)
	v_fma_f64 v[2:3], v[136:137], v[146:147], v[2:3]
	scratch_load_b128 v[134:137], off, off offset:424
	s_waitcnt vmcnt(4)
	v_fma_f64 v[2:3], v[126:127], v[148:149], v[2:3]
	s_waitcnt lgkmcnt(0)
	s_delay_alu instid0(VALU_DEP_1)
	v_fma_f64 v[2:3], v[128:129], v[150:151], v[2:3]
	scratch_load_b128 v[126:129], off, off offset:440
	s_waitcnt vmcnt(4)
	v_fma_f64 v[2:3], v[138:139], v[152:153], v[2:3]
	ds_load_b128 v[146:149], v1 offset:864
	ds_load_b128 v[150:153], v1 offset:880
	s_waitcnt lgkmcnt(1)
	v_fma_f64 v[2:3], v[140:141], v[146:147], v[2:3]
	scratch_load_b128 v[138:141], off, off offset:456
	s_waitcnt vmcnt(4)
	v_fma_f64 v[2:3], v[130:131], v[148:149], v[2:3]
	s_waitcnt lgkmcnt(0)
	s_delay_alu instid0(VALU_DEP_1)
	v_fma_f64 v[2:3], v[132:133], v[150:151], v[2:3]
	ds_load_b128 v[130:133], v1 offset:896
	ds_load_b128 v[146:149], v1 offset:912
	s_waitcnt vmcnt(3)
	v_fma_f64 v[2:3], v[142:143], v[152:153], v[2:3]
	s_waitcnt lgkmcnt(1)
	s_delay_alu instid0(VALU_DEP_1) | instskip(SKIP_1) | instid1(VALU_DEP_1)
	v_fma_f64 v[2:3], v[144:145], v[130:131], v[2:3]
	s_waitcnt vmcnt(2)
	v_fma_f64 v[2:3], v[134:135], v[132:133], v[2:3]
	s_waitcnt lgkmcnt(0)
	s_delay_alu instid0(VALU_DEP_1) | instskip(SKIP_1) | instid1(VALU_DEP_1)
	v_fma_f64 v[2:3], v[136:137], v[146:147], v[2:3]
	s_waitcnt vmcnt(1)
	v_fma_f64 v[2:3], v[126:127], v[148:149], v[2:3]
	ds_load_b128 v[130:133], v1 offset:928
	ds_load_b64 v[126:127], v1 offset:944
	s_waitcnt lgkmcnt(1)
	v_fma_f64 v[2:3], v[128:129], v[130:131], v[2:3]
	s_waitcnt vmcnt(0)
	s_delay_alu instid0(VALU_DEP_1) | instskip(SKIP_1) | instid1(VALU_DEP_1)
	v_fma_f64 v[2:3], v[138:139], v[132:133], v[2:3]
	s_waitcnt lgkmcnt(0)
	v_fma_f64 v[2:3], v[140:141], v[126:127], v[2:3]
	s_delay_alu instid0(VALU_DEP_1)
	v_add_f64 v[2:3], v[124:125], -v[2:3]
	scratch_store_b64 off, v[2:3], off offset:184
	v_cmpx_lt_u32_e32 22, v0
	s_cbranch_execz .LBB58_319
; %bb.318:
	scratch_load_b64 v[3:4], off, off offset:176
	v_mov_b32_e32 v2, v1
	scratch_store_b64 off, v[1:2], off offset:176
	s_waitcnt vmcnt(0)
	ds_store_b64 v5, v[3:4]
.LBB58_319:
	s_or_b32 exec_lo, exec_lo, s0
	s_waitcnt lgkmcnt(0)
	s_waitcnt_vscnt null, 0x0
	s_barrier
	buffer_gl0_inv
	s_clause 0x4
	scratch_load_b128 v[124:127], off, off offset:176
	scratch_load_b128 v[128:131], off, off offset:192
	;; [unrolled: 1-line block ×5, first 2 shown]
	ds_load_2addr_b64 v[144:147], v1 offset0:83 offset1:84
	ds_load_2addr_b64 v[148:151], v1 offset0:85 offset1:86
	scratch_load_b128 v[152:155], off, off offset:256
	s_mov_b32 s0, exec_lo
	s_waitcnt vmcnt(5) lgkmcnt(1)
	v_fma_f64 v[2:3], v[126:127], v[144:145], 0
	s_waitcnt vmcnt(4)
	s_delay_alu instid0(VALU_DEP_1) | instskip(SKIP_4) | instid1(VALU_DEP_1)
	v_fma_f64 v[2:3], v[128:129], v[146:147], v[2:3]
	scratch_load_b128 v[126:129], off, off offset:272
	s_waitcnt lgkmcnt(0)
	v_fma_f64 v[2:3], v[130:131], v[148:149], v[2:3]
	s_waitcnt vmcnt(4)
	v_fma_f64 v[2:3], v[132:133], v[150:151], v[2:3]
	ds_load_2addr_b64 v[130:133], v1 offset0:87 offset1:88
	ds_load_2addr_b64 v[144:147], v1 offset0:89 offset1:90
	scratch_load_b128 v[148:151], off, off offset:288
	s_waitcnt lgkmcnt(1)
	v_fma_f64 v[2:3], v[134:135], v[130:131], v[2:3]
	s_waitcnt vmcnt(4)
	s_delay_alu instid0(VALU_DEP_1) | instskip(SKIP_4) | instid1(VALU_DEP_1)
	v_fma_f64 v[2:3], v[136:137], v[132:133], v[2:3]
	scratch_load_b128 v[130:133], off, off offset:304
	s_waitcnt lgkmcnt(0)
	v_fma_f64 v[2:3], v[138:139], v[144:145], v[2:3]
	s_waitcnt vmcnt(4)
	v_fma_f64 v[2:3], v[140:141], v[146:147], v[2:3]
	ds_load_2addr_b64 v[134:137], v1 offset0:91 offset1:92
	ds_load_2addr_b64 v[138:141], v1 offset0:93 offset1:94
	s_waitcnt lgkmcnt(1)
	v_fma_f64 v[2:3], v[142:143], v[134:135], v[2:3]
	scratch_load_b128 v[142:145], off, off offset:320
	s_waitcnt vmcnt(4)
	v_fma_f64 v[2:3], v[152:153], v[136:137], v[2:3]
	scratch_load_b128 v[134:137], off, off offset:336
	s_waitcnt lgkmcnt(0)
	v_fma_f64 v[2:3], v[154:155], v[138:139], v[2:3]
	s_waitcnt vmcnt(4)
	s_delay_alu instid0(VALU_DEP_1)
	v_fma_f64 v[2:3], v[126:127], v[140:141], v[2:3]
	ds_load_2addr_b64 v[138:141], v1 offset0:95 offset1:96
	ds_load_2addr_b64 v[152:155], v1 offset0:97 offset1:98
	s_waitcnt lgkmcnt(1)
	v_fma_f64 v[2:3], v[128:129], v[138:139], v[2:3]
	scratch_load_b128 v[126:129], off, off offset:352
	s_waitcnt vmcnt(4)
	v_fma_f64 v[2:3], v[148:149], v[140:141], v[2:3]
	scratch_load_b128 v[138:141], off, off offset:368
	s_waitcnt lgkmcnt(0)
	v_fma_f64 v[2:3], v[150:151], v[152:153], v[2:3]
	ds_load_2addr_b64 v[146:149], v1 offset0:99 offset1:100
	ds_load_2addr_b64 v[150:153], v1 offset0:101 offset1:102
	s_waitcnt vmcnt(4)
	v_fma_f64 v[2:3], v[130:131], v[154:155], v[2:3]
	s_waitcnt lgkmcnt(1)
	s_delay_alu instid0(VALU_DEP_1) | instskip(SKIP_4) | instid1(VALU_DEP_1)
	v_fma_f64 v[2:3], v[132:133], v[146:147], v[2:3]
	scratch_load_b128 v[130:133], off, off offset:384
	s_waitcnt vmcnt(4)
	v_fma_f64 v[2:3], v[142:143], v[148:149], v[2:3]
	s_waitcnt lgkmcnt(0)
	v_fma_f64 v[2:3], v[144:145], v[150:151], v[2:3]
	scratch_load_b128 v[142:145], off, off offset:400
	s_waitcnt vmcnt(4)
	v_fma_f64 v[2:3], v[134:135], v[152:153], v[2:3]
	ds_load_2addr_b64 v[146:149], v1 offset0:103 offset1:104
	ds_load_2addr_b64 v[150:153], v1 offset0:105 offset1:106
	s_waitcnt lgkmcnt(1)
	v_fma_f64 v[2:3], v[136:137], v[146:147], v[2:3]
	scratch_load_b128 v[134:137], off, off offset:416
	s_waitcnt vmcnt(4)
	v_fma_f64 v[2:3], v[126:127], v[148:149], v[2:3]
	s_waitcnt lgkmcnt(0)
	s_delay_alu instid0(VALU_DEP_1)
	v_fma_f64 v[2:3], v[128:129], v[150:151], v[2:3]
	scratch_load_b128 v[126:129], off, off offset:432
	s_waitcnt vmcnt(4)
	v_fma_f64 v[2:3], v[138:139], v[152:153], v[2:3]
	ds_load_2addr_b64 v[146:149], v1 offset0:107 offset1:108
	ds_load_2addr_b64 v[150:153], v1 offset0:109 offset1:110
	s_waitcnt lgkmcnt(1)
	v_fma_f64 v[2:3], v[140:141], v[146:147], v[2:3]
	scratch_load_b128 v[138:141], off, off offset:448
	s_waitcnt vmcnt(4)
	v_fma_f64 v[2:3], v[130:131], v[148:149], v[2:3]
	s_waitcnt lgkmcnt(0)
	s_delay_alu instid0(VALU_DEP_1)
	v_fma_f64 v[2:3], v[132:133], v[150:151], v[2:3]
	scratch_load_b64 v[150:151], off, off offset:464
	ds_load_2addr_b64 v[130:133], v1 offset0:111 offset1:112
	ds_load_2addr_b64 v[146:149], v1 offset0:113 offset1:114
	s_waitcnt vmcnt(4)
	v_fma_f64 v[2:3], v[142:143], v[152:153], v[2:3]
	s_waitcnt lgkmcnt(1)
	s_delay_alu instid0(VALU_DEP_1) | instskip(SKIP_1) | instid1(VALU_DEP_1)
	v_fma_f64 v[2:3], v[144:145], v[130:131], v[2:3]
	s_waitcnt vmcnt(3)
	v_fma_f64 v[2:3], v[134:135], v[132:133], v[2:3]
	s_waitcnt lgkmcnt(0)
	s_delay_alu instid0(VALU_DEP_1) | instskip(SKIP_1) | instid1(VALU_DEP_1)
	v_fma_f64 v[2:3], v[136:137], v[146:147], v[2:3]
	s_waitcnt vmcnt(2)
	v_fma_f64 v[126:127], v[126:127], v[148:149], v[2:3]
	ds_load_2addr_b64 v[130:133], v1 offset0:115 offset1:116
	ds_load_2addr_b64 v[1:4], v1 offset0:117 offset1:118
	s_waitcnt lgkmcnt(1)
	v_fma_f64 v[126:127], v[128:129], v[130:131], v[126:127]
	s_waitcnt vmcnt(1)
	s_delay_alu instid0(VALU_DEP_1) | instskip(SKIP_1) | instid1(VALU_DEP_1)
	v_fma_f64 v[126:127], v[138:139], v[132:133], v[126:127]
	s_waitcnt lgkmcnt(0)
	v_fma_f64 v[1:2], v[140:141], v[1:2], v[126:127]
	s_waitcnt vmcnt(0)
	s_delay_alu instid0(VALU_DEP_1) | instskip(NEXT) | instid1(VALU_DEP_1)
	v_fma_f64 v[1:2], v[150:151], v[3:4], v[1:2]
	v_add_f64 v[1:2], v[124:125], -v[1:2]
	scratch_store_b64 off, v[1:2], off offset:176
	v_cmpx_lt_u32_e32 21, v0
	s_cbranch_execz .LBB58_321
; %bb.320:
	scratch_load_b64 v[1:2], off, off offset:168
	v_mov_b32_e32 v3, 0
	s_delay_alu instid0(VALU_DEP_1)
	v_mov_b32_e32 v4, v3
	scratch_store_b64 off, v[3:4], off offset:168
	s_waitcnt vmcnt(0)
	ds_store_b64 v5, v[1:2]
.LBB58_321:
	s_or_b32 exec_lo, exec_lo, s0
	s_waitcnt lgkmcnt(0)
	s_waitcnt_vscnt null, 0x0
	s_barrier
	buffer_gl0_inv
	s_clause 0x4
	scratch_load_b128 v[124:127], off, off offset:168
	scratch_load_b128 v[128:131], off, off offset:184
	;; [unrolled: 1-line block ×5, first 2 shown]
	v_mov_b32_e32 v1, 0
	ds_load_b128 v[144:147], v1 offset:656
	ds_load_b128 v[148:151], v1 offset:672
	scratch_load_b128 v[152:155], off, off offset:248
	s_mov_b32 s0, exec_lo
	s_waitcnt vmcnt(5) lgkmcnt(1)
	v_fma_f64 v[2:3], v[126:127], v[144:145], 0
	s_waitcnt vmcnt(4)
	s_delay_alu instid0(VALU_DEP_1) | instskip(SKIP_4) | instid1(VALU_DEP_1)
	v_fma_f64 v[2:3], v[128:129], v[146:147], v[2:3]
	scratch_load_b128 v[126:129], off, off offset:264
	s_waitcnt lgkmcnt(0)
	v_fma_f64 v[2:3], v[130:131], v[148:149], v[2:3]
	s_waitcnt vmcnt(4)
	v_fma_f64 v[2:3], v[132:133], v[150:151], v[2:3]
	ds_load_b128 v[130:133], v1 offset:688
	ds_load_b128 v[144:147], v1 offset:704
	scratch_load_b128 v[148:151], off, off offset:280
	s_waitcnt lgkmcnt(1)
	v_fma_f64 v[2:3], v[134:135], v[130:131], v[2:3]
	s_waitcnt vmcnt(4)
	s_delay_alu instid0(VALU_DEP_1) | instskip(SKIP_4) | instid1(VALU_DEP_1)
	v_fma_f64 v[2:3], v[136:137], v[132:133], v[2:3]
	scratch_load_b128 v[130:133], off, off offset:296
	s_waitcnt lgkmcnt(0)
	v_fma_f64 v[2:3], v[138:139], v[144:145], v[2:3]
	s_waitcnt vmcnt(4)
	v_fma_f64 v[2:3], v[140:141], v[146:147], v[2:3]
	ds_load_b128 v[134:137], v1 offset:720
	ds_load_b128 v[138:141], v1 offset:736
	s_waitcnt lgkmcnt(1)
	v_fma_f64 v[2:3], v[142:143], v[134:135], v[2:3]
	scratch_load_b128 v[142:145], off, off offset:312
	s_waitcnt vmcnt(4)
	v_fma_f64 v[2:3], v[152:153], v[136:137], v[2:3]
	scratch_load_b128 v[134:137], off, off offset:328
	s_waitcnt lgkmcnt(0)
	v_fma_f64 v[2:3], v[154:155], v[138:139], v[2:3]
	s_waitcnt vmcnt(4)
	s_delay_alu instid0(VALU_DEP_1)
	v_fma_f64 v[2:3], v[126:127], v[140:141], v[2:3]
	ds_load_b128 v[138:141], v1 offset:752
	ds_load_b128 v[152:155], v1 offset:768
	s_waitcnt lgkmcnt(1)
	v_fma_f64 v[2:3], v[128:129], v[138:139], v[2:3]
	scratch_load_b128 v[126:129], off, off offset:344
	s_waitcnt vmcnt(4)
	v_fma_f64 v[2:3], v[148:149], v[140:141], v[2:3]
	scratch_load_b128 v[138:141], off, off offset:360
	s_waitcnt lgkmcnt(0)
	v_fma_f64 v[2:3], v[150:151], v[152:153], v[2:3]
	ds_load_b128 v[146:149], v1 offset:784
	ds_load_b128 v[150:153], v1 offset:800
	s_waitcnt vmcnt(4)
	v_fma_f64 v[2:3], v[130:131], v[154:155], v[2:3]
	s_waitcnt lgkmcnt(1)
	s_delay_alu instid0(VALU_DEP_1) | instskip(SKIP_4) | instid1(VALU_DEP_1)
	v_fma_f64 v[2:3], v[132:133], v[146:147], v[2:3]
	scratch_load_b128 v[130:133], off, off offset:376
	s_waitcnt vmcnt(4)
	v_fma_f64 v[2:3], v[142:143], v[148:149], v[2:3]
	s_waitcnt lgkmcnt(0)
	v_fma_f64 v[2:3], v[144:145], v[150:151], v[2:3]
	scratch_load_b128 v[142:145], off, off offset:392
	s_waitcnt vmcnt(4)
	v_fma_f64 v[2:3], v[134:135], v[152:153], v[2:3]
	ds_load_b128 v[146:149], v1 offset:816
	ds_load_b128 v[150:153], v1 offset:832
	s_waitcnt lgkmcnt(1)
	v_fma_f64 v[2:3], v[136:137], v[146:147], v[2:3]
	scratch_load_b128 v[134:137], off, off offset:408
	s_waitcnt vmcnt(4)
	v_fma_f64 v[2:3], v[126:127], v[148:149], v[2:3]
	s_waitcnt lgkmcnt(0)
	s_delay_alu instid0(VALU_DEP_1)
	v_fma_f64 v[2:3], v[128:129], v[150:151], v[2:3]
	scratch_load_b128 v[126:129], off, off offset:424
	s_waitcnt vmcnt(4)
	v_fma_f64 v[2:3], v[138:139], v[152:153], v[2:3]
	ds_load_b128 v[146:149], v1 offset:848
	ds_load_b128 v[150:153], v1 offset:864
	s_waitcnt lgkmcnt(1)
	v_fma_f64 v[2:3], v[140:141], v[146:147], v[2:3]
	scratch_load_b128 v[138:141], off, off offset:440
	s_waitcnt vmcnt(4)
	v_fma_f64 v[2:3], v[130:131], v[148:149], v[2:3]
	s_waitcnt lgkmcnt(0)
	s_delay_alu instid0(VALU_DEP_1)
	v_fma_f64 v[2:3], v[132:133], v[150:151], v[2:3]
	scratch_load_b128 v[130:133], off, off offset:456
	s_waitcnt vmcnt(4)
	v_fma_f64 v[2:3], v[142:143], v[152:153], v[2:3]
	ds_load_b128 v[146:149], v1 offset:880
	ds_load_b128 v[150:153], v1 offset:896
	s_waitcnt lgkmcnt(1)
	v_fma_f64 v[2:3], v[144:145], v[146:147], v[2:3]
	s_waitcnt vmcnt(3)
	s_delay_alu instid0(VALU_DEP_1) | instskip(SKIP_1) | instid1(VALU_DEP_1)
	v_fma_f64 v[2:3], v[134:135], v[148:149], v[2:3]
	s_waitcnt lgkmcnt(0)
	v_fma_f64 v[2:3], v[136:137], v[150:151], v[2:3]
	ds_load_b128 v[134:137], v1 offset:912
	ds_load_b128 v[142:145], v1 offset:928
	s_waitcnt vmcnt(2)
	v_fma_f64 v[2:3], v[126:127], v[152:153], v[2:3]
	ds_load_b64 v[126:127], v1 offset:944
	s_waitcnt lgkmcnt(2)
	v_fma_f64 v[2:3], v[128:129], v[134:135], v[2:3]
	s_waitcnt vmcnt(1)
	s_delay_alu instid0(VALU_DEP_1) | instskip(SKIP_1) | instid1(VALU_DEP_1)
	v_fma_f64 v[2:3], v[138:139], v[136:137], v[2:3]
	s_waitcnt lgkmcnt(1)
	v_fma_f64 v[2:3], v[140:141], v[142:143], v[2:3]
	s_waitcnt vmcnt(0)
	s_delay_alu instid0(VALU_DEP_1) | instskip(SKIP_1) | instid1(VALU_DEP_1)
	v_fma_f64 v[2:3], v[130:131], v[144:145], v[2:3]
	s_waitcnt lgkmcnt(0)
	v_fma_f64 v[2:3], v[132:133], v[126:127], v[2:3]
	s_delay_alu instid0(VALU_DEP_1)
	v_add_f64 v[2:3], v[124:125], -v[2:3]
	scratch_store_b64 off, v[2:3], off offset:168
	v_cmpx_lt_u32_e32 20, v0
	s_cbranch_execz .LBB58_323
; %bb.322:
	scratch_load_b64 v[3:4], off, off offset:160
	v_mov_b32_e32 v2, v1
	scratch_store_b64 off, v[1:2], off offset:160
	s_waitcnt vmcnt(0)
	ds_store_b64 v5, v[3:4]
.LBB58_323:
	s_or_b32 exec_lo, exec_lo, s0
	s_waitcnt lgkmcnt(0)
	s_waitcnt_vscnt null, 0x0
	s_barrier
	buffer_gl0_inv
	s_clause 0x4
	scratch_load_b128 v[124:127], off, off offset:160
	scratch_load_b128 v[128:131], off, off offset:176
	;; [unrolled: 1-line block ×5, first 2 shown]
	ds_load_2addr_b64 v[144:147], v1 offset0:81 offset1:82
	ds_load_2addr_b64 v[148:151], v1 offset0:83 offset1:84
	scratch_load_b128 v[152:155], off, off offset:240
	s_mov_b32 s0, exec_lo
	s_waitcnt vmcnt(5) lgkmcnt(1)
	v_fma_f64 v[2:3], v[126:127], v[144:145], 0
	s_waitcnt vmcnt(4)
	s_delay_alu instid0(VALU_DEP_1) | instskip(SKIP_4) | instid1(VALU_DEP_1)
	v_fma_f64 v[2:3], v[128:129], v[146:147], v[2:3]
	scratch_load_b128 v[126:129], off, off offset:256
	s_waitcnt lgkmcnt(0)
	v_fma_f64 v[2:3], v[130:131], v[148:149], v[2:3]
	s_waitcnt vmcnt(4)
	v_fma_f64 v[2:3], v[132:133], v[150:151], v[2:3]
	ds_load_2addr_b64 v[130:133], v1 offset0:85 offset1:86
	ds_load_2addr_b64 v[144:147], v1 offset0:87 offset1:88
	scratch_load_b128 v[148:151], off, off offset:272
	s_waitcnt lgkmcnt(1)
	v_fma_f64 v[2:3], v[134:135], v[130:131], v[2:3]
	s_waitcnt vmcnt(4)
	s_delay_alu instid0(VALU_DEP_1) | instskip(SKIP_4) | instid1(VALU_DEP_1)
	v_fma_f64 v[2:3], v[136:137], v[132:133], v[2:3]
	scratch_load_b128 v[130:133], off, off offset:288
	s_waitcnt lgkmcnt(0)
	v_fma_f64 v[2:3], v[138:139], v[144:145], v[2:3]
	s_waitcnt vmcnt(4)
	v_fma_f64 v[2:3], v[140:141], v[146:147], v[2:3]
	ds_load_2addr_b64 v[134:137], v1 offset0:89 offset1:90
	ds_load_2addr_b64 v[138:141], v1 offset0:91 offset1:92
	s_waitcnt lgkmcnt(1)
	v_fma_f64 v[2:3], v[142:143], v[134:135], v[2:3]
	scratch_load_b128 v[142:145], off, off offset:304
	s_waitcnt vmcnt(4)
	v_fma_f64 v[2:3], v[152:153], v[136:137], v[2:3]
	scratch_load_b128 v[134:137], off, off offset:320
	s_waitcnt lgkmcnt(0)
	v_fma_f64 v[2:3], v[154:155], v[138:139], v[2:3]
	s_waitcnt vmcnt(4)
	s_delay_alu instid0(VALU_DEP_1)
	v_fma_f64 v[2:3], v[126:127], v[140:141], v[2:3]
	ds_load_2addr_b64 v[138:141], v1 offset0:93 offset1:94
	ds_load_2addr_b64 v[152:155], v1 offset0:95 offset1:96
	s_waitcnt lgkmcnt(1)
	v_fma_f64 v[2:3], v[128:129], v[138:139], v[2:3]
	scratch_load_b128 v[126:129], off, off offset:336
	s_waitcnt vmcnt(4)
	v_fma_f64 v[2:3], v[148:149], v[140:141], v[2:3]
	scratch_load_b128 v[138:141], off, off offset:352
	s_waitcnt lgkmcnt(0)
	v_fma_f64 v[2:3], v[150:151], v[152:153], v[2:3]
	ds_load_2addr_b64 v[146:149], v1 offset0:97 offset1:98
	ds_load_2addr_b64 v[150:153], v1 offset0:99 offset1:100
	s_waitcnt vmcnt(4)
	v_fma_f64 v[2:3], v[130:131], v[154:155], v[2:3]
	s_waitcnt lgkmcnt(1)
	s_delay_alu instid0(VALU_DEP_1) | instskip(SKIP_4) | instid1(VALU_DEP_1)
	v_fma_f64 v[2:3], v[132:133], v[146:147], v[2:3]
	scratch_load_b128 v[130:133], off, off offset:368
	s_waitcnt vmcnt(4)
	v_fma_f64 v[2:3], v[142:143], v[148:149], v[2:3]
	s_waitcnt lgkmcnt(0)
	v_fma_f64 v[2:3], v[144:145], v[150:151], v[2:3]
	scratch_load_b128 v[142:145], off, off offset:384
	s_waitcnt vmcnt(4)
	v_fma_f64 v[2:3], v[134:135], v[152:153], v[2:3]
	ds_load_2addr_b64 v[146:149], v1 offset0:101 offset1:102
	ds_load_2addr_b64 v[150:153], v1 offset0:103 offset1:104
	s_waitcnt lgkmcnt(1)
	v_fma_f64 v[2:3], v[136:137], v[146:147], v[2:3]
	scratch_load_b128 v[134:137], off, off offset:400
	s_waitcnt vmcnt(4)
	v_fma_f64 v[2:3], v[126:127], v[148:149], v[2:3]
	s_waitcnt lgkmcnt(0)
	s_delay_alu instid0(VALU_DEP_1)
	v_fma_f64 v[2:3], v[128:129], v[150:151], v[2:3]
	scratch_load_b128 v[126:129], off, off offset:416
	s_waitcnt vmcnt(4)
	v_fma_f64 v[2:3], v[138:139], v[152:153], v[2:3]
	ds_load_2addr_b64 v[146:149], v1 offset0:105 offset1:106
	ds_load_2addr_b64 v[150:153], v1 offset0:107 offset1:108
	s_waitcnt lgkmcnt(1)
	v_fma_f64 v[2:3], v[140:141], v[146:147], v[2:3]
	scratch_load_b128 v[138:141], off, off offset:432
	s_waitcnt vmcnt(4)
	v_fma_f64 v[2:3], v[130:131], v[148:149], v[2:3]
	s_waitcnt lgkmcnt(0)
	s_delay_alu instid0(VALU_DEP_1)
	v_fma_f64 v[2:3], v[132:133], v[150:151], v[2:3]
	scratch_load_b128 v[130:133], off, off offset:448
	s_waitcnt vmcnt(4)
	v_fma_f64 v[2:3], v[142:143], v[152:153], v[2:3]
	ds_load_2addr_b64 v[146:149], v1 offset0:109 offset1:110
	ds_load_2addr_b64 v[150:153], v1 offset0:111 offset1:112
	s_waitcnt lgkmcnt(1)
	v_fma_f64 v[2:3], v[144:145], v[146:147], v[2:3]
	scratch_load_b64 v[146:147], off, off offset:464
	s_waitcnt vmcnt(4)
	v_fma_f64 v[2:3], v[134:135], v[148:149], v[2:3]
	s_waitcnt lgkmcnt(0)
	s_delay_alu instid0(VALU_DEP_1)
	v_fma_f64 v[2:3], v[136:137], v[150:151], v[2:3]
	ds_load_2addr_b64 v[134:137], v1 offset0:113 offset1:114
	ds_load_2addr_b64 v[142:145], v1 offset0:115 offset1:116
	s_waitcnt vmcnt(3)
	v_fma_f64 v[2:3], v[126:127], v[152:153], v[2:3]
	s_waitcnt lgkmcnt(1)
	s_delay_alu instid0(VALU_DEP_1) | instskip(SKIP_1) | instid1(VALU_DEP_1)
	v_fma_f64 v[2:3], v[128:129], v[134:135], v[2:3]
	s_waitcnt vmcnt(2)
	v_fma_f64 v[2:3], v[138:139], v[136:137], v[2:3]
	s_waitcnt lgkmcnt(0)
	s_delay_alu instid0(VALU_DEP_1) | instskip(SKIP_1) | instid1(VALU_DEP_1)
	v_fma_f64 v[2:3], v[140:141], v[142:143], v[2:3]
	s_waitcnt vmcnt(1)
	v_fma_f64 v[126:127], v[130:131], v[144:145], v[2:3]
	ds_load_2addr_b64 v[1:4], v1 offset0:117 offset1:118
	s_waitcnt lgkmcnt(0)
	v_fma_f64 v[1:2], v[132:133], v[1:2], v[126:127]
	s_waitcnt vmcnt(0)
	s_delay_alu instid0(VALU_DEP_1) | instskip(NEXT) | instid1(VALU_DEP_1)
	v_fma_f64 v[1:2], v[146:147], v[3:4], v[1:2]
	v_add_f64 v[1:2], v[124:125], -v[1:2]
	scratch_store_b64 off, v[1:2], off offset:160
	v_cmpx_lt_u32_e32 19, v0
	s_cbranch_execz .LBB58_325
; %bb.324:
	scratch_load_b64 v[1:2], off, off offset:152
	v_mov_b32_e32 v3, 0
	s_delay_alu instid0(VALU_DEP_1)
	v_mov_b32_e32 v4, v3
	scratch_store_b64 off, v[3:4], off offset:152
	s_waitcnt vmcnt(0)
	ds_store_b64 v5, v[1:2]
.LBB58_325:
	s_or_b32 exec_lo, exec_lo, s0
	s_waitcnt lgkmcnt(0)
	s_waitcnt_vscnt null, 0x0
	s_barrier
	buffer_gl0_inv
	s_clause 0x4
	scratch_load_b128 v[124:127], off, off offset:152
	scratch_load_b128 v[128:131], off, off offset:168
	;; [unrolled: 1-line block ×5, first 2 shown]
	v_mov_b32_e32 v1, 0
	ds_load_b128 v[144:147], v1 offset:640
	ds_load_b128 v[148:151], v1 offset:656
	scratch_load_b128 v[152:155], off, off offset:232
	s_mov_b32 s0, exec_lo
	s_waitcnt vmcnt(5) lgkmcnt(1)
	v_fma_f64 v[2:3], v[126:127], v[144:145], 0
	s_waitcnt vmcnt(4)
	s_delay_alu instid0(VALU_DEP_1) | instskip(SKIP_4) | instid1(VALU_DEP_1)
	v_fma_f64 v[2:3], v[128:129], v[146:147], v[2:3]
	scratch_load_b128 v[126:129], off, off offset:248
	s_waitcnt lgkmcnt(0)
	v_fma_f64 v[2:3], v[130:131], v[148:149], v[2:3]
	s_waitcnt vmcnt(4)
	v_fma_f64 v[2:3], v[132:133], v[150:151], v[2:3]
	ds_load_b128 v[130:133], v1 offset:672
	ds_load_b128 v[144:147], v1 offset:688
	scratch_load_b128 v[148:151], off, off offset:264
	s_waitcnt lgkmcnt(1)
	v_fma_f64 v[2:3], v[134:135], v[130:131], v[2:3]
	s_waitcnt vmcnt(4)
	s_delay_alu instid0(VALU_DEP_1) | instskip(SKIP_4) | instid1(VALU_DEP_1)
	v_fma_f64 v[2:3], v[136:137], v[132:133], v[2:3]
	scratch_load_b128 v[130:133], off, off offset:280
	s_waitcnt lgkmcnt(0)
	v_fma_f64 v[2:3], v[138:139], v[144:145], v[2:3]
	s_waitcnt vmcnt(4)
	v_fma_f64 v[2:3], v[140:141], v[146:147], v[2:3]
	ds_load_b128 v[134:137], v1 offset:704
	ds_load_b128 v[138:141], v1 offset:720
	s_waitcnt lgkmcnt(1)
	v_fma_f64 v[2:3], v[142:143], v[134:135], v[2:3]
	scratch_load_b128 v[142:145], off, off offset:296
	s_waitcnt vmcnt(4)
	v_fma_f64 v[2:3], v[152:153], v[136:137], v[2:3]
	scratch_load_b128 v[134:137], off, off offset:312
	s_waitcnt lgkmcnt(0)
	v_fma_f64 v[2:3], v[154:155], v[138:139], v[2:3]
	s_waitcnt vmcnt(4)
	s_delay_alu instid0(VALU_DEP_1)
	v_fma_f64 v[2:3], v[126:127], v[140:141], v[2:3]
	ds_load_b128 v[138:141], v1 offset:736
	ds_load_b128 v[152:155], v1 offset:752
	s_waitcnt lgkmcnt(1)
	v_fma_f64 v[2:3], v[128:129], v[138:139], v[2:3]
	scratch_load_b128 v[126:129], off, off offset:328
	s_waitcnt vmcnt(4)
	v_fma_f64 v[2:3], v[148:149], v[140:141], v[2:3]
	scratch_load_b128 v[138:141], off, off offset:344
	s_waitcnt lgkmcnt(0)
	v_fma_f64 v[2:3], v[150:151], v[152:153], v[2:3]
	ds_load_b128 v[146:149], v1 offset:768
	ds_load_b128 v[150:153], v1 offset:784
	s_waitcnt vmcnt(4)
	v_fma_f64 v[2:3], v[130:131], v[154:155], v[2:3]
	s_waitcnt lgkmcnt(1)
	s_delay_alu instid0(VALU_DEP_1) | instskip(SKIP_4) | instid1(VALU_DEP_1)
	v_fma_f64 v[2:3], v[132:133], v[146:147], v[2:3]
	scratch_load_b128 v[130:133], off, off offset:360
	s_waitcnt vmcnt(4)
	v_fma_f64 v[2:3], v[142:143], v[148:149], v[2:3]
	s_waitcnt lgkmcnt(0)
	v_fma_f64 v[2:3], v[144:145], v[150:151], v[2:3]
	scratch_load_b128 v[142:145], off, off offset:376
	s_waitcnt vmcnt(4)
	v_fma_f64 v[2:3], v[134:135], v[152:153], v[2:3]
	ds_load_b128 v[146:149], v1 offset:800
	ds_load_b128 v[150:153], v1 offset:816
	s_waitcnt lgkmcnt(1)
	v_fma_f64 v[2:3], v[136:137], v[146:147], v[2:3]
	scratch_load_b128 v[134:137], off, off offset:392
	s_waitcnt vmcnt(4)
	v_fma_f64 v[2:3], v[126:127], v[148:149], v[2:3]
	s_waitcnt lgkmcnt(0)
	s_delay_alu instid0(VALU_DEP_1)
	v_fma_f64 v[2:3], v[128:129], v[150:151], v[2:3]
	scratch_load_b128 v[126:129], off, off offset:408
	s_waitcnt vmcnt(4)
	v_fma_f64 v[2:3], v[138:139], v[152:153], v[2:3]
	ds_load_b128 v[146:149], v1 offset:832
	ds_load_b128 v[150:153], v1 offset:848
	s_waitcnt lgkmcnt(1)
	v_fma_f64 v[2:3], v[140:141], v[146:147], v[2:3]
	scratch_load_b128 v[138:141], off, off offset:424
	s_waitcnt vmcnt(4)
	v_fma_f64 v[2:3], v[130:131], v[148:149], v[2:3]
	s_waitcnt lgkmcnt(0)
	s_delay_alu instid0(VALU_DEP_1)
	;; [unrolled: 13-line block ×3, first 2 shown]
	v_fma_f64 v[2:3], v[136:137], v[150:151], v[2:3]
	ds_load_b128 v[134:137], v1 offset:896
	ds_load_b128 v[146:149], v1 offset:912
	s_waitcnt vmcnt(3)
	v_fma_f64 v[2:3], v[126:127], v[152:153], v[2:3]
	s_waitcnt lgkmcnt(1)
	s_delay_alu instid0(VALU_DEP_1) | instskip(SKIP_1) | instid1(VALU_DEP_1)
	v_fma_f64 v[2:3], v[128:129], v[134:135], v[2:3]
	s_waitcnt vmcnt(2)
	v_fma_f64 v[2:3], v[138:139], v[136:137], v[2:3]
	s_waitcnt lgkmcnt(0)
	s_delay_alu instid0(VALU_DEP_1) | instskip(SKIP_1) | instid1(VALU_DEP_1)
	v_fma_f64 v[2:3], v[140:141], v[146:147], v[2:3]
	s_waitcnt vmcnt(1)
	v_fma_f64 v[2:3], v[130:131], v[148:149], v[2:3]
	ds_load_b128 v[126:129], v1 offset:928
	ds_load_b64 v[130:131], v1 offset:944
	s_waitcnt lgkmcnt(1)
	v_fma_f64 v[2:3], v[132:133], v[126:127], v[2:3]
	s_waitcnt vmcnt(0)
	s_delay_alu instid0(VALU_DEP_1) | instskip(SKIP_1) | instid1(VALU_DEP_1)
	v_fma_f64 v[2:3], v[142:143], v[128:129], v[2:3]
	s_waitcnt lgkmcnt(0)
	v_fma_f64 v[2:3], v[144:145], v[130:131], v[2:3]
	s_delay_alu instid0(VALU_DEP_1)
	v_add_f64 v[2:3], v[124:125], -v[2:3]
	scratch_store_b64 off, v[2:3], off offset:152
	v_cmpx_lt_u32_e32 18, v0
	s_cbranch_execz .LBB58_327
; %bb.326:
	scratch_load_b64 v[3:4], off, off offset:144
	v_mov_b32_e32 v2, v1
	scratch_store_b64 off, v[1:2], off offset:144
	s_waitcnt vmcnt(0)
	ds_store_b64 v5, v[3:4]
.LBB58_327:
	s_or_b32 exec_lo, exec_lo, s0
	s_waitcnt lgkmcnt(0)
	s_waitcnt_vscnt null, 0x0
	s_barrier
	buffer_gl0_inv
	s_clause 0x4
	scratch_load_b128 v[124:127], off, off offset:144
	scratch_load_b128 v[128:131], off, off offset:160
	;; [unrolled: 1-line block ×5, first 2 shown]
	ds_load_2addr_b64 v[144:147], v1 offset0:79 offset1:80
	ds_load_2addr_b64 v[148:151], v1 offset0:81 offset1:82
	scratch_load_b128 v[152:155], off, off offset:224
	s_mov_b32 s0, exec_lo
	s_waitcnt vmcnt(5) lgkmcnt(1)
	v_fma_f64 v[2:3], v[126:127], v[144:145], 0
	s_waitcnt vmcnt(4)
	s_delay_alu instid0(VALU_DEP_1) | instskip(SKIP_4) | instid1(VALU_DEP_1)
	v_fma_f64 v[2:3], v[128:129], v[146:147], v[2:3]
	scratch_load_b128 v[126:129], off, off offset:240
	s_waitcnt lgkmcnt(0)
	v_fma_f64 v[2:3], v[130:131], v[148:149], v[2:3]
	s_waitcnt vmcnt(4)
	v_fma_f64 v[2:3], v[132:133], v[150:151], v[2:3]
	ds_load_2addr_b64 v[130:133], v1 offset0:83 offset1:84
	ds_load_2addr_b64 v[144:147], v1 offset0:85 offset1:86
	scratch_load_b128 v[148:151], off, off offset:256
	s_waitcnt lgkmcnt(1)
	v_fma_f64 v[2:3], v[134:135], v[130:131], v[2:3]
	s_waitcnt vmcnt(4)
	s_delay_alu instid0(VALU_DEP_1) | instskip(SKIP_4) | instid1(VALU_DEP_1)
	v_fma_f64 v[2:3], v[136:137], v[132:133], v[2:3]
	scratch_load_b128 v[130:133], off, off offset:272
	s_waitcnt lgkmcnt(0)
	v_fma_f64 v[2:3], v[138:139], v[144:145], v[2:3]
	s_waitcnt vmcnt(4)
	v_fma_f64 v[2:3], v[140:141], v[146:147], v[2:3]
	ds_load_2addr_b64 v[134:137], v1 offset0:87 offset1:88
	ds_load_2addr_b64 v[138:141], v1 offset0:89 offset1:90
	s_waitcnt lgkmcnt(1)
	v_fma_f64 v[2:3], v[142:143], v[134:135], v[2:3]
	scratch_load_b128 v[142:145], off, off offset:288
	s_waitcnt vmcnt(4)
	v_fma_f64 v[2:3], v[152:153], v[136:137], v[2:3]
	scratch_load_b128 v[134:137], off, off offset:304
	s_waitcnt lgkmcnt(0)
	v_fma_f64 v[2:3], v[154:155], v[138:139], v[2:3]
	s_waitcnt vmcnt(4)
	s_delay_alu instid0(VALU_DEP_1)
	v_fma_f64 v[2:3], v[126:127], v[140:141], v[2:3]
	ds_load_2addr_b64 v[138:141], v1 offset0:91 offset1:92
	ds_load_2addr_b64 v[152:155], v1 offset0:93 offset1:94
	s_waitcnt lgkmcnt(1)
	v_fma_f64 v[2:3], v[128:129], v[138:139], v[2:3]
	scratch_load_b128 v[126:129], off, off offset:320
	s_waitcnt vmcnt(4)
	v_fma_f64 v[2:3], v[148:149], v[140:141], v[2:3]
	scratch_load_b128 v[138:141], off, off offset:336
	s_waitcnt lgkmcnt(0)
	v_fma_f64 v[2:3], v[150:151], v[152:153], v[2:3]
	ds_load_2addr_b64 v[146:149], v1 offset0:95 offset1:96
	ds_load_2addr_b64 v[150:153], v1 offset0:97 offset1:98
	s_waitcnt vmcnt(4)
	v_fma_f64 v[2:3], v[130:131], v[154:155], v[2:3]
	s_waitcnt lgkmcnt(1)
	s_delay_alu instid0(VALU_DEP_1) | instskip(SKIP_4) | instid1(VALU_DEP_1)
	v_fma_f64 v[2:3], v[132:133], v[146:147], v[2:3]
	scratch_load_b128 v[130:133], off, off offset:352
	s_waitcnt vmcnt(4)
	v_fma_f64 v[2:3], v[142:143], v[148:149], v[2:3]
	s_waitcnt lgkmcnt(0)
	v_fma_f64 v[2:3], v[144:145], v[150:151], v[2:3]
	scratch_load_b128 v[142:145], off, off offset:368
	s_waitcnt vmcnt(4)
	v_fma_f64 v[2:3], v[134:135], v[152:153], v[2:3]
	ds_load_2addr_b64 v[146:149], v1 offset0:99 offset1:100
	ds_load_2addr_b64 v[150:153], v1 offset0:101 offset1:102
	s_waitcnt lgkmcnt(1)
	v_fma_f64 v[2:3], v[136:137], v[146:147], v[2:3]
	scratch_load_b128 v[134:137], off, off offset:384
	s_waitcnt vmcnt(4)
	v_fma_f64 v[2:3], v[126:127], v[148:149], v[2:3]
	s_waitcnt lgkmcnt(0)
	s_delay_alu instid0(VALU_DEP_1)
	v_fma_f64 v[2:3], v[128:129], v[150:151], v[2:3]
	scratch_load_b128 v[126:129], off, off offset:400
	s_waitcnt vmcnt(4)
	v_fma_f64 v[2:3], v[138:139], v[152:153], v[2:3]
	ds_load_2addr_b64 v[146:149], v1 offset0:103 offset1:104
	ds_load_2addr_b64 v[150:153], v1 offset0:105 offset1:106
	s_waitcnt lgkmcnt(1)
	v_fma_f64 v[2:3], v[140:141], v[146:147], v[2:3]
	scratch_load_b128 v[138:141], off, off offset:416
	s_waitcnt vmcnt(4)
	v_fma_f64 v[2:3], v[130:131], v[148:149], v[2:3]
	s_waitcnt lgkmcnt(0)
	s_delay_alu instid0(VALU_DEP_1)
	;; [unrolled: 13-line block ×3, first 2 shown]
	v_fma_f64 v[2:3], v[136:137], v[150:151], v[2:3]
	scratch_load_b64 v[150:151], off, off offset:464
	ds_load_2addr_b64 v[134:137], v1 offset0:111 offset1:112
	ds_load_2addr_b64 v[146:149], v1 offset0:113 offset1:114
	s_waitcnt vmcnt(4)
	v_fma_f64 v[2:3], v[126:127], v[152:153], v[2:3]
	s_waitcnt lgkmcnt(1)
	s_delay_alu instid0(VALU_DEP_1) | instskip(SKIP_1) | instid1(VALU_DEP_1)
	v_fma_f64 v[2:3], v[128:129], v[134:135], v[2:3]
	s_waitcnt vmcnt(3)
	v_fma_f64 v[2:3], v[138:139], v[136:137], v[2:3]
	s_waitcnt lgkmcnt(0)
	s_delay_alu instid0(VALU_DEP_1) | instskip(SKIP_1) | instid1(VALU_DEP_1)
	v_fma_f64 v[2:3], v[140:141], v[146:147], v[2:3]
	s_waitcnt vmcnt(2)
	v_fma_f64 v[130:131], v[130:131], v[148:149], v[2:3]
	ds_load_2addr_b64 v[126:129], v1 offset0:115 offset1:116
	ds_load_2addr_b64 v[1:4], v1 offset0:117 offset1:118
	s_waitcnt lgkmcnt(1)
	v_fma_f64 v[126:127], v[132:133], v[126:127], v[130:131]
	s_waitcnt vmcnt(1)
	s_delay_alu instid0(VALU_DEP_1) | instskip(SKIP_1) | instid1(VALU_DEP_1)
	v_fma_f64 v[126:127], v[142:143], v[128:129], v[126:127]
	s_waitcnt lgkmcnt(0)
	v_fma_f64 v[1:2], v[144:145], v[1:2], v[126:127]
	s_waitcnt vmcnt(0)
	s_delay_alu instid0(VALU_DEP_1) | instskip(NEXT) | instid1(VALU_DEP_1)
	v_fma_f64 v[1:2], v[150:151], v[3:4], v[1:2]
	v_add_f64 v[1:2], v[124:125], -v[1:2]
	scratch_store_b64 off, v[1:2], off offset:144
	v_cmpx_lt_u32_e32 17, v0
	s_cbranch_execz .LBB58_329
; %bb.328:
	scratch_load_b64 v[1:2], off, off offset:136
	v_mov_b32_e32 v3, 0
	s_delay_alu instid0(VALU_DEP_1)
	v_mov_b32_e32 v4, v3
	scratch_store_b64 off, v[3:4], off offset:136
	s_waitcnt vmcnt(0)
	ds_store_b64 v5, v[1:2]
.LBB58_329:
	s_or_b32 exec_lo, exec_lo, s0
	s_waitcnt lgkmcnt(0)
	s_waitcnt_vscnt null, 0x0
	s_barrier
	buffer_gl0_inv
	s_clause 0x4
	scratch_load_b128 v[124:127], off, off offset:136
	scratch_load_b128 v[128:131], off, off offset:152
	;; [unrolled: 1-line block ×5, first 2 shown]
	v_mov_b32_e32 v1, 0
	ds_load_b128 v[144:147], v1 offset:624
	ds_load_b128 v[148:151], v1 offset:640
	scratch_load_b128 v[152:155], off, off offset:216
	s_mov_b32 s0, exec_lo
	s_waitcnt vmcnt(5) lgkmcnt(1)
	v_fma_f64 v[2:3], v[126:127], v[144:145], 0
	s_waitcnt vmcnt(4)
	s_delay_alu instid0(VALU_DEP_1) | instskip(SKIP_4) | instid1(VALU_DEP_1)
	v_fma_f64 v[2:3], v[128:129], v[146:147], v[2:3]
	scratch_load_b128 v[126:129], off, off offset:232
	s_waitcnt lgkmcnt(0)
	v_fma_f64 v[2:3], v[130:131], v[148:149], v[2:3]
	s_waitcnt vmcnt(4)
	v_fma_f64 v[2:3], v[132:133], v[150:151], v[2:3]
	ds_load_b128 v[130:133], v1 offset:656
	ds_load_b128 v[144:147], v1 offset:672
	scratch_load_b128 v[148:151], off, off offset:248
	s_waitcnt lgkmcnt(1)
	v_fma_f64 v[2:3], v[134:135], v[130:131], v[2:3]
	s_waitcnt vmcnt(4)
	s_delay_alu instid0(VALU_DEP_1) | instskip(SKIP_4) | instid1(VALU_DEP_1)
	v_fma_f64 v[2:3], v[136:137], v[132:133], v[2:3]
	scratch_load_b128 v[130:133], off, off offset:264
	s_waitcnt lgkmcnt(0)
	v_fma_f64 v[2:3], v[138:139], v[144:145], v[2:3]
	s_waitcnt vmcnt(4)
	v_fma_f64 v[2:3], v[140:141], v[146:147], v[2:3]
	ds_load_b128 v[134:137], v1 offset:688
	ds_load_b128 v[138:141], v1 offset:704
	s_waitcnt lgkmcnt(1)
	v_fma_f64 v[2:3], v[142:143], v[134:135], v[2:3]
	scratch_load_b128 v[142:145], off, off offset:280
	s_waitcnt vmcnt(4)
	v_fma_f64 v[2:3], v[152:153], v[136:137], v[2:3]
	scratch_load_b128 v[134:137], off, off offset:296
	s_waitcnt lgkmcnt(0)
	v_fma_f64 v[2:3], v[154:155], v[138:139], v[2:3]
	s_waitcnt vmcnt(4)
	s_delay_alu instid0(VALU_DEP_1)
	v_fma_f64 v[2:3], v[126:127], v[140:141], v[2:3]
	ds_load_b128 v[138:141], v1 offset:720
	ds_load_b128 v[152:155], v1 offset:736
	s_waitcnt lgkmcnt(1)
	v_fma_f64 v[2:3], v[128:129], v[138:139], v[2:3]
	scratch_load_b128 v[126:129], off, off offset:312
	s_waitcnt vmcnt(4)
	v_fma_f64 v[2:3], v[148:149], v[140:141], v[2:3]
	scratch_load_b128 v[138:141], off, off offset:328
	s_waitcnt lgkmcnt(0)
	v_fma_f64 v[2:3], v[150:151], v[152:153], v[2:3]
	ds_load_b128 v[146:149], v1 offset:752
	ds_load_b128 v[150:153], v1 offset:768
	s_waitcnt vmcnt(4)
	v_fma_f64 v[2:3], v[130:131], v[154:155], v[2:3]
	s_waitcnt lgkmcnt(1)
	s_delay_alu instid0(VALU_DEP_1) | instskip(SKIP_4) | instid1(VALU_DEP_1)
	v_fma_f64 v[2:3], v[132:133], v[146:147], v[2:3]
	scratch_load_b128 v[130:133], off, off offset:344
	s_waitcnt vmcnt(4)
	v_fma_f64 v[2:3], v[142:143], v[148:149], v[2:3]
	s_waitcnt lgkmcnt(0)
	v_fma_f64 v[2:3], v[144:145], v[150:151], v[2:3]
	scratch_load_b128 v[142:145], off, off offset:360
	s_waitcnt vmcnt(4)
	v_fma_f64 v[2:3], v[134:135], v[152:153], v[2:3]
	ds_load_b128 v[146:149], v1 offset:784
	ds_load_b128 v[150:153], v1 offset:800
	s_waitcnt lgkmcnt(1)
	v_fma_f64 v[2:3], v[136:137], v[146:147], v[2:3]
	scratch_load_b128 v[134:137], off, off offset:376
	s_waitcnt vmcnt(4)
	v_fma_f64 v[2:3], v[126:127], v[148:149], v[2:3]
	s_waitcnt lgkmcnt(0)
	s_delay_alu instid0(VALU_DEP_1)
	v_fma_f64 v[2:3], v[128:129], v[150:151], v[2:3]
	scratch_load_b128 v[126:129], off, off offset:392
	s_waitcnt vmcnt(4)
	v_fma_f64 v[2:3], v[138:139], v[152:153], v[2:3]
	ds_load_b128 v[146:149], v1 offset:816
	ds_load_b128 v[150:153], v1 offset:832
	s_waitcnt lgkmcnt(1)
	v_fma_f64 v[2:3], v[140:141], v[146:147], v[2:3]
	scratch_load_b128 v[138:141], off, off offset:408
	s_waitcnt vmcnt(4)
	v_fma_f64 v[2:3], v[130:131], v[148:149], v[2:3]
	s_waitcnt lgkmcnt(0)
	s_delay_alu instid0(VALU_DEP_1)
	;; [unrolled: 13-line block ×3, first 2 shown]
	v_fma_f64 v[2:3], v[136:137], v[150:151], v[2:3]
	scratch_load_b128 v[134:137], off, off offset:456
	s_waitcnt vmcnt(4)
	v_fma_f64 v[2:3], v[126:127], v[152:153], v[2:3]
	ds_load_b128 v[146:149], v1 offset:880
	ds_load_b128 v[150:153], v1 offset:896
	s_waitcnt lgkmcnt(1)
	v_fma_f64 v[2:3], v[128:129], v[146:147], v[2:3]
	s_waitcnt vmcnt(3)
	s_delay_alu instid0(VALU_DEP_1) | instskip(SKIP_1) | instid1(VALU_DEP_1)
	v_fma_f64 v[2:3], v[138:139], v[148:149], v[2:3]
	s_waitcnt lgkmcnt(0)
	v_fma_f64 v[2:3], v[140:141], v[150:151], v[2:3]
	ds_load_b128 v[126:129], v1 offset:912
	ds_load_b128 v[138:141], v1 offset:928
	s_waitcnt vmcnt(2)
	v_fma_f64 v[2:3], v[130:131], v[152:153], v[2:3]
	s_waitcnt lgkmcnt(1)
	s_delay_alu instid0(VALU_DEP_1) | instskip(SKIP_4) | instid1(VALU_DEP_1)
	v_fma_f64 v[2:3], v[132:133], v[126:127], v[2:3]
	ds_load_b64 v[126:127], v1 offset:944
	s_waitcnt vmcnt(1)
	v_fma_f64 v[2:3], v[142:143], v[128:129], v[2:3]
	s_waitcnt lgkmcnt(1)
	v_fma_f64 v[2:3], v[144:145], v[138:139], v[2:3]
	s_waitcnt vmcnt(0)
	s_delay_alu instid0(VALU_DEP_1) | instskip(SKIP_1) | instid1(VALU_DEP_1)
	v_fma_f64 v[2:3], v[134:135], v[140:141], v[2:3]
	s_waitcnt lgkmcnt(0)
	v_fma_f64 v[2:3], v[136:137], v[126:127], v[2:3]
	s_delay_alu instid0(VALU_DEP_1)
	v_add_f64 v[2:3], v[124:125], -v[2:3]
	scratch_store_b64 off, v[2:3], off offset:136
	v_cmpx_lt_u32_e32 16, v0
	s_cbranch_execz .LBB58_331
; %bb.330:
	scratch_load_b64 v[3:4], off, off offset:128
	v_mov_b32_e32 v2, v1
	scratch_store_b64 off, v[1:2], off offset:128
	s_waitcnt vmcnt(0)
	ds_store_b64 v5, v[3:4]
.LBB58_331:
	s_or_b32 exec_lo, exec_lo, s0
	s_waitcnt lgkmcnt(0)
	s_waitcnt_vscnt null, 0x0
	s_barrier
	buffer_gl0_inv
	s_clause 0x4
	scratch_load_b128 v[124:127], off, off offset:128
	scratch_load_b128 v[128:131], off, off offset:144
	;; [unrolled: 1-line block ×5, first 2 shown]
	ds_load_2addr_b64 v[144:147], v1 offset0:77 offset1:78
	ds_load_2addr_b64 v[148:151], v1 offset0:79 offset1:80
	scratch_load_b128 v[152:155], off, off offset:208
	s_mov_b32 s0, exec_lo
	s_waitcnt vmcnt(5) lgkmcnt(1)
	v_fma_f64 v[2:3], v[126:127], v[144:145], 0
	s_waitcnt vmcnt(4)
	s_delay_alu instid0(VALU_DEP_1) | instskip(SKIP_4) | instid1(VALU_DEP_1)
	v_fma_f64 v[2:3], v[128:129], v[146:147], v[2:3]
	scratch_load_b128 v[126:129], off, off offset:224
	s_waitcnt lgkmcnt(0)
	v_fma_f64 v[2:3], v[130:131], v[148:149], v[2:3]
	s_waitcnt vmcnt(4)
	v_fma_f64 v[2:3], v[132:133], v[150:151], v[2:3]
	ds_load_2addr_b64 v[130:133], v1 offset0:81 offset1:82
	ds_load_2addr_b64 v[144:147], v1 offset0:83 offset1:84
	scratch_load_b128 v[148:151], off, off offset:240
	s_waitcnt lgkmcnt(1)
	v_fma_f64 v[2:3], v[134:135], v[130:131], v[2:3]
	s_waitcnt vmcnt(4)
	s_delay_alu instid0(VALU_DEP_1) | instskip(SKIP_4) | instid1(VALU_DEP_1)
	v_fma_f64 v[2:3], v[136:137], v[132:133], v[2:3]
	scratch_load_b128 v[130:133], off, off offset:256
	s_waitcnt lgkmcnt(0)
	v_fma_f64 v[2:3], v[138:139], v[144:145], v[2:3]
	s_waitcnt vmcnt(4)
	v_fma_f64 v[2:3], v[140:141], v[146:147], v[2:3]
	ds_load_2addr_b64 v[134:137], v1 offset0:85 offset1:86
	ds_load_2addr_b64 v[138:141], v1 offset0:87 offset1:88
	s_waitcnt lgkmcnt(1)
	v_fma_f64 v[2:3], v[142:143], v[134:135], v[2:3]
	scratch_load_b128 v[142:145], off, off offset:272
	s_waitcnt vmcnt(4)
	v_fma_f64 v[2:3], v[152:153], v[136:137], v[2:3]
	scratch_load_b128 v[134:137], off, off offset:288
	s_waitcnt lgkmcnt(0)
	v_fma_f64 v[2:3], v[154:155], v[138:139], v[2:3]
	s_waitcnt vmcnt(4)
	s_delay_alu instid0(VALU_DEP_1)
	v_fma_f64 v[2:3], v[126:127], v[140:141], v[2:3]
	ds_load_2addr_b64 v[138:141], v1 offset0:89 offset1:90
	ds_load_2addr_b64 v[152:155], v1 offset0:91 offset1:92
	s_waitcnt lgkmcnt(1)
	v_fma_f64 v[2:3], v[128:129], v[138:139], v[2:3]
	scratch_load_b128 v[126:129], off, off offset:304
	s_waitcnt vmcnt(4)
	v_fma_f64 v[2:3], v[148:149], v[140:141], v[2:3]
	scratch_load_b128 v[138:141], off, off offset:320
	s_waitcnt lgkmcnt(0)
	v_fma_f64 v[2:3], v[150:151], v[152:153], v[2:3]
	ds_load_2addr_b64 v[146:149], v1 offset0:93 offset1:94
	ds_load_2addr_b64 v[150:153], v1 offset0:95 offset1:96
	s_waitcnt vmcnt(4)
	v_fma_f64 v[2:3], v[130:131], v[154:155], v[2:3]
	s_waitcnt lgkmcnt(1)
	s_delay_alu instid0(VALU_DEP_1) | instskip(SKIP_4) | instid1(VALU_DEP_1)
	v_fma_f64 v[2:3], v[132:133], v[146:147], v[2:3]
	scratch_load_b128 v[130:133], off, off offset:336
	s_waitcnt vmcnt(4)
	v_fma_f64 v[2:3], v[142:143], v[148:149], v[2:3]
	s_waitcnt lgkmcnt(0)
	v_fma_f64 v[2:3], v[144:145], v[150:151], v[2:3]
	scratch_load_b128 v[142:145], off, off offset:352
	s_waitcnt vmcnt(4)
	v_fma_f64 v[2:3], v[134:135], v[152:153], v[2:3]
	ds_load_2addr_b64 v[146:149], v1 offset0:97 offset1:98
	ds_load_2addr_b64 v[150:153], v1 offset0:99 offset1:100
	s_waitcnt lgkmcnt(1)
	v_fma_f64 v[2:3], v[136:137], v[146:147], v[2:3]
	scratch_load_b128 v[134:137], off, off offset:368
	s_waitcnt vmcnt(4)
	v_fma_f64 v[2:3], v[126:127], v[148:149], v[2:3]
	s_waitcnt lgkmcnt(0)
	s_delay_alu instid0(VALU_DEP_1)
	v_fma_f64 v[2:3], v[128:129], v[150:151], v[2:3]
	scratch_load_b128 v[126:129], off, off offset:384
	s_waitcnt vmcnt(4)
	v_fma_f64 v[2:3], v[138:139], v[152:153], v[2:3]
	ds_load_2addr_b64 v[146:149], v1 offset0:101 offset1:102
	ds_load_2addr_b64 v[150:153], v1 offset0:103 offset1:104
	s_waitcnt lgkmcnt(1)
	v_fma_f64 v[2:3], v[140:141], v[146:147], v[2:3]
	scratch_load_b128 v[138:141], off, off offset:400
	s_waitcnt vmcnt(4)
	v_fma_f64 v[2:3], v[130:131], v[148:149], v[2:3]
	s_waitcnt lgkmcnt(0)
	s_delay_alu instid0(VALU_DEP_1)
	;; [unrolled: 13-line block ×3, first 2 shown]
	v_fma_f64 v[2:3], v[136:137], v[150:151], v[2:3]
	scratch_load_b128 v[134:137], off, off offset:448
	s_waitcnt vmcnt(4)
	v_fma_f64 v[2:3], v[126:127], v[152:153], v[2:3]
	ds_load_2addr_b64 v[146:149], v1 offset0:109 offset1:110
	ds_load_2addr_b64 v[150:153], v1 offset0:111 offset1:112
	s_waitcnt lgkmcnt(1)
	v_fma_f64 v[2:3], v[128:129], v[146:147], v[2:3]
	scratch_load_b64 v[146:147], off, off offset:464
	s_waitcnt vmcnt(4)
	v_fma_f64 v[2:3], v[138:139], v[148:149], v[2:3]
	s_waitcnt lgkmcnt(0)
	s_delay_alu instid0(VALU_DEP_1)
	v_fma_f64 v[2:3], v[140:141], v[150:151], v[2:3]
	ds_load_2addr_b64 v[126:129], v1 offset0:113 offset1:114
	ds_load_2addr_b64 v[138:141], v1 offset0:115 offset1:116
	s_waitcnt vmcnt(3)
	v_fma_f64 v[2:3], v[130:131], v[152:153], v[2:3]
	s_waitcnt lgkmcnt(1)
	s_delay_alu instid0(VALU_DEP_1) | instskip(SKIP_1) | instid1(VALU_DEP_1)
	v_fma_f64 v[2:3], v[132:133], v[126:127], v[2:3]
	s_waitcnt vmcnt(2)
	v_fma_f64 v[2:3], v[142:143], v[128:129], v[2:3]
	s_waitcnt lgkmcnt(0)
	s_delay_alu instid0(VALU_DEP_1) | instskip(SKIP_1) | instid1(VALU_DEP_1)
	v_fma_f64 v[2:3], v[144:145], v[138:139], v[2:3]
	s_waitcnt vmcnt(1)
	v_fma_f64 v[126:127], v[134:135], v[140:141], v[2:3]
	ds_load_2addr_b64 v[1:4], v1 offset0:117 offset1:118
	s_waitcnt lgkmcnt(0)
	v_fma_f64 v[1:2], v[136:137], v[1:2], v[126:127]
	s_waitcnt vmcnt(0)
	s_delay_alu instid0(VALU_DEP_1) | instskip(NEXT) | instid1(VALU_DEP_1)
	v_fma_f64 v[1:2], v[146:147], v[3:4], v[1:2]
	v_add_f64 v[1:2], v[124:125], -v[1:2]
	scratch_store_b64 off, v[1:2], off offset:128
	v_cmpx_lt_u32_e32 15, v0
	s_cbranch_execz .LBB58_333
; %bb.332:
	scratch_load_b64 v[1:2], off, off offset:120
	v_mov_b32_e32 v3, 0
	s_delay_alu instid0(VALU_DEP_1)
	v_mov_b32_e32 v4, v3
	scratch_store_b64 off, v[3:4], off offset:120
	s_waitcnt vmcnt(0)
	ds_store_b64 v5, v[1:2]
.LBB58_333:
	s_or_b32 exec_lo, exec_lo, s0
	s_waitcnt lgkmcnt(0)
	s_waitcnt_vscnt null, 0x0
	s_barrier
	buffer_gl0_inv
	s_clause 0x4
	scratch_load_b128 v[124:127], off, off offset:120
	scratch_load_b128 v[128:131], off, off offset:136
	;; [unrolled: 1-line block ×5, first 2 shown]
	v_mov_b32_e32 v1, 0
	ds_load_b128 v[144:147], v1 offset:608
	ds_load_b128 v[148:151], v1 offset:624
	scratch_load_b128 v[152:155], off, off offset:200
	s_mov_b32 s0, exec_lo
	s_waitcnt vmcnt(5) lgkmcnt(1)
	v_fma_f64 v[2:3], v[126:127], v[144:145], 0
	s_waitcnt vmcnt(4)
	s_delay_alu instid0(VALU_DEP_1) | instskip(SKIP_4) | instid1(VALU_DEP_1)
	v_fma_f64 v[2:3], v[128:129], v[146:147], v[2:3]
	scratch_load_b128 v[126:129], off, off offset:216
	s_waitcnt lgkmcnt(0)
	v_fma_f64 v[2:3], v[130:131], v[148:149], v[2:3]
	s_waitcnt vmcnt(4)
	v_fma_f64 v[2:3], v[132:133], v[150:151], v[2:3]
	ds_load_b128 v[130:133], v1 offset:640
	ds_load_b128 v[144:147], v1 offset:656
	scratch_load_b128 v[148:151], off, off offset:232
	s_waitcnt lgkmcnt(1)
	v_fma_f64 v[2:3], v[134:135], v[130:131], v[2:3]
	s_waitcnt vmcnt(4)
	s_delay_alu instid0(VALU_DEP_1) | instskip(SKIP_4) | instid1(VALU_DEP_1)
	v_fma_f64 v[2:3], v[136:137], v[132:133], v[2:3]
	scratch_load_b128 v[130:133], off, off offset:248
	s_waitcnt lgkmcnt(0)
	v_fma_f64 v[2:3], v[138:139], v[144:145], v[2:3]
	s_waitcnt vmcnt(4)
	v_fma_f64 v[2:3], v[140:141], v[146:147], v[2:3]
	ds_load_b128 v[134:137], v1 offset:672
	ds_load_b128 v[138:141], v1 offset:688
	s_waitcnt lgkmcnt(1)
	v_fma_f64 v[2:3], v[142:143], v[134:135], v[2:3]
	scratch_load_b128 v[142:145], off, off offset:264
	s_waitcnt vmcnt(4)
	v_fma_f64 v[2:3], v[152:153], v[136:137], v[2:3]
	scratch_load_b128 v[134:137], off, off offset:280
	s_waitcnt lgkmcnt(0)
	v_fma_f64 v[2:3], v[154:155], v[138:139], v[2:3]
	s_waitcnt vmcnt(4)
	s_delay_alu instid0(VALU_DEP_1)
	v_fma_f64 v[2:3], v[126:127], v[140:141], v[2:3]
	ds_load_b128 v[138:141], v1 offset:704
	ds_load_b128 v[152:155], v1 offset:720
	s_waitcnt lgkmcnt(1)
	v_fma_f64 v[2:3], v[128:129], v[138:139], v[2:3]
	scratch_load_b128 v[126:129], off, off offset:296
	s_waitcnt vmcnt(4)
	v_fma_f64 v[2:3], v[148:149], v[140:141], v[2:3]
	scratch_load_b128 v[138:141], off, off offset:312
	s_waitcnt lgkmcnt(0)
	v_fma_f64 v[2:3], v[150:151], v[152:153], v[2:3]
	ds_load_b128 v[146:149], v1 offset:736
	ds_load_b128 v[150:153], v1 offset:752
	s_waitcnt vmcnt(4)
	v_fma_f64 v[2:3], v[130:131], v[154:155], v[2:3]
	s_waitcnt lgkmcnt(1)
	s_delay_alu instid0(VALU_DEP_1) | instskip(SKIP_4) | instid1(VALU_DEP_1)
	v_fma_f64 v[2:3], v[132:133], v[146:147], v[2:3]
	scratch_load_b128 v[130:133], off, off offset:328
	s_waitcnt vmcnt(4)
	v_fma_f64 v[2:3], v[142:143], v[148:149], v[2:3]
	s_waitcnt lgkmcnt(0)
	v_fma_f64 v[2:3], v[144:145], v[150:151], v[2:3]
	scratch_load_b128 v[142:145], off, off offset:344
	s_waitcnt vmcnt(4)
	v_fma_f64 v[2:3], v[134:135], v[152:153], v[2:3]
	ds_load_b128 v[146:149], v1 offset:768
	ds_load_b128 v[150:153], v1 offset:784
	s_waitcnt lgkmcnt(1)
	v_fma_f64 v[2:3], v[136:137], v[146:147], v[2:3]
	scratch_load_b128 v[134:137], off, off offset:360
	s_waitcnt vmcnt(4)
	v_fma_f64 v[2:3], v[126:127], v[148:149], v[2:3]
	s_waitcnt lgkmcnt(0)
	s_delay_alu instid0(VALU_DEP_1)
	v_fma_f64 v[2:3], v[128:129], v[150:151], v[2:3]
	scratch_load_b128 v[126:129], off, off offset:376
	s_waitcnt vmcnt(4)
	v_fma_f64 v[2:3], v[138:139], v[152:153], v[2:3]
	ds_load_b128 v[146:149], v1 offset:800
	ds_load_b128 v[150:153], v1 offset:816
	s_waitcnt lgkmcnt(1)
	v_fma_f64 v[2:3], v[140:141], v[146:147], v[2:3]
	scratch_load_b128 v[138:141], off, off offset:392
	s_waitcnt vmcnt(4)
	v_fma_f64 v[2:3], v[130:131], v[148:149], v[2:3]
	s_waitcnt lgkmcnt(0)
	s_delay_alu instid0(VALU_DEP_1)
	;; [unrolled: 13-line block ×4, first 2 shown]
	v_fma_f64 v[2:3], v[140:141], v[150:151], v[2:3]
	ds_load_b128 v[138:141], v1 offset:896
	ds_load_b128 v[146:149], v1 offset:912
	s_waitcnt vmcnt(3)
	v_fma_f64 v[2:3], v[130:131], v[152:153], v[2:3]
	s_waitcnt lgkmcnt(1)
	s_delay_alu instid0(VALU_DEP_1) | instskip(SKIP_1) | instid1(VALU_DEP_1)
	v_fma_f64 v[2:3], v[132:133], v[138:139], v[2:3]
	s_waitcnt vmcnt(2)
	v_fma_f64 v[2:3], v[142:143], v[140:141], v[2:3]
	s_waitcnt lgkmcnt(0)
	s_delay_alu instid0(VALU_DEP_1) | instskip(SKIP_1) | instid1(VALU_DEP_1)
	v_fma_f64 v[2:3], v[144:145], v[146:147], v[2:3]
	s_waitcnt vmcnt(1)
	v_fma_f64 v[2:3], v[134:135], v[148:149], v[2:3]
	ds_load_b128 v[130:133], v1 offset:928
	ds_load_b64 v[134:135], v1 offset:944
	s_waitcnt lgkmcnt(1)
	v_fma_f64 v[2:3], v[136:137], v[130:131], v[2:3]
	s_waitcnt vmcnt(0)
	s_delay_alu instid0(VALU_DEP_1) | instskip(SKIP_1) | instid1(VALU_DEP_1)
	v_fma_f64 v[2:3], v[126:127], v[132:133], v[2:3]
	s_waitcnt lgkmcnt(0)
	v_fma_f64 v[2:3], v[128:129], v[134:135], v[2:3]
	s_delay_alu instid0(VALU_DEP_1)
	v_add_f64 v[2:3], v[124:125], -v[2:3]
	scratch_store_b64 off, v[2:3], off offset:120
	v_cmpx_lt_u32_e32 14, v0
	s_cbranch_execz .LBB58_335
; %bb.334:
	scratch_load_b64 v[3:4], off, off offset:112
	v_mov_b32_e32 v2, v1
	scratch_store_b64 off, v[1:2], off offset:112
	s_waitcnt vmcnt(0)
	ds_store_b64 v5, v[3:4]
.LBB58_335:
	s_or_b32 exec_lo, exec_lo, s0
	s_waitcnt lgkmcnt(0)
	s_waitcnt_vscnt null, 0x0
	s_barrier
	buffer_gl0_inv
	s_clause 0x4
	scratch_load_b128 v[124:127], off, off offset:112
	scratch_load_b128 v[128:131], off, off offset:128
	;; [unrolled: 1-line block ×5, first 2 shown]
	ds_load_2addr_b64 v[144:147], v1 offset0:75 offset1:76
	ds_load_2addr_b64 v[148:151], v1 offset0:77 offset1:78
	scratch_load_b128 v[152:155], off, off offset:192
	s_mov_b32 s0, exec_lo
	s_waitcnt vmcnt(5) lgkmcnt(1)
	v_fma_f64 v[2:3], v[126:127], v[144:145], 0
	s_waitcnt vmcnt(4)
	s_delay_alu instid0(VALU_DEP_1) | instskip(SKIP_4) | instid1(VALU_DEP_1)
	v_fma_f64 v[2:3], v[128:129], v[146:147], v[2:3]
	scratch_load_b128 v[126:129], off, off offset:208
	s_waitcnt lgkmcnt(0)
	v_fma_f64 v[2:3], v[130:131], v[148:149], v[2:3]
	s_waitcnt vmcnt(4)
	v_fma_f64 v[2:3], v[132:133], v[150:151], v[2:3]
	ds_load_2addr_b64 v[130:133], v1 offset0:79 offset1:80
	ds_load_2addr_b64 v[144:147], v1 offset0:81 offset1:82
	scratch_load_b128 v[148:151], off, off offset:224
	s_waitcnt lgkmcnt(1)
	v_fma_f64 v[2:3], v[134:135], v[130:131], v[2:3]
	s_waitcnt vmcnt(4)
	s_delay_alu instid0(VALU_DEP_1) | instskip(SKIP_4) | instid1(VALU_DEP_1)
	v_fma_f64 v[2:3], v[136:137], v[132:133], v[2:3]
	scratch_load_b128 v[130:133], off, off offset:240
	s_waitcnt lgkmcnt(0)
	v_fma_f64 v[2:3], v[138:139], v[144:145], v[2:3]
	s_waitcnt vmcnt(4)
	v_fma_f64 v[2:3], v[140:141], v[146:147], v[2:3]
	ds_load_2addr_b64 v[134:137], v1 offset0:83 offset1:84
	ds_load_2addr_b64 v[138:141], v1 offset0:85 offset1:86
	s_waitcnt lgkmcnt(1)
	v_fma_f64 v[2:3], v[142:143], v[134:135], v[2:3]
	scratch_load_b128 v[142:145], off, off offset:256
	s_waitcnt vmcnt(4)
	v_fma_f64 v[2:3], v[152:153], v[136:137], v[2:3]
	scratch_load_b128 v[134:137], off, off offset:272
	s_waitcnt lgkmcnt(0)
	v_fma_f64 v[2:3], v[154:155], v[138:139], v[2:3]
	s_waitcnt vmcnt(4)
	s_delay_alu instid0(VALU_DEP_1)
	v_fma_f64 v[2:3], v[126:127], v[140:141], v[2:3]
	ds_load_2addr_b64 v[138:141], v1 offset0:87 offset1:88
	ds_load_2addr_b64 v[152:155], v1 offset0:89 offset1:90
	s_waitcnt lgkmcnt(1)
	v_fma_f64 v[2:3], v[128:129], v[138:139], v[2:3]
	scratch_load_b128 v[126:129], off, off offset:288
	s_waitcnt vmcnt(4)
	v_fma_f64 v[2:3], v[148:149], v[140:141], v[2:3]
	scratch_load_b128 v[138:141], off, off offset:304
	s_waitcnt lgkmcnt(0)
	v_fma_f64 v[2:3], v[150:151], v[152:153], v[2:3]
	ds_load_2addr_b64 v[146:149], v1 offset0:91 offset1:92
	ds_load_2addr_b64 v[150:153], v1 offset0:93 offset1:94
	s_waitcnt vmcnt(4)
	v_fma_f64 v[2:3], v[130:131], v[154:155], v[2:3]
	s_waitcnt lgkmcnt(1)
	s_delay_alu instid0(VALU_DEP_1) | instskip(SKIP_4) | instid1(VALU_DEP_1)
	v_fma_f64 v[2:3], v[132:133], v[146:147], v[2:3]
	scratch_load_b128 v[130:133], off, off offset:320
	s_waitcnt vmcnt(4)
	v_fma_f64 v[2:3], v[142:143], v[148:149], v[2:3]
	s_waitcnt lgkmcnt(0)
	v_fma_f64 v[2:3], v[144:145], v[150:151], v[2:3]
	scratch_load_b128 v[142:145], off, off offset:336
	s_waitcnt vmcnt(4)
	v_fma_f64 v[2:3], v[134:135], v[152:153], v[2:3]
	ds_load_2addr_b64 v[146:149], v1 offset0:95 offset1:96
	ds_load_2addr_b64 v[150:153], v1 offset0:97 offset1:98
	s_waitcnt lgkmcnt(1)
	v_fma_f64 v[2:3], v[136:137], v[146:147], v[2:3]
	scratch_load_b128 v[134:137], off, off offset:352
	s_waitcnt vmcnt(4)
	v_fma_f64 v[2:3], v[126:127], v[148:149], v[2:3]
	s_waitcnt lgkmcnt(0)
	s_delay_alu instid0(VALU_DEP_1)
	v_fma_f64 v[2:3], v[128:129], v[150:151], v[2:3]
	scratch_load_b128 v[126:129], off, off offset:368
	s_waitcnt vmcnt(4)
	v_fma_f64 v[2:3], v[138:139], v[152:153], v[2:3]
	ds_load_2addr_b64 v[146:149], v1 offset0:99 offset1:100
	ds_load_2addr_b64 v[150:153], v1 offset0:101 offset1:102
	s_waitcnt lgkmcnt(1)
	v_fma_f64 v[2:3], v[140:141], v[146:147], v[2:3]
	scratch_load_b128 v[138:141], off, off offset:384
	s_waitcnt vmcnt(4)
	v_fma_f64 v[2:3], v[130:131], v[148:149], v[2:3]
	s_waitcnt lgkmcnt(0)
	s_delay_alu instid0(VALU_DEP_1)
	;; [unrolled: 13-line block ×4, first 2 shown]
	v_fma_f64 v[2:3], v[140:141], v[150:151], v[2:3]
	scratch_load_b64 v[150:151], off, off offset:464
	ds_load_2addr_b64 v[138:141], v1 offset0:111 offset1:112
	ds_load_2addr_b64 v[146:149], v1 offset0:113 offset1:114
	s_waitcnt vmcnt(4)
	v_fma_f64 v[2:3], v[130:131], v[152:153], v[2:3]
	s_waitcnt lgkmcnt(1)
	s_delay_alu instid0(VALU_DEP_1) | instskip(SKIP_1) | instid1(VALU_DEP_1)
	v_fma_f64 v[2:3], v[132:133], v[138:139], v[2:3]
	s_waitcnt vmcnt(3)
	v_fma_f64 v[2:3], v[142:143], v[140:141], v[2:3]
	s_waitcnt lgkmcnt(0)
	s_delay_alu instid0(VALU_DEP_1) | instskip(SKIP_1) | instid1(VALU_DEP_1)
	v_fma_f64 v[2:3], v[144:145], v[146:147], v[2:3]
	s_waitcnt vmcnt(2)
	v_fma_f64 v[134:135], v[134:135], v[148:149], v[2:3]
	ds_load_2addr_b64 v[130:133], v1 offset0:115 offset1:116
	ds_load_2addr_b64 v[1:4], v1 offset0:117 offset1:118
	s_waitcnt lgkmcnt(1)
	v_fma_f64 v[130:131], v[136:137], v[130:131], v[134:135]
	s_waitcnt vmcnt(1)
	s_delay_alu instid0(VALU_DEP_1) | instskip(SKIP_1) | instid1(VALU_DEP_1)
	v_fma_f64 v[126:127], v[126:127], v[132:133], v[130:131]
	s_waitcnt lgkmcnt(0)
	v_fma_f64 v[1:2], v[128:129], v[1:2], v[126:127]
	s_waitcnt vmcnt(0)
	s_delay_alu instid0(VALU_DEP_1) | instskip(NEXT) | instid1(VALU_DEP_1)
	v_fma_f64 v[1:2], v[150:151], v[3:4], v[1:2]
	v_add_f64 v[1:2], v[124:125], -v[1:2]
	scratch_store_b64 off, v[1:2], off offset:112
	v_cmpx_lt_u32_e32 13, v0
	s_cbranch_execz .LBB58_337
; %bb.336:
	scratch_load_b64 v[1:2], off, off offset:104
	v_mov_b32_e32 v3, 0
	s_delay_alu instid0(VALU_DEP_1)
	v_mov_b32_e32 v4, v3
	scratch_store_b64 off, v[3:4], off offset:104
	s_waitcnt vmcnt(0)
	ds_store_b64 v5, v[1:2]
.LBB58_337:
	s_or_b32 exec_lo, exec_lo, s0
	s_waitcnt lgkmcnt(0)
	s_waitcnt_vscnt null, 0x0
	s_barrier
	buffer_gl0_inv
	s_clause 0x4
	scratch_load_b128 v[1:4], off, off offset:104
	scratch_load_b128 v[125:128], off, off offset:120
	;; [unrolled: 1-line block ×5, first 2 shown]
	v_mov_b32_e32 v124, 0
	ds_load_b128 v[141:144], v124 offset:592
	ds_load_b128 v[145:148], v124 offset:608
	scratch_load_b128 v[149:152], off, off offset:184
	s_mov_b32 s0, exec_lo
	s_waitcnt vmcnt(5) lgkmcnt(1)
	v_fma_f64 v[3:4], v[3:4], v[141:142], 0
	s_waitcnt vmcnt(4)
	s_delay_alu instid0(VALU_DEP_1) | instskip(SKIP_1) | instid1(VALU_DEP_1)
	v_fma_f64 v[3:4], v[125:126], v[143:144], v[3:4]
	s_waitcnt lgkmcnt(0)
	v_fma_f64 v[3:4], v[127:128], v[145:146], v[3:4]
	scratch_load_b128 v[125:128], off, off offset:200
	s_waitcnt vmcnt(4)
	v_fma_f64 v[3:4], v[129:130], v[147:148], v[3:4]
	ds_load_b128 v[141:144], v124 offset:624
	ds_load_b128 v[145:148], v124 offset:640
	s_waitcnt lgkmcnt(1)
	v_fma_f64 v[3:4], v[131:132], v[141:142], v[3:4]
	scratch_load_b128 v[129:132], off, off offset:216
	s_waitcnt vmcnt(4)
	v_fma_f64 v[3:4], v[133:134], v[143:144], v[3:4]
	s_waitcnt lgkmcnt(0)
	s_delay_alu instid0(VALU_DEP_1)
	v_fma_f64 v[3:4], v[135:136], v[145:146], v[3:4]
	scratch_load_b128 v[133:136], off, off offset:232
	s_waitcnt vmcnt(4)
	v_fma_f64 v[3:4], v[137:138], v[147:148], v[3:4]
	ds_load_b128 v[141:144], v124 offset:656
	ds_load_b128 v[145:148], v124 offset:672
	s_waitcnt lgkmcnt(1)
	v_fma_f64 v[3:4], v[139:140], v[141:142], v[3:4]
	scratch_load_b128 v[137:140], off, off offset:248
	s_waitcnt vmcnt(4)
	v_fma_f64 v[3:4], v[149:150], v[143:144], v[3:4]
	scratch_load_b128 v[141:144], off, off offset:264
	s_waitcnt lgkmcnt(0)
	v_fma_f64 v[3:4], v[151:152], v[145:146], v[3:4]
	s_waitcnt vmcnt(4)
	s_delay_alu instid0(VALU_DEP_1)
	v_fma_f64 v[3:4], v[125:126], v[147:148], v[3:4]
	ds_load_b128 v[145:148], v124 offset:688
	ds_load_b128 v[149:152], v124 offset:704
	s_waitcnt lgkmcnt(1)
	v_fma_f64 v[3:4], v[127:128], v[145:146], v[3:4]
	scratch_load_b128 v[125:128], off, off offset:280
	s_waitcnt vmcnt(4)
	v_fma_f64 v[3:4], v[129:130], v[147:148], v[3:4]
	s_waitcnt lgkmcnt(0)
	s_delay_alu instid0(VALU_DEP_1)
	v_fma_f64 v[3:4], v[131:132], v[149:150], v[3:4]
	scratch_load_b128 v[129:132], off, off offset:296
	s_waitcnt vmcnt(4)
	v_fma_f64 v[3:4], v[133:134], v[151:152], v[3:4]
	ds_load_b128 v[145:148], v124 offset:720
	ds_load_b128 v[149:152], v124 offset:736
	s_waitcnt lgkmcnt(1)
	v_fma_f64 v[3:4], v[135:136], v[145:146], v[3:4]
	scratch_load_b128 v[133:136], off, off offset:312
	s_waitcnt vmcnt(4)
	v_fma_f64 v[3:4], v[137:138], v[147:148], v[3:4]
	s_waitcnt lgkmcnt(0)
	s_delay_alu instid0(VALU_DEP_1)
	v_fma_f64 v[3:4], v[139:140], v[149:150], v[3:4]
	scratch_load_b128 v[137:140], off, off offset:328
	s_waitcnt vmcnt(4)
	;; [unrolled: 13-line block ×6, first 2 shown]
	v_fma_f64 v[3:4], v[133:134], v[151:152], v[3:4]
	ds_load_b128 v[145:148], v124 offset:880
	ds_load_b128 v[149:152], v124 offset:896
	s_waitcnt lgkmcnt(1)
	v_fma_f64 v[3:4], v[135:136], v[145:146], v[3:4]
	s_waitcnt vmcnt(3)
	s_delay_alu instid0(VALU_DEP_1) | instskip(SKIP_1) | instid1(VALU_DEP_1)
	v_fma_f64 v[3:4], v[137:138], v[147:148], v[3:4]
	s_waitcnt lgkmcnt(0)
	v_fma_f64 v[3:4], v[139:140], v[149:150], v[3:4]
	ds_load_b128 v[133:136], v124 offset:912
	ds_load_b128 v[137:140], v124 offset:928
	s_waitcnt vmcnt(2)
	v_fma_f64 v[3:4], v[141:142], v[151:152], v[3:4]
	s_waitcnt lgkmcnt(1)
	s_delay_alu instid0(VALU_DEP_1) | instskip(SKIP_1) | instid1(VALU_DEP_1)
	v_fma_f64 v[3:4], v[143:144], v[133:134], v[3:4]
	s_waitcnt vmcnt(1)
	v_fma_f64 v[3:4], v[125:126], v[135:136], v[3:4]
	ds_load_b64 v[125:126], v124 offset:944
	s_waitcnt lgkmcnt(1)
	v_fma_f64 v[3:4], v[127:128], v[137:138], v[3:4]
	s_waitcnt vmcnt(0)
	s_delay_alu instid0(VALU_DEP_1) | instskip(SKIP_1) | instid1(VALU_DEP_1)
	v_fma_f64 v[3:4], v[129:130], v[139:140], v[3:4]
	s_waitcnt lgkmcnt(0)
	v_fma_f64 v[3:4], v[131:132], v[125:126], v[3:4]
	s_delay_alu instid0(VALU_DEP_1)
	v_add_f64 v[1:2], v[1:2], -v[3:4]
	scratch_store_b64 off, v[1:2], off offset:104
	v_cmpx_lt_u32_e32 12, v0
	s_cbranch_execz .LBB58_339
; %bb.338:
	scratch_load_b64 v[1:2], off, off offset:96
	v_mov_b32_e32 v125, v124
	scratch_store_b64 off, v[124:125], off offset:96
	s_waitcnt vmcnt(0)
	ds_store_b64 v5, v[1:2]
.LBB58_339:
	s_or_b32 exec_lo, exec_lo, s0
	s_waitcnt lgkmcnt(0)
	s_waitcnt_vscnt null, 0x0
	s_barrier
	buffer_gl0_inv
	s_clause 0x4
	scratch_load_b128 v[1:4], off, off offset:96
	scratch_load_b128 v[125:128], off, off offset:112
	;; [unrolled: 1-line block ×5, first 2 shown]
	ds_load_2addr_b64 v[141:144], v124 offset0:73 offset1:74
	ds_load_2addr_b64 v[145:148], v124 offset0:75 offset1:76
	scratch_load_b128 v[149:152], off, off offset:176
	s_mov_b32 s0, exec_lo
	s_waitcnt vmcnt(5) lgkmcnt(1)
	v_fma_f64 v[3:4], v[3:4], v[141:142], 0
	s_waitcnt vmcnt(4)
	s_delay_alu instid0(VALU_DEP_1) | instskip(SKIP_1) | instid1(VALU_DEP_1)
	v_fma_f64 v[3:4], v[125:126], v[143:144], v[3:4]
	s_waitcnt lgkmcnt(0)
	v_fma_f64 v[3:4], v[127:128], v[145:146], v[3:4]
	scratch_load_b128 v[125:128], off, off offset:192
	s_waitcnt vmcnt(4)
	v_fma_f64 v[3:4], v[129:130], v[147:148], v[3:4]
	ds_load_2addr_b64 v[141:144], v124 offset0:77 offset1:78
	ds_load_2addr_b64 v[145:148], v124 offset0:79 offset1:80
	s_waitcnt lgkmcnt(1)
	v_fma_f64 v[3:4], v[131:132], v[141:142], v[3:4]
	scratch_load_b128 v[129:132], off, off offset:208
	s_waitcnt vmcnt(4)
	v_fma_f64 v[3:4], v[133:134], v[143:144], v[3:4]
	s_waitcnt lgkmcnt(0)
	s_delay_alu instid0(VALU_DEP_1)
	v_fma_f64 v[3:4], v[135:136], v[145:146], v[3:4]
	scratch_load_b128 v[133:136], off, off offset:224
	s_waitcnt vmcnt(4)
	v_fma_f64 v[3:4], v[137:138], v[147:148], v[3:4]
	ds_load_2addr_b64 v[141:144], v124 offset0:81 offset1:82
	ds_load_2addr_b64 v[145:148], v124 offset0:83 offset1:84
	s_waitcnt lgkmcnt(1)
	v_fma_f64 v[3:4], v[139:140], v[141:142], v[3:4]
	scratch_load_b128 v[137:140], off, off offset:240
	s_waitcnt vmcnt(4)
	v_fma_f64 v[3:4], v[149:150], v[143:144], v[3:4]
	scratch_load_b128 v[141:144], off, off offset:256
	s_waitcnt lgkmcnt(0)
	v_fma_f64 v[3:4], v[151:152], v[145:146], v[3:4]
	s_waitcnt vmcnt(4)
	s_delay_alu instid0(VALU_DEP_1)
	v_fma_f64 v[3:4], v[125:126], v[147:148], v[3:4]
	ds_load_2addr_b64 v[145:148], v124 offset0:85 offset1:86
	ds_load_2addr_b64 v[149:152], v124 offset0:87 offset1:88
	s_waitcnt lgkmcnt(1)
	v_fma_f64 v[3:4], v[127:128], v[145:146], v[3:4]
	scratch_load_b128 v[125:128], off, off offset:272
	s_waitcnt vmcnt(4)
	v_fma_f64 v[3:4], v[129:130], v[147:148], v[3:4]
	s_waitcnt lgkmcnt(0)
	s_delay_alu instid0(VALU_DEP_1)
	v_fma_f64 v[3:4], v[131:132], v[149:150], v[3:4]
	scratch_load_b128 v[129:132], off, off offset:288
	s_waitcnt vmcnt(4)
	v_fma_f64 v[3:4], v[133:134], v[151:152], v[3:4]
	ds_load_2addr_b64 v[145:148], v124 offset0:89 offset1:90
	ds_load_2addr_b64 v[149:152], v124 offset0:91 offset1:92
	s_waitcnt lgkmcnt(1)
	v_fma_f64 v[3:4], v[135:136], v[145:146], v[3:4]
	scratch_load_b128 v[133:136], off, off offset:304
	s_waitcnt vmcnt(4)
	v_fma_f64 v[3:4], v[137:138], v[147:148], v[3:4]
	s_waitcnt lgkmcnt(0)
	s_delay_alu instid0(VALU_DEP_1)
	v_fma_f64 v[3:4], v[139:140], v[149:150], v[3:4]
	scratch_load_b128 v[137:140], off, off offset:320
	s_waitcnt vmcnt(4)
	;; [unrolled: 13-line block ×6, first 2 shown]
	v_fma_f64 v[3:4], v[133:134], v[151:152], v[3:4]
	ds_load_2addr_b64 v[145:148], v124 offset0:109 offset1:110
	ds_load_2addr_b64 v[149:152], v124 offset0:111 offset1:112
	s_waitcnt lgkmcnt(1)
	v_fma_f64 v[3:4], v[135:136], v[145:146], v[3:4]
	scratch_load_b64 v[145:146], off, off offset:464
	s_waitcnt vmcnt(4)
	v_fma_f64 v[3:4], v[137:138], v[147:148], v[3:4]
	s_waitcnt lgkmcnt(0)
	s_delay_alu instid0(VALU_DEP_1)
	v_fma_f64 v[3:4], v[139:140], v[149:150], v[3:4]
	ds_load_2addr_b64 v[133:136], v124 offset0:113 offset1:114
	ds_load_2addr_b64 v[137:140], v124 offset0:115 offset1:116
	s_waitcnt vmcnt(3)
	v_fma_f64 v[3:4], v[141:142], v[151:152], v[3:4]
	s_waitcnt lgkmcnt(1)
	s_delay_alu instid0(VALU_DEP_1) | instskip(SKIP_1) | instid1(VALU_DEP_1)
	v_fma_f64 v[3:4], v[143:144], v[133:134], v[3:4]
	s_waitcnt vmcnt(2)
	v_fma_f64 v[3:4], v[125:126], v[135:136], v[3:4]
	s_waitcnt lgkmcnt(0)
	s_delay_alu instid0(VALU_DEP_1) | instskip(SKIP_4) | instid1(VALU_DEP_1)
	v_fma_f64 v[3:4], v[127:128], v[137:138], v[3:4]
	ds_load_2addr_b64 v[124:127], v124 offset0:117 offset1:118
	s_waitcnt vmcnt(1)
	v_fma_f64 v[3:4], v[129:130], v[139:140], v[3:4]
	s_waitcnt lgkmcnt(0)
	v_fma_f64 v[3:4], v[131:132], v[124:125], v[3:4]
	s_waitcnt vmcnt(0)
	s_delay_alu instid0(VALU_DEP_1) | instskip(NEXT) | instid1(VALU_DEP_1)
	v_fma_f64 v[3:4], v[145:146], v[126:127], v[3:4]
	v_add_f64 v[1:2], v[1:2], -v[3:4]
	scratch_store_b64 off, v[1:2], off offset:96
	v_cmpx_lt_u32_e32 11, v0
	s_cbranch_execz .LBB58_341
; %bb.340:
	scratch_load_b64 v[1:2], off, off offset:88
	v_mov_b32_e32 v3, 0
	s_delay_alu instid0(VALU_DEP_1)
	v_mov_b32_e32 v4, v3
	scratch_store_b64 off, v[3:4], off offset:88
	s_waitcnt vmcnt(0)
	ds_store_b64 v5, v[1:2]
.LBB58_341:
	s_or_b32 exec_lo, exec_lo, s0
	s_waitcnt lgkmcnt(0)
	s_waitcnt_vscnt null, 0x0
	s_barrier
	buffer_gl0_inv
	s_clause 0x4
	scratch_load_b128 v[1:4], off, off offset:88
	scratch_load_b128 v[125:128], off, off offset:104
	;; [unrolled: 1-line block ×5, first 2 shown]
	v_mov_b32_e32 v124, 0
	ds_load_b128 v[141:144], v124 offset:576
	ds_load_b128 v[145:148], v124 offset:592
	scratch_load_b128 v[149:152], off, off offset:168
	s_mov_b32 s0, exec_lo
	s_waitcnt vmcnt(5) lgkmcnt(1)
	v_fma_f64 v[3:4], v[3:4], v[141:142], 0
	s_waitcnt vmcnt(4)
	s_delay_alu instid0(VALU_DEP_1) | instskip(SKIP_1) | instid1(VALU_DEP_1)
	v_fma_f64 v[3:4], v[125:126], v[143:144], v[3:4]
	s_waitcnt lgkmcnt(0)
	v_fma_f64 v[3:4], v[127:128], v[145:146], v[3:4]
	scratch_load_b128 v[125:128], off, off offset:184
	s_waitcnt vmcnt(4)
	v_fma_f64 v[3:4], v[129:130], v[147:148], v[3:4]
	ds_load_b128 v[141:144], v124 offset:608
	ds_load_b128 v[145:148], v124 offset:624
	s_waitcnt lgkmcnt(1)
	v_fma_f64 v[3:4], v[131:132], v[141:142], v[3:4]
	scratch_load_b128 v[129:132], off, off offset:200
	s_waitcnt vmcnt(4)
	v_fma_f64 v[3:4], v[133:134], v[143:144], v[3:4]
	s_waitcnt lgkmcnt(0)
	s_delay_alu instid0(VALU_DEP_1)
	v_fma_f64 v[3:4], v[135:136], v[145:146], v[3:4]
	scratch_load_b128 v[133:136], off, off offset:216
	s_waitcnt vmcnt(4)
	v_fma_f64 v[3:4], v[137:138], v[147:148], v[3:4]
	ds_load_b128 v[141:144], v124 offset:640
	ds_load_b128 v[145:148], v124 offset:656
	s_waitcnt lgkmcnt(1)
	v_fma_f64 v[3:4], v[139:140], v[141:142], v[3:4]
	scratch_load_b128 v[137:140], off, off offset:232
	s_waitcnt vmcnt(4)
	v_fma_f64 v[3:4], v[149:150], v[143:144], v[3:4]
	scratch_load_b128 v[141:144], off, off offset:248
	s_waitcnt lgkmcnt(0)
	v_fma_f64 v[3:4], v[151:152], v[145:146], v[3:4]
	s_waitcnt vmcnt(4)
	s_delay_alu instid0(VALU_DEP_1)
	v_fma_f64 v[3:4], v[125:126], v[147:148], v[3:4]
	ds_load_b128 v[145:148], v124 offset:672
	ds_load_b128 v[149:152], v124 offset:688
	s_waitcnt lgkmcnt(1)
	v_fma_f64 v[3:4], v[127:128], v[145:146], v[3:4]
	scratch_load_b128 v[125:128], off, off offset:264
	s_waitcnt vmcnt(4)
	v_fma_f64 v[3:4], v[129:130], v[147:148], v[3:4]
	s_waitcnt lgkmcnt(0)
	s_delay_alu instid0(VALU_DEP_1)
	v_fma_f64 v[3:4], v[131:132], v[149:150], v[3:4]
	scratch_load_b128 v[129:132], off, off offset:280
	s_waitcnt vmcnt(4)
	v_fma_f64 v[3:4], v[133:134], v[151:152], v[3:4]
	ds_load_b128 v[145:148], v124 offset:704
	ds_load_b128 v[149:152], v124 offset:720
	s_waitcnt lgkmcnt(1)
	v_fma_f64 v[3:4], v[135:136], v[145:146], v[3:4]
	scratch_load_b128 v[133:136], off, off offset:296
	s_waitcnt vmcnt(4)
	v_fma_f64 v[3:4], v[137:138], v[147:148], v[3:4]
	s_waitcnt lgkmcnt(0)
	s_delay_alu instid0(VALU_DEP_1)
	v_fma_f64 v[3:4], v[139:140], v[149:150], v[3:4]
	scratch_load_b128 v[137:140], off, off offset:312
	s_waitcnt vmcnt(4)
	;; [unrolled: 13-line block ×6, first 2 shown]
	v_fma_f64 v[3:4], v[133:134], v[151:152], v[3:4]
	ds_load_b128 v[145:148], v124 offset:864
	ds_load_b128 v[149:152], v124 offset:880
	s_waitcnt lgkmcnt(1)
	v_fma_f64 v[3:4], v[135:136], v[145:146], v[3:4]
	scratch_load_b128 v[133:136], off, off offset:456
	s_waitcnt vmcnt(4)
	v_fma_f64 v[3:4], v[137:138], v[147:148], v[3:4]
	s_waitcnt lgkmcnt(0)
	s_delay_alu instid0(VALU_DEP_1)
	v_fma_f64 v[3:4], v[139:140], v[149:150], v[3:4]
	ds_load_b128 v[137:140], v124 offset:896
	ds_load_b128 v[145:148], v124 offset:912
	s_waitcnt vmcnt(3)
	v_fma_f64 v[3:4], v[141:142], v[151:152], v[3:4]
	s_waitcnt lgkmcnt(1)
	s_delay_alu instid0(VALU_DEP_1) | instskip(SKIP_1) | instid1(VALU_DEP_1)
	v_fma_f64 v[3:4], v[143:144], v[137:138], v[3:4]
	s_waitcnt vmcnt(2)
	v_fma_f64 v[3:4], v[125:126], v[139:140], v[3:4]
	s_waitcnt lgkmcnt(0)
	s_delay_alu instid0(VALU_DEP_1) | instskip(SKIP_1) | instid1(VALU_DEP_1)
	v_fma_f64 v[3:4], v[127:128], v[145:146], v[3:4]
	s_waitcnt vmcnt(1)
	v_fma_f64 v[3:4], v[129:130], v[147:148], v[3:4]
	ds_load_b128 v[125:128], v124 offset:928
	ds_load_b64 v[129:130], v124 offset:944
	s_waitcnt lgkmcnt(1)
	v_fma_f64 v[3:4], v[131:132], v[125:126], v[3:4]
	s_waitcnt vmcnt(0)
	s_delay_alu instid0(VALU_DEP_1) | instskip(SKIP_1) | instid1(VALU_DEP_1)
	v_fma_f64 v[3:4], v[133:134], v[127:128], v[3:4]
	s_waitcnt lgkmcnt(0)
	v_fma_f64 v[3:4], v[135:136], v[129:130], v[3:4]
	s_delay_alu instid0(VALU_DEP_1)
	v_add_f64 v[1:2], v[1:2], -v[3:4]
	scratch_store_b64 off, v[1:2], off offset:88
	v_cmpx_lt_u32_e32 10, v0
	s_cbranch_execz .LBB58_343
; %bb.342:
	scratch_load_b64 v[1:2], off, off offset:80
	v_mov_b32_e32 v125, v124
	scratch_store_b64 off, v[124:125], off offset:80
	s_waitcnt vmcnt(0)
	ds_store_b64 v5, v[1:2]
.LBB58_343:
	s_or_b32 exec_lo, exec_lo, s0
	s_waitcnt lgkmcnt(0)
	s_waitcnt_vscnt null, 0x0
	s_barrier
	buffer_gl0_inv
	s_clause 0x4
	scratch_load_b128 v[1:4], off, off offset:80
	scratch_load_b128 v[125:128], off, off offset:96
	;; [unrolled: 1-line block ×5, first 2 shown]
	ds_load_2addr_b64 v[141:144], v124 offset0:71 offset1:72
	ds_load_2addr_b64 v[145:148], v124 offset0:73 offset1:74
	scratch_load_b128 v[149:152], off, off offset:160
	s_mov_b32 s0, exec_lo
	s_waitcnt vmcnt(5) lgkmcnt(1)
	v_fma_f64 v[3:4], v[3:4], v[141:142], 0
	s_waitcnt vmcnt(4)
	s_delay_alu instid0(VALU_DEP_1) | instskip(SKIP_1) | instid1(VALU_DEP_1)
	v_fma_f64 v[3:4], v[125:126], v[143:144], v[3:4]
	s_waitcnt lgkmcnt(0)
	v_fma_f64 v[3:4], v[127:128], v[145:146], v[3:4]
	scratch_load_b128 v[125:128], off, off offset:176
	s_waitcnt vmcnt(4)
	v_fma_f64 v[3:4], v[129:130], v[147:148], v[3:4]
	ds_load_2addr_b64 v[141:144], v124 offset0:75 offset1:76
	ds_load_2addr_b64 v[145:148], v124 offset0:77 offset1:78
	s_waitcnt lgkmcnt(1)
	v_fma_f64 v[3:4], v[131:132], v[141:142], v[3:4]
	scratch_load_b128 v[129:132], off, off offset:192
	s_waitcnt vmcnt(4)
	v_fma_f64 v[3:4], v[133:134], v[143:144], v[3:4]
	s_waitcnt lgkmcnt(0)
	s_delay_alu instid0(VALU_DEP_1)
	v_fma_f64 v[3:4], v[135:136], v[145:146], v[3:4]
	scratch_load_b128 v[133:136], off, off offset:208
	s_waitcnt vmcnt(4)
	v_fma_f64 v[3:4], v[137:138], v[147:148], v[3:4]
	ds_load_2addr_b64 v[141:144], v124 offset0:79 offset1:80
	ds_load_2addr_b64 v[145:148], v124 offset0:81 offset1:82
	s_waitcnt lgkmcnt(1)
	v_fma_f64 v[3:4], v[139:140], v[141:142], v[3:4]
	scratch_load_b128 v[137:140], off, off offset:224
	s_waitcnt vmcnt(4)
	v_fma_f64 v[3:4], v[149:150], v[143:144], v[3:4]
	scratch_load_b128 v[141:144], off, off offset:240
	s_waitcnt lgkmcnt(0)
	v_fma_f64 v[3:4], v[151:152], v[145:146], v[3:4]
	s_waitcnt vmcnt(4)
	s_delay_alu instid0(VALU_DEP_1)
	v_fma_f64 v[3:4], v[125:126], v[147:148], v[3:4]
	ds_load_2addr_b64 v[145:148], v124 offset0:83 offset1:84
	ds_load_2addr_b64 v[149:152], v124 offset0:85 offset1:86
	s_waitcnt lgkmcnt(1)
	v_fma_f64 v[3:4], v[127:128], v[145:146], v[3:4]
	scratch_load_b128 v[125:128], off, off offset:256
	s_waitcnt vmcnt(4)
	v_fma_f64 v[3:4], v[129:130], v[147:148], v[3:4]
	s_waitcnt lgkmcnt(0)
	s_delay_alu instid0(VALU_DEP_1)
	v_fma_f64 v[3:4], v[131:132], v[149:150], v[3:4]
	scratch_load_b128 v[129:132], off, off offset:272
	s_waitcnt vmcnt(4)
	v_fma_f64 v[3:4], v[133:134], v[151:152], v[3:4]
	ds_load_2addr_b64 v[145:148], v124 offset0:87 offset1:88
	ds_load_2addr_b64 v[149:152], v124 offset0:89 offset1:90
	s_waitcnt lgkmcnt(1)
	v_fma_f64 v[3:4], v[135:136], v[145:146], v[3:4]
	scratch_load_b128 v[133:136], off, off offset:288
	s_waitcnt vmcnt(4)
	v_fma_f64 v[3:4], v[137:138], v[147:148], v[3:4]
	s_waitcnt lgkmcnt(0)
	s_delay_alu instid0(VALU_DEP_1)
	v_fma_f64 v[3:4], v[139:140], v[149:150], v[3:4]
	scratch_load_b128 v[137:140], off, off offset:304
	s_waitcnt vmcnt(4)
	v_fma_f64 v[3:4], v[141:142], v[151:152], v[3:4]
	ds_load_2addr_b64 v[145:148], v124 offset0:91 offset1:92
	ds_load_2addr_b64 v[149:152], v124 offset0:93 offset1:94
	s_waitcnt lgkmcnt(1)
	v_fma_f64 v[3:4], v[143:144], v[145:146], v[3:4]
	scratch_load_b128 v[141:144], off, off offset:320
	s_waitcnt vmcnt(4)
	v_fma_f64 v[3:4], v[125:126], v[147:148], v[3:4]
	s_waitcnt lgkmcnt(0)
	s_delay_alu instid0(VALU_DEP_1)
	v_fma_f64 v[3:4], v[127:128], v[149:150], v[3:4]
	scratch_load_b128 v[125:128], off, off offset:336
	s_waitcnt vmcnt(4)
	v_fma_f64 v[3:4], v[129:130], v[151:152], v[3:4]
	ds_load_2addr_b64 v[145:148], v124 offset0:95 offset1:96
	ds_load_2addr_b64 v[149:152], v124 offset0:97 offset1:98
	s_waitcnt lgkmcnt(1)
	v_fma_f64 v[3:4], v[131:132], v[145:146], v[3:4]
	scratch_load_b128 v[129:132], off, off offset:352
	s_waitcnt vmcnt(4)
	v_fma_f64 v[3:4], v[133:134], v[147:148], v[3:4]
	s_waitcnt lgkmcnt(0)
	s_delay_alu instid0(VALU_DEP_1)
	v_fma_f64 v[3:4], v[135:136], v[149:150], v[3:4]
	scratch_load_b128 v[133:136], off, off offset:368
	s_waitcnt vmcnt(4)
	v_fma_f64 v[3:4], v[137:138], v[151:152], v[3:4]
	ds_load_2addr_b64 v[145:148], v124 offset0:99 offset1:100
	ds_load_2addr_b64 v[149:152], v124 offset0:101 offset1:102
	s_waitcnt lgkmcnt(1)
	v_fma_f64 v[3:4], v[139:140], v[145:146], v[3:4]
	scratch_load_b128 v[137:140], off, off offset:384
	s_waitcnt vmcnt(4)
	v_fma_f64 v[3:4], v[141:142], v[147:148], v[3:4]
	s_waitcnt lgkmcnt(0)
	s_delay_alu instid0(VALU_DEP_1)
	v_fma_f64 v[3:4], v[143:144], v[149:150], v[3:4]
	scratch_load_b128 v[141:144], off, off offset:400
	s_waitcnt vmcnt(4)
	v_fma_f64 v[3:4], v[125:126], v[151:152], v[3:4]
	ds_load_2addr_b64 v[145:148], v124 offset0:103 offset1:104
	ds_load_2addr_b64 v[149:152], v124 offset0:105 offset1:106
	s_waitcnt lgkmcnt(1)
	v_fma_f64 v[3:4], v[127:128], v[145:146], v[3:4]
	scratch_load_b128 v[125:128], off, off offset:416
	s_waitcnt vmcnt(4)
	v_fma_f64 v[3:4], v[129:130], v[147:148], v[3:4]
	s_waitcnt lgkmcnt(0)
	s_delay_alu instid0(VALU_DEP_1)
	v_fma_f64 v[3:4], v[131:132], v[149:150], v[3:4]
	scratch_load_b128 v[129:132], off, off offset:432
	s_waitcnt vmcnt(4)
	v_fma_f64 v[3:4], v[133:134], v[151:152], v[3:4]
	ds_load_2addr_b64 v[145:148], v124 offset0:107 offset1:108
	ds_load_2addr_b64 v[149:152], v124 offset0:109 offset1:110
	s_waitcnt lgkmcnt(1)
	v_fma_f64 v[3:4], v[135:136], v[145:146], v[3:4]
	scratch_load_b128 v[133:136], off, off offset:448
	s_waitcnt vmcnt(4)
	v_fma_f64 v[3:4], v[137:138], v[147:148], v[3:4]
	s_waitcnt lgkmcnt(0)
	s_delay_alu instid0(VALU_DEP_1)
	v_fma_f64 v[3:4], v[139:140], v[149:150], v[3:4]
	scratch_load_b64 v[149:150], off, off offset:464
	ds_load_2addr_b64 v[137:140], v124 offset0:111 offset1:112
	ds_load_2addr_b64 v[145:148], v124 offset0:113 offset1:114
	s_waitcnt vmcnt(4)
	v_fma_f64 v[3:4], v[141:142], v[151:152], v[3:4]
	s_waitcnt lgkmcnt(1)
	s_delay_alu instid0(VALU_DEP_1) | instskip(SKIP_1) | instid1(VALU_DEP_1)
	v_fma_f64 v[3:4], v[143:144], v[137:138], v[3:4]
	s_waitcnt vmcnt(3)
	v_fma_f64 v[3:4], v[125:126], v[139:140], v[3:4]
	s_waitcnt lgkmcnt(0)
	s_delay_alu instid0(VALU_DEP_1)
	v_fma_f64 v[3:4], v[127:128], v[145:146], v[3:4]
	ds_load_2addr_b64 v[125:128], v124 offset0:115 offset1:116
	ds_load_2addr_b64 v[137:140], v124 offset0:117 offset1:118
	s_waitcnt vmcnt(2)
	v_fma_f64 v[3:4], v[129:130], v[147:148], v[3:4]
	s_waitcnt lgkmcnt(1)
	s_delay_alu instid0(VALU_DEP_1) | instskip(SKIP_1) | instid1(VALU_DEP_1)
	v_fma_f64 v[3:4], v[131:132], v[125:126], v[3:4]
	s_waitcnt vmcnt(1)
	v_fma_f64 v[3:4], v[133:134], v[127:128], v[3:4]
	s_waitcnt lgkmcnt(0)
	s_delay_alu instid0(VALU_DEP_1) | instskip(SKIP_1) | instid1(VALU_DEP_1)
	v_fma_f64 v[3:4], v[135:136], v[137:138], v[3:4]
	s_waitcnt vmcnt(0)
	v_fma_f64 v[3:4], v[149:150], v[139:140], v[3:4]
	s_delay_alu instid0(VALU_DEP_1)
	v_add_f64 v[1:2], v[1:2], -v[3:4]
	scratch_store_b64 off, v[1:2], off offset:80
	v_cmpx_lt_u32_e32 9, v0
	s_cbranch_execz .LBB58_345
; %bb.344:
	scratch_load_b64 v[1:2], off, off offset:72
	v_mov_b32_e32 v3, 0
	s_delay_alu instid0(VALU_DEP_1)
	v_mov_b32_e32 v4, v3
	scratch_store_b64 off, v[3:4], off offset:72
	s_waitcnt vmcnt(0)
	ds_store_b64 v5, v[1:2]
.LBB58_345:
	s_or_b32 exec_lo, exec_lo, s0
	s_waitcnt lgkmcnt(0)
	s_waitcnt_vscnt null, 0x0
	s_barrier
	buffer_gl0_inv
	s_clause 0x4
	scratch_load_b128 v[1:4], off, off offset:72
	scratch_load_b128 v[125:128], off, off offset:88
	scratch_load_b128 v[129:132], off, off offset:104
	scratch_load_b128 v[133:136], off, off offset:120
	scratch_load_b128 v[137:140], off, off offset:136
	v_mov_b32_e32 v124, 0
	ds_load_b128 v[141:144], v124 offset:560
	ds_load_b128 v[145:148], v124 offset:576
	scratch_load_b128 v[149:152], off, off offset:152
	s_mov_b32 s0, exec_lo
	s_waitcnt vmcnt(5) lgkmcnt(1)
	v_fma_f64 v[3:4], v[3:4], v[141:142], 0
	s_waitcnt vmcnt(4)
	s_delay_alu instid0(VALU_DEP_1) | instskip(SKIP_1) | instid1(VALU_DEP_1)
	v_fma_f64 v[3:4], v[125:126], v[143:144], v[3:4]
	s_waitcnt lgkmcnt(0)
	v_fma_f64 v[3:4], v[127:128], v[145:146], v[3:4]
	scratch_load_b128 v[125:128], off, off offset:168
	s_waitcnt vmcnt(4)
	v_fma_f64 v[3:4], v[129:130], v[147:148], v[3:4]
	ds_load_b128 v[141:144], v124 offset:592
	ds_load_b128 v[145:148], v124 offset:608
	s_waitcnt lgkmcnt(1)
	v_fma_f64 v[3:4], v[131:132], v[141:142], v[3:4]
	scratch_load_b128 v[129:132], off, off offset:184
	s_waitcnt vmcnt(4)
	v_fma_f64 v[3:4], v[133:134], v[143:144], v[3:4]
	s_waitcnt lgkmcnt(0)
	s_delay_alu instid0(VALU_DEP_1)
	v_fma_f64 v[3:4], v[135:136], v[145:146], v[3:4]
	scratch_load_b128 v[133:136], off, off offset:200
	s_waitcnt vmcnt(4)
	v_fma_f64 v[3:4], v[137:138], v[147:148], v[3:4]
	ds_load_b128 v[141:144], v124 offset:624
	ds_load_b128 v[145:148], v124 offset:640
	s_waitcnt lgkmcnt(1)
	v_fma_f64 v[3:4], v[139:140], v[141:142], v[3:4]
	scratch_load_b128 v[137:140], off, off offset:216
	s_waitcnt vmcnt(4)
	v_fma_f64 v[3:4], v[149:150], v[143:144], v[3:4]
	scratch_load_b128 v[141:144], off, off offset:232
	s_waitcnt lgkmcnt(0)
	v_fma_f64 v[3:4], v[151:152], v[145:146], v[3:4]
	s_waitcnt vmcnt(4)
	s_delay_alu instid0(VALU_DEP_1)
	v_fma_f64 v[3:4], v[125:126], v[147:148], v[3:4]
	ds_load_b128 v[145:148], v124 offset:656
	ds_load_b128 v[149:152], v124 offset:672
	s_waitcnt lgkmcnt(1)
	v_fma_f64 v[3:4], v[127:128], v[145:146], v[3:4]
	scratch_load_b128 v[125:128], off, off offset:248
	s_waitcnt vmcnt(4)
	v_fma_f64 v[3:4], v[129:130], v[147:148], v[3:4]
	s_waitcnt lgkmcnt(0)
	s_delay_alu instid0(VALU_DEP_1)
	v_fma_f64 v[3:4], v[131:132], v[149:150], v[3:4]
	scratch_load_b128 v[129:132], off, off offset:264
	s_waitcnt vmcnt(4)
	v_fma_f64 v[3:4], v[133:134], v[151:152], v[3:4]
	ds_load_b128 v[145:148], v124 offset:688
	ds_load_b128 v[149:152], v124 offset:704
	s_waitcnt lgkmcnt(1)
	v_fma_f64 v[3:4], v[135:136], v[145:146], v[3:4]
	scratch_load_b128 v[133:136], off, off offset:280
	s_waitcnt vmcnt(4)
	v_fma_f64 v[3:4], v[137:138], v[147:148], v[3:4]
	s_waitcnt lgkmcnt(0)
	s_delay_alu instid0(VALU_DEP_1)
	v_fma_f64 v[3:4], v[139:140], v[149:150], v[3:4]
	scratch_load_b128 v[137:140], off, off offset:296
	s_waitcnt vmcnt(4)
	;; [unrolled: 13-line block ×7, first 2 shown]
	v_fma_f64 v[3:4], v[141:142], v[151:152], v[3:4]
	ds_load_b128 v[145:148], v124 offset:880
	ds_load_b128 v[149:152], v124 offset:896
	s_waitcnt lgkmcnt(1)
	v_fma_f64 v[3:4], v[143:144], v[145:146], v[3:4]
	s_waitcnt vmcnt(3)
	s_delay_alu instid0(VALU_DEP_1) | instskip(SKIP_1) | instid1(VALU_DEP_1)
	v_fma_f64 v[3:4], v[125:126], v[147:148], v[3:4]
	s_waitcnt lgkmcnt(0)
	v_fma_f64 v[3:4], v[127:128], v[149:150], v[3:4]
	ds_load_b128 v[125:128], v124 offset:912
	ds_load_b128 v[141:144], v124 offset:928
	s_waitcnt vmcnt(2)
	v_fma_f64 v[3:4], v[129:130], v[151:152], v[3:4]
	s_waitcnt lgkmcnt(1)
	s_delay_alu instid0(VALU_DEP_1) | instskip(SKIP_4) | instid1(VALU_DEP_1)
	v_fma_f64 v[3:4], v[131:132], v[125:126], v[3:4]
	ds_load_b64 v[125:126], v124 offset:944
	s_waitcnt vmcnt(1)
	v_fma_f64 v[3:4], v[133:134], v[127:128], v[3:4]
	s_waitcnt lgkmcnt(1)
	v_fma_f64 v[3:4], v[135:136], v[141:142], v[3:4]
	s_waitcnt vmcnt(0)
	s_delay_alu instid0(VALU_DEP_1) | instskip(SKIP_1) | instid1(VALU_DEP_1)
	v_fma_f64 v[3:4], v[137:138], v[143:144], v[3:4]
	s_waitcnt lgkmcnt(0)
	v_fma_f64 v[3:4], v[139:140], v[125:126], v[3:4]
	s_delay_alu instid0(VALU_DEP_1)
	v_add_f64 v[1:2], v[1:2], -v[3:4]
	scratch_store_b64 off, v[1:2], off offset:72
	v_cmpx_lt_u32_e32 8, v0
	s_cbranch_execz .LBB58_347
; %bb.346:
	scratch_load_b64 v[1:2], off, off offset:64
	v_mov_b32_e32 v125, v124
	scratch_store_b64 off, v[124:125], off offset:64
	s_waitcnt vmcnt(0)
	ds_store_b64 v5, v[1:2]
.LBB58_347:
	s_or_b32 exec_lo, exec_lo, s0
	s_waitcnt lgkmcnt(0)
	s_waitcnt_vscnt null, 0x0
	s_barrier
	buffer_gl0_inv
	s_clause 0x4
	scratch_load_b128 v[1:4], off, off offset:64
	scratch_load_b128 v[125:128], off, off offset:80
	;; [unrolled: 1-line block ×5, first 2 shown]
	ds_load_2addr_b64 v[141:144], v124 offset0:69 offset1:70
	ds_load_2addr_b64 v[145:148], v124 offset0:71 offset1:72
	scratch_load_b128 v[149:152], off, off offset:144
	s_mov_b32 s0, exec_lo
	s_waitcnt vmcnt(5) lgkmcnt(1)
	v_fma_f64 v[3:4], v[3:4], v[141:142], 0
	s_waitcnt vmcnt(4)
	s_delay_alu instid0(VALU_DEP_1) | instskip(SKIP_1) | instid1(VALU_DEP_1)
	v_fma_f64 v[3:4], v[125:126], v[143:144], v[3:4]
	s_waitcnt lgkmcnt(0)
	v_fma_f64 v[3:4], v[127:128], v[145:146], v[3:4]
	scratch_load_b128 v[125:128], off, off offset:160
	s_waitcnt vmcnt(4)
	v_fma_f64 v[3:4], v[129:130], v[147:148], v[3:4]
	ds_load_2addr_b64 v[141:144], v124 offset0:73 offset1:74
	ds_load_2addr_b64 v[145:148], v124 offset0:75 offset1:76
	s_waitcnt lgkmcnt(1)
	v_fma_f64 v[3:4], v[131:132], v[141:142], v[3:4]
	scratch_load_b128 v[129:132], off, off offset:176
	s_waitcnt vmcnt(4)
	v_fma_f64 v[3:4], v[133:134], v[143:144], v[3:4]
	s_waitcnt lgkmcnt(0)
	s_delay_alu instid0(VALU_DEP_1)
	v_fma_f64 v[3:4], v[135:136], v[145:146], v[3:4]
	scratch_load_b128 v[133:136], off, off offset:192
	s_waitcnt vmcnt(4)
	v_fma_f64 v[3:4], v[137:138], v[147:148], v[3:4]
	ds_load_2addr_b64 v[141:144], v124 offset0:77 offset1:78
	ds_load_2addr_b64 v[145:148], v124 offset0:79 offset1:80
	s_waitcnt lgkmcnt(1)
	v_fma_f64 v[3:4], v[139:140], v[141:142], v[3:4]
	scratch_load_b128 v[137:140], off, off offset:208
	s_waitcnt vmcnt(4)
	v_fma_f64 v[3:4], v[149:150], v[143:144], v[3:4]
	scratch_load_b128 v[141:144], off, off offset:224
	s_waitcnt lgkmcnt(0)
	v_fma_f64 v[3:4], v[151:152], v[145:146], v[3:4]
	s_waitcnt vmcnt(4)
	s_delay_alu instid0(VALU_DEP_1)
	v_fma_f64 v[3:4], v[125:126], v[147:148], v[3:4]
	ds_load_2addr_b64 v[145:148], v124 offset0:81 offset1:82
	ds_load_2addr_b64 v[149:152], v124 offset0:83 offset1:84
	s_waitcnt lgkmcnt(1)
	v_fma_f64 v[3:4], v[127:128], v[145:146], v[3:4]
	scratch_load_b128 v[125:128], off, off offset:240
	s_waitcnt vmcnt(4)
	v_fma_f64 v[3:4], v[129:130], v[147:148], v[3:4]
	s_waitcnt lgkmcnt(0)
	s_delay_alu instid0(VALU_DEP_1)
	v_fma_f64 v[3:4], v[131:132], v[149:150], v[3:4]
	scratch_load_b128 v[129:132], off, off offset:256
	s_waitcnt vmcnt(4)
	v_fma_f64 v[3:4], v[133:134], v[151:152], v[3:4]
	ds_load_2addr_b64 v[145:148], v124 offset0:85 offset1:86
	ds_load_2addr_b64 v[149:152], v124 offset0:87 offset1:88
	s_waitcnt lgkmcnt(1)
	v_fma_f64 v[3:4], v[135:136], v[145:146], v[3:4]
	scratch_load_b128 v[133:136], off, off offset:272
	s_waitcnt vmcnt(4)
	v_fma_f64 v[3:4], v[137:138], v[147:148], v[3:4]
	s_waitcnt lgkmcnt(0)
	s_delay_alu instid0(VALU_DEP_1)
	v_fma_f64 v[3:4], v[139:140], v[149:150], v[3:4]
	scratch_load_b128 v[137:140], off, off offset:288
	s_waitcnt vmcnt(4)
	;; [unrolled: 13-line block ×7, first 2 shown]
	v_fma_f64 v[3:4], v[141:142], v[151:152], v[3:4]
	ds_load_2addr_b64 v[145:148], v124 offset0:109 offset1:110
	ds_load_2addr_b64 v[149:152], v124 offset0:111 offset1:112
	s_waitcnt lgkmcnt(1)
	v_fma_f64 v[3:4], v[143:144], v[145:146], v[3:4]
	scratch_load_b64 v[145:146], off, off offset:464
	s_waitcnt vmcnt(4)
	v_fma_f64 v[3:4], v[125:126], v[147:148], v[3:4]
	s_waitcnt lgkmcnt(0)
	s_delay_alu instid0(VALU_DEP_1)
	v_fma_f64 v[3:4], v[127:128], v[149:150], v[3:4]
	ds_load_2addr_b64 v[125:128], v124 offset0:113 offset1:114
	ds_load_2addr_b64 v[141:144], v124 offset0:115 offset1:116
	s_waitcnt vmcnt(3)
	v_fma_f64 v[3:4], v[129:130], v[151:152], v[3:4]
	s_waitcnt lgkmcnt(1)
	s_delay_alu instid0(VALU_DEP_1) | instskip(SKIP_1) | instid1(VALU_DEP_1)
	v_fma_f64 v[3:4], v[131:132], v[125:126], v[3:4]
	s_waitcnt vmcnt(2)
	v_fma_f64 v[3:4], v[133:134], v[127:128], v[3:4]
	ds_load_2addr_b64 v[124:127], v124 offset0:117 offset1:118
	s_waitcnt lgkmcnt(1)
	v_fma_f64 v[3:4], v[135:136], v[141:142], v[3:4]
	s_waitcnt vmcnt(1)
	s_delay_alu instid0(VALU_DEP_1) | instskip(SKIP_1) | instid1(VALU_DEP_1)
	v_fma_f64 v[3:4], v[137:138], v[143:144], v[3:4]
	s_waitcnt lgkmcnt(0)
	v_fma_f64 v[3:4], v[139:140], v[124:125], v[3:4]
	s_waitcnt vmcnt(0)
	s_delay_alu instid0(VALU_DEP_1) | instskip(NEXT) | instid1(VALU_DEP_1)
	v_fma_f64 v[3:4], v[145:146], v[126:127], v[3:4]
	v_add_f64 v[1:2], v[1:2], -v[3:4]
	scratch_store_b64 off, v[1:2], off offset:64
	v_cmpx_lt_u32_e32 7, v0
	s_cbranch_execz .LBB58_349
; %bb.348:
	scratch_load_b64 v[1:2], off, off offset:56
	v_mov_b32_e32 v3, 0
	s_delay_alu instid0(VALU_DEP_1)
	v_mov_b32_e32 v4, v3
	scratch_store_b64 off, v[3:4], off offset:56
	s_waitcnt vmcnt(0)
	ds_store_b64 v5, v[1:2]
.LBB58_349:
	s_or_b32 exec_lo, exec_lo, s0
	s_waitcnt lgkmcnt(0)
	s_waitcnt_vscnt null, 0x0
	s_barrier
	buffer_gl0_inv
	s_clause 0x4
	scratch_load_b128 v[1:4], off, off offset:56
	scratch_load_b128 v[125:128], off, off offset:72
	;; [unrolled: 1-line block ×5, first 2 shown]
	v_mov_b32_e32 v124, 0
	ds_load_b128 v[141:144], v124 offset:544
	ds_load_b128 v[145:148], v124 offset:560
	scratch_load_b128 v[149:152], off, off offset:136
	s_mov_b32 s0, exec_lo
	s_waitcnt vmcnt(5) lgkmcnt(1)
	v_fma_f64 v[3:4], v[3:4], v[141:142], 0
	s_waitcnt vmcnt(4)
	s_delay_alu instid0(VALU_DEP_1) | instskip(SKIP_1) | instid1(VALU_DEP_1)
	v_fma_f64 v[3:4], v[125:126], v[143:144], v[3:4]
	s_waitcnt lgkmcnt(0)
	v_fma_f64 v[3:4], v[127:128], v[145:146], v[3:4]
	scratch_load_b128 v[125:128], off, off offset:152
	s_waitcnt vmcnt(4)
	v_fma_f64 v[3:4], v[129:130], v[147:148], v[3:4]
	ds_load_b128 v[141:144], v124 offset:576
	ds_load_b128 v[145:148], v124 offset:592
	s_waitcnt lgkmcnt(1)
	v_fma_f64 v[3:4], v[131:132], v[141:142], v[3:4]
	scratch_load_b128 v[129:132], off, off offset:168
	s_waitcnt vmcnt(4)
	v_fma_f64 v[3:4], v[133:134], v[143:144], v[3:4]
	s_waitcnt lgkmcnt(0)
	s_delay_alu instid0(VALU_DEP_1)
	v_fma_f64 v[3:4], v[135:136], v[145:146], v[3:4]
	scratch_load_b128 v[133:136], off, off offset:184
	s_waitcnt vmcnt(4)
	v_fma_f64 v[3:4], v[137:138], v[147:148], v[3:4]
	ds_load_b128 v[141:144], v124 offset:608
	ds_load_b128 v[145:148], v124 offset:624
	s_waitcnt lgkmcnt(1)
	v_fma_f64 v[3:4], v[139:140], v[141:142], v[3:4]
	scratch_load_b128 v[137:140], off, off offset:200
	s_waitcnt vmcnt(4)
	v_fma_f64 v[3:4], v[149:150], v[143:144], v[3:4]
	scratch_load_b128 v[141:144], off, off offset:216
	s_waitcnt lgkmcnt(0)
	v_fma_f64 v[3:4], v[151:152], v[145:146], v[3:4]
	s_waitcnt vmcnt(4)
	s_delay_alu instid0(VALU_DEP_1)
	v_fma_f64 v[3:4], v[125:126], v[147:148], v[3:4]
	ds_load_b128 v[145:148], v124 offset:640
	ds_load_b128 v[149:152], v124 offset:656
	s_waitcnt lgkmcnt(1)
	v_fma_f64 v[3:4], v[127:128], v[145:146], v[3:4]
	scratch_load_b128 v[125:128], off, off offset:232
	s_waitcnt vmcnt(4)
	v_fma_f64 v[3:4], v[129:130], v[147:148], v[3:4]
	s_waitcnt lgkmcnt(0)
	s_delay_alu instid0(VALU_DEP_1)
	v_fma_f64 v[3:4], v[131:132], v[149:150], v[3:4]
	scratch_load_b128 v[129:132], off, off offset:248
	s_waitcnt vmcnt(4)
	v_fma_f64 v[3:4], v[133:134], v[151:152], v[3:4]
	ds_load_b128 v[145:148], v124 offset:672
	ds_load_b128 v[149:152], v124 offset:688
	s_waitcnt lgkmcnt(1)
	v_fma_f64 v[3:4], v[135:136], v[145:146], v[3:4]
	scratch_load_b128 v[133:136], off, off offset:264
	s_waitcnt vmcnt(4)
	v_fma_f64 v[3:4], v[137:138], v[147:148], v[3:4]
	s_waitcnt lgkmcnt(0)
	s_delay_alu instid0(VALU_DEP_1)
	v_fma_f64 v[3:4], v[139:140], v[149:150], v[3:4]
	scratch_load_b128 v[137:140], off, off offset:280
	s_waitcnt vmcnt(4)
	;; [unrolled: 13-line block ×7, first 2 shown]
	v_fma_f64 v[3:4], v[141:142], v[151:152], v[3:4]
	ds_load_b128 v[145:148], v124 offset:864
	ds_load_b128 v[149:152], v124 offset:880
	s_waitcnt lgkmcnt(1)
	v_fma_f64 v[3:4], v[143:144], v[145:146], v[3:4]
	scratch_load_b128 v[141:144], off, off offset:456
	s_waitcnt vmcnt(4)
	v_fma_f64 v[3:4], v[125:126], v[147:148], v[3:4]
	s_waitcnt lgkmcnt(0)
	s_delay_alu instid0(VALU_DEP_1)
	v_fma_f64 v[3:4], v[127:128], v[149:150], v[3:4]
	ds_load_b128 v[125:128], v124 offset:896
	ds_load_b128 v[145:148], v124 offset:912
	s_waitcnt vmcnt(3)
	v_fma_f64 v[3:4], v[129:130], v[151:152], v[3:4]
	s_waitcnt lgkmcnt(1)
	s_delay_alu instid0(VALU_DEP_1) | instskip(SKIP_1) | instid1(VALU_DEP_1)
	v_fma_f64 v[3:4], v[131:132], v[125:126], v[3:4]
	s_waitcnt vmcnt(2)
	v_fma_f64 v[3:4], v[133:134], v[127:128], v[3:4]
	ds_load_b128 v[125:128], v124 offset:928
	ds_load_b64 v[129:130], v124 offset:944
	s_waitcnt lgkmcnt(2)
	v_fma_f64 v[3:4], v[135:136], v[145:146], v[3:4]
	s_waitcnt vmcnt(1)
	s_delay_alu instid0(VALU_DEP_1) | instskip(SKIP_1) | instid1(VALU_DEP_1)
	v_fma_f64 v[3:4], v[137:138], v[147:148], v[3:4]
	s_waitcnt lgkmcnt(1)
	v_fma_f64 v[3:4], v[139:140], v[125:126], v[3:4]
	s_waitcnt vmcnt(0)
	s_delay_alu instid0(VALU_DEP_1) | instskip(SKIP_1) | instid1(VALU_DEP_1)
	v_fma_f64 v[3:4], v[141:142], v[127:128], v[3:4]
	s_waitcnt lgkmcnt(0)
	v_fma_f64 v[3:4], v[143:144], v[129:130], v[3:4]
	s_delay_alu instid0(VALU_DEP_1)
	v_add_f64 v[1:2], v[1:2], -v[3:4]
	scratch_store_b64 off, v[1:2], off offset:56
	v_cmpx_lt_u32_e32 6, v0
	s_cbranch_execz .LBB58_351
; %bb.350:
	scratch_load_b64 v[1:2], off, off offset:48
	v_mov_b32_e32 v125, v124
	scratch_store_b64 off, v[124:125], off offset:48
	s_waitcnt vmcnt(0)
	ds_store_b64 v5, v[1:2]
.LBB58_351:
	s_or_b32 exec_lo, exec_lo, s0
	s_waitcnt lgkmcnt(0)
	s_waitcnt_vscnt null, 0x0
	s_barrier
	buffer_gl0_inv
	s_clause 0x4
	scratch_load_b128 v[1:4], off, off offset:48
	scratch_load_b128 v[125:128], off, off offset:64
	;; [unrolled: 1-line block ×5, first 2 shown]
	ds_load_2addr_b64 v[141:144], v124 offset0:67 offset1:68
	ds_load_2addr_b64 v[145:148], v124 offset0:69 offset1:70
	scratch_load_b128 v[149:152], off, off offset:128
	s_mov_b32 s0, exec_lo
	s_waitcnt vmcnt(5) lgkmcnt(1)
	v_fma_f64 v[3:4], v[3:4], v[141:142], 0
	s_waitcnt vmcnt(4)
	s_delay_alu instid0(VALU_DEP_1) | instskip(SKIP_1) | instid1(VALU_DEP_1)
	v_fma_f64 v[3:4], v[125:126], v[143:144], v[3:4]
	s_waitcnt lgkmcnt(0)
	v_fma_f64 v[3:4], v[127:128], v[145:146], v[3:4]
	scratch_load_b128 v[125:128], off, off offset:144
	s_waitcnt vmcnt(4)
	v_fma_f64 v[3:4], v[129:130], v[147:148], v[3:4]
	ds_load_2addr_b64 v[141:144], v124 offset0:71 offset1:72
	ds_load_2addr_b64 v[145:148], v124 offset0:73 offset1:74
	s_waitcnt lgkmcnt(1)
	v_fma_f64 v[3:4], v[131:132], v[141:142], v[3:4]
	scratch_load_b128 v[129:132], off, off offset:160
	s_waitcnt vmcnt(4)
	v_fma_f64 v[3:4], v[133:134], v[143:144], v[3:4]
	s_waitcnt lgkmcnt(0)
	s_delay_alu instid0(VALU_DEP_1)
	v_fma_f64 v[3:4], v[135:136], v[145:146], v[3:4]
	scratch_load_b128 v[133:136], off, off offset:176
	s_waitcnt vmcnt(4)
	v_fma_f64 v[3:4], v[137:138], v[147:148], v[3:4]
	ds_load_2addr_b64 v[141:144], v124 offset0:75 offset1:76
	ds_load_2addr_b64 v[145:148], v124 offset0:77 offset1:78
	s_waitcnt lgkmcnt(1)
	v_fma_f64 v[3:4], v[139:140], v[141:142], v[3:4]
	scratch_load_b128 v[137:140], off, off offset:192
	s_waitcnt vmcnt(4)
	v_fma_f64 v[3:4], v[149:150], v[143:144], v[3:4]
	scratch_load_b128 v[141:144], off, off offset:208
	s_waitcnt lgkmcnt(0)
	v_fma_f64 v[3:4], v[151:152], v[145:146], v[3:4]
	s_waitcnt vmcnt(4)
	s_delay_alu instid0(VALU_DEP_1)
	v_fma_f64 v[3:4], v[125:126], v[147:148], v[3:4]
	ds_load_2addr_b64 v[145:148], v124 offset0:79 offset1:80
	ds_load_2addr_b64 v[149:152], v124 offset0:81 offset1:82
	s_waitcnt lgkmcnt(1)
	v_fma_f64 v[3:4], v[127:128], v[145:146], v[3:4]
	scratch_load_b128 v[125:128], off, off offset:224
	s_waitcnt vmcnt(4)
	v_fma_f64 v[3:4], v[129:130], v[147:148], v[3:4]
	s_waitcnt lgkmcnt(0)
	s_delay_alu instid0(VALU_DEP_1)
	v_fma_f64 v[3:4], v[131:132], v[149:150], v[3:4]
	scratch_load_b128 v[129:132], off, off offset:240
	s_waitcnt vmcnt(4)
	v_fma_f64 v[3:4], v[133:134], v[151:152], v[3:4]
	ds_load_2addr_b64 v[145:148], v124 offset0:83 offset1:84
	ds_load_2addr_b64 v[149:152], v124 offset0:85 offset1:86
	s_waitcnt lgkmcnt(1)
	v_fma_f64 v[3:4], v[135:136], v[145:146], v[3:4]
	scratch_load_b128 v[133:136], off, off offset:256
	s_waitcnt vmcnt(4)
	v_fma_f64 v[3:4], v[137:138], v[147:148], v[3:4]
	s_waitcnt lgkmcnt(0)
	s_delay_alu instid0(VALU_DEP_1)
	v_fma_f64 v[3:4], v[139:140], v[149:150], v[3:4]
	scratch_load_b128 v[137:140], off, off offset:272
	s_waitcnt vmcnt(4)
	;; [unrolled: 13-line block ×7, first 2 shown]
	v_fma_f64 v[3:4], v[141:142], v[151:152], v[3:4]
	ds_load_2addr_b64 v[145:148], v124 offset0:107 offset1:108
	ds_load_2addr_b64 v[149:152], v124 offset0:109 offset1:110
	s_waitcnt lgkmcnt(1)
	v_fma_f64 v[3:4], v[143:144], v[145:146], v[3:4]
	scratch_load_b128 v[141:144], off, off offset:448
	s_waitcnt vmcnt(4)
	v_fma_f64 v[3:4], v[125:126], v[147:148], v[3:4]
	s_waitcnt lgkmcnt(0)
	s_delay_alu instid0(VALU_DEP_1)
	v_fma_f64 v[3:4], v[127:128], v[149:150], v[3:4]
	scratch_load_b64 v[149:150], off, off offset:464
	ds_load_2addr_b64 v[125:128], v124 offset0:111 offset1:112
	ds_load_2addr_b64 v[145:148], v124 offset0:113 offset1:114
	s_waitcnt vmcnt(4)
	v_fma_f64 v[3:4], v[129:130], v[151:152], v[3:4]
	s_waitcnt lgkmcnt(1)
	s_delay_alu instid0(VALU_DEP_1) | instskip(SKIP_1) | instid1(VALU_DEP_1)
	v_fma_f64 v[3:4], v[131:132], v[125:126], v[3:4]
	s_waitcnt vmcnt(3)
	v_fma_f64 v[3:4], v[133:134], v[127:128], v[3:4]
	ds_load_2addr_b64 v[125:128], v124 offset0:115 offset1:116
	ds_load_2addr_b64 v[129:132], v124 offset0:117 offset1:118
	s_waitcnt lgkmcnt(2)
	v_fma_f64 v[3:4], v[135:136], v[145:146], v[3:4]
	s_waitcnt vmcnt(2)
	s_delay_alu instid0(VALU_DEP_1) | instskip(SKIP_1) | instid1(VALU_DEP_1)
	v_fma_f64 v[3:4], v[137:138], v[147:148], v[3:4]
	s_waitcnt lgkmcnt(1)
	v_fma_f64 v[3:4], v[139:140], v[125:126], v[3:4]
	s_waitcnt vmcnt(1)
	s_delay_alu instid0(VALU_DEP_1) | instskip(SKIP_1) | instid1(VALU_DEP_1)
	v_fma_f64 v[3:4], v[141:142], v[127:128], v[3:4]
	s_waitcnt lgkmcnt(0)
	v_fma_f64 v[3:4], v[143:144], v[129:130], v[3:4]
	s_waitcnt vmcnt(0)
	s_delay_alu instid0(VALU_DEP_1) | instskip(NEXT) | instid1(VALU_DEP_1)
	v_fma_f64 v[3:4], v[149:150], v[131:132], v[3:4]
	v_add_f64 v[1:2], v[1:2], -v[3:4]
	scratch_store_b64 off, v[1:2], off offset:48
	v_cmpx_lt_u32_e32 5, v0
	s_cbranch_execz .LBB58_353
; %bb.352:
	scratch_load_b64 v[1:2], off, off offset:40
	v_mov_b32_e32 v3, 0
	s_delay_alu instid0(VALU_DEP_1)
	v_mov_b32_e32 v4, v3
	scratch_store_b64 off, v[3:4], off offset:40
	s_waitcnt vmcnt(0)
	ds_store_b64 v5, v[1:2]
.LBB58_353:
	s_or_b32 exec_lo, exec_lo, s0
	s_waitcnt lgkmcnt(0)
	s_waitcnt_vscnt null, 0x0
	s_barrier
	buffer_gl0_inv
	s_clause 0x4
	scratch_load_b128 v[1:4], off, off offset:40
	scratch_load_b128 v[125:128], off, off offset:56
	;; [unrolled: 1-line block ×5, first 2 shown]
	v_mov_b32_e32 v124, 0
	ds_load_b128 v[141:144], v124 offset:528
	ds_load_b128 v[145:148], v124 offset:544
	scratch_load_b128 v[149:152], off, off offset:120
	s_mov_b32 s0, exec_lo
	s_waitcnt vmcnt(5) lgkmcnt(1)
	v_fma_f64 v[3:4], v[3:4], v[141:142], 0
	s_waitcnt vmcnt(4)
	s_delay_alu instid0(VALU_DEP_1) | instskip(SKIP_1) | instid1(VALU_DEP_1)
	v_fma_f64 v[3:4], v[125:126], v[143:144], v[3:4]
	s_waitcnt lgkmcnt(0)
	v_fma_f64 v[3:4], v[127:128], v[145:146], v[3:4]
	scratch_load_b128 v[125:128], off, off offset:136
	s_waitcnt vmcnt(4)
	v_fma_f64 v[3:4], v[129:130], v[147:148], v[3:4]
	ds_load_b128 v[141:144], v124 offset:560
	ds_load_b128 v[145:148], v124 offset:576
	s_waitcnt lgkmcnt(1)
	v_fma_f64 v[3:4], v[131:132], v[141:142], v[3:4]
	scratch_load_b128 v[129:132], off, off offset:152
	s_waitcnt vmcnt(4)
	v_fma_f64 v[3:4], v[133:134], v[143:144], v[3:4]
	s_waitcnt lgkmcnt(0)
	s_delay_alu instid0(VALU_DEP_1)
	v_fma_f64 v[3:4], v[135:136], v[145:146], v[3:4]
	scratch_load_b128 v[133:136], off, off offset:168
	s_waitcnt vmcnt(4)
	v_fma_f64 v[3:4], v[137:138], v[147:148], v[3:4]
	ds_load_b128 v[141:144], v124 offset:592
	ds_load_b128 v[145:148], v124 offset:608
	s_waitcnt lgkmcnt(1)
	v_fma_f64 v[3:4], v[139:140], v[141:142], v[3:4]
	scratch_load_b128 v[137:140], off, off offset:184
	s_waitcnt vmcnt(4)
	v_fma_f64 v[3:4], v[149:150], v[143:144], v[3:4]
	scratch_load_b128 v[141:144], off, off offset:200
	s_waitcnt lgkmcnt(0)
	v_fma_f64 v[3:4], v[151:152], v[145:146], v[3:4]
	s_waitcnt vmcnt(4)
	s_delay_alu instid0(VALU_DEP_1)
	v_fma_f64 v[3:4], v[125:126], v[147:148], v[3:4]
	ds_load_b128 v[145:148], v124 offset:624
	ds_load_b128 v[149:152], v124 offset:640
	s_waitcnt lgkmcnt(1)
	v_fma_f64 v[3:4], v[127:128], v[145:146], v[3:4]
	scratch_load_b128 v[125:128], off, off offset:216
	s_waitcnt vmcnt(4)
	v_fma_f64 v[3:4], v[129:130], v[147:148], v[3:4]
	s_waitcnt lgkmcnt(0)
	s_delay_alu instid0(VALU_DEP_1)
	v_fma_f64 v[3:4], v[131:132], v[149:150], v[3:4]
	scratch_load_b128 v[129:132], off, off offset:232
	s_waitcnt vmcnt(4)
	v_fma_f64 v[3:4], v[133:134], v[151:152], v[3:4]
	ds_load_b128 v[145:148], v124 offset:656
	ds_load_b128 v[149:152], v124 offset:672
	s_waitcnt lgkmcnt(1)
	v_fma_f64 v[3:4], v[135:136], v[145:146], v[3:4]
	scratch_load_b128 v[133:136], off, off offset:248
	s_waitcnt vmcnt(4)
	v_fma_f64 v[3:4], v[137:138], v[147:148], v[3:4]
	s_waitcnt lgkmcnt(0)
	s_delay_alu instid0(VALU_DEP_1)
	v_fma_f64 v[3:4], v[139:140], v[149:150], v[3:4]
	scratch_load_b128 v[137:140], off, off offset:264
	s_waitcnt vmcnt(4)
	v_fma_f64 v[3:4], v[141:142], v[151:152], v[3:4]
	ds_load_b128 v[145:148], v124 offset:688
	ds_load_b128 v[149:152], v124 offset:704
	s_waitcnt lgkmcnt(1)
	v_fma_f64 v[3:4], v[143:144], v[145:146], v[3:4]
	scratch_load_b128 v[141:144], off, off offset:280
	s_waitcnt vmcnt(4)
	v_fma_f64 v[3:4], v[125:126], v[147:148], v[3:4]
	s_waitcnt lgkmcnt(0)
	s_delay_alu instid0(VALU_DEP_1)
	v_fma_f64 v[3:4], v[127:128], v[149:150], v[3:4]
	scratch_load_b128 v[125:128], off, off offset:296
	s_waitcnt vmcnt(4)
	v_fma_f64 v[3:4], v[129:130], v[151:152], v[3:4]
	ds_load_b128 v[145:148], v124 offset:720
	ds_load_b128 v[149:152], v124 offset:736
	s_waitcnt lgkmcnt(1)
	v_fma_f64 v[3:4], v[131:132], v[145:146], v[3:4]
	scratch_load_b128 v[129:132], off, off offset:312
	s_waitcnt vmcnt(4)
	v_fma_f64 v[3:4], v[133:134], v[147:148], v[3:4]
	s_waitcnt lgkmcnt(0)
	s_delay_alu instid0(VALU_DEP_1)
	v_fma_f64 v[3:4], v[135:136], v[149:150], v[3:4]
	scratch_load_b128 v[133:136], off, off offset:328
	s_waitcnt vmcnt(4)
	v_fma_f64 v[3:4], v[137:138], v[151:152], v[3:4]
	ds_load_b128 v[145:148], v124 offset:752
	ds_load_b128 v[149:152], v124 offset:768
	s_waitcnt lgkmcnt(1)
	v_fma_f64 v[3:4], v[139:140], v[145:146], v[3:4]
	scratch_load_b128 v[137:140], off, off offset:344
	s_waitcnt vmcnt(4)
	v_fma_f64 v[3:4], v[141:142], v[147:148], v[3:4]
	s_waitcnt lgkmcnt(0)
	s_delay_alu instid0(VALU_DEP_1)
	v_fma_f64 v[3:4], v[143:144], v[149:150], v[3:4]
	scratch_load_b128 v[141:144], off, off offset:360
	s_waitcnt vmcnt(4)
	v_fma_f64 v[3:4], v[125:126], v[151:152], v[3:4]
	ds_load_b128 v[145:148], v124 offset:784
	ds_load_b128 v[149:152], v124 offset:800
	s_waitcnt lgkmcnt(1)
	v_fma_f64 v[3:4], v[127:128], v[145:146], v[3:4]
	scratch_load_b128 v[125:128], off, off offset:376
	s_waitcnt vmcnt(4)
	v_fma_f64 v[3:4], v[129:130], v[147:148], v[3:4]
	s_waitcnt lgkmcnt(0)
	s_delay_alu instid0(VALU_DEP_1)
	v_fma_f64 v[3:4], v[131:132], v[149:150], v[3:4]
	scratch_load_b128 v[129:132], off, off offset:392
	s_waitcnt vmcnt(4)
	v_fma_f64 v[3:4], v[133:134], v[151:152], v[3:4]
	ds_load_b128 v[145:148], v124 offset:816
	ds_load_b128 v[149:152], v124 offset:832
	s_waitcnt lgkmcnt(1)
	v_fma_f64 v[3:4], v[135:136], v[145:146], v[3:4]
	scratch_load_b128 v[133:136], off, off offset:408
	s_waitcnt vmcnt(4)
	v_fma_f64 v[3:4], v[137:138], v[147:148], v[3:4]
	s_waitcnt lgkmcnt(0)
	s_delay_alu instid0(VALU_DEP_1)
	v_fma_f64 v[3:4], v[139:140], v[149:150], v[3:4]
	scratch_load_b128 v[137:140], off, off offset:424
	s_waitcnt vmcnt(4)
	v_fma_f64 v[3:4], v[141:142], v[151:152], v[3:4]
	ds_load_b128 v[145:148], v124 offset:848
	ds_load_b128 v[149:152], v124 offset:864
	s_waitcnt lgkmcnt(1)
	v_fma_f64 v[3:4], v[143:144], v[145:146], v[3:4]
	scratch_load_b128 v[141:144], off, off offset:440
	s_waitcnt vmcnt(4)
	v_fma_f64 v[3:4], v[125:126], v[147:148], v[3:4]
	s_waitcnt lgkmcnt(0)
	s_delay_alu instid0(VALU_DEP_1)
	v_fma_f64 v[3:4], v[127:128], v[149:150], v[3:4]
	scratch_load_b128 v[125:128], off, off offset:456
	s_waitcnt vmcnt(4)
	v_fma_f64 v[3:4], v[129:130], v[151:152], v[3:4]
	ds_load_b128 v[145:148], v124 offset:880
	ds_load_b128 v[149:152], v124 offset:896
	s_waitcnt lgkmcnt(1)
	v_fma_f64 v[3:4], v[131:132], v[145:146], v[3:4]
	s_waitcnt vmcnt(3)
	s_delay_alu instid0(VALU_DEP_1) | instskip(SKIP_1) | instid1(VALU_DEP_1)
	v_fma_f64 v[3:4], v[133:134], v[147:148], v[3:4]
	s_waitcnt lgkmcnt(0)
	v_fma_f64 v[3:4], v[135:136], v[149:150], v[3:4]
	ds_load_b128 v[129:132], v124 offset:912
	ds_load_b128 v[133:136], v124 offset:928
	s_waitcnt vmcnt(2)
	v_fma_f64 v[3:4], v[137:138], v[151:152], v[3:4]
	s_waitcnt lgkmcnt(1)
	s_delay_alu instid0(VALU_DEP_1) | instskip(SKIP_1) | instid1(VALU_DEP_1)
	v_fma_f64 v[3:4], v[139:140], v[129:130], v[3:4]
	s_waitcnt vmcnt(1)
	v_fma_f64 v[3:4], v[141:142], v[131:132], v[3:4]
	s_waitcnt lgkmcnt(0)
	s_delay_alu instid0(VALU_DEP_1) | instskip(SKIP_1) | instid1(VALU_DEP_1)
	v_fma_f64 v[3:4], v[143:144], v[133:134], v[3:4]
	s_waitcnt vmcnt(0)
	v_fma_f64 v[3:4], v[125:126], v[135:136], v[3:4]
	ds_load_b64 v[125:126], v124 offset:944
	s_waitcnt lgkmcnt(0)
	v_fma_f64 v[3:4], v[127:128], v[125:126], v[3:4]
	s_delay_alu instid0(VALU_DEP_1)
	v_add_f64 v[1:2], v[1:2], -v[3:4]
	scratch_store_b64 off, v[1:2], off offset:40
	v_cmpx_lt_u32_e32 4, v0
	s_cbranch_execz .LBB58_355
; %bb.354:
	scratch_load_b64 v[1:2], off, off offset:32
	v_mov_b32_e32 v125, v124
	scratch_store_b64 off, v[124:125], off offset:32
	s_waitcnt vmcnt(0)
	ds_store_b64 v5, v[1:2]
.LBB58_355:
	s_or_b32 exec_lo, exec_lo, s0
	s_waitcnt lgkmcnt(0)
	s_waitcnt_vscnt null, 0x0
	s_barrier
	buffer_gl0_inv
	s_clause 0x4
	scratch_load_b128 v[1:4], off, off offset:32
	scratch_load_b128 v[125:128], off, off offset:48
	;; [unrolled: 1-line block ×5, first 2 shown]
	ds_load_2addr_b64 v[141:144], v124 offset0:65 offset1:66
	ds_load_2addr_b64 v[145:148], v124 offset0:67 offset1:68
	scratch_load_b128 v[149:152], off, off offset:112
	s_mov_b32 s0, exec_lo
	s_waitcnt vmcnt(5) lgkmcnt(1)
	v_fma_f64 v[3:4], v[3:4], v[141:142], 0
	s_waitcnt vmcnt(4)
	s_delay_alu instid0(VALU_DEP_1) | instskip(SKIP_1) | instid1(VALU_DEP_1)
	v_fma_f64 v[3:4], v[125:126], v[143:144], v[3:4]
	s_waitcnt lgkmcnt(0)
	v_fma_f64 v[3:4], v[127:128], v[145:146], v[3:4]
	scratch_load_b128 v[125:128], off, off offset:128
	s_waitcnt vmcnt(4)
	v_fma_f64 v[3:4], v[129:130], v[147:148], v[3:4]
	ds_load_2addr_b64 v[141:144], v124 offset0:69 offset1:70
	ds_load_2addr_b64 v[145:148], v124 offset0:71 offset1:72
	s_waitcnt lgkmcnt(1)
	v_fma_f64 v[3:4], v[131:132], v[141:142], v[3:4]
	scratch_load_b128 v[129:132], off, off offset:144
	s_waitcnt vmcnt(4)
	v_fma_f64 v[3:4], v[133:134], v[143:144], v[3:4]
	s_waitcnt lgkmcnt(0)
	s_delay_alu instid0(VALU_DEP_1)
	v_fma_f64 v[3:4], v[135:136], v[145:146], v[3:4]
	scratch_load_b128 v[133:136], off, off offset:160
	s_waitcnt vmcnt(4)
	v_fma_f64 v[3:4], v[137:138], v[147:148], v[3:4]
	ds_load_2addr_b64 v[141:144], v124 offset0:73 offset1:74
	ds_load_2addr_b64 v[145:148], v124 offset0:75 offset1:76
	s_waitcnt lgkmcnt(1)
	v_fma_f64 v[3:4], v[139:140], v[141:142], v[3:4]
	scratch_load_b128 v[137:140], off, off offset:176
	s_waitcnt vmcnt(4)
	v_fma_f64 v[3:4], v[149:150], v[143:144], v[3:4]
	scratch_load_b128 v[141:144], off, off offset:192
	s_waitcnt lgkmcnt(0)
	v_fma_f64 v[3:4], v[151:152], v[145:146], v[3:4]
	s_waitcnt vmcnt(4)
	s_delay_alu instid0(VALU_DEP_1)
	v_fma_f64 v[3:4], v[125:126], v[147:148], v[3:4]
	ds_load_2addr_b64 v[145:148], v124 offset0:77 offset1:78
	ds_load_2addr_b64 v[149:152], v124 offset0:79 offset1:80
	s_waitcnt lgkmcnt(1)
	v_fma_f64 v[3:4], v[127:128], v[145:146], v[3:4]
	scratch_load_b128 v[125:128], off, off offset:208
	s_waitcnt vmcnt(4)
	v_fma_f64 v[3:4], v[129:130], v[147:148], v[3:4]
	s_waitcnt lgkmcnt(0)
	s_delay_alu instid0(VALU_DEP_1)
	v_fma_f64 v[3:4], v[131:132], v[149:150], v[3:4]
	scratch_load_b128 v[129:132], off, off offset:224
	s_waitcnt vmcnt(4)
	v_fma_f64 v[3:4], v[133:134], v[151:152], v[3:4]
	ds_load_2addr_b64 v[145:148], v124 offset0:81 offset1:82
	ds_load_2addr_b64 v[149:152], v124 offset0:83 offset1:84
	s_waitcnt lgkmcnt(1)
	v_fma_f64 v[3:4], v[135:136], v[145:146], v[3:4]
	scratch_load_b128 v[133:136], off, off offset:240
	s_waitcnt vmcnt(4)
	v_fma_f64 v[3:4], v[137:138], v[147:148], v[3:4]
	s_waitcnt lgkmcnt(0)
	s_delay_alu instid0(VALU_DEP_1)
	v_fma_f64 v[3:4], v[139:140], v[149:150], v[3:4]
	scratch_load_b128 v[137:140], off, off offset:256
	s_waitcnt vmcnt(4)
	v_fma_f64 v[3:4], v[141:142], v[151:152], v[3:4]
	ds_load_2addr_b64 v[145:148], v124 offset0:85 offset1:86
	ds_load_2addr_b64 v[149:152], v124 offset0:87 offset1:88
	s_waitcnt lgkmcnt(1)
	v_fma_f64 v[3:4], v[143:144], v[145:146], v[3:4]
	scratch_load_b128 v[141:144], off, off offset:272
	s_waitcnt vmcnt(4)
	v_fma_f64 v[3:4], v[125:126], v[147:148], v[3:4]
	s_waitcnt lgkmcnt(0)
	s_delay_alu instid0(VALU_DEP_1)
	v_fma_f64 v[3:4], v[127:128], v[149:150], v[3:4]
	scratch_load_b128 v[125:128], off, off offset:288
	s_waitcnt vmcnt(4)
	v_fma_f64 v[3:4], v[129:130], v[151:152], v[3:4]
	ds_load_2addr_b64 v[145:148], v124 offset0:89 offset1:90
	ds_load_2addr_b64 v[149:152], v124 offset0:91 offset1:92
	s_waitcnt lgkmcnt(1)
	v_fma_f64 v[3:4], v[131:132], v[145:146], v[3:4]
	scratch_load_b128 v[129:132], off, off offset:304
	s_waitcnt vmcnt(4)
	v_fma_f64 v[3:4], v[133:134], v[147:148], v[3:4]
	s_waitcnt lgkmcnt(0)
	s_delay_alu instid0(VALU_DEP_1)
	v_fma_f64 v[3:4], v[135:136], v[149:150], v[3:4]
	scratch_load_b128 v[133:136], off, off offset:320
	s_waitcnt vmcnt(4)
	v_fma_f64 v[3:4], v[137:138], v[151:152], v[3:4]
	ds_load_2addr_b64 v[145:148], v124 offset0:93 offset1:94
	ds_load_2addr_b64 v[149:152], v124 offset0:95 offset1:96
	s_waitcnt lgkmcnt(1)
	v_fma_f64 v[3:4], v[139:140], v[145:146], v[3:4]
	scratch_load_b128 v[137:140], off, off offset:336
	s_waitcnt vmcnt(4)
	v_fma_f64 v[3:4], v[141:142], v[147:148], v[3:4]
	s_waitcnt lgkmcnt(0)
	s_delay_alu instid0(VALU_DEP_1)
	v_fma_f64 v[3:4], v[143:144], v[149:150], v[3:4]
	scratch_load_b128 v[141:144], off, off offset:352
	s_waitcnt vmcnt(4)
	v_fma_f64 v[3:4], v[125:126], v[151:152], v[3:4]
	ds_load_2addr_b64 v[145:148], v124 offset0:97 offset1:98
	ds_load_2addr_b64 v[149:152], v124 offset0:99 offset1:100
	s_waitcnt lgkmcnt(1)
	v_fma_f64 v[3:4], v[127:128], v[145:146], v[3:4]
	scratch_load_b128 v[125:128], off, off offset:368
	s_waitcnt vmcnt(4)
	v_fma_f64 v[3:4], v[129:130], v[147:148], v[3:4]
	s_waitcnt lgkmcnt(0)
	s_delay_alu instid0(VALU_DEP_1)
	v_fma_f64 v[3:4], v[131:132], v[149:150], v[3:4]
	scratch_load_b128 v[129:132], off, off offset:384
	s_waitcnt vmcnt(4)
	v_fma_f64 v[3:4], v[133:134], v[151:152], v[3:4]
	ds_load_2addr_b64 v[145:148], v124 offset0:101 offset1:102
	ds_load_2addr_b64 v[149:152], v124 offset0:103 offset1:104
	s_waitcnt lgkmcnt(1)
	v_fma_f64 v[3:4], v[135:136], v[145:146], v[3:4]
	scratch_load_b128 v[133:136], off, off offset:400
	s_waitcnt vmcnt(4)
	v_fma_f64 v[3:4], v[137:138], v[147:148], v[3:4]
	s_waitcnt lgkmcnt(0)
	s_delay_alu instid0(VALU_DEP_1)
	v_fma_f64 v[3:4], v[139:140], v[149:150], v[3:4]
	scratch_load_b128 v[137:140], off, off offset:416
	s_waitcnt vmcnt(4)
	v_fma_f64 v[3:4], v[141:142], v[151:152], v[3:4]
	ds_load_2addr_b64 v[145:148], v124 offset0:105 offset1:106
	ds_load_2addr_b64 v[149:152], v124 offset0:107 offset1:108
	s_waitcnt lgkmcnt(1)
	v_fma_f64 v[3:4], v[143:144], v[145:146], v[3:4]
	scratch_load_b128 v[141:144], off, off offset:432
	s_waitcnt vmcnt(4)
	v_fma_f64 v[3:4], v[125:126], v[147:148], v[3:4]
	s_waitcnt lgkmcnt(0)
	s_delay_alu instid0(VALU_DEP_1)
	v_fma_f64 v[3:4], v[127:128], v[149:150], v[3:4]
	scratch_load_b128 v[125:128], off, off offset:448
	s_waitcnt vmcnt(4)
	v_fma_f64 v[3:4], v[129:130], v[151:152], v[3:4]
	ds_load_2addr_b64 v[145:148], v124 offset0:109 offset1:110
	ds_load_2addr_b64 v[149:152], v124 offset0:111 offset1:112
	s_waitcnt lgkmcnt(1)
	v_fma_f64 v[3:4], v[131:132], v[145:146], v[3:4]
	scratch_load_b64 v[145:146], off, off offset:464
	s_waitcnt vmcnt(4)
	v_fma_f64 v[3:4], v[133:134], v[147:148], v[3:4]
	s_waitcnt lgkmcnt(0)
	s_delay_alu instid0(VALU_DEP_1)
	v_fma_f64 v[3:4], v[135:136], v[149:150], v[3:4]
	ds_load_2addr_b64 v[129:132], v124 offset0:113 offset1:114
	ds_load_2addr_b64 v[133:136], v124 offset0:115 offset1:116
	s_waitcnt vmcnt(3)
	v_fma_f64 v[3:4], v[137:138], v[151:152], v[3:4]
	s_waitcnt lgkmcnt(1)
	s_delay_alu instid0(VALU_DEP_1) | instskip(SKIP_1) | instid1(VALU_DEP_1)
	v_fma_f64 v[3:4], v[139:140], v[129:130], v[3:4]
	s_waitcnt vmcnt(2)
	v_fma_f64 v[3:4], v[141:142], v[131:132], v[3:4]
	ds_load_2addr_b64 v[129:132], v124 offset0:117 offset1:118
	s_waitcnt lgkmcnt(1)
	v_fma_f64 v[3:4], v[143:144], v[133:134], v[3:4]
	s_waitcnt vmcnt(1)
	s_delay_alu instid0(VALU_DEP_1) | instskip(SKIP_1) | instid1(VALU_DEP_1)
	v_fma_f64 v[3:4], v[125:126], v[135:136], v[3:4]
	s_waitcnt lgkmcnt(0)
	v_fma_f64 v[3:4], v[127:128], v[129:130], v[3:4]
	s_waitcnt vmcnt(0)
	s_delay_alu instid0(VALU_DEP_1) | instskip(NEXT) | instid1(VALU_DEP_1)
	v_fma_f64 v[3:4], v[145:146], v[131:132], v[3:4]
	v_add_f64 v[1:2], v[1:2], -v[3:4]
	scratch_store_b64 off, v[1:2], off offset:32
	v_cmpx_lt_u32_e32 3, v0
	s_cbranch_execz .LBB58_357
; %bb.356:
	scratch_load_b64 v[1:2], off, off offset:24
	v_mov_b32_e32 v3, 0
	s_delay_alu instid0(VALU_DEP_1)
	v_mov_b32_e32 v4, v3
	scratch_store_b64 off, v[3:4], off offset:24
	s_waitcnt vmcnt(0)
	ds_store_b64 v5, v[1:2]
.LBB58_357:
	s_or_b32 exec_lo, exec_lo, s0
	s_waitcnt lgkmcnt(0)
	s_waitcnt_vscnt null, 0x0
	s_barrier
	buffer_gl0_inv
	s_clause 0x4
	scratch_load_b128 v[1:4], off, off offset:24
	scratch_load_b128 v[125:128], off, off offset:40
	;; [unrolled: 1-line block ×5, first 2 shown]
	v_mov_b32_e32 v124, 0
	ds_load_b128 v[141:144], v124 offset:512
	ds_load_b128 v[145:148], v124 offset:528
	scratch_load_b128 v[149:152], off, off offset:104
	s_mov_b32 s0, exec_lo
	s_waitcnt vmcnt(5) lgkmcnt(1)
	v_fma_f64 v[3:4], v[3:4], v[141:142], 0
	s_waitcnt vmcnt(4)
	s_delay_alu instid0(VALU_DEP_1) | instskip(SKIP_1) | instid1(VALU_DEP_1)
	v_fma_f64 v[3:4], v[125:126], v[143:144], v[3:4]
	s_waitcnt lgkmcnt(0)
	v_fma_f64 v[3:4], v[127:128], v[145:146], v[3:4]
	scratch_load_b128 v[125:128], off, off offset:120
	s_waitcnt vmcnt(4)
	v_fma_f64 v[3:4], v[129:130], v[147:148], v[3:4]
	ds_load_b128 v[141:144], v124 offset:544
	ds_load_b128 v[145:148], v124 offset:560
	s_waitcnt lgkmcnt(1)
	v_fma_f64 v[3:4], v[131:132], v[141:142], v[3:4]
	scratch_load_b128 v[129:132], off, off offset:136
	s_waitcnt vmcnt(4)
	v_fma_f64 v[3:4], v[133:134], v[143:144], v[3:4]
	s_waitcnt lgkmcnt(0)
	s_delay_alu instid0(VALU_DEP_1)
	v_fma_f64 v[3:4], v[135:136], v[145:146], v[3:4]
	scratch_load_b128 v[133:136], off, off offset:152
	s_waitcnt vmcnt(4)
	v_fma_f64 v[3:4], v[137:138], v[147:148], v[3:4]
	ds_load_b128 v[141:144], v124 offset:576
	ds_load_b128 v[145:148], v124 offset:592
	s_waitcnt lgkmcnt(1)
	v_fma_f64 v[3:4], v[139:140], v[141:142], v[3:4]
	scratch_load_b128 v[137:140], off, off offset:168
	s_waitcnt vmcnt(4)
	v_fma_f64 v[3:4], v[149:150], v[143:144], v[3:4]
	scratch_load_b128 v[141:144], off, off offset:184
	s_waitcnt lgkmcnt(0)
	v_fma_f64 v[3:4], v[151:152], v[145:146], v[3:4]
	s_waitcnt vmcnt(4)
	s_delay_alu instid0(VALU_DEP_1)
	v_fma_f64 v[3:4], v[125:126], v[147:148], v[3:4]
	ds_load_b128 v[145:148], v124 offset:608
	ds_load_b128 v[149:152], v124 offset:624
	s_waitcnt lgkmcnt(1)
	v_fma_f64 v[3:4], v[127:128], v[145:146], v[3:4]
	scratch_load_b128 v[125:128], off, off offset:200
	s_waitcnt vmcnt(4)
	v_fma_f64 v[3:4], v[129:130], v[147:148], v[3:4]
	s_waitcnt lgkmcnt(0)
	s_delay_alu instid0(VALU_DEP_1)
	v_fma_f64 v[3:4], v[131:132], v[149:150], v[3:4]
	scratch_load_b128 v[129:132], off, off offset:216
	s_waitcnt vmcnt(4)
	v_fma_f64 v[3:4], v[133:134], v[151:152], v[3:4]
	ds_load_b128 v[145:148], v124 offset:640
	ds_load_b128 v[149:152], v124 offset:656
	s_waitcnt lgkmcnt(1)
	v_fma_f64 v[3:4], v[135:136], v[145:146], v[3:4]
	scratch_load_b128 v[133:136], off, off offset:232
	s_waitcnt vmcnt(4)
	v_fma_f64 v[3:4], v[137:138], v[147:148], v[3:4]
	s_waitcnt lgkmcnt(0)
	s_delay_alu instid0(VALU_DEP_1)
	v_fma_f64 v[3:4], v[139:140], v[149:150], v[3:4]
	scratch_load_b128 v[137:140], off, off offset:248
	s_waitcnt vmcnt(4)
	;; [unrolled: 13-line block ×8, first 2 shown]
	v_fma_f64 v[3:4], v[129:130], v[151:152], v[3:4]
	ds_load_b128 v[145:148], v124 offset:864
	ds_load_b128 v[149:152], v124 offset:880
	s_waitcnt lgkmcnt(1)
	v_fma_f64 v[3:4], v[131:132], v[145:146], v[3:4]
	scratch_load_b128 v[129:132], off, off offset:456
	s_waitcnt vmcnt(4)
	v_fma_f64 v[3:4], v[133:134], v[147:148], v[3:4]
	s_waitcnt lgkmcnt(0)
	s_delay_alu instid0(VALU_DEP_1)
	v_fma_f64 v[3:4], v[135:136], v[149:150], v[3:4]
	ds_load_b128 v[133:136], v124 offset:896
	ds_load_b128 v[145:148], v124 offset:912
	s_waitcnt vmcnt(3)
	v_fma_f64 v[3:4], v[137:138], v[151:152], v[3:4]
	s_waitcnt lgkmcnt(1)
	s_delay_alu instid0(VALU_DEP_1) | instskip(SKIP_1) | instid1(VALU_DEP_1)
	v_fma_f64 v[3:4], v[139:140], v[133:134], v[3:4]
	s_waitcnt vmcnt(2)
	v_fma_f64 v[3:4], v[141:142], v[135:136], v[3:4]
	s_waitcnt lgkmcnt(0)
	s_delay_alu instid0(VALU_DEP_1) | instskip(SKIP_1) | instid1(VALU_DEP_1)
	v_fma_f64 v[3:4], v[143:144], v[145:146], v[3:4]
	s_waitcnt vmcnt(1)
	v_fma_f64 v[3:4], v[125:126], v[147:148], v[3:4]
	ds_load_b128 v[133:136], v124 offset:928
	ds_load_b64 v[125:126], v124 offset:944
	s_waitcnt lgkmcnt(1)
	v_fma_f64 v[3:4], v[127:128], v[133:134], v[3:4]
	s_waitcnt vmcnt(0)
	s_delay_alu instid0(VALU_DEP_1) | instskip(SKIP_1) | instid1(VALU_DEP_1)
	v_fma_f64 v[3:4], v[129:130], v[135:136], v[3:4]
	s_waitcnt lgkmcnt(0)
	v_fma_f64 v[3:4], v[131:132], v[125:126], v[3:4]
	s_delay_alu instid0(VALU_DEP_1)
	v_add_f64 v[1:2], v[1:2], -v[3:4]
	scratch_store_b64 off, v[1:2], off offset:24
	v_cmpx_lt_u32_e32 2, v0
	s_cbranch_execz .LBB58_359
; %bb.358:
	scratch_load_b64 v[1:2], off, off offset:16
	v_mov_b32_e32 v125, v124
	scratch_store_b64 off, v[124:125], off offset:16
	s_waitcnt vmcnt(0)
	ds_store_b64 v5, v[1:2]
.LBB58_359:
	s_or_b32 exec_lo, exec_lo, s0
	s_waitcnt lgkmcnt(0)
	s_waitcnt_vscnt null, 0x0
	s_barrier
	buffer_gl0_inv
	s_clause 0x4
	scratch_load_b128 v[1:4], off, off offset:16
	scratch_load_b128 v[125:128], off, off offset:32
	;; [unrolled: 1-line block ×5, first 2 shown]
	ds_load_2addr_b64 v[141:144], v124 offset0:63 offset1:64
	ds_load_2addr_b64 v[145:148], v124 offset0:65 offset1:66
	scratch_load_b128 v[149:152], off, off offset:96
	s_mov_b32 s0, exec_lo
	s_waitcnt vmcnt(5) lgkmcnt(1)
	v_fma_f64 v[3:4], v[3:4], v[141:142], 0
	s_waitcnt vmcnt(4)
	s_delay_alu instid0(VALU_DEP_1) | instskip(SKIP_1) | instid1(VALU_DEP_1)
	v_fma_f64 v[3:4], v[125:126], v[143:144], v[3:4]
	s_waitcnt lgkmcnt(0)
	v_fma_f64 v[3:4], v[127:128], v[145:146], v[3:4]
	scratch_load_b128 v[125:128], off, off offset:112
	s_waitcnt vmcnt(4)
	v_fma_f64 v[3:4], v[129:130], v[147:148], v[3:4]
	ds_load_2addr_b64 v[141:144], v124 offset0:67 offset1:68
	ds_load_2addr_b64 v[145:148], v124 offset0:69 offset1:70
	s_waitcnt lgkmcnt(1)
	v_fma_f64 v[3:4], v[131:132], v[141:142], v[3:4]
	scratch_load_b128 v[129:132], off, off offset:128
	s_waitcnt vmcnt(4)
	v_fma_f64 v[3:4], v[133:134], v[143:144], v[3:4]
	s_waitcnt lgkmcnt(0)
	s_delay_alu instid0(VALU_DEP_1)
	v_fma_f64 v[3:4], v[135:136], v[145:146], v[3:4]
	scratch_load_b128 v[133:136], off, off offset:144
	s_waitcnt vmcnt(4)
	v_fma_f64 v[3:4], v[137:138], v[147:148], v[3:4]
	ds_load_2addr_b64 v[141:144], v124 offset0:71 offset1:72
	ds_load_2addr_b64 v[145:148], v124 offset0:73 offset1:74
	s_waitcnt lgkmcnt(1)
	v_fma_f64 v[3:4], v[139:140], v[141:142], v[3:4]
	scratch_load_b128 v[137:140], off, off offset:160
	s_waitcnt vmcnt(4)
	v_fma_f64 v[3:4], v[149:150], v[143:144], v[3:4]
	scratch_load_b128 v[141:144], off, off offset:176
	s_waitcnt lgkmcnt(0)
	v_fma_f64 v[3:4], v[151:152], v[145:146], v[3:4]
	s_waitcnt vmcnt(4)
	s_delay_alu instid0(VALU_DEP_1)
	v_fma_f64 v[3:4], v[125:126], v[147:148], v[3:4]
	ds_load_2addr_b64 v[145:148], v124 offset0:75 offset1:76
	ds_load_2addr_b64 v[149:152], v124 offset0:77 offset1:78
	s_waitcnt lgkmcnt(1)
	v_fma_f64 v[3:4], v[127:128], v[145:146], v[3:4]
	scratch_load_b128 v[125:128], off, off offset:192
	s_waitcnt vmcnt(4)
	v_fma_f64 v[3:4], v[129:130], v[147:148], v[3:4]
	s_waitcnt lgkmcnt(0)
	s_delay_alu instid0(VALU_DEP_1)
	v_fma_f64 v[3:4], v[131:132], v[149:150], v[3:4]
	scratch_load_b128 v[129:132], off, off offset:208
	s_waitcnt vmcnt(4)
	v_fma_f64 v[3:4], v[133:134], v[151:152], v[3:4]
	ds_load_2addr_b64 v[145:148], v124 offset0:79 offset1:80
	ds_load_2addr_b64 v[149:152], v124 offset0:81 offset1:82
	s_waitcnt lgkmcnt(1)
	v_fma_f64 v[3:4], v[135:136], v[145:146], v[3:4]
	scratch_load_b128 v[133:136], off, off offset:224
	s_waitcnt vmcnt(4)
	v_fma_f64 v[3:4], v[137:138], v[147:148], v[3:4]
	s_waitcnt lgkmcnt(0)
	s_delay_alu instid0(VALU_DEP_1)
	v_fma_f64 v[3:4], v[139:140], v[149:150], v[3:4]
	scratch_load_b128 v[137:140], off, off offset:240
	s_waitcnt vmcnt(4)
	;; [unrolled: 13-line block ×8, first 2 shown]
	v_fma_f64 v[3:4], v[129:130], v[151:152], v[3:4]
	ds_load_2addr_b64 v[145:148], v124 offset0:107 offset1:108
	ds_load_2addr_b64 v[149:152], v124 offset0:109 offset1:110
	s_waitcnt lgkmcnt(1)
	v_fma_f64 v[3:4], v[131:132], v[145:146], v[3:4]
	scratch_load_b128 v[129:132], off, off offset:448
	s_waitcnt vmcnt(4)
	v_fma_f64 v[3:4], v[133:134], v[147:148], v[3:4]
	s_waitcnt lgkmcnt(0)
	s_delay_alu instid0(VALU_DEP_1)
	v_fma_f64 v[3:4], v[135:136], v[149:150], v[3:4]
	scratch_load_b64 v[149:150], off, off offset:464
	ds_load_2addr_b64 v[133:136], v124 offset0:111 offset1:112
	ds_load_2addr_b64 v[145:148], v124 offset0:113 offset1:114
	s_waitcnt vmcnt(4)
	v_fma_f64 v[3:4], v[137:138], v[151:152], v[3:4]
	s_waitcnt lgkmcnt(1)
	s_delay_alu instid0(VALU_DEP_1) | instskip(SKIP_1) | instid1(VALU_DEP_1)
	v_fma_f64 v[3:4], v[139:140], v[133:134], v[3:4]
	s_waitcnt vmcnt(3)
	v_fma_f64 v[3:4], v[141:142], v[135:136], v[3:4]
	ds_load_2addr_b64 v[133:136], v124 offset0:115 offset1:116
	ds_load_2addr_b64 v[137:140], v124 offset0:117 offset1:118
	s_waitcnt lgkmcnt(2)
	v_fma_f64 v[3:4], v[143:144], v[145:146], v[3:4]
	s_waitcnt vmcnt(2)
	s_delay_alu instid0(VALU_DEP_1) | instskip(SKIP_1) | instid1(VALU_DEP_1)
	v_fma_f64 v[3:4], v[125:126], v[147:148], v[3:4]
	s_waitcnt lgkmcnt(1)
	v_fma_f64 v[3:4], v[127:128], v[133:134], v[3:4]
	s_waitcnt vmcnt(1)
	s_delay_alu instid0(VALU_DEP_1) | instskip(SKIP_1) | instid1(VALU_DEP_1)
	v_fma_f64 v[3:4], v[129:130], v[135:136], v[3:4]
	s_waitcnt lgkmcnt(0)
	v_fma_f64 v[3:4], v[131:132], v[137:138], v[3:4]
	s_waitcnt vmcnt(0)
	s_delay_alu instid0(VALU_DEP_1) | instskip(NEXT) | instid1(VALU_DEP_1)
	v_fma_f64 v[3:4], v[149:150], v[139:140], v[3:4]
	v_add_f64 v[1:2], v[1:2], -v[3:4]
	scratch_store_b64 off, v[1:2], off offset:16
	v_cmpx_lt_u32_e32 1, v0
	s_cbranch_execz .LBB58_361
; %bb.360:
	scratch_load_b64 v[1:2], off, off offset:8
	v_mov_b32_e32 v3, 0
	s_delay_alu instid0(VALU_DEP_1)
	v_mov_b32_e32 v4, v3
	scratch_store_b64 off, v[3:4], off offset:8
	s_waitcnt vmcnt(0)
	ds_store_b64 v5, v[1:2]
.LBB58_361:
	s_or_b32 exec_lo, exec_lo, s0
	s_waitcnt lgkmcnt(0)
	s_waitcnt_vscnt null, 0x0
	s_barrier
	buffer_gl0_inv
	s_clause 0x4
	scratch_load_b128 v[1:4], off, off offset:8
	scratch_load_b128 v[125:128], off, off offset:24
	;; [unrolled: 1-line block ×5, first 2 shown]
	v_mov_b32_e32 v124, 0
	ds_load_b128 v[141:144], v124 offset:496
	ds_load_b128 v[145:148], v124 offset:512
	scratch_load_b128 v[149:152], off, off offset:88
	s_mov_b32 s0, exec_lo
	s_waitcnt vmcnt(5) lgkmcnt(1)
	v_fma_f64 v[3:4], v[3:4], v[141:142], 0
	s_waitcnt vmcnt(4)
	s_delay_alu instid0(VALU_DEP_1) | instskip(SKIP_1) | instid1(VALU_DEP_1)
	v_fma_f64 v[3:4], v[125:126], v[143:144], v[3:4]
	s_waitcnt lgkmcnt(0)
	v_fma_f64 v[3:4], v[127:128], v[145:146], v[3:4]
	scratch_load_b128 v[125:128], off, off offset:104
	s_waitcnt vmcnt(4)
	v_fma_f64 v[3:4], v[129:130], v[147:148], v[3:4]
	ds_load_b128 v[141:144], v124 offset:528
	ds_load_b128 v[145:148], v124 offset:544
	s_waitcnt lgkmcnt(1)
	v_fma_f64 v[3:4], v[131:132], v[141:142], v[3:4]
	scratch_load_b128 v[129:132], off, off offset:120
	s_waitcnt vmcnt(4)
	v_fma_f64 v[3:4], v[133:134], v[143:144], v[3:4]
	s_waitcnt lgkmcnt(0)
	s_delay_alu instid0(VALU_DEP_1)
	v_fma_f64 v[3:4], v[135:136], v[145:146], v[3:4]
	scratch_load_b128 v[133:136], off, off offset:136
	s_waitcnt vmcnt(4)
	v_fma_f64 v[3:4], v[137:138], v[147:148], v[3:4]
	ds_load_b128 v[141:144], v124 offset:560
	ds_load_b128 v[145:148], v124 offset:576
	s_waitcnt lgkmcnt(1)
	v_fma_f64 v[3:4], v[139:140], v[141:142], v[3:4]
	scratch_load_b128 v[137:140], off, off offset:152
	s_waitcnt vmcnt(4)
	v_fma_f64 v[3:4], v[149:150], v[143:144], v[3:4]
	scratch_load_b128 v[141:144], off, off offset:168
	s_waitcnt lgkmcnt(0)
	v_fma_f64 v[3:4], v[151:152], v[145:146], v[3:4]
	s_waitcnt vmcnt(4)
	s_delay_alu instid0(VALU_DEP_1)
	v_fma_f64 v[3:4], v[125:126], v[147:148], v[3:4]
	ds_load_b128 v[145:148], v124 offset:592
	ds_load_b128 v[149:152], v124 offset:608
	s_waitcnt lgkmcnt(1)
	v_fma_f64 v[3:4], v[127:128], v[145:146], v[3:4]
	scratch_load_b128 v[125:128], off, off offset:184
	s_waitcnt vmcnt(4)
	v_fma_f64 v[3:4], v[129:130], v[147:148], v[3:4]
	s_waitcnt lgkmcnt(0)
	s_delay_alu instid0(VALU_DEP_1)
	v_fma_f64 v[3:4], v[131:132], v[149:150], v[3:4]
	scratch_load_b128 v[129:132], off, off offset:200
	s_waitcnt vmcnt(4)
	v_fma_f64 v[3:4], v[133:134], v[151:152], v[3:4]
	ds_load_b128 v[145:148], v124 offset:624
	ds_load_b128 v[149:152], v124 offset:640
	s_waitcnt lgkmcnt(1)
	v_fma_f64 v[3:4], v[135:136], v[145:146], v[3:4]
	scratch_load_b128 v[133:136], off, off offset:216
	s_waitcnt vmcnt(4)
	v_fma_f64 v[3:4], v[137:138], v[147:148], v[3:4]
	s_waitcnt lgkmcnt(0)
	s_delay_alu instid0(VALU_DEP_1)
	v_fma_f64 v[3:4], v[139:140], v[149:150], v[3:4]
	scratch_load_b128 v[137:140], off, off offset:232
	s_waitcnt vmcnt(4)
	v_fma_f64 v[3:4], v[141:142], v[151:152], v[3:4]
	ds_load_b128 v[145:148], v124 offset:656
	ds_load_b128 v[149:152], v124 offset:672
	s_waitcnt lgkmcnt(1)
	v_fma_f64 v[3:4], v[143:144], v[145:146], v[3:4]
	scratch_load_b128 v[141:144], off, off offset:248
	s_waitcnt vmcnt(4)
	v_fma_f64 v[3:4], v[125:126], v[147:148], v[3:4]
	s_waitcnt lgkmcnt(0)
	s_delay_alu instid0(VALU_DEP_1)
	v_fma_f64 v[3:4], v[127:128], v[149:150], v[3:4]
	scratch_load_b128 v[125:128], off, off offset:264
	s_waitcnt vmcnt(4)
	v_fma_f64 v[3:4], v[129:130], v[151:152], v[3:4]
	ds_load_b128 v[145:148], v124 offset:688
	ds_load_b128 v[149:152], v124 offset:704
	s_waitcnt lgkmcnt(1)
	v_fma_f64 v[3:4], v[131:132], v[145:146], v[3:4]
	scratch_load_b128 v[129:132], off, off offset:280
	s_waitcnt vmcnt(4)
	v_fma_f64 v[3:4], v[133:134], v[147:148], v[3:4]
	s_waitcnt lgkmcnt(0)
	s_delay_alu instid0(VALU_DEP_1)
	v_fma_f64 v[3:4], v[135:136], v[149:150], v[3:4]
	scratch_load_b128 v[133:136], off, off offset:296
	s_waitcnt vmcnt(4)
	v_fma_f64 v[3:4], v[137:138], v[151:152], v[3:4]
	ds_load_b128 v[145:148], v124 offset:720
	ds_load_b128 v[149:152], v124 offset:736
	s_waitcnt lgkmcnt(1)
	v_fma_f64 v[3:4], v[139:140], v[145:146], v[3:4]
	scratch_load_b128 v[137:140], off, off offset:312
	s_waitcnt vmcnt(4)
	v_fma_f64 v[3:4], v[141:142], v[147:148], v[3:4]
	s_waitcnt lgkmcnt(0)
	s_delay_alu instid0(VALU_DEP_1)
	v_fma_f64 v[3:4], v[143:144], v[149:150], v[3:4]
	scratch_load_b128 v[141:144], off, off offset:328
	s_waitcnt vmcnt(4)
	v_fma_f64 v[3:4], v[125:126], v[151:152], v[3:4]
	ds_load_b128 v[145:148], v124 offset:752
	ds_load_b128 v[149:152], v124 offset:768
	s_waitcnt lgkmcnt(1)
	v_fma_f64 v[3:4], v[127:128], v[145:146], v[3:4]
	scratch_load_b128 v[125:128], off, off offset:344
	s_waitcnt vmcnt(4)
	v_fma_f64 v[3:4], v[129:130], v[147:148], v[3:4]
	s_waitcnt lgkmcnt(0)
	s_delay_alu instid0(VALU_DEP_1)
	v_fma_f64 v[3:4], v[131:132], v[149:150], v[3:4]
	scratch_load_b128 v[129:132], off, off offset:360
	s_waitcnt vmcnt(4)
	v_fma_f64 v[3:4], v[133:134], v[151:152], v[3:4]
	ds_load_b128 v[145:148], v124 offset:784
	ds_load_b128 v[149:152], v124 offset:800
	s_waitcnt lgkmcnt(1)
	v_fma_f64 v[3:4], v[135:136], v[145:146], v[3:4]
	scratch_load_b128 v[133:136], off, off offset:376
	s_waitcnt vmcnt(4)
	v_fma_f64 v[3:4], v[137:138], v[147:148], v[3:4]
	s_waitcnt lgkmcnt(0)
	s_delay_alu instid0(VALU_DEP_1)
	v_fma_f64 v[3:4], v[139:140], v[149:150], v[3:4]
	scratch_load_b128 v[137:140], off, off offset:392
	s_waitcnt vmcnt(4)
	v_fma_f64 v[3:4], v[141:142], v[151:152], v[3:4]
	ds_load_b128 v[145:148], v124 offset:816
	ds_load_b128 v[149:152], v124 offset:832
	s_waitcnt lgkmcnt(1)
	v_fma_f64 v[3:4], v[143:144], v[145:146], v[3:4]
	scratch_load_b128 v[141:144], off, off offset:408
	s_waitcnt vmcnt(4)
	v_fma_f64 v[3:4], v[125:126], v[147:148], v[3:4]
	s_waitcnt lgkmcnt(0)
	s_delay_alu instid0(VALU_DEP_1)
	v_fma_f64 v[3:4], v[127:128], v[149:150], v[3:4]
	scratch_load_b128 v[125:128], off, off offset:424
	s_waitcnt vmcnt(4)
	v_fma_f64 v[3:4], v[129:130], v[151:152], v[3:4]
	ds_load_b128 v[145:148], v124 offset:848
	ds_load_b128 v[149:152], v124 offset:864
	s_waitcnt lgkmcnt(1)
	v_fma_f64 v[3:4], v[131:132], v[145:146], v[3:4]
	scratch_load_b128 v[129:132], off, off offset:440
	s_waitcnt vmcnt(4)
	v_fma_f64 v[3:4], v[133:134], v[147:148], v[3:4]
	s_waitcnt lgkmcnt(0)
	s_delay_alu instid0(VALU_DEP_1)
	v_fma_f64 v[3:4], v[135:136], v[149:150], v[3:4]
	scratch_load_b128 v[133:136], off, off offset:456
	s_waitcnt vmcnt(4)
	v_fma_f64 v[3:4], v[137:138], v[151:152], v[3:4]
	ds_load_b128 v[145:148], v124 offset:880
	ds_load_b128 v[149:152], v124 offset:896
	s_waitcnt lgkmcnt(1)
	v_fma_f64 v[3:4], v[139:140], v[145:146], v[3:4]
	s_waitcnt vmcnt(3)
	s_delay_alu instid0(VALU_DEP_1) | instskip(SKIP_1) | instid1(VALU_DEP_1)
	v_fma_f64 v[3:4], v[141:142], v[147:148], v[3:4]
	s_waitcnt lgkmcnt(0)
	v_fma_f64 v[3:4], v[143:144], v[149:150], v[3:4]
	ds_load_b128 v[137:140], v124 offset:912
	ds_load_b128 v[141:144], v124 offset:928
	s_waitcnt vmcnt(2)
	v_fma_f64 v[3:4], v[125:126], v[151:152], v[3:4]
	ds_load_b64 v[125:126], v124 offset:944
	s_waitcnt lgkmcnt(2)
	v_fma_f64 v[3:4], v[127:128], v[137:138], v[3:4]
	s_waitcnt vmcnt(1)
	s_delay_alu instid0(VALU_DEP_1) | instskip(SKIP_1) | instid1(VALU_DEP_1)
	v_fma_f64 v[3:4], v[129:130], v[139:140], v[3:4]
	s_waitcnt lgkmcnt(1)
	v_fma_f64 v[3:4], v[131:132], v[141:142], v[3:4]
	s_waitcnt vmcnt(0)
	s_delay_alu instid0(VALU_DEP_1) | instskip(SKIP_1) | instid1(VALU_DEP_1)
	v_fma_f64 v[3:4], v[133:134], v[143:144], v[3:4]
	s_waitcnt lgkmcnt(0)
	v_fma_f64 v[3:4], v[135:136], v[125:126], v[3:4]
	s_delay_alu instid0(VALU_DEP_1)
	v_add_f64 v[1:2], v[1:2], -v[3:4]
	scratch_store_b64 off, v[1:2], off offset:8
	v_cmpx_ne_u32_e32 0, v0
	s_cbranch_execz .LBB58_363
; %bb.362:
	scratch_load_b64 v[0:1], off, off
	v_mov_b32_e32 v125, v124
	scratch_store_b64 off, v[124:125], off
	s_waitcnt vmcnt(0)
	ds_store_b64 v5, v[0:1]
.LBB58_363:
	s_or_b32 exec_lo, exec_lo, s0
	s_waitcnt lgkmcnt(0)
	s_waitcnt_vscnt null, 0x0
	s_barrier
	buffer_gl0_inv
	s_clause 0x4
	scratch_load_b128 v[0:3], off, off
	scratch_load_b128 v[125:128], off, off offset:16
	scratch_load_b128 v[129:132], off, off offset:32
	;; [unrolled: 1-line block ×4, first 2 shown]
	ds_load_2addr_b64 v[141:144], v124 offset0:61 offset1:62
	ds_load_2addr_b64 v[145:148], v124 offset0:63 offset1:64
	s_and_b32 vcc_lo, exec_lo, s16
	s_waitcnt vmcnt(4) lgkmcnt(1)
	v_fma_f64 v[141:142], v[2:3], v[141:142], 0
	scratch_load_b128 v[2:5], off, off offset:80
	s_waitcnt vmcnt(4)
	v_fma_f64 v[125:126], v[125:126], v[143:144], v[141:142]
	s_waitcnt lgkmcnt(0)
	s_delay_alu instid0(VALU_DEP_1)
	v_fma_f64 v[141:142], v[127:128], v[145:146], v[125:126]
	scratch_load_b128 v[125:128], off, off offset:96
	s_waitcnt vmcnt(4)
	v_fma_f64 v[129:130], v[129:130], v[147:148], v[141:142]
	ds_load_2addr_b64 v[141:144], v124 offset0:65 offset1:66
	ds_load_2addr_b64 v[145:148], v124 offset0:67 offset1:68
	s_waitcnt lgkmcnt(1)
	v_fma_f64 v[141:142], v[131:132], v[141:142], v[129:130]
	scratch_load_b128 v[129:132], off, off offset:112
	s_waitcnt vmcnt(4)
	v_fma_f64 v[133:134], v[133:134], v[143:144], v[141:142]
	s_waitcnt lgkmcnt(0)
	s_delay_alu instid0(VALU_DEP_1)
	v_fma_f64 v[141:142], v[135:136], v[145:146], v[133:134]
	scratch_load_b128 v[133:136], off, off offset:128
	s_waitcnt vmcnt(4)
	v_fma_f64 v[137:138], v[137:138], v[147:148], v[141:142]
	ds_load_2addr_b64 v[141:144], v124 offset0:69 offset1:70
	ds_load_2addr_b64 v[145:148], v124 offset0:71 offset1:72
	s_waitcnt lgkmcnt(1)
	;; [unrolled: 13-line block ×9, first 2 shown]
	v_fma_f64 v[141:142], v[135:136], v[141:142], v[133:134]
	scratch_load_b128 v[133:136], off, off offset:368
	s_waitcnt vmcnt(4)
	v_fma_f64 v[137:138], v[137:138], v[143:144], v[141:142]
	s_waitcnt lgkmcnt(0)
	s_delay_alu instid0(VALU_DEP_1)
	v_fma_f64 v[141:142], v[139:140], v[145:146], v[137:138]
	scratch_load_b128 v[137:140], off, off offset:384
	s_waitcnt vmcnt(4)
	v_fma_f64 v[2:3], v[2:3], v[147:148], v[141:142]
	ds_load_2addr_b64 v[141:144], v124 offset0:101 offset1:102
	ds_load_2addr_b64 v[145:148], v124 offset0:103 offset1:104
	scratch_load_b128 v[149:152], off, off offset:400
	s_waitcnt lgkmcnt(1)
	v_fma_f64 v[2:3], v[4:5], v[141:142], v[2:3]
	s_waitcnt vmcnt(4)
	s_delay_alu instid0(VALU_DEP_1) | instskip(SKIP_1) | instid1(VALU_DEP_1)
	v_fma_f64 v[2:3], v[125:126], v[143:144], v[2:3]
	s_waitcnt lgkmcnt(0)
	v_fma_f64 v[2:3], v[127:128], v[145:146], v[2:3]
	scratch_load_b128 v[125:128], off, off offset:416
	s_waitcnt vmcnt(4)
	v_fma_f64 v[129:130], v[129:130], v[147:148], v[2:3]
	ds_load_2addr_b64 v[2:5], v124 offset0:105 offset1:106
	ds_load_2addr_b64 v[141:144], v124 offset0:107 offset1:108
	s_waitcnt lgkmcnt(1)
	v_fma_f64 v[2:3], v[131:132], v[2:3], v[129:130]
	scratch_load_b128 v[129:132], off, off offset:432
	s_waitcnt vmcnt(4)
	v_fma_f64 v[2:3], v[133:134], v[4:5], v[2:3]
	s_waitcnt lgkmcnt(0)
	s_delay_alu instid0(VALU_DEP_1)
	v_fma_f64 v[133:134], v[135:136], v[141:142], v[2:3]
	scratch_load_b128 v[2:5], off, off offset:448
	s_waitcnt vmcnt(4)
	v_fma_f64 v[137:138], v[137:138], v[143:144], v[133:134]
	ds_load_2addr_b64 v[133:136], v124 offset0:109 offset1:110
	ds_load_2addr_b64 v[141:144], v124 offset0:111 offset1:112
	scratch_load_b64 v[145:146], off, off offset:464
	s_waitcnt lgkmcnt(1)
	v_fma_f64 v[133:134], v[139:140], v[133:134], v[137:138]
	s_waitcnt vmcnt(4)
	s_delay_alu instid0(VALU_DEP_1) | instskip(SKIP_1) | instid1(VALU_DEP_1)
	v_fma_f64 v[133:134], v[149:150], v[135:136], v[133:134]
	s_waitcnt lgkmcnt(0)
	v_fma_f64 v[133:134], v[151:152], v[141:142], v[133:134]
	s_waitcnt vmcnt(3)
	s_delay_alu instid0(VALU_DEP_1)
	v_fma_f64 v[125:126], v[125:126], v[143:144], v[133:134]
	ds_load_2addr_b64 v[133:136], v124 offset0:113 offset1:114
	ds_load_2addr_b64 v[137:140], v124 offset0:115 offset1:116
	s_waitcnt lgkmcnt(1)
	v_fma_f64 v[125:126], v[127:128], v[133:134], v[125:126]
	s_waitcnt vmcnt(2)
	s_delay_alu instid0(VALU_DEP_1) | instskip(SKIP_1) | instid1(VALU_DEP_1)
	v_fma_f64 v[125:126], v[129:130], v[135:136], v[125:126]
	s_waitcnt lgkmcnt(0)
	v_fma_f64 v[125:126], v[131:132], v[137:138], v[125:126]
	s_waitcnt vmcnt(1)
	s_delay_alu instid0(VALU_DEP_1) | instskip(SKIP_4) | instid1(VALU_DEP_1)
	v_fma_f64 v[2:3], v[2:3], v[139:140], v[125:126]
	ds_load_2addr_b64 v[124:127], v124 offset0:117 offset1:118
	s_waitcnt lgkmcnt(0)
	v_fma_f64 v[2:3], v[4:5], v[124:125], v[2:3]
	s_waitcnt vmcnt(0)
	v_fma_f64 v[2:3], v[145:146], v[126:127], v[2:3]
	s_delay_alu instid0(VALU_DEP_1)
	v_add_f64 v[0:1], v[0:1], -v[2:3]
	scratch_store_b64 off, v[0:1], off
	s_cbranch_vccz .LBB58_481
; %bb.364:
	v_dual_mov_b32 v0, s12 :: v_dual_mov_b32 v1, s13
	s_mov_b32 s0, exec_lo
	flat_load_b32 v0, v[0:1] offset:228
	s_waitcnt vmcnt(0) lgkmcnt(0)
	v_cmpx_ne_u32_e32 58, v0
	s_cbranch_execz .LBB58_366
; %bb.365:
	v_lshl_add_u32 v2, v0, 3, 0
	scratch_load_b64 v[0:1], v2, off offset:-8
	s_waitcnt vmcnt(0)
	scratch_store_b64 off, v[0:1], off offset:456
	scratch_store_b64 v2, v[4:5], off offset:-8
.LBB58_366:
	s_or_b32 exec_lo, exec_lo, s0
	v_dual_mov_b32 v0, s12 :: v_dual_mov_b32 v1, s13
	s_mov_b32 s0, exec_lo
	flat_load_b32 v0, v[0:1] offset:224
	s_waitcnt vmcnt(0) lgkmcnt(0)
	v_cmpx_ne_u32_e32 57, v0
	s_cbranch_execz .LBB58_368
; %bb.367:
	v_lshl_add_u32 v4, v0, 3, 0
	scratch_load_b64 v[0:1], v4, off offset:-8
	scratch_load_b64 v[2:3], off, off offset:448
	s_waitcnt vmcnt(1)
	scratch_store_b64 off, v[0:1], off offset:448
	s_waitcnt vmcnt(0)
	scratch_store_b64 v4, v[2:3], off offset:-8
.LBB58_368:
	s_or_b32 exec_lo, exec_lo, s0
	v_dual_mov_b32 v0, s12 :: v_dual_mov_b32 v1, s13
	s_mov_b32 s0, exec_lo
	flat_load_b32 v0, v[0:1] offset:220
	s_waitcnt vmcnt(0) lgkmcnt(0)
	v_cmpx_ne_u32_e32 56, v0
	s_cbranch_execz .LBB58_370
; %bb.369:
	v_lshl_add_u32 v4, v0, 3, 0
	scratch_load_b64 v[0:1], v4, off offset:-8
	scratch_load_b64 v[2:3], off, off offset:440
	s_waitcnt vmcnt(1)
	scratch_store_b64 off, v[0:1], off offset:440
	s_waitcnt vmcnt(0)
	scratch_store_b64 v4, v[2:3], off offset:-8
.LBB58_370:
	;; [unrolled: 16-line block ×56, first 2 shown]
	s_or_b32 exec_lo, exec_lo, s0
	v_dual_mov_b32 v0, s12 :: v_dual_mov_b32 v1, s13
	s_mov_b32 s0, exec_lo
	flat_load_b32 v2, v[0:1]
	scratch_load_b64 v[0:1], off, off
	s_waitcnt vmcnt(1) lgkmcnt(0)
	v_cmpx_ne_u32_e32 1, v2
	s_cbranch_execz .LBB58_480
; %bb.479:
	v_lshl_add_u32 v4, v2, 3, 0
	scratch_load_b64 v[2:3], v4, off offset:-8
	s_waitcnt vmcnt(0)
	scratch_store_b64 off, v[2:3], off
	scratch_store_b64 v4, v[0:1], off offset:-8
	scratch_load_b64 v[0:1], off, off
.LBB58_480:
	s_or_b32 exec_lo, exec_lo, s0
.LBB58_481:
	s_clause 0x9
	scratch_load_b128 v[2:5], off, off offset:8
	scratch_load_b128 v[124:127], off, off offset:24
	;; [unrolled: 1-line block ×10, first 2 shown]
	s_waitcnt vmcnt(10)
	global_store_b64 v[48:49], v[0:1], off
	s_clause 0x1
	scratch_load_b128 v[160:163], off, off offset:168
	scratch_load_b128 v[164:167], off, off offset:184
	s_waitcnt vmcnt(11)
	s_clause 0x1
	global_store_b64 v[34:35], v[2:3], off
	global_store_b64 v[40:41], v[4:5], off
	s_clause 0x1
	scratch_load_b128 v[0:3], off, off offset:200
	scratch_load_b128 v[168:171], off, off offset:216
	s_waitcnt vmcnt(12)
	s_clause 0x1
	global_store_b64 v[32:33], v[124:125], off
	;; [unrolled: 7-line block ×9, first 2 shown]
	global_store_b64 v[44:45], v[154:155], off
	scratch_load_b128 v[4:7], off, off offset:456
	s_waitcnt vmcnt(19)
	s_clause 0x1
	global_store_b64 v[42:43], v[156:157], off
	global_store_b64 v[46:47], v[158:159], off
	s_waitcnt vmcnt(18)
	s_clause 0x1
	global_store_b64 v[50:51], v[160:161], off
	global_store_b64 v[52:53], v[162:163], off
	;; [unrolled: 4-line block ×20, first 2 shown]
	s_endpgm
	.section	.rodata,"a",@progbits
	.p2align	6, 0x0
	.amdhsa_kernel _ZN9rocsolver6v33100L18getri_kernel_smallILi59EdPdEEvT1_iilPiilS4_bb
		.amdhsa_group_segment_fixed_size 952
		.amdhsa_private_segment_fixed_size 480
		.amdhsa_kernarg_size 60
		.amdhsa_user_sgpr_count 15
		.amdhsa_user_sgpr_dispatch_ptr 0
		.amdhsa_user_sgpr_queue_ptr 0
		.amdhsa_user_sgpr_kernarg_segment_ptr 1
		.amdhsa_user_sgpr_dispatch_id 0
		.amdhsa_user_sgpr_private_segment_size 0
		.amdhsa_wavefront_size32 1
		.amdhsa_uses_dynamic_stack 0
		.amdhsa_enable_private_segment 1
		.amdhsa_system_sgpr_workgroup_id_x 1
		.amdhsa_system_sgpr_workgroup_id_y 0
		.amdhsa_system_sgpr_workgroup_id_z 0
		.amdhsa_system_sgpr_workgroup_info 0
		.amdhsa_system_vgpr_workitem_id 0
		.amdhsa_next_free_vgpr 174
		.amdhsa_next_free_sgpr 18
		.amdhsa_reserve_vcc 1
		.amdhsa_float_round_mode_32 0
		.amdhsa_float_round_mode_16_64 0
		.amdhsa_float_denorm_mode_32 3
		.amdhsa_float_denorm_mode_16_64 3
		.amdhsa_dx10_clamp 1
		.amdhsa_ieee_mode 1
		.amdhsa_fp16_overflow 0
		.amdhsa_workgroup_processor_mode 1
		.amdhsa_memory_ordered 1
		.amdhsa_forward_progress 0
		.amdhsa_shared_vgpr_count 0
		.amdhsa_exception_fp_ieee_invalid_op 0
		.amdhsa_exception_fp_denorm_src 0
		.amdhsa_exception_fp_ieee_div_zero 0
		.amdhsa_exception_fp_ieee_overflow 0
		.amdhsa_exception_fp_ieee_underflow 0
		.amdhsa_exception_fp_ieee_inexact 0
		.amdhsa_exception_int_div_zero 0
	.end_amdhsa_kernel
	.section	.text._ZN9rocsolver6v33100L18getri_kernel_smallILi59EdPdEEvT1_iilPiilS4_bb,"axG",@progbits,_ZN9rocsolver6v33100L18getri_kernel_smallILi59EdPdEEvT1_iilPiilS4_bb,comdat
.Lfunc_end58:
	.size	_ZN9rocsolver6v33100L18getri_kernel_smallILi59EdPdEEvT1_iilPiilS4_bb, .Lfunc_end58-_ZN9rocsolver6v33100L18getri_kernel_smallILi59EdPdEEvT1_iilPiilS4_bb
                                        ; -- End function
	.section	.AMDGPU.csdata,"",@progbits
; Kernel info:
; codeLenInByte = 62492
; NumSgprs: 20
; NumVgprs: 174
; ScratchSize: 480
; MemoryBound: 0
; FloatMode: 240
; IeeeMode: 1
; LDSByteSize: 952 bytes/workgroup (compile time only)
; SGPRBlocks: 2
; VGPRBlocks: 21
; NumSGPRsForWavesPerEU: 20
; NumVGPRsForWavesPerEU: 174
; Occupancy: 8
; WaveLimiterHint : 1
; COMPUTE_PGM_RSRC2:SCRATCH_EN: 1
; COMPUTE_PGM_RSRC2:USER_SGPR: 15
; COMPUTE_PGM_RSRC2:TRAP_HANDLER: 0
; COMPUTE_PGM_RSRC2:TGID_X_EN: 1
; COMPUTE_PGM_RSRC2:TGID_Y_EN: 0
; COMPUTE_PGM_RSRC2:TGID_Z_EN: 0
; COMPUTE_PGM_RSRC2:TIDIG_COMP_CNT: 0
	.section	.text._ZN9rocsolver6v33100L18getri_kernel_smallILi60EdPdEEvT1_iilPiilS4_bb,"axG",@progbits,_ZN9rocsolver6v33100L18getri_kernel_smallILi60EdPdEEvT1_iilPiilS4_bb,comdat
	.globl	_ZN9rocsolver6v33100L18getri_kernel_smallILi60EdPdEEvT1_iilPiilS4_bb ; -- Begin function _ZN9rocsolver6v33100L18getri_kernel_smallILi60EdPdEEvT1_iilPiilS4_bb
	.p2align	8
	.type	_ZN9rocsolver6v33100L18getri_kernel_smallILi60EdPdEEvT1_iilPiilS4_bb,@function
_ZN9rocsolver6v33100L18getri_kernel_smallILi60EdPdEEvT1_iilPiilS4_bb: ; @_ZN9rocsolver6v33100L18getri_kernel_smallILi60EdPdEEvT1_iilPiilS4_bb
; %bb.0:
	s_mov_b32 s2, exec_lo
	v_cmpx_gt_u32_e32 60, v0
	s_cbranch_execz .LBB59_250
; %bb.1:
	s_clause 0x2
	s_load_b32 s17, s[0:1], 0x38
	s_load_b128 s[8:11], s[0:1], 0x10
	s_load_b128 s[4:7], s[0:1], 0x28
	s_mov_b32 s14, s15
                                        ; implicit-def: $sgpr12_sgpr13
	s_waitcnt lgkmcnt(0)
	s_bitcmp1_b32 s17, 8
	s_cselect_b32 s16, -1, 0
	s_bfe_u32 s2, s17, 0x10008
	s_ashr_i32 s15, s15, 31
	s_cmp_eq_u32 s2, 0
	s_cbranch_scc1 .LBB59_3
; %bb.2:
	s_load_b32 s2, s[0:1], 0x20
	s_mul_i32 s3, s14, s5
	s_mul_hi_u32 s5, s14, s4
	s_mul_i32 s12, s15, s4
	s_add_i32 s3, s5, s3
	s_mul_i32 s4, s14, s4
	s_add_i32 s5, s3, s12
	s_delay_alu instid0(SALU_CYCLE_1)
	s_lshl_b64 s[4:5], s[4:5], 2
	s_waitcnt lgkmcnt(0)
	s_ashr_i32 s3, s2, 31
	s_add_u32 s4, s10, s4
	s_addc_u32 s5, s11, s5
	s_lshl_b64 s[2:3], s[2:3], 2
	s_delay_alu instid0(SALU_CYCLE_1)
	s_add_u32 s12, s4, s2
	s_addc_u32 s13, s5, s3
.LBB59_3:
	s_load_b128 s[0:3], s[0:1], 0x0
	s_mul_i32 s4, s14, s9
	s_mul_hi_u32 s5, s14, s8
	s_mul_i32 s9, s15, s8
	s_add_i32 s5, s5, s4
	s_mul_i32 s4, s14, s8
	s_add_i32 s5, s5, s9
	v_lshlrev_b32_e32 v3, 3, v0
	s_lshl_b64 s[4:5], s[4:5], 3
	s_waitcnt lgkmcnt(0)
	s_ashr_i32 s9, s2, 31
	s_mov_b32 s8, s2
	s_add_u32 s2, s0, s4
	v_add3_u32 v1, s3, s3, v0
	s_addc_u32 s5, s1, s5
	s_lshl_b64 s[0:1], s[8:9], 3
	s_mov_b32 s4, s3
	s_add_u32 s0, s2, s0
	s_addc_u32 s1, s5, s1
	v_add_co_u32 v32, s2, s0, v3
	v_add_nc_u32_e32 v4, s3, v1
	s_ashr_i32 s5, s3, 31
	v_add_co_ci_u32_e64 v33, null, s1, 0, s2
	v_ashrrev_i32_e32 v2, 31, v1
	s_lshl_b64 s[4:5], s[4:5], 3
	v_ashrrev_i32_e32 v5, 31, v4
	v_add_co_u32 v20, vcc_lo, v32, s4
	v_add_co_ci_u32_e32 v21, vcc_lo, s5, v33, vcc_lo
	v_lshlrev_b64 v[1:2], 3, v[1:2]
	v_add_nc_u32_e32 v6, s3, v4
	v_lshlrev_b64 v[4:5], 3, v[4:5]
	s_clause 0x1
	global_load_b64 v[16:17], v3, s[0:1]
	global_load_b64 v[18:19], v[20:21], off
	s_bitcmp0_b32 s17, 0
	v_add_co_u32 v14, vcc_lo, s0, v1
	v_add_co_ci_u32_e32 v15, vcc_lo, s1, v2, vcc_lo
	v_add_co_u32 v10, vcc_lo, s0, v4
	v_add_co_ci_u32_e32 v11, vcc_lo, s1, v5, vcc_lo
	s_clause 0x1
	global_load_b64 v[56:57], v[14:15], off
	global_load_b64 v[58:59], v[10:11], off
	v_add_nc_u32_e32 v8, s3, v6
	v_ashrrev_i32_e32 v7, 31, v6
	s_delay_alu instid0(VALU_DEP_2) | instskip(NEXT) | instid1(VALU_DEP_2)
	v_add_nc_u32_e32 v1, s3, v8
	v_lshlrev_b64 v[5:6], 3, v[6:7]
	v_ashrrev_i32_e32 v9, 31, v8
	s_delay_alu instid0(VALU_DEP_3) | instskip(SKIP_1) | instid1(VALU_DEP_4)
	v_add_nc_u32_e32 v4, s3, v1
	v_ashrrev_i32_e32 v2, 31, v1
	v_add_co_u32 v54, vcc_lo, s0, v5
	v_add_co_ci_u32_e32 v55, vcc_lo, s1, v6, vcc_lo
	s_delay_alu instid0(VALU_DEP_4)
	v_add_nc_u32_e32 v12, s3, v4
	v_lshlrev_b64 v[6:7], 3, v[8:9]
	v_ashrrev_i32_e32 v5, 31, v4
	v_lshlrev_b64 v[1:2], 3, v[1:2]
	global_load_b64 v[60:61], v[54:55], off
	v_add_nc_u32_e32 v22, s3, v12
	v_ashrrev_i32_e32 v13, 31, v12
	v_add_co_u32 v52, vcc_lo, s0, v6
	v_lshlrev_b64 v[4:5], 3, v[4:5]
	s_delay_alu instid0(VALU_DEP_4) | instskip(SKIP_2) | instid1(VALU_DEP_3)
	v_add_nc_u32_e32 v24, s3, v22
	v_add_co_ci_u32_e32 v53, vcc_lo, s1, v7, vcc_lo
	v_add_co_u32 v44, vcc_lo, s0, v1
	v_add_nc_u32_e32 v26, s3, v24
	global_load_b64 v[62:63], v[52:53], off
	v_add_co_ci_u32_e32 v45, vcc_lo, s1, v2, vcc_lo
	v_add_co_u32 v50, vcc_lo, s0, v4
	v_add_nc_u32_e32 v28, s3, v26
	v_lshlrev_b64 v[1:2], 3, v[12:13]
	v_ashrrev_i32_e32 v23, 31, v22
	v_ashrrev_i32_e32 v25, 31, v24
	v_add_co_ci_u32_e32 v51, vcc_lo, s1, v5, vcc_lo
	v_add_nc_u32_e32 v30, s3, v28
	s_delay_alu instid0(VALU_DEP_4) | instskip(SKIP_2) | instid1(VALU_DEP_4)
	v_lshlrev_b64 v[5:6], 3, v[22:23]
	v_add_co_u32 v46, vcc_lo, s0, v1
	v_add_co_ci_u32_e32 v47, vcc_lo, s1, v2, vcc_lo
	v_add_nc_u32_e32 v42, s3, v30
	v_lshlrev_b64 v[1:2], 3, v[24:25]
	v_ashrrev_i32_e32 v27, 31, v26
	v_add_co_u32 v38, vcc_lo, s0, v5
	s_delay_alu instid0(VALU_DEP_4) | instskip(SKIP_3) | instid1(VALU_DEP_4)
	v_add_nc_u32_e32 v48, s3, v42
	v_ashrrev_i32_e32 v29, 31, v28
	v_add_co_ci_u32_e32 v39, vcc_lo, s1, v6, vcc_lo
	v_lshlrev_b64 v[5:6], 3, v[26:27]
	v_add_nc_u32_e32 v80, s3, v48
	v_add_co_u32 v40, vcc_lo, s0, v1
	v_add_co_ci_u32_e32 v41, vcc_lo, s1, v2, vcc_lo
	s_delay_alu instid0(VALU_DEP_3) | instskip(SKIP_3) | instid1(VALU_DEP_4)
	v_add_nc_u32_e32 v82, s3, v80
	v_lshlrev_b64 v[1:2], 3, v[28:29]
	v_ashrrev_i32_e32 v31, 31, v30
	v_add_co_u32 v36, vcc_lo, s0, v5
	v_add_nc_u32_e32 v88, s3, v82
	v_ashrrev_i32_e32 v43, 31, v42
	s_clause 0x1
	global_load_b64 v[64:65], v[44:45], off
	global_load_b64 v[66:67], v[50:51], off
	v_add_co_ci_u32_e32 v37, vcc_lo, s1, v6, vcc_lo
	v_add_nc_u32_e32 v90, s3, v88
	v_lshlrev_b64 v[5:6], 3, v[30:31]
	v_add_co_u32 v34, vcc_lo, s0, v1
	s_clause 0x1
	global_load_b64 v[68:69], v[46:47], off
	global_load_b64 v[70:71], v[38:39], off
	v_add_nc_u32_e32 v92, s3, v90
	v_add_co_ci_u32_e32 v35, vcc_lo, s1, v2, vcc_lo
	v_lshlrev_b64 v[1:2], 3, v[42:43]
	v_ashrrev_i32_e32 v49, 31, v48
	s_delay_alu instid0(VALU_DEP_4) | instskip(SKIP_3) | instid1(VALU_DEP_4)
	v_add_nc_u32_e32 v94, s3, v92
	v_add_co_u32 v28, vcc_lo, s0, v5
	v_ashrrev_i32_e32 v81, 31, v80
	v_add_co_ci_u32_e32 v29, vcc_lo, s1, v6, vcc_lo
	v_add_nc_u32_e32 v96, s3, v94
	v_lshlrev_b64 v[5:6], 3, v[48:49]
	v_add_co_u32 v30, vcc_lo, s0, v1
	v_add_co_ci_u32_e32 v31, vcc_lo, s1, v2, vcc_lo
	s_delay_alu instid0(VALU_DEP_4) | instskip(SKIP_3) | instid1(VALU_DEP_4)
	v_add_nc_u32_e32 v98, s3, v96
	v_lshlrev_b64 v[1:2], 3, v[80:81]
	v_ashrrev_i32_e32 v83, 31, v82
	v_add_co_u32 v26, vcc_lo, s0, v5
	v_add_nc_u32_e32 v100, s3, v98
	s_clause 0x1
	global_load_b64 v[72:73], v[40:41], off
	global_load_b64 v[74:75], v[36:37], off
	v_add_co_ci_u32_e32 v27, vcc_lo, s1, v6, vcc_lo
	v_lshlrev_b64 v[5:6], 3, v[82:83]
	v_add_nc_u32_e32 v102, s3, v100
	v_add_co_u32 v22, vcc_lo, s0, v1
	s_clause 0x1
	global_load_b64 v[76:77], v[34:35], off
	global_load_b64 v[78:79], v[28:29], off
	v_add_nc_u32_e32 v104, s3, v102
	v_add_co_ci_u32_e32 v23, vcc_lo, s1, v2, vcc_lo
	v_add_co_u32 v12, vcc_lo, s0, v5
	s_delay_alu instid0(VALU_DEP_3) | instskip(SKIP_3) | instid1(VALU_DEP_4)
	v_add_nc_u32_e32 v106, s3, v104
	v_ashrrev_i32_e32 v89, 31, v88
	v_add_co_ci_u32_e32 v13, vcc_lo, s1, v6, vcc_lo
	v_ashrrev_i32_e32 v91, 31, v90
	v_add_nc_u32_e32 v108, s3, v106
	s_delay_alu instid0(VALU_DEP_4)
	v_lshlrev_b64 v[7:8], 3, v[88:89]
	v_ashrrev_i32_e32 v93, 31, v92
	s_clause 0x3
	global_load_b64 v[80:81], v[30:31], off
	global_load_b64 v[82:83], v[26:27], off
	;; [unrolled: 1-line block ×4, first 2 shown]
	v_lshlrev_b64 v[42:43], 3, v[90:91]
	v_add_nc_u32_e32 v110, s3, v108
	v_ashrrev_i32_e32 v95, 31, v94
	v_add_co_u32 v24, vcc_lo, s0, v7
	v_add_co_ci_u32_e32 v25, vcc_lo, s1, v8, vcc_lo
	s_delay_alu instid0(VALU_DEP_4)
	v_add_nc_u32_e32 v112, s3, v110
	v_lshlrev_b64 v[92:93], 3, v[92:93]
	v_ashrrev_i32_e32 v97, 31, v96
	v_ashrrev_i32_e32 v99, 31, v98
	;; [unrolled: 1-line block ×3, first 2 shown]
	v_add_nc_u32_e32 v114, s3, v112
	v_ashrrev_i32_e32 v103, 31, v102
	v_ashrrev_i32_e32 v105, 31, v104
	;; [unrolled: 1-line block ×4, first 2 shown]
	v_add_nc_u32_e32 v116, s3, v114
	v_ashrrev_i32_e32 v111, 31, v110
	v_ashrrev_i32_e32 v113, 31, v112
	;; [unrolled: 1-line block ×3, first 2 shown]
	s_delay_alu instid0(VALU_DEP_4) | instskip(SKIP_1) | instid1(VALU_DEP_2)
	v_add_nc_u32_e32 v118, s3, v116
	v_ashrrev_i32_e32 v117, 31, v116
	v_add_nc_u32_e32 v120, s3, v118
	v_ashrrev_i32_e32 v119, 31, v118
	s_delay_alu instid0(VALU_DEP_2) | instskip(SKIP_1) | instid1(VALU_DEP_2)
	v_add_nc_u32_e32 v122, s3, v120
	v_ashrrev_i32_e32 v121, 31, v120
	v_add_nc_u32_e32 v124, s3, v122
	v_ashrrev_i32_e32 v123, 31, v122
	s_delay_alu instid0(VALU_DEP_2) | instskip(SKIP_1) | instid1(VALU_DEP_2)
	;; [unrolled: 5-line block ×6, first 2 shown]
	v_add_nc_u32_e32 v4, s3, v146
	v_ashrrev_i32_e32 v147, 31, v146
	v_add_nc_u32_e32 v148, s3, v4
	s_delay_alu instid0(VALU_DEP_1) | instskip(SKIP_1) | instid1(VALU_DEP_2)
	v_add_nc_u32_e32 v150, s3, v148
	v_ashrrev_i32_e32 v149, 31, v148
	v_add_nc_u32_e32 v152, s3, v150
	v_ashrrev_i32_e32 v151, 31, v150
	s_delay_alu instid0(VALU_DEP_2) | instskip(SKIP_1) | instid1(VALU_DEP_2)
	v_add_nc_u32_e32 v154, s3, v152
	v_ashrrev_i32_e32 v153, 31, v152
	v_add_nc_u32_e32 v156, s3, v154
	v_ashrrev_i32_e32 v155, 31, v154
	s_delay_alu instid0(VALU_DEP_2) | instskip(SKIP_1) | instid1(VALU_DEP_2)
	;; [unrolled: 5-line block ×6, first 2 shown]
	v_add_nc_u32_e32 v5, s3, v1
	v_ashrrev_i32_e32 v2, 31, v1
	v_ashrrev_i32_e32 v6, 31, v5
	s_delay_alu instid0(VALU_DEP_2) | instskip(NEXT) | instid1(VALU_DEP_2)
	v_lshlrev_b64 v[1:2], 3, v[1:2]
	v_lshlrev_b64 v[48:49], 3, v[5:6]
	v_ashrrev_i32_e32 v5, 31, v4
	s_delay_alu instid0(VALU_DEP_2) | instskip(NEXT) | instid1(VALU_DEP_3)
	v_add_co_u32 v6, vcc_lo, s0, v48
	v_add_co_ci_u32_e32 v7, vcc_lo, s1, v49, vcc_lo
	v_add_co_u32 v8, vcc_lo, s0, v42
	v_add_co_ci_u32_e32 v9, vcc_lo, s1, v43, vcc_lo
	global_load_b64 v[128:129], v[6:7], off
	v_lshlrev_b64 v[42:43], 3, v[96:97]
	v_lshlrev_b64 v[48:49], 3, v[98:99]
	;; [unrolled: 1-line block ×3, first 2 shown]
	s_waitcnt vmcnt(17)
	scratch_store_b128 off, v[16:19], off
	v_lshlrev_b64 v[18:19], 3, v[94:95]
	v_add_co_u32 v16, vcc_lo, s0, v92
	v_add_co_ci_u32_e32 v17, vcc_lo, s1, v93, vcc_lo
	s_clause 0x1
	global_load_b64 v[88:89], v[24:25], off
	global_load_b64 v[90:91], v[8:9], off
	v_add_co_u32 v18, vcc_lo, s0, v18
	v_add_co_ci_u32_e32 v19, vcc_lo, s1, v19, vcc_lo
	v_add_co_u32 v42, vcc_lo, s0, v42
	s_waitcnt vmcnt(17)
	scratch_store_b128 off, v[56:59], off offset:16
	s_clause 0x1
	global_load_b64 v[92:93], v[16:17], off
	global_load_b64 v[94:95], v[18:19], off
	v_add_co_ci_u32_e32 v43, vcc_lo, s1, v43, vcc_lo
	v_lshlrev_b64 v[56:57], 3, v[100:101]
	v_add_co_u32 v48, vcc_lo, s0, v48
	v_add_co_ci_u32_e32 v49, vcc_lo, s1, v49, vcc_lo
	v_lshlrev_b64 v[58:59], 3, v[102:103]
	s_delay_alu instid0(VALU_DEP_4) | instskip(SKIP_1) | instid1(VALU_DEP_3)
	v_add_co_u32 v56, vcc_lo, s0, v56
	v_add_co_ci_u32_e32 v57, vcc_lo, s1, v57, vcc_lo
	v_add_co_u32 v58, vcc_lo, s0, v58
	s_delay_alu instid0(VALU_DEP_4)
	v_add_co_ci_u32_e32 v59, vcc_lo, s1, v59, vcc_lo
	s_waitcnt vmcnt(17)
	scratch_store_b128 off, v[60:63], off offset:32
	s_clause 0x1
	global_load_b64 v[96:97], v[42:43], off
	global_load_b64 v[98:99], v[48:49], off
	v_lshlrev_b64 v[60:61], 3, v[104:105]
	v_lshlrev_b64 v[62:63], 3, v[106:107]
	global_load_b64 v[100:101], v[56:57], off
	v_add_co_u32 v60, vcc_lo, s0, v60
	v_add_co_ci_u32_e32 v61, vcc_lo, s1, v61, vcc_lo
	v_add_co_u32 v62, vcc_lo, s0, v62
	v_add_co_ci_u32_e32 v63, vcc_lo, s1, v63, vcc_lo
	s_waitcnt vmcnt(18)
	scratch_store_b128 off, v[64:67], off offset:48
	v_lshlrev_b64 v[64:65], 3, v[108:109]
	v_lshlrev_b64 v[66:67], 3, v[110:111]
	s_delay_alu instid0(VALU_DEP_2)
	v_add_co_u32 v64, vcc_lo, s0, v64
	s_waitcnt vmcnt(16)
	scratch_store_b128 off, v[68:71], off offset:64
	s_clause 0x2
	global_load_b64 v[102:103], v[58:59], off
	global_load_b64 v[104:105], v[60:61], off
	global_load_b64 v[106:107], v[62:63], off
	v_lshlrev_b64 v[68:69], 3, v[112:113]
	v_add_co_ci_u32_e32 v65, vcc_lo, s1, v65, vcc_lo
	v_add_co_u32 v66, vcc_lo, s0, v66
	v_lshlrev_b64 v[70:71], 3, v[114:115]
	v_add_co_ci_u32_e32 v67, vcc_lo, s1, v67, vcc_lo
	v_add_co_u32 v68, vcc_lo, s0, v68
	v_add_co_ci_u32_e32 v69, vcc_lo, s1, v69, vcc_lo
	s_delay_alu instid0(VALU_DEP_4)
	v_add_co_u32 v70, vcc_lo, s0, v70
	v_add_co_ci_u32_e32 v71, vcc_lo, s1, v71, vcc_lo
	global_load_b64 v[108:109], v[64:65], off
	s_waitcnt vmcnt(18)
	scratch_store_b128 off, v[72:75], off offset:80
	v_lshlrev_b64 v[72:73], 3, v[116:117]
	v_lshlrev_b64 v[74:75], 3, v[118:119]
	s_delay_alu instid0(VALU_DEP_2)
	v_add_co_u32 v72, vcc_lo, s0, v72
	s_waitcnt vmcnt(16)
	scratch_store_b128 off, v[76:79], off offset:96
	s_clause 0x2
	global_load_b64 v[110:111], v[66:67], off
	global_load_b64 v[112:113], v[68:69], off
	;; [unrolled: 1-line block ×3, first 2 shown]
	v_lshlrev_b64 v[76:77], 3, v[120:121]
	v_add_co_ci_u32_e32 v73, vcc_lo, s1, v73, vcc_lo
	v_add_co_u32 v74, vcc_lo, s0, v74
	v_lshlrev_b64 v[78:79], 3, v[122:123]
	v_add_co_ci_u32_e32 v75, vcc_lo, s1, v75, vcc_lo
	v_add_co_u32 v76, vcc_lo, s0, v76
	v_add_co_ci_u32_e32 v77, vcc_lo, s1, v77, vcc_lo
	s_delay_alu instid0(VALU_DEP_4)
	v_add_co_u32 v78, vcc_lo, s0, v78
	v_add_co_ci_u32_e32 v79, vcc_lo, s1, v79, vcc_lo
	s_waitcnt vmcnt(17)
	scratch_store_b128 off, v[80:83], off offset:112
	s_waitcnt vmcnt(15)
	scratch_store_b128 off, v[84:87], off offset:128
	v_lshlrev_b64 v[80:81], 3, v[124:125]
	s_clause 0x3
	global_load_b64 v[116:117], v[72:73], off
	global_load_b64 v[118:119], v[74:75], off
	;; [unrolled: 1-line block ×4, first 2 shown]
	v_lshlrev_b64 v[82:83], 3, v[126:127]
	v_lshlrev_b64 v[84:85], 3, v[130:131]
	;; [unrolled: 1-line block ×3, first 2 shown]
	v_add_co_u32 v80, vcc_lo, s0, v80
	v_add_co_ci_u32_e32 v81, vcc_lo, s1, v81, vcc_lo
	v_add_co_u32 v82, vcc_lo, s0, v82
	v_add_co_ci_u32_e32 v83, vcc_lo, s1, v83, vcc_lo
	;; [unrolled: 2-line block ×4, first 2 shown]
	s_clause 0x1
	global_load_b64 v[130:131], v[80:81], off
	global_load_b64 v[132:133], v[82:83], off
	v_lshlrev_b64 v[124:125], 3, v[148:149]
	s_waitcnt vmcnt(18)
	scratch_store_b128 off, v[88:91], off offset:144
	v_lshlrev_b64 v[88:89], 3, v[138:139]
	v_lshlrev_b64 v[90:91], 3, v[140:141]
	s_delay_alu instid0(VALU_DEP_2)
	v_add_co_u32 v88, vcc_lo, s0, v88
	s_waitcnt vmcnt(16)
	scratch_store_b128 off, v[92:95], off offset:160
	s_clause 0x1
	global_load_b64 v[134:135], v[84:85], off
	global_load_b64 v[136:137], v[86:87], off
	v_lshlrev_b64 v[92:93], 3, v[142:143]
	v_add_co_ci_u32_e32 v89, vcc_lo, s1, v89, vcc_lo
	v_add_co_u32 v90, vcc_lo, s0, v90
	v_lshlrev_b64 v[94:95], 3, v[144:145]
	v_add_co_ci_u32_e32 v91, vcc_lo, s1, v91, vcc_lo
	v_add_co_u32 v92, vcc_lo, s0, v92
	v_add_co_ci_u32_e32 v93, vcc_lo, s1, v93, vcc_lo
	s_delay_alu instid0(VALU_DEP_4)
	v_add_co_u32 v94, vcc_lo, s0, v94
	v_add_co_ci_u32_e32 v95, vcc_lo, s1, v95, vcc_lo
	global_load_b64 v[138:139], v[88:89], off
	s_waitcnt vmcnt(17)
	scratch_store_b128 off, v[96:99], off offset:176
	v_lshlrev_b64 v[96:97], 3, v[146:147]
	s_waitcnt vmcnt(15)
	scratch_store_b128 off, v[100:103], off offset:192
	s_waitcnt vmcnt(13)
	scratch_store_b128 off, v[104:107], off offset:208
	v_add_co_u32 v96, vcc_lo, s0, v96
	v_add_co_ci_u32_e32 v97, vcc_lo, s1, v97, vcc_lo
	v_add_co_u32 v98, vcc_lo, s0, v4
	v_add_co_ci_u32_e32 v99, vcc_lo, s1, v5, vcc_lo
	v_lshlrev_b64 v[4:5], 3, v[150:151]
	v_add_co_u32 v100, vcc_lo, s0, v124
	v_add_co_ci_u32_e32 v101, vcc_lo, s1, v125, vcc_lo
	v_lshlrev_b64 v[104:105], 3, v[152:153]
	s_delay_alu instid0(VALU_DEP_4) | instskip(SKIP_2) | instid1(VALU_DEP_4)
	v_add_co_u32 v102, vcc_lo, s0, v4
	v_add_co_ci_u32_e32 v103, vcc_lo, s1, v5, vcc_lo
	v_lshlrev_b64 v[4:5], 3, v[154:155]
	v_add_co_u32 v104, vcc_lo, s0, v104
	v_add_co_ci_u32_e32 v105, vcc_lo, s1, v105, vcc_lo
	v_lshlrev_b64 v[124:125], 3, v[156:157]
	s_delay_alu instid0(VALU_DEP_4)
	v_add_co_u32 v106, vcc_lo, s0, v4
	v_add_co_ci_u32_e32 v107, vcc_lo, s1, v5, vcc_lo
	v_lshlrev_b64 v[4:5], 3, v[158:159]
	s_clause 0x3
	global_load_b64 v[140:141], v[90:91], off
	global_load_b64 v[142:143], v[92:93], off
	;; [unrolled: 1-line block ×4, first 2 shown]
	s_waitcnt vmcnt(15)
	scratch_store_b128 off, v[108:111], off offset:224
	s_waitcnt vmcnt(13)
	scratch_store_b128 off, v[112:115], off offset:240
	v_add_co_u32 v108, vcc_lo, s0, v124
	v_add_co_ci_u32_e32 v109, vcc_lo, s1, v125, vcc_lo
	v_lshlrev_b64 v[112:113], 3, v[160:161]
	v_add_co_u32 v110, vcc_lo, s0, v4
	v_add_co_ci_u32_e32 v111, vcc_lo, s1, v5, vcc_lo
	v_lshlrev_b64 v[4:5], 3, v[162:163]
	s_delay_alu instid0(VALU_DEP_4) | instskip(SKIP_2) | instid1(VALU_DEP_4)
	v_add_co_u32 v112, vcc_lo, s0, v112
	v_add_co_ci_u32_e32 v113, vcc_lo, s1, v113, vcc_lo
	v_lshlrev_b64 v[124:125], 3, v[164:165]
	v_add_co_u32 v114, vcc_lo, s0, v4
	v_add_co_ci_u32_e32 v115, vcc_lo, s1, v5, vcc_lo
	v_lshlrev_b64 v[4:5], 3, v[166:167]
	s_clause 0x3
	global_load_b64 v[148:149], v[98:99], off
	global_load_b64 v[150:151], v[100:101], off
	;; [unrolled: 1-line block ×4, first 2 shown]
	s_waitcnt vmcnt(15)
	scratch_store_b128 off, v[116:119], off offset:256
	s_waitcnt vmcnt(13)
	scratch_store_b128 off, v[120:123], off offset:272
	v_add_co_u32 v116, vcc_lo, s0, v124
	v_add_co_ci_u32_e32 v117, vcc_lo, s1, v125, vcc_lo
	v_lshlrev_b64 v[120:121], 3, v[168:169]
	v_add_co_u32 v118, vcc_lo, s0, v4
	v_add_co_ci_u32_e32 v119, vcc_lo, s1, v5, vcc_lo
	v_lshlrev_b64 v[4:5], 3, v[170:171]
	s_delay_alu instid0(VALU_DEP_4)
	v_add_co_u32 v120, vcc_lo, s0, v120
	v_add_co_ci_u32_e32 v121, vcc_lo, s1, v121, vcc_lo
	s_clause 0x3
	global_load_b64 v[156:157], v[106:107], off
	global_load_b64 v[158:159], v[108:109], off
	;; [unrolled: 1-line block ×4, first 2 shown]
	v_add_co_u32 v122, vcc_lo, s0, v4
	v_add_co_ci_u32_e32 v123, vcc_lo, s1, v5, vcc_lo
	v_add_co_u32 v124, vcc_lo, s0, v1
	v_add_co_ci_u32_e32 v125, vcc_lo, s1, v2, vcc_lo
	s_waitcnt vmcnt(15)
	scratch_store_b128 off, v[130:133], off offset:288
	s_clause 0x2
	global_load_b64 v[164:165], v[114:115], off
	global_load_b64 v[130:131], v[116:117], off
	;; [unrolled: 1-line block ×3, first 2 shown]
	s_mov_b32 s1, -1
	s_waitcnt vmcnt(16)
	scratch_store_b128 off, v[134:137], off offset:304
	s_clause 0x2
	global_load_b64 v[134:135], v[120:121], off
	global_load_b64 v[136:137], v[122:123], off
	;; [unrolled: 1-line block ×3, first 2 shown]
	s_waitcnt vmcnt(17)
	scratch_store_b128 off, v[138:141], off offset:320
	s_waitcnt vmcnt(15)
	scratch_store_b128 off, v[142:145], off offset:336
	;; [unrolled: 2-line block ×10, first 2 shown]
	s_cbranch_scc1 .LBB59_248
; %bb.4:
	v_cmp_eq_u32_e64 s0, 0, v0
	s_delay_alu instid0(VALU_DEP_1)
	s_and_saveexec_b32 s1, s0
	s_cbranch_execz .LBB59_6
; %bb.5:
	v_mov_b32_e32 v1, 0
	ds_store_b32 v1, v1 offset:960
.LBB59_6:
	s_or_b32 exec_lo, exec_lo, s1
	s_waitcnt lgkmcnt(0)
	s_waitcnt_vscnt null, 0x0
	s_barrier
	buffer_gl0_inv
	scratch_load_b64 v[1:2], v3, off
	s_mov_b32 s2, exec_lo
	s_waitcnt vmcnt(0)
	v_cmpx_eq_f64_e32 0, v[1:2]
	s_cbranch_execz .LBB59_10
; %bb.7:
	v_mov_b32_e32 v1, 0
	s_mov_b32 s3, 0
	ds_load_b32 v2, v1 offset:960
	s_waitcnt lgkmcnt(0)
	v_readfirstlane_b32 s1, v2
	v_add_nc_u32_e32 v2, 1, v0
	s_delay_alu instid0(VALU_DEP_2) | instskip(NEXT) | instid1(VALU_DEP_1)
	s_cmp_eq_u32 s1, 0
	v_cmp_gt_i32_e32 vcc_lo, s1, v2
	s_cselect_b32 s4, -1, 0
	s_delay_alu instid0(SALU_CYCLE_1) | instskip(NEXT) | instid1(SALU_CYCLE_1)
	s_or_b32 s4, s4, vcc_lo
	s_and_b32 exec_lo, exec_lo, s4
	s_cbranch_execz .LBB59_10
; %bb.8:
	v_mov_b32_e32 v4, s1
.LBB59_9:                               ; =>This Inner Loop Header: Depth=1
	ds_cmpstore_rtn_b32 v4, v1, v2, v4 offset:960
	s_waitcnt lgkmcnt(0)
	v_cmp_ne_u32_e32 vcc_lo, 0, v4
	v_cmp_le_i32_e64 s1, v4, v2
	s_delay_alu instid0(VALU_DEP_1) | instskip(NEXT) | instid1(SALU_CYCLE_1)
	s_and_b32 s1, vcc_lo, s1
	s_and_b32 s1, exec_lo, s1
	s_delay_alu instid0(SALU_CYCLE_1) | instskip(NEXT) | instid1(SALU_CYCLE_1)
	s_or_b32 s3, s1, s3
	s_and_not1_b32 exec_lo, exec_lo, s3
	s_cbranch_execnz .LBB59_9
.LBB59_10:
	s_or_b32 exec_lo, exec_lo, s2
	v_mov_b32_e32 v1, 0
	s_barrier
	buffer_gl0_inv
	ds_load_b32 v2, v1 offset:960
	s_and_saveexec_b32 s1, s0
	s_cbranch_execz .LBB59_12
; %bb.11:
	s_lshl_b64 s[2:3], s[14:15], 2
	s_delay_alu instid0(SALU_CYCLE_1)
	s_add_u32 s2, s6, s2
	s_addc_u32 s3, s7, s3
	s_waitcnt lgkmcnt(0)
	global_store_b32 v1, v2, s[2:3]
.LBB59_12:
	s_or_b32 exec_lo, exec_lo, s1
	s_waitcnt lgkmcnt(0)
	v_cmp_ne_u32_e32 vcc_lo, 0, v2
	s_mov_b32 s1, 0
	s_cbranch_vccnz .LBB59_248
; %bb.13:
	v_add_nc_u32_e32 v4, 0, v3
	v_add_nc_u32_e32 v5, 0x1e0, v3
	scratch_load_b64 v[1:2], v4, off
	s_waitcnt vmcnt(0)
	v_div_scale_f64 v[126:127], null, v[1:2], v[1:2], 1.0
	v_div_scale_f64 v[132:133], vcc_lo, 1.0, v[1:2], 1.0
	s_delay_alu instid0(VALU_DEP_2) | instskip(SKIP_2) | instid1(VALU_DEP_1)
	v_rcp_f64_e32 v[128:129], v[126:127]
	s_waitcnt_depctr 0xfff
	v_fma_f64 v[130:131], -v[126:127], v[128:129], 1.0
	v_fma_f64 v[128:129], v[128:129], v[130:131], v[128:129]
	s_delay_alu instid0(VALU_DEP_1) | instskip(NEXT) | instid1(VALU_DEP_1)
	v_fma_f64 v[130:131], -v[126:127], v[128:129], 1.0
	v_fma_f64 v[128:129], v[128:129], v[130:131], v[128:129]
	s_delay_alu instid0(VALU_DEP_1) | instskip(NEXT) | instid1(VALU_DEP_1)
	v_mul_f64 v[130:131], v[132:133], v[128:129]
	v_fma_f64 v[126:127], -v[126:127], v[130:131], v[132:133]
	s_delay_alu instid0(VALU_DEP_1) | instskip(NEXT) | instid1(VALU_DEP_1)
	v_div_fmas_f64 v[126:127], v[126:127], v[128:129], v[130:131]
	v_div_fixup_f64 v[1:2], v[126:127], v[1:2], 1.0
	scratch_store_b64 v4, v[1:2], off
	scratch_load_b64 v[126:127], off, off offset:8
	v_xor_b32_e32 v2, 0x80000000, v2
	s_waitcnt vmcnt(0)
	ds_store_2addr_b64 v3, v[1:2], v[126:127] offset1:60
	s_waitcnt lgkmcnt(0)
	s_waitcnt_vscnt null, 0x0
	s_barrier
	buffer_gl0_inv
	s_and_saveexec_b32 s1, s0
	s_cbranch_execz .LBB59_15
; %bb.14:
	scratch_load_b64 v[1:2], v4, off
	ds_load_b64 v[126:127], v5
	s_waitcnt vmcnt(0) lgkmcnt(0)
	v_fma_f64 v[1:2], v[1:2], v[126:127], 0
	v_mov_b32_e32 v126, 0
	ds_load_b64 v[126:127], v126 offset:8
	s_waitcnt lgkmcnt(0)
	v_mul_f64 v[1:2], v[1:2], v[126:127]
	scratch_store_b64 off, v[1:2], off offset:8
.LBB59_15:
	s_or_b32 exec_lo, exec_lo, s1
	s_waitcnt_vscnt null, 0x0
	s_barrier
	buffer_gl0_inv
	scratch_load_b64 v[1:2], off, off offset:16
	s_mov_b32 s1, exec_lo
	s_waitcnt vmcnt(0)
	ds_store_b64 v5, v[1:2]
	s_waitcnt lgkmcnt(0)
	s_barrier
	buffer_gl0_inv
	v_cmpx_gt_u32_e32 2, v0
	s_cbranch_execz .LBB59_19
; %bb.16:
	scratch_load_b64 v[1:2], v4, off
	ds_load_b64 v[126:127], v5
	s_waitcnt vmcnt(0) lgkmcnt(0)
	v_fma_f64 v[1:2], v[1:2], v[126:127], 0
	s_and_saveexec_b32 s2, s0
	s_cbranch_execz .LBB59_18
; %bb.17:
	scratch_load_b64 v[126:127], off, off offset:8
	v_mov_b32_e32 v128, 0
	ds_load_b64 v[128:129], v128 offset:488
	s_waitcnt vmcnt(0) lgkmcnt(0)
	v_fma_f64 v[1:2], v[126:127], v[128:129], v[1:2]
.LBB59_18:
	s_or_b32 exec_lo, exec_lo, s2
	v_mov_b32_e32 v126, 0
	ds_load_b64 v[126:127], v126 offset:16
	s_waitcnt lgkmcnt(0)
	v_mul_f64 v[1:2], v[1:2], v[126:127]
	scratch_store_b64 off, v[1:2], off offset:16
.LBB59_19:
	s_or_b32 exec_lo, exec_lo, s1
	s_waitcnt_vscnt null, 0x0
	s_barrier
	buffer_gl0_inv
	scratch_load_b64 v[1:2], off, off offset:24
	v_add_nc_u32_e32 v126, -1, v0
	s_mov_b32 s0, exec_lo
	s_waitcnt vmcnt(0)
	ds_store_b64 v5, v[1:2]
	s_waitcnt lgkmcnt(0)
	s_barrier
	buffer_gl0_inv
	v_cmpx_gt_u32_e32 3, v0
	s_cbranch_execz .LBB59_23
; %bb.20:
	v_dual_mov_b32 v1, 0 :: v_dual_add_nc_u32 v128, 0x1e0, v3
	v_dual_mov_b32 v2, 0 :: v_dual_add_nc_u32 v127, -1, v0
	v_add_nc_u32_e32 v129, 0, v3
	s_mov_b32 s1, 0
.LBB59_21:                              ; =>This Inner Loop Header: Depth=1
	scratch_load_b64 v[130:131], v129, off
	ds_load_b64 v[132:133], v128
	v_add_nc_u32_e32 v127, 1, v127
	v_add_nc_u32_e32 v128, 8, v128
	v_add_nc_u32_e32 v129, 8, v129
	s_delay_alu instid0(VALU_DEP_3)
	v_cmp_lt_u32_e32 vcc_lo, 1, v127
	s_or_b32 s1, vcc_lo, s1
	s_waitcnt vmcnt(0) lgkmcnt(0)
	v_fma_f64 v[1:2], v[130:131], v[132:133], v[1:2]
	s_and_not1_b32 exec_lo, exec_lo, s1
	s_cbranch_execnz .LBB59_21
; %bb.22:
	s_or_b32 exec_lo, exec_lo, s1
	v_mov_b32_e32 v127, 0
	ds_load_b64 v[127:128], v127 offset:24
	s_waitcnt lgkmcnt(0)
	v_mul_f64 v[1:2], v[1:2], v[127:128]
	scratch_store_b64 off, v[1:2], off offset:24
.LBB59_23:
	s_or_b32 exec_lo, exec_lo, s0
	s_waitcnt_vscnt null, 0x0
	s_barrier
	buffer_gl0_inv
	scratch_load_b64 v[1:2], off, off offset:32
	s_mov_b32 s0, exec_lo
	s_waitcnt vmcnt(0)
	ds_store_b64 v5, v[1:2]
	s_waitcnt lgkmcnt(0)
	s_barrier
	buffer_gl0_inv
	v_cmpx_gt_u32_e32 4, v0
	s_cbranch_execz .LBB59_27
; %bb.24:
	v_dual_mov_b32 v1, 0 :: v_dual_add_nc_u32 v128, 0x1e0, v3
	v_dual_mov_b32 v2, 0 :: v_dual_add_nc_u32 v127, -1, v0
	v_add_nc_u32_e32 v129, 0, v3
	s_mov_b32 s1, 0
.LBB59_25:                              ; =>This Inner Loop Header: Depth=1
	scratch_load_b64 v[130:131], v129, off
	ds_load_b64 v[132:133], v128
	v_add_nc_u32_e32 v127, 1, v127
	v_add_nc_u32_e32 v128, 8, v128
	v_add_nc_u32_e32 v129, 8, v129
	s_delay_alu instid0(VALU_DEP_3)
	v_cmp_lt_u32_e32 vcc_lo, 2, v127
	s_or_b32 s1, vcc_lo, s1
	s_waitcnt vmcnt(0) lgkmcnt(0)
	v_fma_f64 v[1:2], v[130:131], v[132:133], v[1:2]
	s_and_not1_b32 exec_lo, exec_lo, s1
	s_cbranch_execnz .LBB59_25
; %bb.26:
	s_or_b32 exec_lo, exec_lo, s1
	v_mov_b32_e32 v127, 0
	ds_load_b64 v[127:128], v127 offset:32
	s_waitcnt lgkmcnt(0)
	v_mul_f64 v[1:2], v[1:2], v[127:128]
	scratch_store_b64 off, v[1:2], off offset:32
.LBB59_27:
	s_or_b32 exec_lo, exec_lo, s0
	s_waitcnt_vscnt null, 0x0
	s_barrier
	buffer_gl0_inv
	scratch_load_b64 v[1:2], off, off offset:40
	;; [unrolled: 39-line block ×20, first 2 shown]
	s_mov_b32 s0, exec_lo
	s_waitcnt vmcnt(0)
	ds_store_b64 v5, v[1:2]
	s_waitcnt lgkmcnt(0)
	s_barrier
	buffer_gl0_inv
	v_cmpx_gt_u32_e32 23, v0
	s_cbranch_execz .LBB59_103
; %bb.100:
	v_dual_mov_b32 v1, 0 :: v_dual_add_nc_u32 v128, 0x1e0, v3
	v_dual_mov_b32 v2, 0 :: v_dual_add_nc_u32 v127, -1, v0
	v_add_nc_u32_e32 v129, 0, v3
	s_mov_b32 s1, 0
.LBB59_101:                             ; =>This Inner Loop Header: Depth=1
	scratch_load_b64 v[130:131], v129, off
	ds_load_b64 v[132:133], v128
	v_add_nc_u32_e32 v127, 1, v127
	v_add_nc_u32_e32 v128, 8, v128
	v_add_nc_u32_e32 v129, 8, v129
	s_delay_alu instid0(VALU_DEP_3)
	v_cmp_lt_u32_e32 vcc_lo, 21, v127
	s_or_b32 s1, vcc_lo, s1
	s_waitcnt vmcnt(0) lgkmcnt(0)
	v_fma_f64 v[1:2], v[130:131], v[132:133], v[1:2]
	s_and_not1_b32 exec_lo, exec_lo, s1
	s_cbranch_execnz .LBB59_101
; %bb.102:
	s_or_b32 exec_lo, exec_lo, s1
	v_mov_b32_e32 v127, 0
	ds_load_b64 v[127:128], v127 offset:184
	s_waitcnt lgkmcnt(0)
	v_mul_f64 v[1:2], v[1:2], v[127:128]
	scratch_store_b64 off, v[1:2], off offset:184
.LBB59_103:
	s_or_b32 exec_lo, exec_lo, s0
	s_waitcnt_vscnt null, 0x0
	s_barrier
	buffer_gl0_inv
	scratch_load_b64 v[1:2], off, off offset:192
	s_mov_b32 s0, exec_lo
	s_waitcnt vmcnt(0)
	ds_store_b64 v5, v[1:2]
	s_waitcnt lgkmcnt(0)
	s_barrier
	buffer_gl0_inv
	v_cmpx_gt_u32_e32 24, v0
	s_cbranch_execz .LBB59_107
; %bb.104:
	v_dual_mov_b32 v1, 0 :: v_dual_add_nc_u32 v128, 0x1e0, v3
	v_dual_mov_b32 v2, 0 :: v_dual_add_nc_u32 v127, -1, v0
	v_add_nc_u32_e32 v129, 0, v3
	s_mov_b32 s1, 0
.LBB59_105:                             ; =>This Inner Loop Header: Depth=1
	scratch_load_b64 v[130:131], v129, off
	ds_load_b64 v[132:133], v128
	v_add_nc_u32_e32 v127, 1, v127
	v_add_nc_u32_e32 v128, 8, v128
	v_add_nc_u32_e32 v129, 8, v129
	s_delay_alu instid0(VALU_DEP_3)
	v_cmp_lt_u32_e32 vcc_lo, 22, v127
	s_or_b32 s1, vcc_lo, s1
	s_waitcnt vmcnt(0) lgkmcnt(0)
	v_fma_f64 v[1:2], v[130:131], v[132:133], v[1:2]
	s_and_not1_b32 exec_lo, exec_lo, s1
	s_cbranch_execnz .LBB59_105
; %bb.106:
	s_or_b32 exec_lo, exec_lo, s1
	v_mov_b32_e32 v127, 0
	ds_load_b64 v[127:128], v127 offset:192
	s_waitcnt lgkmcnt(0)
	v_mul_f64 v[1:2], v[1:2], v[127:128]
	scratch_store_b64 off, v[1:2], off offset:192
.LBB59_107:
	s_or_b32 exec_lo, exec_lo, s0
	s_waitcnt_vscnt null, 0x0
	s_barrier
	buffer_gl0_inv
	scratch_load_b64 v[1:2], off, off offset:200
	s_mov_b32 s0, exec_lo
	s_waitcnt vmcnt(0)
	ds_store_b64 v5, v[1:2]
	s_waitcnt lgkmcnt(0)
	s_barrier
	buffer_gl0_inv
	v_cmpx_gt_u32_e32 25, v0
	s_cbranch_execz .LBB59_111
; %bb.108:
	v_dual_mov_b32 v1, 0 :: v_dual_add_nc_u32 v128, 0x1e0, v3
	v_dual_mov_b32 v2, 0 :: v_dual_add_nc_u32 v127, -1, v0
	v_add_nc_u32_e32 v129, 0, v3
	s_mov_b32 s1, 0
.LBB59_109:                             ; =>This Inner Loop Header: Depth=1
	scratch_load_b64 v[130:131], v129, off
	ds_load_b64 v[132:133], v128
	v_add_nc_u32_e32 v127, 1, v127
	v_add_nc_u32_e32 v128, 8, v128
	v_add_nc_u32_e32 v129, 8, v129
	s_delay_alu instid0(VALU_DEP_3)
	v_cmp_lt_u32_e32 vcc_lo, 23, v127
	s_or_b32 s1, vcc_lo, s1
	s_waitcnt vmcnt(0) lgkmcnt(0)
	v_fma_f64 v[1:2], v[130:131], v[132:133], v[1:2]
	s_and_not1_b32 exec_lo, exec_lo, s1
	s_cbranch_execnz .LBB59_109
; %bb.110:
	s_or_b32 exec_lo, exec_lo, s1
	v_mov_b32_e32 v127, 0
	ds_load_b64 v[127:128], v127 offset:200
	s_waitcnt lgkmcnt(0)
	v_mul_f64 v[1:2], v[1:2], v[127:128]
	scratch_store_b64 off, v[1:2], off offset:200
.LBB59_111:
	s_or_b32 exec_lo, exec_lo, s0
	s_waitcnt_vscnt null, 0x0
	s_barrier
	buffer_gl0_inv
	scratch_load_b64 v[1:2], off, off offset:208
	s_mov_b32 s0, exec_lo
	s_waitcnt vmcnt(0)
	ds_store_b64 v5, v[1:2]
	s_waitcnt lgkmcnt(0)
	s_barrier
	buffer_gl0_inv
	v_cmpx_gt_u32_e32 26, v0
	s_cbranch_execz .LBB59_115
; %bb.112:
	v_dual_mov_b32 v1, 0 :: v_dual_add_nc_u32 v128, 0x1e0, v3
	v_dual_mov_b32 v2, 0 :: v_dual_add_nc_u32 v127, -1, v0
	v_add_nc_u32_e32 v129, 0, v3
	s_mov_b32 s1, 0
.LBB59_113:                             ; =>This Inner Loop Header: Depth=1
	scratch_load_b64 v[130:131], v129, off
	ds_load_b64 v[132:133], v128
	v_add_nc_u32_e32 v127, 1, v127
	v_add_nc_u32_e32 v128, 8, v128
	v_add_nc_u32_e32 v129, 8, v129
	s_delay_alu instid0(VALU_DEP_3)
	v_cmp_lt_u32_e32 vcc_lo, 24, v127
	s_or_b32 s1, vcc_lo, s1
	s_waitcnt vmcnt(0) lgkmcnt(0)
	v_fma_f64 v[1:2], v[130:131], v[132:133], v[1:2]
	s_and_not1_b32 exec_lo, exec_lo, s1
	s_cbranch_execnz .LBB59_113
; %bb.114:
	s_or_b32 exec_lo, exec_lo, s1
	v_mov_b32_e32 v127, 0
	ds_load_b64 v[127:128], v127 offset:208
	s_waitcnt lgkmcnt(0)
	v_mul_f64 v[1:2], v[1:2], v[127:128]
	scratch_store_b64 off, v[1:2], off offset:208
.LBB59_115:
	s_or_b32 exec_lo, exec_lo, s0
	s_waitcnt_vscnt null, 0x0
	s_barrier
	buffer_gl0_inv
	scratch_load_b64 v[1:2], off, off offset:216
	s_mov_b32 s0, exec_lo
	s_waitcnt vmcnt(0)
	ds_store_b64 v5, v[1:2]
	s_waitcnt lgkmcnt(0)
	s_barrier
	buffer_gl0_inv
	v_cmpx_gt_u32_e32 27, v0
	s_cbranch_execz .LBB59_119
; %bb.116:
	v_dual_mov_b32 v1, 0 :: v_dual_add_nc_u32 v128, 0x1e0, v3
	v_dual_mov_b32 v2, 0 :: v_dual_add_nc_u32 v127, -1, v0
	v_add_nc_u32_e32 v129, 0, v3
	s_mov_b32 s1, 0
.LBB59_117:                             ; =>This Inner Loop Header: Depth=1
	scratch_load_b64 v[130:131], v129, off
	ds_load_b64 v[132:133], v128
	v_add_nc_u32_e32 v127, 1, v127
	v_add_nc_u32_e32 v128, 8, v128
	v_add_nc_u32_e32 v129, 8, v129
	s_delay_alu instid0(VALU_DEP_3)
	v_cmp_lt_u32_e32 vcc_lo, 25, v127
	s_or_b32 s1, vcc_lo, s1
	s_waitcnt vmcnt(0) lgkmcnt(0)
	v_fma_f64 v[1:2], v[130:131], v[132:133], v[1:2]
	s_and_not1_b32 exec_lo, exec_lo, s1
	s_cbranch_execnz .LBB59_117
; %bb.118:
	s_or_b32 exec_lo, exec_lo, s1
	v_mov_b32_e32 v127, 0
	ds_load_b64 v[127:128], v127 offset:216
	s_waitcnt lgkmcnt(0)
	v_mul_f64 v[1:2], v[1:2], v[127:128]
	scratch_store_b64 off, v[1:2], off offset:216
.LBB59_119:
	s_or_b32 exec_lo, exec_lo, s0
	s_waitcnt_vscnt null, 0x0
	s_barrier
	buffer_gl0_inv
	scratch_load_b64 v[1:2], off, off offset:224
	s_mov_b32 s0, exec_lo
	s_waitcnt vmcnt(0)
	ds_store_b64 v5, v[1:2]
	s_waitcnt lgkmcnt(0)
	s_barrier
	buffer_gl0_inv
	v_cmpx_gt_u32_e32 28, v0
	s_cbranch_execz .LBB59_123
; %bb.120:
	v_dual_mov_b32 v1, 0 :: v_dual_add_nc_u32 v128, 0x1e0, v3
	v_dual_mov_b32 v2, 0 :: v_dual_add_nc_u32 v127, -1, v0
	v_add_nc_u32_e32 v129, 0, v3
	s_mov_b32 s1, 0
.LBB59_121:                             ; =>This Inner Loop Header: Depth=1
	scratch_load_b64 v[130:131], v129, off
	ds_load_b64 v[132:133], v128
	v_add_nc_u32_e32 v127, 1, v127
	v_add_nc_u32_e32 v128, 8, v128
	v_add_nc_u32_e32 v129, 8, v129
	s_delay_alu instid0(VALU_DEP_3)
	v_cmp_lt_u32_e32 vcc_lo, 26, v127
	s_or_b32 s1, vcc_lo, s1
	s_waitcnt vmcnt(0) lgkmcnt(0)
	v_fma_f64 v[1:2], v[130:131], v[132:133], v[1:2]
	s_and_not1_b32 exec_lo, exec_lo, s1
	s_cbranch_execnz .LBB59_121
; %bb.122:
	s_or_b32 exec_lo, exec_lo, s1
	v_mov_b32_e32 v127, 0
	ds_load_b64 v[127:128], v127 offset:224
	s_waitcnt lgkmcnt(0)
	v_mul_f64 v[1:2], v[1:2], v[127:128]
	scratch_store_b64 off, v[1:2], off offset:224
.LBB59_123:
	s_or_b32 exec_lo, exec_lo, s0
	s_waitcnt_vscnt null, 0x0
	s_barrier
	buffer_gl0_inv
	scratch_load_b64 v[1:2], off, off offset:232
	s_mov_b32 s0, exec_lo
	s_waitcnt vmcnt(0)
	ds_store_b64 v5, v[1:2]
	s_waitcnt lgkmcnt(0)
	s_barrier
	buffer_gl0_inv
	v_cmpx_gt_u32_e32 29, v0
	s_cbranch_execz .LBB59_127
; %bb.124:
	v_dual_mov_b32 v1, 0 :: v_dual_add_nc_u32 v128, 0x1e0, v3
	v_dual_mov_b32 v2, 0 :: v_dual_add_nc_u32 v127, -1, v0
	v_add_nc_u32_e32 v129, 0, v3
	s_mov_b32 s1, 0
.LBB59_125:                             ; =>This Inner Loop Header: Depth=1
	scratch_load_b64 v[130:131], v129, off
	ds_load_b64 v[132:133], v128
	v_add_nc_u32_e32 v127, 1, v127
	v_add_nc_u32_e32 v128, 8, v128
	v_add_nc_u32_e32 v129, 8, v129
	s_delay_alu instid0(VALU_DEP_3)
	v_cmp_lt_u32_e32 vcc_lo, 27, v127
	s_or_b32 s1, vcc_lo, s1
	s_waitcnt vmcnt(0) lgkmcnt(0)
	v_fma_f64 v[1:2], v[130:131], v[132:133], v[1:2]
	s_and_not1_b32 exec_lo, exec_lo, s1
	s_cbranch_execnz .LBB59_125
; %bb.126:
	s_or_b32 exec_lo, exec_lo, s1
	v_mov_b32_e32 v127, 0
	ds_load_b64 v[127:128], v127 offset:232
	s_waitcnt lgkmcnt(0)
	v_mul_f64 v[1:2], v[1:2], v[127:128]
	scratch_store_b64 off, v[1:2], off offset:232
.LBB59_127:
	s_or_b32 exec_lo, exec_lo, s0
	s_waitcnt_vscnt null, 0x0
	s_barrier
	buffer_gl0_inv
	scratch_load_b64 v[1:2], off, off offset:240
	s_mov_b32 s0, exec_lo
	s_waitcnt vmcnt(0)
	ds_store_b64 v5, v[1:2]
	s_waitcnt lgkmcnt(0)
	s_barrier
	buffer_gl0_inv
	v_cmpx_gt_u32_e32 30, v0
	s_cbranch_execz .LBB59_131
; %bb.128:
	v_dual_mov_b32 v1, 0 :: v_dual_add_nc_u32 v128, 0x1e0, v3
	v_dual_mov_b32 v2, 0 :: v_dual_add_nc_u32 v127, -1, v0
	v_add_nc_u32_e32 v129, 0, v3
	s_mov_b32 s1, 0
.LBB59_129:                             ; =>This Inner Loop Header: Depth=1
	scratch_load_b64 v[130:131], v129, off
	ds_load_b64 v[132:133], v128
	v_add_nc_u32_e32 v127, 1, v127
	v_add_nc_u32_e32 v128, 8, v128
	v_add_nc_u32_e32 v129, 8, v129
	s_delay_alu instid0(VALU_DEP_3)
	v_cmp_lt_u32_e32 vcc_lo, 28, v127
	s_or_b32 s1, vcc_lo, s1
	s_waitcnt vmcnt(0) lgkmcnt(0)
	v_fma_f64 v[1:2], v[130:131], v[132:133], v[1:2]
	s_and_not1_b32 exec_lo, exec_lo, s1
	s_cbranch_execnz .LBB59_129
; %bb.130:
	s_or_b32 exec_lo, exec_lo, s1
	v_mov_b32_e32 v127, 0
	ds_load_b64 v[127:128], v127 offset:240
	s_waitcnt lgkmcnt(0)
	v_mul_f64 v[1:2], v[1:2], v[127:128]
	scratch_store_b64 off, v[1:2], off offset:240
.LBB59_131:
	s_or_b32 exec_lo, exec_lo, s0
	s_waitcnt_vscnt null, 0x0
	s_barrier
	buffer_gl0_inv
	scratch_load_b64 v[1:2], off, off offset:248
	s_mov_b32 s0, exec_lo
	s_waitcnt vmcnt(0)
	ds_store_b64 v5, v[1:2]
	s_waitcnt lgkmcnt(0)
	s_barrier
	buffer_gl0_inv
	v_cmpx_gt_u32_e32 31, v0
	s_cbranch_execz .LBB59_135
; %bb.132:
	v_dual_mov_b32 v1, 0 :: v_dual_add_nc_u32 v128, 0x1e0, v3
	v_dual_mov_b32 v2, 0 :: v_dual_add_nc_u32 v127, -1, v0
	v_add_nc_u32_e32 v129, 0, v3
	s_mov_b32 s1, 0
.LBB59_133:                             ; =>This Inner Loop Header: Depth=1
	scratch_load_b64 v[130:131], v129, off
	ds_load_b64 v[132:133], v128
	v_add_nc_u32_e32 v127, 1, v127
	v_add_nc_u32_e32 v128, 8, v128
	v_add_nc_u32_e32 v129, 8, v129
	s_delay_alu instid0(VALU_DEP_3)
	v_cmp_lt_u32_e32 vcc_lo, 29, v127
	s_or_b32 s1, vcc_lo, s1
	s_waitcnt vmcnt(0) lgkmcnt(0)
	v_fma_f64 v[1:2], v[130:131], v[132:133], v[1:2]
	s_and_not1_b32 exec_lo, exec_lo, s1
	s_cbranch_execnz .LBB59_133
; %bb.134:
	s_or_b32 exec_lo, exec_lo, s1
	v_mov_b32_e32 v127, 0
	ds_load_b64 v[127:128], v127 offset:248
	s_waitcnt lgkmcnt(0)
	v_mul_f64 v[1:2], v[1:2], v[127:128]
	scratch_store_b64 off, v[1:2], off offset:248
.LBB59_135:
	s_or_b32 exec_lo, exec_lo, s0
	s_waitcnt_vscnt null, 0x0
	s_barrier
	buffer_gl0_inv
	scratch_load_b64 v[1:2], off, off offset:256
	s_mov_b32 s0, exec_lo
	s_waitcnt vmcnt(0)
	ds_store_b64 v5, v[1:2]
	s_waitcnt lgkmcnt(0)
	s_barrier
	buffer_gl0_inv
	v_cmpx_gt_u32_e32 32, v0
	s_cbranch_execz .LBB59_139
; %bb.136:
	v_dual_mov_b32 v1, 0 :: v_dual_add_nc_u32 v128, 0x1e0, v3
	v_dual_mov_b32 v2, 0 :: v_dual_add_nc_u32 v127, -1, v0
	v_add_nc_u32_e32 v129, 0, v3
	s_mov_b32 s1, 0
.LBB59_137:                             ; =>This Inner Loop Header: Depth=1
	scratch_load_b64 v[130:131], v129, off
	ds_load_b64 v[132:133], v128
	v_add_nc_u32_e32 v127, 1, v127
	v_add_nc_u32_e32 v128, 8, v128
	v_add_nc_u32_e32 v129, 8, v129
	s_delay_alu instid0(VALU_DEP_3)
	v_cmp_lt_u32_e32 vcc_lo, 30, v127
	s_or_b32 s1, vcc_lo, s1
	s_waitcnt vmcnt(0) lgkmcnt(0)
	v_fma_f64 v[1:2], v[130:131], v[132:133], v[1:2]
	s_and_not1_b32 exec_lo, exec_lo, s1
	s_cbranch_execnz .LBB59_137
; %bb.138:
	s_or_b32 exec_lo, exec_lo, s1
	v_mov_b32_e32 v127, 0
	ds_load_b64 v[127:128], v127 offset:256
	s_waitcnt lgkmcnt(0)
	v_mul_f64 v[1:2], v[1:2], v[127:128]
	scratch_store_b64 off, v[1:2], off offset:256
.LBB59_139:
	s_or_b32 exec_lo, exec_lo, s0
	s_waitcnt_vscnt null, 0x0
	s_barrier
	buffer_gl0_inv
	scratch_load_b64 v[1:2], off, off offset:264
	s_mov_b32 s0, exec_lo
	s_waitcnt vmcnt(0)
	ds_store_b64 v5, v[1:2]
	s_waitcnt lgkmcnt(0)
	s_barrier
	buffer_gl0_inv
	v_cmpx_gt_u32_e32 33, v0
	s_cbranch_execz .LBB59_143
; %bb.140:
	v_dual_mov_b32 v1, 0 :: v_dual_add_nc_u32 v128, 0x1e0, v3
	v_dual_mov_b32 v2, 0 :: v_dual_add_nc_u32 v127, -1, v0
	v_add_nc_u32_e32 v129, 0, v3
	s_mov_b32 s1, 0
.LBB59_141:                             ; =>This Inner Loop Header: Depth=1
	scratch_load_b64 v[130:131], v129, off
	ds_load_b64 v[132:133], v128
	v_add_nc_u32_e32 v127, 1, v127
	v_add_nc_u32_e32 v128, 8, v128
	v_add_nc_u32_e32 v129, 8, v129
	s_delay_alu instid0(VALU_DEP_3)
	v_cmp_lt_u32_e32 vcc_lo, 31, v127
	s_or_b32 s1, vcc_lo, s1
	s_waitcnt vmcnt(0) lgkmcnt(0)
	v_fma_f64 v[1:2], v[130:131], v[132:133], v[1:2]
	s_and_not1_b32 exec_lo, exec_lo, s1
	s_cbranch_execnz .LBB59_141
; %bb.142:
	s_or_b32 exec_lo, exec_lo, s1
	v_mov_b32_e32 v127, 0
	ds_load_b64 v[127:128], v127 offset:264
	s_waitcnt lgkmcnt(0)
	v_mul_f64 v[1:2], v[1:2], v[127:128]
	scratch_store_b64 off, v[1:2], off offset:264
.LBB59_143:
	s_or_b32 exec_lo, exec_lo, s0
	s_waitcnt_vscnt null, 0x0
	s_barrier
	buffer_gl0_inv
	scratch_load_b64 v[1:2], off, off offset:272
	s_mov_b32 s0, exec_lo
	s_waitcnt vmcnt(0)
	ds_store_b64 v5, v[1:2]
	s_waitcnt lgkmcnt(0)
	s_barrier
	buffer_gl0_inv
	v_cmpx_gt_u32_e32 34, v0
	s_cbranch_execz .LBB59_147
; %bb.144:
	v_dual_mov_b32 v1, 0 :: v_dual_add_nc_u32 v128, 0x1e0, v3
	v_dual_mov_b32 v2, 0 :: v_dual_add_nc_u32 v127, -1, v0
	v_add_nc_u32_e32 v129, 0, v3
	s_mov_b32 s1, 0
.LBB59_145:                             ; =>This Inner Loop Header: Depth=1
	scratch_load_b64 v[130:131], v129, off
	ds_load_b64 v[132:133], v128
	v_add_nc_u32_e32 v127, 1, v127
	v_add_nc_u32_e32 v128, 8, v128
	v_add_nc_u32_e32 v129, 8, v129
	s_delay_alu instid0(VALU_DEP_3)
	v_cmp_lt_u32_e32 vcc_lo, 32, v127
	s_or_b32 s1, vcc_lo, s1
	s_waitcnt vmcnt(0) lgkmcnt(0)
	v_fma_f64 v[1:2], v[130:131], v[132:133], v[1:2]
	s_and_not1_b32 exec_lo, exec_lo, s1
	s_cbranch_execnz .LBB59_145
; %bb.146:
	s_or_b32 exec_lo, exec_lo, s1
	v_mov_b32_e32 v127, 0
	ds_load_b64 v[127:128], v127 offset:272
	s_waitcnt lgkmcnt(0)
	v_mul_f64 v[1:2], v[1:2], v[127:128]
	scratch_store_b64 off, v[1:2], off offset:272
.LBB59_147:
	s_or_b32 exec_lo, exec_lo, s0
	s_waitcnt_vscnt null, 0x0
	s_barrier
	buffer_gl0_inv
	scratch_load_b64 v[1:2], off, off offset:280
	s_mov_b32 s0, exec_lo
	s_waitcnt vmcnt(0)
	ds_store_b64 v5, v[1:2]
	s_waitcnt lgkmcnt(0)
	s_barrier
	buffer_gl0_inv
	v_cmpx_gt_u32_e32 35, v0
	s_cbranch_execz .LBB59_151
; %bb.148:
	v_dual_mov_b32 v1, 0 :: v_dual_add_nc_u32 v128, 0x1e0, v3
	v_dual_mov_b32 v2, 0 :: v_dual_add_nc_u32 v127, -1, v0
	v_add_nc_u32_e32 v129, 0, v3
	s_mov_b32 s1, 0
.LBB59_149:                             ; =>This Inner Loop Header: Depth=1
	scratch_load_b64 v[130:131], v129, off
	ds_load_b64 v[132:133], v128
	v_add_nc_u32_e32 v127, 1, v127
	v_add_nc_u32_e32 v128, 8, v128
	v_add_nc_u32_e32 v129, 8, v129
	s_delay_alu instid0(VALU_DEP_3)
	v_cmp_lt_u32_e32 vcc_lo, 33, v127
	s_or_b32 s1, vcc_lo, s1
	s_waitcnt vmcnt(0) lgkmcnt(0)
	v_fma_f64 v[1:2], v[130:131], v[132:133], v[1:2]
	s_and_not1_b32 exec_lo, exec_lo, s1
	s_cbranch_execnz .LBB59_149
; %bb.150:
	s_or_b32 exec_lo, exec_lo, s1
	v_mov_b32_e32 v127, 0
	ds_load_b64 v[127:128], v127 offset:280
	s_waitcnt lgkmcnt(0)
	v_mul_f64 v[1:2], v[1:2], v[127:128]
	scratch_store_b64 off, v[1:2], off offset:280
.LBB59_151:
	s_or_b32 exec_lo, exec_lo, s0
	s_waitcnt_vscnt null, 0x0
	s_barrier
	buffer_gl0_inv
	scratch_load_b64 v[1:2], off, off offset:288
	s_mov_b32 s0, exec_lo
	s_waitcnt vmcnt(0)
	ds_store_b64 v5, v[1:2]
	s_waitcnt lgkmcnt(0)
	s_barrier
	buffer_gl0_inv
	v_cmpx_gt_u32_e32 36, v0
	s_cbranch_execz .LBB59_155
; %bb.152:
	v_dual_mov_b32 v1, 0 :: v_dual_add_nc_u32 v128, 0x1e0, v3
	v_dual_mov_b32 v2, 0 :: v_dual_add_nc_u32 v127, -1, v0
	v_add_nc_u32_e32 v129, 0, v3
	s_mov_b32 s1, 0
.LBB59_153:                             ; =>This Inner Loop Header: Depth=1
	scratch_load_b64 v[130:131], v129, off
	ds_load_b64 v[132:133], v128
	v_add_nc_u32_e32 v127, 1, v127
	v_add_nc_u32_e32 v128, 8, v128
	v_add_nc_u32_e32 v129, 8, v129
	s_delay_alu instid0(VALU_DEP_3)
	v_cmp_lt_u32_e32 vcc_lo, 34, v127
	s_or_b32 s1, vcc_lo, s1
	s_waitcnt vmcnt(0) lgkmcnt(0)
	v_fma_f64 v[1:2], v[130:131], v[132:133], v[1:2]
	s_and_not1_b32 exec_lo, exec_lo, s1
	s_cbranch_execnz .LBB59_153
; %bb.154:
	s_or_b32 exec_lo, exec_lo, s1
	v_mov_b32_e32 v127, 0
	ds_load_b64 v[127:128], v127 offset:288
	s_waitcnt lgkmcnt(0)
	v_mul_f64 v[1:2], v[1:2], v[127:128]
	scratch_store_b64 off, v[1:2], off offset:288
.LBB59_155:
	s_or_b32 exec_lo, exec_lo, s0
	s_waitcnt_vscnt null, 0x0
	s_barrier
	buffer_gl0_inv
	scratch_load_b64 v[1:2], off, off offset:296
	s_mov_b32 s0, exec_lo
	s_waitcnt vmcnt(0)
	ds_store_b64 v5, v[1:2]
	s_waitcnt lgkmcnt(0)
	s_barrier
	buffer_gl0_inv
	v_cmpx_gt_u32_e32 37, v0
	s_cbranch_execz .LBB59_159
; %bb.156:
	v_dual_mov_b32 v1, 0 :: v_dual_add_nc_u32 v128, 0x1e0, v3
	v_dual_mov_b32 v2, 0 :: v_dual_add_nc_u32 v127, -1, v0
	v_add_nc_u32_e32 v129, 0, v3
	s_mov_b32 s1, 0
.LBB59_157:                             ; =>This Inner Loop Header: Depth=1
	scratch_load_b64 v[130:131], v129, off
	ds_load_b64 v[132:133], v128
	v_add_nc_u32_e32 v127, 1, v127
	v_add_nc_u32_e32 v128, 8, v128
	v_add_nc_u32_e32 v129, 8, v129
	s_delay_alu instid0(VALU_DEP_3)
	v_cmp_lt_u32_e32 vcc_lo, 35, v127
	s_or_b32 s1, vcc_lo, s1
	s_waitcnt vmcnt(0) lgkmcnt(0)
	v_fma_f64 v[1:2], v[130:131], v[132:133], v[1:2]
	s_and_not1_b32 exec_lo, exec_lo, s1
	s_cbranch_execnz .LBB59_157
; %bb.158:
	s_or_b32 exec_lo, exec_lo, s1
	v_mov_b32_e32 v127, 0
	ds_load_b64 v[127:128], v127 offset:296
	s_waitcnt lgkmcnt(0)
	v_mul_f64 v[1:2], v[1:2], v[127:128]
	scratch_store_b64 off, v[1:2], off offset:296
.LBB59_159:
	s_or_b32 exec_lo, exec_lo, s0
	s_waitcnt_vscnt null, 0x0
	s_barrier
	buffer_gl0_inv
	scratch_load_b64 v[1:2], off, off offset:304
	s_mov_b32 s0, exec_lo
	s_waitcnt vmcnt(0)
	ds_store_b64 v5, v[1:2]
	s_waitcnt lgkmcnt(0)
	s_barrier
	buffer_gl0_inv
	v_cmpx_gt_u32_e32 38, v0
	s_cbranch_execz .LBB59_163
; %bb.160:
	v_dual_mov_b32 v1, 0 :: v_dual_add_nc_u32 v128, 0x1e0, v3
	v_dual_mov_b32 v2, 0 :: v_dual_add_nc_u32 v127, -1, v0
	v_add_nc_u32_e32 v129, 0, v3
	s_mov_b32 s1, 0
.LBB59_161:                             ; =>This Inner Loop Header: Depth=1
	scratch_load_b64 v[130:131], v129, off
	ds_load_b64 v[132:133], v128
	v_add_nc_u32_e32 v127, 1, v127
	v_add_nc_u32_e32 v128, 8, v128
	v_add_nc_u32_e32 v129, 8, v129
	s_delay_alu instid0(VALU_DEP_3)
	v_cmp_lt_u32_e32 vcc_lo, 36, v127
	s_or_b32 s1, vcc_lo, s1
	s_waitcnt vmcnt(0) lgkmcnt(0)
	v_fma_f64 v[1:2], v[130:131], v[132:133], v[1:2]
	s_and_not1_b32 exec_lo, exec_lo, s1
	s_cbranch_execnz .LBB59_161
; %bb.162:
	s_or_b32 exec_lo, exec_lo, s1
	v_mov_b32_e32 v127, 0
	ds_load_b64 v[127:128], v127 offset:304
	s_waitcnt lgkmcnt(0)
	v_mul_f64 v[1:2], v[1:2], v[127:128]
	scratch_store_b64 off, v[1:2], off offset:304
.LBB59_163:
	s_or_b32 exec_lo, exec_lo, s0
	s_waitcnt_vscnt null, 0x0
	s_barrier
	buffer_gl0_inv
	scratch_load_b64 v[1:2], off, off offset:312
	s_mov_b32 s0, exec_lo
	s_waitcnt vmcnt(0)
	ds_store_b64 v5, v[1:2]
	s_waitcnt lgkmcnt(0)
	s_barrier
	buffer_gl0_inv
	v_cmpx_gt_u32_e32 39, v0
	s_cbranch_execz .LBB59_167
; %bb.164:
	v_dual_mov_b32 v1, 0 :: v_dual_add_nc_u32 v128, 0x1e0, v3
	v_dual_mov_b32 v2, 0 :: v_dual_add_nc_u32 v127, -1, v0
	v_add_nc_u32_e32 v129, 0, v3
	s_mov_b32 s1, 0
.LBB59_165:                             ; =>This Inner Loop Header: Depth=1
	scratch_load_b64 v[130:131], v129, off
	ds_load_b64 v[132:133], v128
	v_add_nc_u32_e32 v127, 1, v127
	v_add_nc_u32_e32 v128, 8, v128
	v_add_nc_u32_e32 v129, 8, v129
	s_delay_alu instid0(VALU_DEP_3)
	v_cmp_lt_u32_e32 vcc_lo, 37, v127
	s_or_b32 s1, vcc_lo, s1
	s_waitcnt vmcnt(0) lgkmcnt(0)
	v_fma_f64 v[1:2], v[130:131], v[132:133], v[1:2]
	s_and_not1_b32 exec_lo, exec_lo, s1
	s_cbranch_execnz .LBB59_165
; %bb.166:
	s_or_b32 exec_lo, exec_lo, s1
	v_mov_b32_e32 v127, 0
	ds_load_b64 v[127:128], v127 offset:312
	s_waitcnt lgkmcnt(0)
	v_mul_f64 v[1:2], v[1:2], v[127:128]
	scratch_store_b64 off, v[1:2], off offset:312
.LBB59_167:
	s_or_b32 exec_lo, exec_lo, s0
	s_waitcnt_vscnt null, 0x0
	s_barrier
	buffer_gl0_inv
	scratch_load_b64 v[1:2], off, off offset:320
	s_mov_b32 s0, exec_lo
	s_waitcnt vmcnt(0)
	ds_store_b64 v5, v[1:2]
	s_waitcnt lgkmcnt(0)
	s_barrier
	buffer_gl0_inv
	v_cmpx_gt_u32_e32 40, v0
	s_cbranch_execz .LBB59_171
; %bb.168:
	v_dual_mov_b32 v1, 0 :: v_dual_add_nc_u32 v128, 0x1e0, v3
	v_dual_mov_b32 v2, 0 :: v_dual_add_nc_u32 v127, -1, v0
	v_add_nc_u32_e32 v129, 0, v3
	s_mov_b32 s1, 0
.LBB59_169:                             ; =>This Inner Loop Header: Depth=1
	scratch_load_b64 v[130:131], v129, off
	ds_load_b64 v[132:133], v128
	v_add_nc_u32_e32 v127, 1, v127
	v_add_nc_u32_e32 v128, 8, v128
	v_add_nc_u32_e32 v129, 8, v129
	s_delay_alu instid0(VALU_DEP_3)
	v_cmp_lt_u32_e32 vcc_lo, 38, v127
	s_or_b32 s1, vcc_lo, s1
	s_waitcnt vmcnt(0) lgkmcnt(0)
	v_fma_f64 v[1:2], v[130:131], v[132:133], v[1:2]
	s_and_not1_b32 exec_lo, exec_lo, s1
	s_cbranch_execnz .LBB59_169
; %bb.170:
	s_or_b32 exec_lo, exec_lo, s1
	v_mov_b32_e32 v127, 0
	ds_load_b64 v[127:128], v127 offset:320
	s_waitcnt lgkmcnt(0)
	v_mul_f64 v[1:2], v[1:2], v[127:128]
	scratch_store_b64 off, v[1:2], off offset:320
.LBB59_171:
	s_or_b32 exec_lo, exec_lo, s0
	s_waitcnt_vscnt null, 0x0
	s_barrier
	buffer_gl0_inv
	scratch_load_b64 v[1:2], off, off offset:328
	s_mov_b32 s0, exec_lo
	s_waitcnt vmcnt(0)
	ds_store_b64 v5, v[1:2]
	s_waitcnt lgkmcnt(0)
	s_barrier
	buffer_gl0_inv
	v_cmpx_gt_u32_e32 41, v0
	s_cbranch_execz .LBB59_175
; %bb.172:
	v_dual_mov_b32 v1, 0 :: v_dual_add_nc_u32 v128, 0x1e0, v3
	v_dual_mov_b32 v2, 0 :: v_dual_add_nc_u32 v127, -1, v0
	v_add_nc_u32_e32 v129, 0, v3
	s_mov_b32 s1, 0
.LBB59_173:                             ; =>This Inner Loop Header: Depth=1
	scratch_load_b64 v[130:131], v129, off
	ds_load_b64 v[132:133], v128
	v_add_nc_u32_e32 v127, 1, v127
	v_add_nc_u32_e32 v128, 8, v128
	v_add_nc_u32_e32 v129, 8, v129
	s_delay_alu instid0(VALU_DEP_3)
	v_cmp_lt_u32_e32 vcc_lo, 39, v127
	s_or_b32 s1, vcc_lo, s1
	s_waitcnt vmcnt(0) lgkmcnt(0)
	v_fma_f64 v[1:2], v[130:131], v[132:133], v[1:2]
	s_and_not1_b32 exec_lo, exec_lo, s1
	s_cbranch_execnz .LBB59_173
; %bb.174:
	s_or_b32 exec_lo, exec_lo, s1
	v_mov_b32_e32 v127, 0
	ds_load_b64 v[127:128], v127 offset:328
	s_waitcnt lgkmcnt(0)
	v_mul_f64 v[1:2], v[1:2], v[127:128]
	scratch_store_b64 off, v[1:2], off offset:328
.LBB59_175:
	s_or_b32 exec_lo, exec_lo, s0
	s_waitcnt_vscnt null, 0x0
	s_barrier
	buffer_gl0_inv
	scratch_load_b64 v[1:2], off, off offset:336
	s_mov_b32 s0, exec_lo
	s_waitcnt vmcnt(0)
	ds_store_b64 v5, v[1:2]
	s_waitcnt lgkmcnt(0)
	s_barrier
	buffer_gl0_inv
	v_cmpx_gt_u32_e32 42, v0
	s_cbranch_execz .LBB59_179
; %bb.176:
	v_dual_mov_b32 v1, 0 :: v_dual_add_nc_u32 v128, 0x1e0, v3
	v_dual_mov_b32 v2, 0 :: v_dual_add_nc_u32 v127, -1, v0
	v_add_nc_u32_e32 v129, 0, v3
	s_mov_b32 s1, 0
.LBB59_177:                             ; =>This Inner Loop Header: Depth=1
	scratch_load_b64 v[130:131], v129, off
	ds_load_b64 v[132:133], v128
	v_add_nc_u32_e32 v127, 1, v127
	v_add_nc_u32_e32 v128, 8, v128
	v_add_nc_u32_e32 v129, 8, v129
	s_delay_alu instid0(VALU_DEP_3)
	v_cmp_lt_u32_e32 vcc_lo, 40, v127
	s_or_b32 s1, vcc_lo, s1
	s_waitcnt vmcnt(0) lgkmcnt(0)
	v_fma_f64 v[1:2], v[130:131], v[132:133], v[1:2]
	s_and_not1_b32 exec_lo, exec_lo, s1
	s_cbranch_execnz .LBB59_177
; %bb.178:
	s_or_b32 exec_lo, exec_lo, s1
	v_mov_b32_e32 v127, 0
	ds_load_b64 v[127:128], v127 offset:336
	s_waitcnt lgkmcnt(0)
	v_mul_f64 v[1:2], v[1:2], v[127:128]
	scratch_store_b64 off, v[1:2], off offset:336
.LBB59_179:
	s_or_b32 exec_lo, exec_lo, s0
	s_waitcnt_vscnt null, 0x0
	s_barrier
	buffer_gl0_inv
	scratch_load_b64 v[1:2], off, off offset:344
	s_mov_b32 s0, exec_lo
	s_waitcnt vmcnt(0)
	ds_store_b64 v5, v[1:2]
	s_waitcnt lgkmcnt(0)
	s_barrier
	buffer_gl0_inv
	v_cmpx_gt_u32_e32 43, v0
	s_cbranch_execz .LBB59_183
; %bb.180:
	v_dual_mov_b32 v1, 0 :: v_dual_add_nc_u32 v128, 0x1e0, v3
	v_dual_mov_b32 v2, 0 :: v_dual_add_nc_u32 v127, -1, v0
	v_add_nc_u32_e32 v129, 0, v3
	s_mov_b32 s1, 0
.LBB59_181:                             ; =>This Inner Loop Header: Depth=1
	scratch_load_b64 v[130:131], v129, off
	ds_load_b64 v[132:133], v128
	v_add_nc_u32_e32 v127, 1, v127
	v_add_nc_u32_e32 v128, 8, v128
	v_add_nc_u32_e32 v129, 8, v129
	s_delay_alu instid0(VALU_DEP_3)
	v_cmp_lt_u32_e32 vcc_lo, 41, v127
	s_or_b32 s1, vcc_lo, s1
	s_waitcnt vmcnt(0) lgkmcnt(0)
	v_fma_f64 v[1:2], v[130:131], v[132:133], v[1:2]
	s_and_not1_b32 exec_lo, exec_lo, s1
	s_cbranch_execnz .LBB59_181
; %bb.182:
	s_or_b32 exec_lo, exec_lo, s1
	v_mov_b32_e32 v127, 0
	ds_load_b64 v[127:128], v127 offset:344
	s_waitcnt lgkmcnt(0)
	v_mul_f64 v[1:2], v[1:2], v[127:128]
	scratch_store_b64 off, v[1:2], off offset:344
.LBB59_183:
	s_or_b32 exec_lo, exec_lo, s0
	s_waitcnt_vscnt null, 0x0
	s_barrier
	buffer_gl0_inv
	scratch_load_b64 v[1:2], off, off offset:352
	s_mov_b32 s0, exec_lo
	s_waitcnt vmcnt(0)
	ds_store_b64 v5, v[1:2]
	s_waitcnt lgkmcnt(0)
	s_barrier
	buffer_gl0_inv
	v_cmpx_gt_u32_e32 44, v0
	s_cbranch_execz .LBB59_187
; %bb.184:
	v_dual_mov_b32 v1, 0 :: v_dual_add_nc_u32 v128, 0x1e0, v3
	v_dual_mov_b32 v2, 0 :: v_dual_add_nc_u32 v127, -1, v0
	v_add_nc_u32_e32 v129, 0, v3
	s_mov_b32 s1, 0
.LBB59_185:                             ; =>This Inner Loop Header: Depth=1
	scratch_load_b64 v[130:131], v129, off
	ds_load_b64 v[132:133], v128
	v_add_nc_u32_e32 v127, 1, v127
	v_add_nc_u32_e32 v128, 8, v128
	v_add_nc_u32_e32 v129, 8, v129
	s_delay_alu instid0(VALU_DEP_3)
	v_cmp_lt_u32_e32 vcc_lo, 42, v127
	s_or_b32 s1, vcc_lo, s1
	s_waitcnt vmcnt(0) lgkmcnt(0)
	v_fma_f64 v[1:2], v[130:131], v[132:133], v[1:2]
	s_and_not1_b32 exec_lo, exec_lo, s1
	s_cbranch_execnz .LBB59_185
; %bb.186:
	s_or_b32 exec_lo, exec_lo, s1
	v_mov_b32_e32 v127, 0
	ds_load_b64 v[127:128], v127 offset:352
	s_waitcnt lgkmcnt(0)
	v_mul_f64 v[1:2], v[1:2], v[127:128]
	scratch_store_b64 off, v[1:2], off offset:352
.LBB59_187:
	s_or_b32 exec_lo, exec_lo, s0
	s_waitcnt_vscnt null, 0x0
	s_barrier
	buffer_gl0_inv
	scratch_load_b64 v[1:2], off, off offset:360
	s_mov_b32 s0, exec_lo
	s_waitcnt vmcnt(0)
	ds_store_b64 v5, v[1:2]
	s_waitcnt lgkmcnt(0)
	s_barrier
	buffer_gl0_inv
	v_cmpx_gt_u32_e32 45, v0
	s_cbranch_execz .LBB59_191
; %bb.188:
	v_dual_mov_b32 v1, 0 :: v_dual_add_nc_u32 v128, 0x1e0, v3
	v_dual_mov_b32 v2, 0 :: v_dual_add_nc_u32 v127, -1, v0
	v_add_nc_u32_e32 v129, 0, v3
	s_mov_b32 s1, 0
.LBB59_189:                             ; =>This Inner Loop Header: Depth=1
	scratch_load_b64 v[130:131], v129, off
	ds_load_b64 v[132:133], v128
	v_add_nc_u32_e32 v127, 1, v127
	v_add_nc_u32_e32 v128, 8, v128
	v_add_nc_u32_e32 v129, 8, v129
	s_delay_alu instid0(VALU_DEP_3)
	v_cmp_lt_u32_e32 vcc_lo, 43, v127
	s_or_b32 s1, vcc_lo, s1
	s_waitcnt vmcnt(0) lgkmcnt(0)
	v_fma_f64 v[1:2], v[130:131], v[132:133], v[1:2]
	s_and_not1_b32 exec_lo, exec_lo, s1
	s_cbranch_execnz .LBB59_189
; %bb.190:
	s_or_b32 exec_lo, exec_lo, s1
	v_mov_b32_e32 v127, 0
	ds_load_b64 v[127:128], v127 offset:360
	s_waitcnt lgkmcnt(0)
	v_mul_f64 v[1:2], v[1:2], v[127:128]
	scratch_store_b64 off, v[1:2], off offset:360
.LBB59_191:
	s_or_b32 exec_lo, exec_lo, s0
	s_waitcnt_vscnt null, 0x0
	s_barrier
	buffer_gl0_inv
	scratch_load_b64 v[1:2], off, off offset:368
	s_mov_b32 s0, exec_lo
	s_waitcnt vmcnt(0)
	ds_store_b64 v5, v[1:2]
	s_waitcnt lgkmcnt(0)
	s_barrier
	buffer_gl0_inv
	v_cmpx_gt_u32_e32 46, v0
	s_cbranch_execz .LBB59_195
; %bb.192:
	v_dual_mov_b32 v1, 0 :: v_dual_add_nc_u32 v128, 0x1e0, v3
	v_dual_mov_b32 v2, 0 :: v_dual_add_nc_u32 v127, -1, v0
	v_add_nc_u32_e32 v129, 0, v3
	s_mov_b32 s1, 0
.LBB59_193:                             ; =>This Inner Loop Header: Depth=1
	scratch_load_b64 v[130:131], v129, off
	ds_load_b64 v[132:133], v128
	v_add_nc_u32_e32 v127, 1, v127
	v_add_nc_u32_e32 v128, 8, v128
	v_add_nc_u32_e32 v129, 8, v129
	s_delay_alu instid0(VALU_DEP_3)
	v_cmp_lt_u32_e32 vcc_lo, 44, v127
	s_or_b32 s1, vcc_lo, s1
	s_waitcnt vmcnt(0) lgkmcnt(0)
	v_fma_f64 v[1:2], v[130:131], v[132:133], v[1:2]
	s_and_not1_b32 exec_lo, exec_lo, s1
	s_cbranch_execnz .LBB59_193
; %bb.194:
	s_or_b32 exec_lo, exec_lo, s1
	v_mov_b32_e32 v127, 0
	ds_load_b64 v[127:128], v127 offset:368
	s_waitcnt lgkmcnt(0)
	v_mul_f64 v[1:2], v[1:2], v[127:128]
	scratch_store_b64 off, v[1:2], off offset:368
.LBB59_195:
	s_or_b32 exec_lo, exec_lo, s0
	s_waitcnt_vscnt null, 0x0
	s_barrier
	buffer_gl0_inv
	scratch_load_b64 v[1:2], off, off offset:376
	s_mov_b32 s0, exec_lo
	s_waitcnt vmcnt(0)
	ds_store_b64 v5, v[1:2]
	s_waitcnt lgkmcnt(0)
	s_barrier
	buffer_gl0_inv
	v_cmpx_gt_u32_e32 47, v0
	s_cbranch_execz .LBB59_199
; %bb.196:
	v_dual_mov_b32 v1, 0 :: v_dual_add_nc_u32 v128, 0x1e0, v3
	v_dual_mov_b32 v2, 0 :: v_dual_add_nc_u32 v127, -1, v0
	v_add_nc_u32_e32 v129, 0, v3
	s_mov_b32 s1, 0
.LBB59_197:                             ; =>This Inner Loop Header: Depth=1
	scratch_load_b64 v[130:131], v129, off
	ds_load_b64 v[132:133], v128
	v_add_nc_u32_e32 v127, 1, v127
	v_add_nc_u32_e32 v128, 8, v128
	v_add_nc_u32_e32 v129, 8, v129
	s_delay_alu instid0(VALU_DEP_3)
	v_cmp_lt_u32_e32 vcc_lo, 45, v127
	s_or_b32 s1, vcc_lo, s1
	s_waitcnt vmcnt(0) lgkmcnt(0)
	v_fma_f64 v[1:2], v[130:131], v[132:133], v[1:2]
	s_and_not1_b32 exec_lo, exec_lo, s1
	s_cbranch_execnz .LBB59_197
; %bb.198:
	s_or_b32 exec_lo, exec_lo, s1
	v_mov_b32_e32 v127, 0
	ds_load_b64 v[127:128], v127 offset:376
	s_waitcnt lgkmcnt(0)
	v_mul_f64 v[1:2], v[1:2], v[127:128]
	scratch_store_b64 off, v[1:2], off offset:376
.LBB59_199:
	s_or_b32 exec_lo, exec_lo, s0
	s_waitcnt_vscnt null, 0x0
	s_barrier
	buffer_gl0_inv
	scratch_load_b64 v[1:2], off, off offset:384
	s_mov_b32 s0, exec_lo
	s_waitcnt vmcnt(0)
	ds_store_b64 v5, v[1:2]
	s_waitcnt lgkmcnt(0)
	s_barrier
	buffer_gl0_inv
	v_cmpx_gt_u32_e32 48, v0
	s_cbranch_execz .LBB59_203
; %bb.200:
	v_dual_mov_b32 v1, 0 :: v_dual_add_nc_u32 v128, 0x1e0, v3
	v_dual_mov_b32 v2, 0 :: v_dual_add_nc_u32 v127, -1, v0
	v_add_nc_u32_e32 v129, 0, v3
	s_mov_b32 s1, 0
.LBB59_201:                             ; =>This Inner Loop Header: Depth=1
	scratch_load_b64 v[130:131], v129, off
	ds_load_b64 v[132:133], v128
	v_add_nc_u32_e32 v127, 1, v127
	v_add_nc_u32_e32 v128, 8, v128
	v_add_nc_u32_e32 v129, 8, v129
	s_delay_alu instid0(VALU_DEP_3)
	v_cmp_lt_u32_e32 vcc_lo, 46, v127
	s_or_b32 s1, vcc_lo, s1
	s_waitcnt vmcnt(0) lgkmcnt(0)
	v_fma_f64 v[1:2], v[130:131], v[132:133], v[1:2]
	s_and_not1_b32 exec_lo, exec_lo, s1
	s_cbranch_execnz .LBB59_201
; %bb.202:
	s_or_b32 exec_lo, exec_lo, s1
	v_mov_b32_e32 v127, 0
	ds_load_b64 v[127:128], v127 offset:384
	s_waitcnt lgkmcnt(0)
	v_mul_f64 v[1:2], v[1:2], v[127:128]
	scratch_store_b64 off, v[1:2], off offset:384
.LBB59_203:
	s_or_b32 exec_lo, exec_lo, s0
	s_waitcnt_vscnt null, 0x0
	s_barrier
	buffer_gl0_inv
	scratch_load_b64 v[1:2], off, off offset:392
	s_mov_b32 s0, exec_lo
	s_waitcnt vmcnt(0)
	ds_store_b64 v5, v[1:2]
	s_waitcnt lgkmcnt(0)
	s_barrier
	buffer_gl0_inv
	v_cmpx_gt_u32_e32 49, v0
	s_cbranch_execz .LBB59_207
; %bb.204:
	v_dual_mov_b32 v1, 0 :: v_dual_add_nc_u32 v128, 0x1e0, v3
	v_dual_mov_b32 v2, 0 :: v_dual_add_nc_u32 v127, -1, v0
	v_add_nc_u32_e32 v129, 0, v3
	s_mov_b32 s1, 0
.LBB59_205:                             ; =>This Inner Loop Header: Depth=1
	scratch_load_b64 v[130:131], v129, off
	ds_load_b64 v[132:133], v128
	v_add_nc_u32_e32 v127, 1, v127
	v_add_nc_u32_e32 v128, 8, v128
	v_add_nc_u32_e32 v129, 8, v129
	s_delay_alu instid0(VALU_DEP_3)
	v_cmp_lt_u32_e32 vcc_lo, 47, v127
	s_or_b32 s1, vcc_lo, s1
	s_waitcnt vmcnt(0) lgkmcnt(0)
	v_fma_f64 v[1:2], v[130:131], v[132:133], v[1:2]
	s_and_not1_b32 exec_lo, exec_lo, s1
	s_cbranch_execnz .LBB59_205
; %bb.206:
	s_or_b32 exec_lo, exec_lo, s1
	v_mov_b32_e32 v127, 0
	ds_load_b64 v[127:128], v127 offset:392
	s_waitcnt lgkmcnt(0)
	v_mul_f64 v[1:2], v[1:2], v[127:128]
	scratch_store_b64 off, v[1:2], off offset:392
.LBB59_207:
	s_or_b32 exec_lo, exec_lo, s0
	s_waitcnt_vscnt null, 0x0
	s_barrier
	buffer_gl0_inv
	scratch_load_b64 v[1:2], off, off offset:400
	s_mov_b32 s0, exec_lo
	s_waitcnt vmcnt(0)
	ds_store_b64 v5, v[1:2]
	s_waitcnt lgkmcnt(0)
	s_barrier
	buffer_gl0_inv
	v_cmpx_gt_u32_e32 50, v0
	s_cbranch_execz .LBB59_211
; %bb.208:
	v_dual_mov_b32 v1, 0 :: v_dual_add_nc_u32 v128, 0x1e0, v3
	v_dual_mov_b32 v2, 0 :: v_dual_add_nc_u32 v127, -1, v0
	v_add_nc_u32_e32 v129, 0, v3
	s_mov_b32 s1, 0
.LBB59_209:                             ; =>This Inner Loop Header: Depth=1
	scratch_load_b64 v[130:131], v129, off
	ds_load_b64 v[132:133], v128
	v_add_nc_u32_e32 v127, 1, v127
	v_add_nc_u32_e32 v128, 8, v128
	v_add_nc_u32_e32 v129, 8, v129
	s_delay_alu instid0(VALU_DEP_3)
	v_cmp_lt_u32_e32 vcc_lo, 48, v127
	s_or_b32 s1, vcc_lo, s1
	s_waitcnt vmcnt(0) lgkmcnt(0)
	v_fma_f64 v[1:2], v[130:131], v[132:133], v[1:2]
	s_and_not1_b32 exec_lo, exec_lo, s1
	s_cbranch_execnz .LBB59_209
; %bb.210:
	s_or_b32 exec_lo, exec_lo, s1
	v_mov_b32_e32 v127, 0
	ds_load_b64 v[127:128], v127 offset:400
	s_waitcnt lgkmcnt(0)
	v_mul_f64 v[1:2], v[1:2], v[127:128]
	scratch_store_b64 off, v[1:2], off offset:400
.LBB59_211:
	s_or_b32 exec_lo, exec_lo, s0
	s_waitcnt_vscnt null, 0x0
	s_barrier
	buffer_gl0_inv
	scratch_load_b64 v[1:2], off, off offset:408
	s_mov_b32 s0, exec_lo
	s_waitcnt vmcnt(0)
	ds_store_b64 v5, v[1:2]
	s_waitcnt lgkmcnt(0)
	s_barrier
	buffer_gl0_inv
	v_cmpx_gt_u32_e32 51, v0
	s_cbranch_execz .LBB59_215
; %bb.212:
	v_dual_mov_b32 v1, 0 :: v_dual_add_nc_u32 v128, 0x1e0, v3
	v_dual_mov_b32 v2, 0 :: v_dual_add_nc_u32 v127, -1, v0
	v_add_nc_u32_e32 v129, 0, v3
	s_mov_b32 s1, 0
.LBB59_213:                             ; =>This Inner Loop Header: Depth=1
	scratch_load_b64 v[130:131], v129, off
	ds_load_b64 v[132:133], v128
	v_add_nc_u32_e32 v127, 1, v127
	v_add_nc_u32_e32 v128, 8, v128
	v_add_nc_u32_e32 v129, 8, v129
	s_delay_alu instid0(VALU_DEP_3)
	v_cmp_lt_u32_e32 vcc_lo, 49, v127
	s_or_b32 s1, vcc_lo, s1
	s_waitcnt vmcnt(0) lgkmcnt(0)
	v_fma_f64 v[1:2], v[130:131], v[132:133], v[1:2]
	s_and_not1_b32 exec_lo, exec_lo, s1
	s_cbranch_execnz .LBB59_213
; %bb.214:
	s_or_b32 exec_lo, exec_lo, s1
	v_mov_b32_e32 v127, 0
	ds_load_b64 v[127:128], v127 offset:408
	s_waitcnt lgkmcnt(0)
	v_mul_f64 v[1:2], v[1:2], v[127:128]
	scratch_store_b64 off, v[1:2], off offset:408
.LBB59_215:
	s_or_b32 exec_lo, exec_lo, s0
	s_waitcnt_vscnt null, 0x0
	s_barrier
	buffer_gl0_inv
	scratch_load_b64 v[1:2], off, off offset:416
	s_mov_b32 s0, exec_lo
	s_waitcnt vmcnt(0)
	ds_store_b64 v5, v[1:2]
	s_waitcnt lgkmcnt(0)
	s_barrier
	buffer_gl0_inv
	v_cmpx_gt_u32_e32 52, v0
	s_cbranch_execz .LBB59_219
; %bb.216:
	v_dual_mov_b32 v1, 0 :: v_dual_add_nc_u32 v128, 0x1e0, v3
	v_dual_mov_b32 v2, 0 :: v_dual_add_nc_u32 v127, -1, v0
	v_add_nc_u32_e32 v129, 0, v3
	s_mov_b32 s1, 0
.LBB59_217:                             ; =>This Inner Loop Header: Depth=1
	scratch_load_b64 v[130:131], v129, off
	ds_load_b64 v[132:133], v128
	v_add_nc_u32_e32 v127, 1, v127
	v_add_nc_u32_e32 v128, 8, v128
	v_add_nc_u32_e32 v129, 8, v129
	s_delay_alu instid0(VALU_DEP_3)
	v_cmp_lt_u32_e32 vcc_lo, 50, v127
	s_or_b32 s1, vcc_lo, s1
	s_waitcnt vmcnt(0) lgkmcnt(0)
	v_fma_f64 v[1:2], v[130:131], v[132:133], v[1:2]
	s_and_not1_b32 exec_lo, exec_lo, s1
	s_cbranch_execnz .LBB59_217
; %bb.218:
	s_or_b32 exec_lo, exec_lo, s1
	v_mov_b32_e32 v127, 0
	ds_load_b64 v[127:128], v127 offset:416
	s_waitcnt lgkmcnt(0)
	v_mul_f64 v[1:2], v[1:2], v[127:128]
	scratch_store_b64 off, v[1:2], off offset:416
.LBB59_219:
	s_or_b32 exec_lo, exec_lo, s0
	s_waitcnt_vscnt null, 0x0
	s_barrier
	buffer_gl0_inv
	scratch_load_b64 v[1:2], off, off offset:424
	s_mov_b32 s0, exec_lo
	s_waitcnt vmcnt(0)
	ds_store_b64 v5, v[1:2]
	s_waitcnt lgkmcnt(0)
	s_barrier
	buffer_gl0_inv
	v_cmpx_gt_u32_e32 53, v0
	s_cbranch_execz .LBB59_223
; %bb.220:
	v_dual_mov_b32 v1, 0 :: v_dual_add_nc_u32 v128, 0x1e0, v3
	v_dual_mov_b32 v2, 0 :: v_dual_add_nc_u32 v127, -1, v0
	v_add_nc_u32_e32 v129, 0, v3
	s_mov_b32 s1, 0
.LBB59_221:                             ; =>This Inner Loop Header: Depth=1
	scratch_load_b64 v[130:131], v129, off
	ds_load_b64 v[132:133], v128
	v_add_nc_u32_e32 v127, 1, v127
	v_add_nc_u32_e32 v128, 8, v128
	v_add_nc_u32_e32 v129, 8, v129
	s_delay_alu instid0(VALU_DEP_3)
	v_cmp_lt_u32_e32 vcc_lo, 51, v127
	s_or_b32 s1, vcc_lo, s1
	s_waitcnt vmcnt(0) lgkmcnt(0)
	v_fma_f64 v[1:2], v[130:131], v[132:133], v[1:2]
	s_and_not1_b32 exec_lo, exec_lo, s1
	s_cbranch_execnz .LBB59_221
; %bb.222:
	s_or_b32 exec_lo, exec_lo, s1
	v_mov_b32_e32 v127, 0
	ds_load_b64 v[127:128], v127 offset:424
	s_waitcnt lgkmcnt(0)
	v_mul_f64 v[1:2], v[1:2], v[127:128]
	scratch_store_b64 off, v[1:2], off offset:424
.LBB59_223:
	s_or_b32 exec_lo, exec_lo, s0
	s_waitcnt_vscnt null, 0x0
	s_barrier
	buffer_gl0_inv
	scratch_load_b64 v[1:2], off, off offset:432
	s_mov_b32 s0, exec_lo
	s_waitcnt vmcnt(0)
	ds_store_b64 v5, v[1:2]
	s_waitcnt lgkmcnt(0)
	s_barrier
	buffer_gl0_inv
	v_cmpx_gt_u32_e32 54, v0
	s_cbranch_execz .LBB59_227
; %bb.224:
	v_dual_mov_b32 v1, 0 :: v_dual_add_nc_u32 v128, 0x1e0, v3
	v_dual_mov_b32 v2, 0 :: v_dual_add_nc_u32 v127, -1, v0
	v_add_nc_u32_e32 v129, 0, v3
	s_mov_b32 s1, 0
.LBB59_225:                             ; =>This Inner Loop Header: Depth=1
	scratch_load_b64 v[130:131], v129, off
	ds_load_b64 v[132:133], v128
	v_add_nc_u32_e32 v127, 1, v127
	v_add_nc_u32_e32 v128, 8, v128
	v_add_nc_u32_e32 v129, 8, v129
	s_delay_alu instid0(VALU_DEP_3)
	v_cmp_lt_u32_e32 vcc_lo, 52, v127
	s_or_b32 s1, vcc_lo, s1
	s_waitcnt vmcnt(0) lgkmcnt(0)
	v_fma_f64 v[1:2], v[130:131], v[132:133], v[1:2]
	s_and_not1_b32 exec_lo, exec_lo, s1
	s_cbranch_execnz .LBB59_225
; %bb.226:
	s_or_b32 exec_lo, exec_lo, s1
	v_mov_b32_e32 v127, 0
	ds_load_b64 v[127:128], v127 offset:432
	s_waitcnt lgkmcnt(0)
	v_mul_f64 v[1:2], v[1:2], v[127:128]
	scratch_store_b64 off, v[1:2], off offset:432
.LBB59_227:
	s_or_b32 exec_lo, exec_lo, s0
	s_waitcnt_vscnt null, 0x0
	s_barrier
	buffer_gl0_inv
	scratch_load_b64 v[1:2], off, off offset:440
	s_mov_b32 s0, exec_lo
	s_waitcnt vmcnt(0)
	ds_store_b64 v5, v[1:2]
	s_waitcnt lgkmcnt(0)
	s_barrier
	buffer_gl0_inv
	v_cmpx_gt_u32_e32 55, v0
	s_cbranch_execz .LBB59_231
; %bb.228:
	v_dual_mov_b32 v1, 0 :: v_dual_add_nc_u32 v128, 0x1e0, v3
	v_dual_mov_b32 v2, 0 :: v_dual_add_nc_u32 v127, -1, v0
	v_add_nc_u32_e32 v129, 0, v3
	s_mov_b32 s1, 0
.LBB59_229:                             ; =>This Inner Loop Header: Depth=1
	scratch_load_b64 v[130:131], v129, off
	ds_load_b64 v[132:133], v128
	v_add_nc_u32_e32 v127, 1, v127
	v_add_nc_u32_e32 v128, 8, v128
	v_add_nc_u32_e32 v129, 8, v129
	s_delay_alu instid0(VALU_DEP_3)
	v_cmp_lt_u32_e32 vcc_lo, 53, v127
	s_or_b32 s1, vcc_lo, s1
	s_waitcnt vmcnt(0) lgkmcnt(0)
	v_fma_f64 v[1:2], v[130:131], v[132:133], v[1:2]
	s_and_not1_b32 exec_lo, exec_lo, s1
	s_cbranch_execnz .LBB59_229
; %bb.230:
	s_or_b32 exec_lo, exec_lo, s1
	v_mov_b32_e32 v127, 0
	ds_load_b64 v[127:128], v127 offset:440
	s_waitcnt lgkmcnt(0)
	v_mul_f64 v[1:2], v[1:2], v[127:128]
	scratch_store_b64 off, v[1:2], off offset:440
.LBB59_231:
	s_or_b32 exec_lo, exec_lo, s0
	s_waitcnt_vscnt null, 0x0
	s_barrier
	buffer_gl0_inv
	scratch_load_b64 v[1:2], off, off offset:448
	s_mov_b32 s0, exec_lo
	s_waitcnt vmcnt(0)
	ds_store_b64 v5, v[1:2]
	s_waitcnt lgkmcnt(0)
	s_barrier
	buffer_gl0_inv
	v_cmpx_gt_u32_e32 56, v0
	s_cbranch_execz .LBB59_235
; %bb.232:
	v_dual_mov_b32 v1, 0 :: v_dual_add_nc_u32 v128, 0x1e0, v3
	v_dual_mov_b32 v2, 0 :: v_dual_add_nc_u32 v127, -1, v0
	v_add_nc_u32_e32 v129, 0, v3
	s_mov_b32 s1, 0
.LBB59_233:                             ; =>This Inner Loop Header: Depth=1
	scratch_load_b64 v[130:131], v129, off
	ds_load_b64 v[132:133], v128
	v_add_nc_u32_e32 v127, 1, v127
	v_add_nc_u32_e32 v128, 8, v128
	v_add_nc_u32_e32 v129, 8, v129
	s_delay_alu instid0(VALU_DEP_3)
	v_cmp_lt_u32_e32 vcc_lo, 54, v127
	s_or_b32 s1, vcc_lo, s1
	s_waitcnt vmcnt(0) lgkmcnt(0)
	v_fma_f64 v[1:2], v[130:131], v[132:133], v[1:2]
	s_and_not1_b32 exec_lo, exec_lo, s1
	s_cbranch_execnz .LBB59_233
; %bb.234:
	s_or_b32 exec_lo, exec_lo, s1
	v_mov_b32_e32 v127, 0
	ds_load_b64 v[127:128], v127 offset:448
	s_waitcnt lgkmcnt(0)
	v_mul_f64 v[1:2], v[1:2], v[127:128]
	scratch_store_b64 off, v[1:2], off offset:448
.LBB59_235:
	s_or_b32 exec_lo, exec_lo, s0
	s_waitcnt_vscnt null, 0x0
	s_barrier
	buffer_gl0_inv
	scratch_load_b64 v[1:2], off, off offset:456
	s_mov_b32 s0, exec_lo
	s_waitcnt vmcnt(0)
	ds_store_b64 v5, v[1:2]
	s_waitcnt lgkmcnt(0)
	s_barrier
	buffer_gl0_inv
	v_cmpx_gt_u32_e32 57, v0
	s_cbranch_execz .LBB59_239
; %bb.236:
	v_dual_mov_b32 v1, 0 :: v_dual_add_nc_u32 v128, 0x1e0, v3
	v_dual_mov_b32 v2, 0 :: v_dual_add_nc_u32 v127, -1, v0
	v_add_nc_u32_e32 v129, 0, v3
	s_mov_b32 s1, 0
.LBB59_237:                             ; =>This Inner Loop Header: Depth=1
	scratch_load_b64 v[130:131], v129, off
	ds_load_b64 v[132:133], v128
	v_add_nc_u32_e32 v127, 1, v127
	v_add_nc_u32_e32 v128, 8, v128
	v_add_nc_u32_e32 v129, 8, v129
	s_delay_alu instid0(VALU_DEP_3)
	v_cmp_lt_u32_e32 vcc_lo, 55, v127
	s_or_b32 s1, vcc_lo, s1
	s_waitcnt vmcnt(0) lgkmcnt(0)
	v_fma_f64 v[1:2], v[130:131], v[132:133], v[1:2]
	s_and_not1_b32 exec_lo, exec_lo, s1
	s_cbranch_execnz .LBB59_237
; %bb.238:
	s_or_b32 exec_lo, exec_lo, s1
	v_mov_b32_e32 v127, 0
	ds_load_b64 v[127:128], v127 offset:456
	s_waitcnt lgkmcnt(0)
	v_mul_f64 v[1:2], v[1:2], v[127:128]
	scratch_store_b64 off, v[1:2], off offset:456
.LBB59_239:
	s_or_b32 exec_lo, exec_lo, s0
	s_waitcnt_vscnt null, 0x0
	s_barrier
	buffer_gl0_inv
	scratch_load_b64 v[1:2], off, off offset:464
	s_mov_b32 s0, exec_lo
	s_waitcnt vmcnt(0)
	ds_store_b64 v5, v[1:2]
	s_waitcnt lgkmcnt(0)
	s_barrier
	buffer_gl0_inv
	v_cmpx_gt_u32_e32 58, v0
	s_cbranch_execz .LBB59_243
; %bb.240:
	v_dual_mov_b32 v1, 0 :: v_dual_add_nc_u32 v128, 0x1e0, v3
	v_dual_mov_b32 v2, 0 :: v_dual_add_nc_u32 v127, -1, v0
	v_add_nc_u32_e32 v3, 0, v3
	s_mov_b32 s1, 0
.LBB59_241:                             ; =>This Inner Loop Header: Depth=1
	scratch_load_b64 v[129:130], v3, off
	ds_load_b64 v[131:132], v128
	v_add_nc_u32_e32 v127, 1, v127
	v_add_nc_u32_e32 v128, 8, v128
	v_add_nc_u32_e32 v3, 8, v3
	s_delay_alu instid0(VALU_DEP_3)
	v_cmp_lt_u32_e32 vcc_lo, 56, v127
	s_or_b32 s1, vcc_lo, s1
	s_waitcnt vmcnt(0) lgkmcnt(0)
	v_fma_f64 v[1:2], v[129:130], v[131:132], v[1:2]
	s_and_not1_b32 exec_lo, exec_lo, s1
	s_cbranch_execnz .LBB59_241
; %bb.242:
	s_or_b32 exec_lo, exec_lo, s1
	v_mov_b32_e32 v3, 0
	ds_load_b64 v[127:128], v3 offset:464
	s_waitcnt lgkmcnt(0)
	v_mul_f64 v[1:2], v[1:2], v[127:128]
	scratch_store_b64 off, v[1:2], off offset:464
.LBB59_243:
	s_or_b32 exec_lo, exec_lo, s0
	s_waitcnt_vscnt null, 0x0
	s_barrier
	buffer_gl0_inv
	scratch_load_b64 v[1:2], off, off offset:472
	s_mov_b32 s0, exec_lo
	s_waitcnt vmcnt(0)
	ds_store_b64 v5, v[1:2]
	s_waitcnt lgkmcnt(0)
	s_barrier
	buffer_gl0_inv
	v_cmpx_ne_u32_e32 59, v0
	s_cbranch_execz .LBB59_247
; %bb.244:
	v_mov_b32_e32 v1, 0
	v_mov_b32_e32 v2, 0
	s_mov_b32 s1, 0
.LBB59_245:                             ; =>This Inner Loop Header: Depth=1
	scratch_load_b64 v[127:128], v4, off
	ds_load_b64 v[129:130], v5
	v_add_nc_u32_e32 v126, 1, v126
	v_add_nc_u32_e32 v5, 8, v5
	;; [unrolled: 1-line block ×3, first 2 shown]
	s_delay_alu instid0(VALU_DEP_3)
	v_cmp_lt_u32_e32 vcc_lo, 57, v126
	s_or_b32 s1, vcc_lo, s1
	s_waitcnt vmcnt(0) lgkmcnt(0)
	v_fma_f64 v[1:2], v[127:128], v[129:130], v[1:2]
	s_and_not1_b32 exec_lo, exec_lo, s1
	s_cbranch_execnz .LBB59_245
; %bb.246:
	s_or_b32 exec_lo, exec_lo, s1
	v_mov_b32_e32 v3, 0
	ds_load_b64 v[3:4], v3 offset:472
	s_waitcnt lgkmcnt(0)
	v_mul_f64 v[1:2], v[1:2], v[3:4]
	scratch_store_b64 off, v[1:2], off offset:472
.LBB59_247:
	s_or_b32 exec_lo, exec_lo, s0
	s_mov_b32 s1, -1
	s_waitcnt_vscnt null, 0x0
	s_barrier
	buffer_gl0_inv
.LBB59_248:
	s_and_b32 vcc_lo, exec_lo, s1
	s_cbranch_vccz .LBB59_250
; %bb.249:
	s_lshl_b64 s[0:1], s[14:15], 2
	v_mov_b32_e32 v1, 0
	s_add_u32 s0, s6, s0
	s_addc_u32 s1, s7, s1
	global_load_b32 v1, v1, s[0:1]
	s_waitcnt vmcnt(0)
	v_cmp_ne_u32_e32 vcc_lo, 0, v1
	s_cbranch_vccz .LBB59_251
.LBB59_250:
	s_endpgm
.LBB59_251:
	v_lshl_add_u32 v5, v0, 3, 0x1e0
	s_mov_b32 s0, exec_lo
	v_cmpx_eq_u32_e32 59, v0
	s_cbranch_execz .LBB59_253
; %bb.252:
	scratch_load_b64 v[1:2], off, off offset:464
	v_mov_b32_e32 v3, 0
	s_delay_alu instid0(VALU_DEP_1)
	v_mov_b32_e32 v4, v3
	scratch_store_b64 off, v[3:4], off offset:464
	s_waitcnt vmcnt(0)
	ds_store_b64 v5, v[1:2]
.LBB59_253:
	s_or_b32 exec_lo, exec_lo, s0
	s_waitcnt lgkmcnt(0)
	s_waitcnt_vscnt null, 0x0
	s_barrier
	buffer_gl0_inv
	scratch_load_b128 v[126:129], off, off offset:464
	v_mov_b32_e32 v1, 0
	s_mov_b32 s0, exec_lo
	ds_load_b64 v[2:3], v1 offset:952
	s_waitcnt vmcnt(0) lgkmcnt(0)
	v_fma_f64 v[2:3], v[128:129], v[2:3], 0
	s_delay_alu instid0(VALU_DEP_1)
	v_add_f64 v[2:3], v[126:127], -v[2:3]
	scratch_store_b64 off, v[2:3], off offset:464
	v_cmpx_lt_u32_e32 57, v0
	s_cbranch_execz .LBB59_255
; %bb.254:
	scratch_load_b64 v[3:4], off, off offset:456
	v_mov_b32_e32 v2, v1
	scratch_store_b64 off, v[1:2], off offset:456
	s_waitcnt vmcnt(0)
	ds_store_b64 v5, v[3:4]
.LBB59_255:
	s_or_b32 exec_lo, exec_lo, s0
	s_waitcnt lgkmcnt(0)
	s_waitcnt_vscnt null, 0x0
	s_barrier
	buffer_gl0_inv
	s_clause 0x1
	scratch_load_b128 v[126:129], off, off offset:456
	scratch_load_b64 v[130:131], off, off offset:472
	ds_load_b128 v[1:4], v1 offset:944
	s_mov_b32 s0, exec_lo
	s_waitcnt vmcnt(1) lgkmcnt(0)
	v_fma_f64 v[1:2], v[128:129], v[1:2], 0
	s_waitcnt vmcnt(0)
	s_delay_alu instid0(VALU_DEP_1) | instskip(NEXT) | instid1(VALU_DEP_1)
	v_fma_f64 v[1:2], v[130:131], v[3:4], v[1:2]
	v_add_f64 v[1:2], v[126:127], -v[1:2]
	scratch_store_b64 off, v[1:2], off offset:456
	v_cmpx_lt_u32_e32 56, v0
	s_cbranch_execz .LBB59_257
; %bb.256:
	scratch_load_b64 v[1:2], off, off offset:448
	v_mov_b32_e32 v3, 0
	s_delay_alu instid0(VALU_DEP_1)
	v_mov_b32_e32 v4, v3
	scratch_store_b64 off, v[3:4], off offset:448
	s_waitcnt vmcnt(0)
	ds_store_b64 v5, v[1:2]
.LBB59_257:
	s_or_b32 exec_lo, exec_lo, s0
	s_waitcnt lgkmcnt(0)
	s_waitcnt_vscnt null, 0x0
	s_barrier
	buffer_gl0_inv
	s_clause 0x1
	scratch_load_b128 v[126:129], off, off offset:448
	scratch_load_b128 v[130:133], off, off offset:464
	v_mov_b32_e32 v1, 0
	ds_load_2addr_b64 v[134:137], v1 offset0:117 offset1:118
	ds_load_b64 v[2:3], v1 offset:952
	s_mov_b32 s0, exec_lo
	s_waitcnt vmcnt(1) lgkmcnt(1)
	v_fma_f64 v[128:129], v[128:129], v[134:135], 0
	s_waitcnt vmcnt(0)
	s_delay_alu instid0(VALU_DEP_1) | instskip(SKIP_1) | instid1(VALU_DEP_1)
	v_fma_f64 v[128:129], v[130:131], v[136:137], v[128:129]
	s_waitcnt lgkmcnt(0)
	v_fma_f64 v[2:3], v[132:133], v[2:3], v[128:129]
	s_delay_alu instid0(VALU_DEP_1)
	v_add_f64 v[2:3], v[126:127], -v[2:3]
	scratch_store_b64 off, v[2:3], off offset:448
	v_cmpx_lt_u32_e32 55, v0
	s_cbranch_execz .LBB59_259
; %bb.258:
	scratch_load_b64 v[3:4], off, off offset:440
	v_mov_b32_e32 v2, v1
	scratch_store_b64 off, v[1:2], off offset:440
	s_waitcnt vmcnt(0)
	ds_store_b64 v5, v[3:4]
.LBB59_259:
	s_or_b32 exec_lo, exec_lo, s0
	s_waitcnt lgkmcnt(0)
	s_waitcnt_vscnt null, 0x0
	s_barrier
	buffer_gl0_inv
	s_clause 0x2
	scratch_load_b128 v[126:129], off, off offset:440
	scratch_load_b128 v[130:133], off, off offset:456
	scratch_load_b64 v[138:139], off, off offset:472
	ds_load_b128 v[134:137], v1 offset:928
	ds_load_b128 v[1:4], v1 offset:944
	s_mov_b32 s0, exec_lo
	s_waitcnt vmcnt(2) lgkmcnt(1)
	v_fma_f64 v[128:129], v[128:129], v[134:135], 0
	s_waitcnt vmcnt(1)
	s_delay_alu instid0(VALU_DEP_1) | instskip(SKIP_1) | instid1(VALU_DEP_1)
	v_fma_f64 v[128:129], v[130:131], v[136:137], v[128:129]
	s_waitcnt lgkmcnt(0)
	v_fma_f64 v[1:2], v[132:133], v[1:2], v[128:129]
	s_waitcnt vmcnt(0)
	s_delay_alu instid0(VALU_DEP_1) | instskip(NEXT) | instid1(VALU_DEP_1)
	v_fma_f64 v[1:2], v[138:139], v[3:4], v[1:2]
	v_add_f64 v[1:2], v[126:127], -v[1:2]
	scratch_store_b64 off, v[1:2], off offset:440
	v_cmpx_lt_u32_e32 54, v0
	s_cbranch_execz .LBB59_261
; %bb.260:
	scratch_load_b64 v[1:2], off, off offset:432
	v_mov_b32_e32 v3, 0
	s_delay_alu instid0(VALU_DEP_1)
	v_mov_b32_e32 v4, v3
	scratch_store_b64 off, v[3:4], off offset:432
	s_waitcnt vmcnt(0)
	ds_store_b64 v5, v[1:2]
.LBB59_261:
	s_or_b32 exec_lo, exec_lo, s0
	s_waitcnt lgkmcnt(0)
	s_waitcnt_vscnt null, 0x0
	s_barrier
	buffer_gl0_inv
	s_clause 0x2
	scratch_load_b128 v[126:129], off, off offset:432
	scratch_load_b128 v[130:133], off, off offset:448
	;; [unrolled: 1-line block ×3, first 2 shown]
	v_mov_b32_e32 v1, 0
	s_mov_b32 s0, exec_lo
	ds_load_2addr_b64 v[138:141], v1 offset0:115 offset1:116
	s_waitcnt vmcnt(2) lgkmcnt(0)
	v_fma_f64 v[2:3], v[128:129], v[138:139], 0
	s_waitcnt vmcnt(1)
	s_delay_alu instid0(VALU_DEP_1)
	v_fma_f64 v[2:3], v[130:131], v[140:141], v[2:3]
	ds_load_2addr_b64 v[128:131], v1 offset0:117 offset1:118
	s_waitcnt lgkmcnt(0)
	v_fma_f64 v[2:3], v[132:133], v[128:129], v[2:3]
	ds_load_b64 v[128:129], v1 offset:952
	s_waitcnt vmcnt(0)
	v_fma_f64 v[2:3], v[134:135], v[130:131], v[2:3]
	s_waitcnt lgkmcnt(0)
	s_delay_alu instid0(VALU_DEP_1) | instskip(NEXT) | instid1(VALU_DEP_1)
	v_fma_f64 v[2:3], v[136:137], v[128:129], v[2:3]
	v_add_f64 v[2:3], v[126:127], -v[2:3]
	scratch_store_b64 off, v[2:3], off offset:432
	v_cmpx_lt_u32_e32 53, v0
	s_cbranch_execz .LBB59_263
; %bb.262:
	scratch_load_b64 v[3:4], off, off offset:424
	v_mov_b32_e32 v2, v1
	scratch_store_b64 off, v[1:2], off offset:424
	s_waitcnt vmcnt(0)
	ds_store_b64 v5, v[3:4]
.LBB59_263:
	s_or_b32 exec_lo, exec_lo, s0
	s_waitcnt lgkmcnt(0)
	s_waitcnt_vscnt null, 0x0
	s_barrier
	buffer_gl0_inv
	s_clause 0x3
	scratch_load_b128 v[126:129], off, off offset:424
	scratch_load_b128 v[130:133], off, off offset:440
	;; [unrolled: 1-line block ×3, first 2 shown]
	scratch_load_b64 v[142:143], off, off offset:472
	ds_load_b128 v[138:141], v1 offset:912
	s_mov_b32 s0, exec_lo
	s_waitcnt vmcnt(3) lgkmcnt(0)
	v_fma_f64 v[2:3], v[128:129], v[138:139], 0
	s_waitcnt vmcnt(2)
	s_delay_alu instid0(VALU_DEP_1) | instskip(SKIP_4) | instid1(VALU_DEP_1)
	v_fma_f64 v[2:3], v[130:131], v[140:141], v[2:3]
	ds_load_b128 v[128:131], v1 offset:928
	s_waitcnt lgkmcnt(0)
	v_fma_f64 v[2:3], v[132:133], v[128:129], v[2:3]
	s_waitcnt vmcnt(1)
	v_fma_f64 v[128:129], v[134:135], v[130:131], v[2:3]
	ds_load_b128 v[1:4], v1 offset:944
	s_waitcnt lgkmcnt(0)
	v_fma_f64 v[1:2], v[136:137], v[1:2], v[128:129]
	s_waitcnt vmcnt(0)
	s_delay_alu instid0(VALU_DEP_1) | instskip(NEXT) | instid1(VALU_DEP_1)
	v_fma_f64 v[1:2], v[142:143], v[3:4], v[1:2]
	v_add_f64 v[1:2], v[126:127], -v[1:2]
	scratch_store_b64 off, v[1:2], off offset:424
	v_cmpx_lt_u32_e32 52, v0
	s_cbranch_execz .LBB59_265
; %bb.264:
	scratch_load_b64 v[1:2], off, off offset:416
	v_mov_b32_e32 v3, 0
	s_delay_alu instid0(VALU_DEP_1)
	v_mov_b32_e32 v4, v3
	scratch_store_b64 off, v[3:4], off offset:416
	s_waitcnt vmcnt(0)
	ds_store_b64 v5, v[1:2]
.LBB59_265:
	s_or_b32 exec_lo, exec_lo, s0
	s_waitcnt lgkmcnt(0)
	s_waitcnt_vscnt null, 0x0
	s_barrier
	buffer_gl0_inv
	s_clause 0x3
	scratch_load_b128 v[126:129], off, off offset:416
	scratch_load_b128 v[130:133], off, off offset:432
	;; [unrolled: 1-line block ×4, first 2 shown]
	v_mov_b32_e32 v1, 0
	s_mov_b32 s0, exec_lo
	ds_load_2addr_b64 v[142:145], v1 offset0:113 offset1:114
	s_waitcnt vmcnt(3) lgkmcnt(0)
	v_fma_f64 v[2:3], v[128:129], v[142:143], 0
	s_waitcnt vmcnt(2)
	s_delay_alu instid0(VALU_DEP_1) | instskip(SKIP_4) | instid1(VALU_DEP_1)
	v_fma_f64 v[2:3], v[130:131], v[144:145], v[2:3]
	ds_load_2addr_b64 v[128:131], v1 offset0:115 offset1:116
	s_waitcnt lgkmcnt(0)
	v_fma_f64 v[2:3], v[132:133], v[128:129], v[2:3]
	s_waitcnt vmcnt(1)
	v_fma_f64 v[2:3], v[134:135], v[130:131], v[2:3]
	ds_load_2addr_b64 v[128:131], v1 offset0:117 offset1:118
	s_waitcnt lgkmcnt(0)
	v_fma_f64 v[2:3], v[136:137], v[128:129], v[2:3]
	ds_load_b64 v[128:129], v1 offset:952
	s_waitcnt vmcnt(0)
	v_fma_f64 v[2:3], v[138:139], v[130:131], v[2:3]
	s_waitcnt lgkmcnt(0)
	s_delay_alu instid0(VALU_DEP_1) | instskip(NEXT) | instid1(VALU_DEP_1)
	v_fma_f64 v[2:3], v[140:141], v[128:129], v[2:3]
	v_add_f64 v[2:3], v[126:127], -v[2:3]
	scratch_store_b64 off, v[2:3], off offset:416
	v_cmpx_lt_u32_e32 51, v0
	s_cbranch_execz .LBB59_267
; %bb.266:
	scratch_load_b64 v[3:4], off, off offset:408
	v_mov_b32_e32 v2, v1
	scratch_store_b64 off, v[1:2], off offset:408
	s_waitcnt vmcnt(0)
	ds_store_b64 v5, v[3:4]
.LBB59_267:
	s_or_b32 exec_lo, exec_lo, s0
	s_waitcnt lgkmcnt(0)
	s_waitcnt_vscnt null, 0x0
	s_barrier
	buffer_gl0_inv
	s_clause 0x4
	scratch_load_b128 v[126:129], off, off offset:408
	scratch_load_b128 v[130:133], off, off offset:424
	;; [unrolled: 1-line block ×4, first 2 shown]
	scratch_load_b64 v[150:151], off, off offset:472
	ds_load_b128 v[142:145], v1 offset:896
	ds_load_b128 v[146:149], v1 offset:912
	s_mov_b32 s0, exec_lo
	s_waitcnt vmcnt(4) lgkmcnt(1)
	v_fma_f64 v[2:3], v[128:129], v[142:143], 0
	s_waitcnt vmcnt(3)
	s_delay_alu instid0(VALU_DEP_1) | instskip(SKIP_1) | instid1(VALU_DEP_1)
	v_fma_f64 v[2:3], v[130:131], v[144:145], v[2:3]
	s_waitcnt lgkmcnt(0)
	v_fma_f64 v[2:3], v[132:133], v[146:147], v[2:3]
	s_waitcnt vmcnt(2)
	s_delay_alu instid0(VALU_DEP_1)
	v_fma_f64 v[132:133], v[134:135], v[148:149], v[2:3]
	ds_load_b128 v[128:131], v1 offset:928
	ds_load_b128 v[1:4], v1 offset:944
	s_waitcnt lgkmcnt(1)
	v_fma_f64 v[128:129], v[136:137], v[128:129], v[132:133]
	s_waitcnt vmcnt(1)
	s_delay_alu instid0(VALU_DEP_1) | instskip(SKIP_1) | instid1(VALU_DEP_1)
	v_fma_f64 v[128:129], v[138:139], v[130:131], v[128:129]
	s_waitcnt lgkmcnt(0)
	v_fma_f64 v[1:2], v[140:141], v[1:2], v[128:129]
	s_waitcnt vmcnt(0)
	s_delay_alu instid0(VALU_DEP_1) | instskip(NEXT) | instid1(VALU_DEP_1)
	v_fma_f64 v[1:2], v[150:151], v[3:4], v[1:2]
	v_add_f64 v[1:2], v[126:127], -v[1:2]
	scratch_store_b64 off, v[1:2], off offset:408
	v_cmpx_lt_u32_e32 50, v0
	s_cbranch_execz .LBB59_269
; %bb.268:
	scratch_load_b64 v[1:2], off, off offset:400
	v_mov_b32_e32 v3, 0
	s_delay_alu instid0(VALU_DEP_1)
	v_mov_b32_e32 v4, v3
	scratch_store_b64 off, v[3:4], off offset:400
	s_waitcnt vmcnt(0)
	ds_store_b64 v5, v[1:2]
.LBB59_269:
	s_or_b32 exec_lo, exec_lo, s0
	s_waitcnt lgkmcnt(0)
	s_waitcnt_vscnt null, 0x0
	s_barrier
	buffer_gl0_inv
	s_clause 0x4
	scratch_load_b128 v[126:129], off, off offset:400
	scratch_load_b128 v[130:133], off, off offset:416
	scratch_load_b128 v[134:137], off, off offset:432
	scratch_load_b128 v[138:141], off, off offset:448
	scratch_load_b128 v[142:145], off, off offset:464
	v_mov_b32_e32 v1, 0
	ds_load_2addr_b64 v[146:149], v1 offset0:111 offset1:112
	ds_load_2addr_b64 v[150:153], v1 offset0:113 offset1:114
	s_mov_b32 s0, exec_lo
	s_waitcnt vmcnt(4) lgkmcnt(1)
	v_fma_f64 v[2:3], v[128:129], v[146:147], 0
	s_waitcnt vmcnt(3)
	s_delay_alu instid0(VALU_DEP_1) | instskip(SKIP_1) | instid1(VALU_DEP_1)
	v_fma_f64 v[2:3], v[130:131], v[148:149], v[2:3]
	s_waitcnt lgkmcnt(0)
	v_fma_f64 v[2:3], v[132:133], v[150:151], v[2:3]
	s_waitcnt vmcnt(2)
	s_delay_alu instid0(VALU_DEP_1)
	v_fma_f64 v[2:3], v[134:135], v[152:153], v[2:3]
	ds_load_2addr_b64 v[128:131], v1 offset0:115 offset1:116
	ds_load_2addr_b64 v[132:135], v1 offset0:117 offset1:118
	s_waitcnt lgkmcnt(1)
	v_fma_f64 v[2:3], v[136:137], v[128:129], v[2:3]
	ds_load_b64 v[128:129], v1 offset:952
	s_waitcnt vmcnt(1)
	v_fma_f64 v[2:3], v[138:139], v[130:131], v[2:3]
	s_waitcnt lgkmcnt(1)
	s_delay_alu instid0(VALU_DEP_1) | instskip(SKIP_1) | instid1(VALU_DEP_1)
	v_fma_f64 v[2:3], v[140:141], v[132:133], v[2:3]
	s_waitcnt vmcnt(0)
	v_fma_f64 v[2:3], v[142:143], v[134:135], v[2:3]
	s_waitcnt lgkmcnt(0)
	s_delay_alu instid0(VALU_DEP_1) | instskip(NEXT) | instid1(VALU_DEP_1)
	v_fma_f64 v[2:3], v[144:145], v[128:129], v[2:3]
	v_add_f64 v[2:3], v[126:127], -v[2:3]
	scratch_store_b64 off, v[2:3], off offset:400
	v_cmpx_lt_u32_e32 49, v0
	s_cbranch_execz .LBB59_271
; %bb.270:
	scratch_load_b64 v[3:4], off, off offset:392
	v_mov_b32_e32 v2, v1
	scratch_store_b64 off, v[1:2], off offset:392
	s_waitcnt vmcnt(0)
	ds_store_b64 v5, v[3:4]
.LBB59_271:
	s_or_b32 exec_lo, exec_lo, s0
	s_waitcnt lgkmcnt(0)
	s_waitcnt_vscnt null, 0x0
	s_barrier
	buffer_gl0_inv
	s_clause 0x4
	scratch_load_b128 v[126:129], off, off offset:392
	scratch_load_b128 v[130:133], off, off offset:408
	;; [unrolled: 1-line block ×5, first 2 shown]
	ds_load_b128 v[146:149], v1 offset:880
	ds_load_b128 v[150:153], v1 offset:896
	s_mov_b32 s0, exec_lo
	s_waitcnt vmcnt(4) lgkmcnt(1)
	v_fma_f64 v[2:3], v[128:129], v[146:147], 0
	scratch_load_b64 v[146:147], off, off offset:472
	s_waitcnt vmcnt(4)
	v_fma_f64 v[2:3], v[130:131], v[148:149], v[2:3]
	s_waitcnt lgkmcnt(0)
	s_delay_alu instid0(VALU_DEP_1) | instskip(SKIP_1) | instid1(VALU_DEP_1)
	v_fma_f64 v[2:3], v[132:133], v[150:151], v[2:3]
	s_waitcnt vmcnt(3)
	v_fma_f64 v[2:3], v[134:135], v[152:153], v[2:3]
	ds_load_b128 v[128:131], v1 offset:912
	ds_load_b128 v[132:135], v1 offset:928
	s_waitcnt lgkmcnt(1)
	v_fma_f64 v[2:3], v[136:137], v[128:129], v[2:3]
	s_waitcnt vmcnt(2)
	s_delay_alu instid0(VALU_DEP_1) | instskip(SKIP_1) | instid1(VALU_DEP_1)
	v_fma_f64 v[2:3], v[138:139], v[130:131], v[2:3]
	s_waitcnt lgkmcnt(0)
	v_fma_f64 v[2:3], v[140:141], v[132:133], v[2:3]
	s_waitcnt vmcnt(1)
	s_delay_alu instid0(VALU_DEP_1) | instskip(SKIP_4) | instid1(VALU_DEP_1)
	v_fma_f64 v[128:129], v[142:143], v[134:135], v[2:3]
	ds_load_b128 v[1:4], v1 offset:944
	s_waitcnt lgkmcnt(0)
	v_fma_f64 v[1:2], v[144:145], v[1:2], v[128:129]
	s_waitcnt vmcnt(0)
	v_fma_f64 v[1:2], v[146:147], v[3:4], v[1:2]
	s_delay_alu instid0(VALU_DEP_1)
	v_add_f64 v[1:2], v[126:127], -v[1:2]
	scratch_store_b64 off, v[1:2], off offset:392
	v_cmpx_lt_u32_e32 48, v0
	s_cbranch_execz .LBB59_273
; %bb.272:
	scratch_load_b64 v[1:2], off, off offset:384
	v_mov_b32_e32 v3, 0
	s_delay_alu instid0(VALU_DEP_1)
	v_mov_b32_e32 v4, v3
	scratch_store_b64 off, v[3:4], off offset:384
	s_waitcnt vmcnt(0)
	ds_store_b64 v5, v[1:2]
.LBB59_273:
	s_or_b32 exec_lo, exec_lo, s0
	s_waitcnt lgkmcnt(0)
	s_waitcnt_vscnt null, 0x0
	s_barrier
	buffer_gl0_inv
	s_clause 0x4
	scratch_load_b128 v[126:129], off, off offset:384
	scratch_load_b128 v[130:133], off, off offset:400
	scratch_load_b128 v[134:137], off, off offset:416
	scratch_load_b128 v[138:141], off, off offset:432
	scratch_load_b128 v[142:145], off, off offset:448
	v_mov_b32_e32 v1, 0
	ds_load_2addr_b64 v[146:149], v1 offset0:109 offset1:110
	ds_load_2addr_b64 v[150:153], v1 offset0:111 offset1:112
	scratch_load_b128 v[154:157], off, off offset:464
	s_mov_b32 s0, exec_lo
	s_waitcnt vmcnt(5) lgkmcnt(1)
	v_fma_f64 v[2:3], v[128:129], v[146:147], 0
	s_waitcnt vmcnt(4)
	s_delay_alu instid0(VALU_DEP_1) | instskip(SKIP_1) | instid1(VALU_DEP_1)
	v_fma_f64 v[2:3], v[130:131], v[148:149], v[2:3]
	s_waitcnt lgkmcnt(0)
	v_fma_f64 v[2:3], v[132:133], v[150:151], v[2:3]
	s_waitcnt vmcnt(3)
	s_delay_alu instid0(VALU_DEP_1)
	v_fma_f64 v[2:3], v[134:135], v[152:153], v[2:3]
	ds_load_2addr_b64 v[128:131], v1 offset0:113 offset1:114
	ds_load_2addr_b64 v[132:135], v1 offset0:115 offset1:116
	s_waitcnt lgkmcnt(1)
	v_fma_f64 v[2:3], v[136:137], v[128:129], v[2:3]
	s_waitcnt vmcnt(2)
	s_delay_alu instid0(VALU_DEP_1) | instskip(SKIP_1) | instid1(VALU_DEP_1)
	v_fma_f64 v[2:3], v[138:139], v[130:131], v[2:3]
	s_waitcnt lgkmcnt(0)
	v_fma_f64 v[2:3], v[140:141], v[132:133], v[2:3]
	ds_load_2addr_b64 v[128:131], v1 offset0:117 offset1:118
	ds_load_b64 v[132:133], v1 offset:952
	s_waitcnt vmcnt(1)
	v_fma_f64 v[2:3], v[142:143], v[134:135], v[2:3]
	s_waitcnt lgkmcnt(1)
	s_delay_alu instid0(VALU_DEP_1) | instskip(SKIP_1) | instid1(VALU_DEP_1)
	v_fma_f64 v[2:3], v[144:145], v[128:129], v[2:3]
	s_waitcnt vmcnt(0)
	v_fma_f64 v[2:3], v[154:155], v[130:131], v[2:3]
	s_waitcnt lgkmcnt(0)
	s_delay_alu instid0(VALU_DEP_1) | instskip(NEXT) | instid1(VALU_DEP_1)
	v_fma_f64 v[2:3], v[156:157], v[132:133], v[2:3]
	v_add_f64 v[2:3], v[126:127], -v[2:3]
	scratch_store_b64 off, v[2:3], off offset:384
	v_cmpx_lt_u32_e32 47, v0
	s_cbranch_execz .LBB59_275
; %bb.274:
	scratch_load_b64 v[3:4], off, off offset:376
	v_mov_b32_e32 v2, v1
	scratch_store_b64 off, v[1:2], off offset:376
	s_waitcnt vmcnt(0)
	ds_store_b64 v5, v[3:4]
.LBB59_275:
	s_or_b32 exec_lo, exec_lo, s0
	s_waitcnt lgkmcnt(0)
	s_waitcnt_vscnt null, 0x0
	s_barrier
	buffer_gl0_inv
	s_clause 0x4
	scratch_load_b128 v[126:129], off, off offset:376
	scratch_load_b128 v[130:133], off, off offset:392
	;; [unrolled: 1-line block ×5, first 2 shown]
	ds_load_b128 v[146:149], v1 offset:864
	ds_load_b128 v[150:153], v1 offset:880
	scratch_load_b128 v[154:157], off, off offset:456
	s_mov_b32 s0, exec_lo
	s_waitcnt vmcnt(5) lgkmcnt(1)
	v_fma_f64 v[2:3], v[128:129], v[146:147], 0
	scratch_load_b64 v[146:147], off, off offset:472
	s_waitcnt vmcnt(5)
	v_fma_f64 v[2:3], v[130:131], v[148:149], v[2:3]
	s_waitcnt lgkmcnt(0)
	s_delay_alu instid0(VALU_DEP_1) | instskip(SKIP_1) | instid1(VALU_DEP_1)
	v_fma_f64 v[2:3], v[132:133], v[150:151], v[2:3]
	s_waitcnt vmcnt(4)
	v_fma_f64 v[2:3], v[134:135], v[152:153], v[2:3]
	ds_load_b128 v[128:131], v1 offset:896
	ds_load_b128 v[132:135], v1 offset:912
	s_waitcnt lgkmcnt(1)
	v_fma_f64 v[2:3], v[136:137], v[128:129], v[2:3]
	s_waitcnt vmcnt(3)
	s_delay_alu instid0(VALU_DEP_1) | instskip(SKIP_1) | instid1(VALU_DEP_1)
	v_fma_f64 v[2:3], v[138:139], v[130:131], v[2:3]
	s_waitcnt lgkmcnt(0)
	v_fma_f64 v[2:3], v[140:141], v[132:133], v[2:3]
	s_waitcnt vmcnt(2)
	s_delay_alu instid0(VALU_DEP_1)
	v_fma_f64 v[132:133], v[142:143], v[134:135], v[2:3]
	ds_load_b128 v[128:131], v1 offset:928
	ds_load_b128 v[1:4], v1 offset:944
	s_waitcnt lgkmcnt(1)
	v_fma_f64 v[128:129], v[144:145], v[128:129], v[132:133]
	s_waitcnt vmcnt(1)
	s_delay_alu instid0(VALU_DEP_1) | instskip(SKIP_1) | instid1(VALU_DEP_1)
	v_fma_f64 v[128:129], v[154:155], v[130:131], v[128:129]
	s_waitcnt lgkmcnt(0)
	v_fma_f64 v[1:2], v[156:157], v[1:2], v[128:129]
	s_waitcnt vmcnt(0)
	s_delay_alu instid0(VALU_DEP_1) | instskip(NEXT) | instid1(VALU_DEP_1)
	v_fma_f64 v[1:2], v[146:147], v[3:4], v[1:2]
	v_add_f64 v[1:2], v[126:127], -v[1:2]
	scratch_store_b64 off, v[1:2], off offset:376
	v_cmpx_lt_u32_e32 46, v0
	s_cbranch_execz .LBB59_277
; %bb.276:
	scratch_load_b64 v[1:2], off, off offset:368
	v_mov_b32_e32 v3, 0
	s_delay_alu instid0(VALU_DEP_1)
	v_mov_b32_e32 v4, v3
	scratch_store_b64 off, v[3:4], off offset:368
	s_waitcnt vmcnt(0)
	ds_store_b64 v5, v[1:2]
.LBB59_277:
	s_or_b32 exec_lo, exec_lo, s0
	s_waitcnt lgkmcnt(0)
	s_waitcnt_vscnt null, 0x0
	s_barrier
	buffer_gl0_inv
	s_clause 0x4
	scratch_load_b128 v[126:129], off, off offset:368
	scratch_load_b128 v[130:133], off, off offset:384
	;; [unrolled: 1-line block ×5, first 2 shown]
	v_mov_b32_e32 v1, 0
	ds_load_2addr_b64 v[146:149], v1 offset0:107 offset1:108
	ds_load_2addr_b64 v[150:153], v1 offset0:109 offset1:110
	scratch_load_b128 v[154:157], off, off offset:448
	s_mov_b32 s0, exec_lo
	s_waitcnt vmcnt(5) lgkmcnt(1)
	v_fma_f64 v[2:3], v[128:129], v[146:147], 0
	s_waitcnt vmcnt(4)
	s_delay_alu instid0(VALU_DEP_1) | instskip(SKIP_4) | instid1(VALU_DEP_1)
	v_fma_f64 v[2:3], v[130:131], v[148:149], v[2:3]
	scratch_load_b128 v[128:131], off, off offset:464
	s_waitcnt lgkmcnt(0)
	v_fma_f64 v[2:3], v[132:133], v[150:151], v[2:3]
	s_waitcnt vmcnt(4)
	v_fma_f64 v[2:3], v[134:135], v[152:153], v[2:3]
	ds_load_2addr_b64 v[132:135], v1 offset0:111 offset1:112
	ds_load_2addr_b64 v[146:149], v1 offset0:113 offset1:114
	s_waitcnt lgkmcnt(1)
	v_fma_f64 v[2:3], v[136:137], v[132:133], v[2:3]
	s_waitcnt vmcnt(3)
	s_delay_alu instid0(VALU_DEP_1)
	v_fma_f64 v[2:3], v[138:139], v[134:135], v[2:3]
	ds_load_2addr_b64 v[132:135], v1 offset0:115 offset1:116
	ds_load_2addr_b64 v[136:139], v1 offset0:117 offset1:118
	s_waitcnt lgkmcnt(2)
	v_fma_f64 v[2:3], v[140:141], v[146:147], v[2:3]
	s_waitcnt vmcnt(2)
	s_delay_alu instid0(VALU_DEP_1) | instskip(SKIP_1) | instid1(VALU_DEP_1)
	v_fma_f64 v[2:3], v[142:143], v[148:149], v[2:3]
	s_waitcnt lgkmcnt(1)
	v_fma_f64 v[2:3], v[144:145], v[132:133], v[2:3]
	s_waitcnt vmcnt(1)
	s_delay_alu instid0(VALU_DEP_1) | instskip(SKIP_1) | instid1(VALU_DEP_1)
	v_fma_f64 v[2:3], v[154:155], v[134:135], v[2:3]
	s_waitcnt lgkmcnt(0)
	v_fma_f64 v[2:3], v[156:157], v[136:137], v[2:3]
	s_waitcnt vmcnt(0)
	s_delay_alu instid0(VALU_DEP_1) | instskip(SKIP_3) | instid1(VALU_DEP_1)
	v_fma_f64 v[2:3], v[128:129], v[138:139], v[2:3]
	ds_load_b64 v[128:129], v1 offset:952
	s_waitcnt lgkmcnt(0)
	v_fma_f64 v[2:3], v[130:131], v[128:129], v[2:3]
	v_add_f64 v[2:3], v[126:127], -v[2:3]
	scratch_store_b64 off, v[2:3], off offset:368
	v_cmpx_lt_u32_e32 45, v0
	s_cbranch_execz .LBB59_279
; %bb.278:
	scratch_load_b64 v[3:4], off, off offset:360
	v_mov_b32_e32 v2, v1
	scratch_store_b64 off, v[1:2], off offset:360
	s_waitcnt vmcnt(0)
	ds_store_b64 v5, v[3:4]
.LBB59_279:
	s_or_b32 exec_lo, exec_lo, s0
	s_waitcnt lgkmcnt(0)
	s_waitcnt_vscnt null, 0x0
	s_barrier
	buffer_gl0_inv
	s_clause 0x4
	scratch_load_b128 v[126:129], off, off offset:360
	scratch_load_b128 v[130:133], off, off offset:376
	;; [unrolled: 1-line block ×5, first 2 shown]
	ds_load_b128 v[146:149], v1 offset:848
	ds_load_b128 v[150:153], v1 offset:864
	scratch_load_b128 v[154:157], off, off offset:440
	s_mov_b32 s0, exec_lo
	s_waitcnt vmcnt(5) lgkmcnt(1)
	v_fma_f64 v[2:3], v[128:129], v[146:147], 0
	s_waitcnt vmcnt(4)
	s_delay_alu instid0(VALU_DEP_1) | instskip(SKIP_4) | instid1(VALU_DEP_1)
	v_fma_f64 v[2:3], v[130:131], v[148:149], v[2:3]
	scratch_load_b128 v[128:131], off, off offset:456
	s_waitcnt lgkmcnt(0)
	v_fma_f64 v[2:3], v[132:133], v[150:151], v[2:3]
	s_waitcnt vmcnt(4)
	v_fma_f64 v[2:3], v[134:135], v[152:153], v[2:3]
	ds_load_b128 v[132:135], v1 offset:880
	ds_load_b128 v[146:149], v1 offset:896
	scratch_load_b64 v[150:151], off, off offset:472
	s_waitcnt lgkmcnt(1)
	v_fma_f64 v[2:3], v[136:137], v[132:133], v[2:3]
	s_waitcnt vmcnt(4)
	s_delay_alu instid0(VALU_DEP_1)
	v_fma_f64 v[2:3], v[138:139], v[134:135], v[2:3]
	ds_load_b128 v[132:135], v1 offset:912
	ds_load_b128 v[136:139], v1 offset:928
	s_waitcnt lgkmcnt(2)
	v_fma_f64 v[2:3], v[140:141], v[146:147], v[2:3]
	s_waitcnt vmcnt(3)
	s_delay_alu instid0(VALU_DEP_1) | instskip(SKIP_1) | instid1(VALU_DEP_1)
	v_fma_f64 v[2:3], v[142:143], v[148:149], v[2:3]
	s_waitcnt lgkmcnt(1)
	v_fma_f64 v[2:3], v[144:145], v[132:133], v[2:3]
	s_waitcnt vmcnt(2)
	s_delay_alu instid0(VALU_DEP_1) | instskip(SKIP_1) | instid1(VALU_DEP_1)
	v_fma_f64 v[2:3], v[154:155], v[134:135], v[2:3]
	s_waitcnt lgkmcnt(0)
	v_fma_f64 v[2:3], v[156:157], v[136:137], v[2:3]
	s_waitcnt vmcnt(1)
	s_delay_alu instid0(VALU_DEP_1) | instskip(SKIP_4) | instid1(VALU_DEP_1)
	v_fma_f64 v[128:129], v[128:129], v[138:139], v[2:3]
	ds_load_b128 v[1:4], v1 offset:944
	s_waitcnt lgkmcnt(0)
	v_fma_f64 v[1:2], v[130:131], v[1:2], v[128:129]
	s_waitcnt vmcnt(0)
	v_fma_f64 v[1:2], v[150:151], v[3:4], v[1:2]
	s_delay_alu instid0(VALU_DEP_1)
	v_add_f64 v[1:2], v[126:127], -v[1:2]
	scratch_store_b64 off, v[1:2], off offset:360
	v_cmpx_lt_u32_e32 44, v0
	s_cbranch_execz .LBB59_281
; %bb.280:
	scratch_load_b64 v[1:2], off, off offset:352
	v_mov_b32_e32 v3, 0
	s_delay_alu instid0(VALU_DEP_1)
	v_mov_b32_e32 v4, v3
	scratch_store_b64 off, v[3:4], off offset:352
	s_waitcnt vmcnt(0)
	ds_store_b64 v5, v[1:2]
.LBB59_281:
	s_or_b32 exec_lo, exec_lo, s0
	s_waitcnt lgkmcnt(0)
	s_waitcnt_vscnt null, 0x0
	s_barrier
	buffer_gl0_inv
	s_clause 0x4
	scratch_load_b128 v[126:129], off, off offset:352
	scratch_load_b128 v[130:133], off, off offset:368
	;; [unrolled: 1-line block ×5, first 2 shown]
	v_mov_b32_e32 v1, 0
	ds_load_2addr_b64 v[146:149], v1 offset0:105 offset1:106
	ds_load_2addr_b64 v[150:153], v1 offset0:107 offset1:108
	scratch_load_b128 v[154:157], off, off offset:432
	s_mov_b32 s0, exec_lo
	s_waitcnt vmcnt(5) lgkmcnt(1)
	v_fma_f64 v[2:3], v[128:129], v[146:147], 0
	s_waitcnt vmcnt(4)
	s_delay_alu instid0(VALU_DEP_1) | instskip(SKIP_4) | instid1(VALU_DEP_1)
	v_fma_f64 v[2:3], v[130:131], v[148:149], v[2:3]
	scratch_load_b128 v[128:131], off, off offset:448
	s_waitcnt lgkmcnt(0)
	v_fma_f64 v[2:3], v[132:133], v[150:151], v[2:3]
	s_waitcnt vmcnt(4)
	v_fma_f64 v[2:3], v[134:135], v[152:153], v[2:3]
	ds_load_2addr_b64 v[132:135], v1 offset0:109 offset1:110
	ds_load_2addr_b64 v[146:149], v1 offset0:111 offset1:112
	scratch_load_b128 v[150:153], off, off offset:464
	s_waitcnt lgkmcnt(1)
	v_fma_f64 v[2:3], v[136:137], v[132:133], v[2:3]
	s_waitcnt vmcnt(4)
	s_delay_alu instid0(VALU_DEP_1)
	v_fma_f64 v[2:3], v[138:139], v[134:135], v[2:3]
	ds_load_2addr_b64 v[132:135], v1 offset0:113 offset1:114
	ds_load_2addr_b64 v[136:139], v1 offset0:115 offset1:116
	s_waitcnt lgkmcnt(2)
	v_fma_f64 v[2:3], v[140:141], v[146:147], v[2:3]
	s_waitcnt vmcnt(3)
	s_delay_alu instid0(VALU_DEP_1) | instskip(SKIP_1) | instid1(VALU_DEP_1)
	v_fma_f64 v[2:3], v[142:143], v[148:149], v[2:3]
	s_waitcnt lgkmcnt(1)
	v_fma_f64 v[2:3], v[144:145], v[132:133], v[2:3]
	s_waitcnt vmcnt(2)
	s_delay_alu instid0(VALU_DEP_1) | instskip(SKIP_1) | instid1(VALU_DEP_1)
	v_fma_f64 v[2:3], v[154:155], v[134:135], v[2:3]
	s_waitcnt lgkmcnt(0)
	v_fma_f64 v[2:3], v[156:157], v[136:137], v[2:3]
	s_waitcnt vmcnt(1)
	s_delay_alu instid0(VALU_DEP_1)
	v_fma_f64 v[2:3], v[128:129], v[138:139], v[2:3]
	ds_load_2addr_b64 v[132:135], v1 offset0:117 offset1:118
	ds_load_b64 v[128:129], v1 offset:952
	s_waitcnt lgkmcnt(1)
	v_fma_f64 v[2:3], v[130:131], v[132:133], v[2:3]
	s_waitcnt vmcnt(0)
	s_delay_alu instid0(VALU_DEP_1) | instskip(SKIP_1) | instid1(VALU_DEP_1)
	v_fma_f64 v[2:3], v[150:151], v[134:135], v[2:3]
	s_waitcnt lgkmcnt(0)
	v_fma_f64 v[2:3], v[152:153], v[128:129], v[2:3]
	s_delay_alu instid0(VALU_DEP_1)
	v_add_f64 v[2:3], v[126:127], -v[2:3]
	scratch_store_b64 off, v[2:3], off offset:352
	v_cmpx_lt_u32_e32 43, v0
	s_cbranch_execz .LBB59_283
; %bb.282:
	scratch_load_b64 v[3:4], off, off offset:344
	v_mov_b32_e32 v2, v1
	scratch_store_b64 off, v[1:2], off offset:344
	s_waitcnt vmcnt(0)
	ds_store_b64 v5, v[3:4]
.LBB59_283:
	s_or_b32 exec_lo, exec_lo, s0
	s_waitcnt lgkmcnt(0)
	s_waitcnt_vscnt null, 0x0
	s_barrier
	buffer_gl0_inv
	s_clause 0x4
	scratch_load_b128 v[126:129], off, off offset:344
	scratch_load_b128 v[130:133], off, off offset:360
	;; [unrolled: 1-line block ×5, first 2 shown]
	ds_load_b128 v[146:149], v1 offset:832
	ds_load_b128 v[150:153], v1 offset:848
	scratch_load_b128 v[154:157], off, off offset:424
	s_mov_b32 s0, exec_lo
	s_waitcnt vmcnt(5) lgkmcnt(1)
	v_fma_f64 v[2:3], v[128:129], v[146:147], 0
	s_waitcnt vmcnt(4)
	s_delay_alu instid0(VALU_DEP_1) | instskip(SKIP_4) | instid1(VALU_DEP_1)
	v_fma_f64 v[2:3], v[130:131], v[148:149], v[2:3]
	scratch_load_b128 v[128:131], off, off offset:440
	s_waitcnt lgkmcnt(0)
	v_fma_f64 v[2:3], v[132:133], v[150:151], v[2:3]
	s_waitcnt vmcnt(4)
	v_fma_f64 v[2:3], v[134:135], v[152:153], v[2:3]
	ds_load_b128 v[132:135], v1 offset:864
	ds_load_b128 v[146:149], v1 offset:880
	scratch_load_b128 v[150:153], off, off offset:456
	s_waitcnt lgkmcnt(1)
	v_fma_f64 v[2:3], v[136:137], v[132:133], v[2:3]
	s_waitcnt vmcnt(4)
	s_delay_alu instid0(VALU_DEP_1) | instskip(SKIP_1) | instid1(VALU_DEP_1)
	v_fma_f64 v[2:3], v[138:139], v[134:135], v[2:3]
	s_waitcnt lgkmcnt(0)
	v_fma_f64 v[2:3], v[140:141], v[146:147], v[2:3]
	scratch_load_b64 v[140:141], off, off offset:472
	ds_load_b128 v[132:135], v1 offset:896
	ds_load_b128 v[136:139], v1 offset:912
	s_waitcnt vmcnt(4)
	v_fma_f64 v[2:3], v[142:143], v[148:149], v[2:3]
	s_waitcnt lgkmcnt(1)
	s_delay_alu instid0(VALU_DEP_1) | instskip(SKIP_1) | instid1(VALU_DEP_1)
	v_fma_f64 v[2:3], v[144:145], v[132:133], v[2:3]
	s_waitcnt vmcnt(3)
	v_fma_f64 v[2:3], v[154:155], v[134:135], v[2:3]
	s_waitcnt lgkmcnt(0)
	s_delay_alu instid0(VALU_DEP_1) | instskip(SKIP_1) | instid1(VALU_DEP_1)
	v_fma_f64 v[2:3], v[156:157], v[136:137], v[2:3]
	s_waitcnt vmcnt(2)
	v_fma_f64 v[128:129], v[128:129], v[138:139], v[2:3]
	ds_load_b128 v[132:135], v1 offset:928
	ds_load_b128 v[1:4], v1 offset:944
	s_waitcnt lgkmcnt(1)
	v_fma_f64 v[128:129], v[130:131], v[132:133], v[128:129]
	s_waitcnt vmcnt(1)
	s_delay_alu instid0(VALU_DEP_1) | instskip(SKIP_1) | instid1(VALU_DEP_1)
	v_fma_f64 v[128:129], v[150:151], v[134:135], v[128:129]
	s_waitcnt lgkmcnt(0)
	v_fma_f64 v[1:2], v[152:153], v[1:2], v[128:129]
	s_waitcnt vmcnt(0)
	s_delay_alu instid0(VALU_DEP_1) | instskip(NEXT) | instid1(VALU_DEP_1)
	v_fma_f64 v[1:2], v[140:141], v[3:4], v[1:2]
	v_add_f64 v[1:2], v[126:127], -v[1:2]
	scratch_store_b64 off, v[1:2], off offset:344
	v_cmpx_lt_u32_e32 42, v0
	s_cbranch_execz .LBB59_285
; %bb.284:
	scratch_load_b64 v[1:2], off, off offset:336
	v_mov_b32_e32 v3, 0
	s_delay_alu instid0(VALU_DEP_1)
	v_mov_b32_e32 v4, v3
	scratch_store_b64 off, v[3:4], off offset:336
	s_waitcnt vmcnt(0)
	ds_store_b64 v5, v[1:2]
.LBB59_285:
	s_or_b32 exec_lo, exec_lo, s0
	s_waitcnt lgkmcnt(0)
	s_waitcnt_vscnt null, 0x0
	s_barrier
	buffer_gl0_inv
	s_clause 0x4
	scratch_load_b128 v[126:129], off, off offset:336
	scratch_load_b128 v[130:133], off, off offset:352
	;; [unrolled: 1-line block ×5, first 2 shown]
	v_mov_b32_e32 v1, 0
	ds_load_2addr_b64 v[146:149], v1 offset0:103 offset1:104
	ds_load_2addr_b64 v[150:153], v1 offset0:105 offset1:106
	scratch_load_b128 v[154:157], off, off offset:416
	s_mov_b32 s0, exec_lo
	s_waitcnt vmcnt(5) lgkmcnt(1)
	v_fma_f64 v[2:3], v[128:129], v[146:147], 0
	s_waitcnt vmcnt(4)
	s_delay_alu instid0(VALU_DEP_1) | instskip(SKIP_4) | instid1(VALU_DEP_1)
	v_fma_f64 v[2:3], v[130:131], v[148:149], v[2:3]
	scratch_load_b128 v[128:131], off, off offset:432
	s_waitcnt lgkmcnt(0)
	v_fma_f64 v[2:3], v[132:133], v[150:151], v[2:3]
	s_waitcnt vmcnt(4)
	v_fma_f64 v[2:3], v[134:135], v[152:153], v[2:3]
	ds_load_2addr_b64 v[132:135], v1 offset0:107 offset1:108
	ds_load_2addr_b64 v[146:149], v1 offset0:109 offset1:110
	scratch_load_b128 v[150:153], off, off offset:448
	s_waitcnt lgkmcnt(1)
	v_fma_f64 v[2:3], v[136:137], v[132:133], v[2:3]
	s_waitcnt vmcnt(4)
	s_delay_alu instid0(VALU_DEP_1) | instskip(SKIP_4) | instid1(VALU_DEP_1)
	v_fma_f64 v[2:3], v[138:139], v[134:135], v[2:3]
	scratch_load_b128 v[132:135], off, off offset:464
	s_waitcnt lgkmcnt(0)
	v_fma_f64 v[2:3], v[140:141], v[146:147], v[2:3]
	s_waitcnt vmcnt(4)
	v_fma_f64 v[2:3], v[142:143], v[148:149], v[2:3]
	ds_load_2addr_b64 v[136:139], v1 offset0:111 offset1:112
	ds_load_2addr_b64 v[140:143], v1 offset0:113 offset1:114
	s_waitcnt lgkmcnt(1)
	v_fma_f64 v[2:3], v[144:145], v[136:137], v[2:3]
	s_waitcnt vmcnt(3)
	s_delay_alu instid0(VALU_DEP_1) | instskip(SKIP_1) | instid1(VALU_DEP_1)
	v_fma_f64 v[2:3], v[154:155], v[138:139], v[2:3]
	s_waitcnt lgkmcnt(0)
	v_fma_f64 v[2:3], v[156:157], v[140:141], v[2:3]
	s_waitcnt vmcnt(2)
	s_delay_alu instid0(VALU_DEP_1)
	v_fma_f64 v[2:3], v[128:129], v[142:143], v[2:3]
	ds_load_2addr_b64 v[136:139], v1 offset0:115 offset1:116
	ds_load_2addr_b64 v[140:143], v1 offset0:117 offset1:118
	ds_load_b64 v[128:129], v1 offset:952
	s_waitcnt lgkmcnt(2)
	v_fma_f64 v[2:3], v[130:131], v[136:137], v[2:3]
	s_waitcnt vmcnt(1)
	s_delay_alu instid0(VALU_DEP_1) | instskip(SKIP_1) | instid1(VALU_DEP_1)
	v_fma_f64 v[2:3], v[150:151], v[138:139], v[2:3]
	s_waitcnt lgkmcnt(1)
	v_fma_f64 v[2:3], v[152:153], v[140:141], v[2:3]
	s_waitcnt vmcnt(0)
	s_delay_alu instid0(VALU_DEP_1) | instskip(SKIP_1) | instid1(VALU_DEP_1)
	v_fma_f64 v[2:3], v[132:133], v[142:143], v[2:3]
	s_waitcnt lgkmcnt(0)
	v_fma_f64 v[2:3], v[134:135], v[128:129], v[2:3]
	s_delay_alu instid0(VALU_DEP_1)
	v_add_f64 v[2:3], v[126:127], -v[2:3]
	scratch_store_b64 off, v[2:3], off offset:336
	v_cmpx_lt_u32_e32 41, v0
	s_cbranch_execz .LBB59_287
; %bb.286:
	scratch_load_b64 v[3:4], off, off offset:328
	v_mov_b32_e32 v2, v1
	scratch_store_b64 off, v[1:2], off offset:328
	s_waitcnt vmcnt(0)
	ds_store_b64 v5, v[3:4]
.LBB59_287:
	s_or_b32 exec_lo, exec_lo, s0
	s_waitcnt lgkmcnt(0)
	s_waitcnt_vscnt null, 0x0
	s_barrier
	buffer_gl0_inv
	s_clause 0x4
	scratch_load_b128 v[126:129], off, off offset:328
	scratch_load_b128 v[130:133], off, off offset:344
	;; [unrolled: 1-line block ×5, first 2 shown]
	ds_load_b128 v[146:149], v1 offset:816
	ds_load_b128 v[150:153], v1 offset:832
	scratch_load_b128 v[154:157], off, off offset:408
	s_mov_b32 s0, exec_lo
	s_waitcnt vmcnt(5) lgkmcnt(1)
	v_fma_f64 v[2:3], v[128:129], v[146:147], 0
	s_waitcnt vmcnt(4)
	s_delay_alu instid0(VALU_DEP_1) | instskip(SKIP_4) | instid1(VALU_DEP_1)
	v_fma_f64 v[2:3], v[130:131], v[148:149], v[2:3]
	scratch_load_b128 v[128:131], off, off offset:424
	s_waitcnt lgkmcnt(0)
	v_fma_f64 v[2:3], v[132:133], v[150:151], v[2:3]
	s_waitcnt vmcnt(4)
	v_fma_f64 v[2:3], v[134:135], v[152:153], v[2:3]
	ds_load_b128 v[132:135], v1 offset:848
	ds_load_b128 v[146:149], v1 offset:864
	scratch_load_b128 v[150:153], off, off offset:440
	s_waitcnt lgkmcnt(1)
	v_fma_f64 v[2:3], v[136:137], v[132:133], v[2:3]
	s_waitcnt vmcnt(4)
	s_delay_alu instid0(VALU_DEP_1) | instskip(SKIP_4) | instid1(VALU_DEP_1)
	v_fma_f64 v[2:3], v[138:139], v[134:135], v[2:3]
	scratch_load_b128 v[132:135], off, off offset:456
	s_waitcnt lgkmcnt(0)
	v_fma_f64 v[2:3], v[140:141], v[146:147], v[2:3]
	s_waitcnt vmcnt(4)
	v_fma_f64 v[2:3], v[142:143], v[148:149], v[2:3]
	ds_load_b128 v[136:139], v1 offset:880
	ds_load_b128 v[140:143], v1 offset:896
	s_waitcnt lgkmcnt(1)
	v_fma_f64 v[2:3], v[144:145], v[136:137], v[2:3]
	scratch_load_b64 v[144:145], off, off offset:472
	s_waitcnt vmcnt(4)
	v_fma_f64 v[2:3], v[154:155], v[138:139], v[2:3]
	s_waitcnt lgkmcnt(0)
	s_delay_alu instid0(VALU_DEP_1) | instskip(SKIP_1) | instid1(VALU_DEP_1)
	v_fma_f64 v[2:3], v[156:157], v[140:141], v[2:3]
	s_waitcnt vmcnt(3)
	v_fma_f64 v[2:3], v[128:129], v[142:143], v[2:3]
	ds_load_b128 v[136:139], v1 offset:912
	ds_load_b128 v[140:143], v1 offset:928
	s_waitcnt lgkmcnt(1)
	v_fma_f64 v[2:3], v[130:131], v[136:137], v[2:3]
	s_waitcnt vmcnt(2)
	s_delay_alu instid0(VALU_DEP_1) | instskip(SKIP_1) | instid1(VALU_DEP_1)
	v_fma_f64 v[2:3], v[150:151], v[138:139], v[2:3]
	s_waitcnt lgkmcnt(0)
	v_fma_f64 v[2:3], v[152:153], v[140:141], v[2:3]
	s_waitcnt vmcnt(1)
	s_delay_alu instid0(VALU_DEP_1) | instskip(SKIP_4) | instid1(VALU_DEP_1)
	v_fma_f64 v[128:129], v[132:133], v[142:143], v[2:3]
	ds_load_b128 v[1:4], v1 offset:944
	s_waitcnt lgkmcnt(0)
	v_fma_f64 v[1:2], v[134:135], v[1:2], v[128:129]
	s_waitcnt vmcnt(0)
	v_fma_f64 v[1:2], v[144:145], v[3:4], v[1:2]
	s_delay_alu instid0(VALU_DEP_1)
	v_add_f64 v[1:2], v[126:127], -v[1:2]
	scratch_store_b64 off, v[1:2], off offset:328
	v_cmpx_lt_u32_e32 40, v0
	s_cbranch_execz .LBB59_289
; %bb.288:
	scratch_load_b64 v[1:2], off, off offset:320
	v_mov_b32_e32 v3, 0
	s_delay_alu instid0(VALU_DEP_1)
	v_mov_b32_e32 v4, v3
	scratch_store_b64 off, v[3:4], off offset:320
	s_waitcnt vmcnt(0)
	ds_store_b64 v5, v[1:2]
.LBB59_289:
	s_or_b32 exec_lo, exec_lo, s0
	s_waitcnt lgkmcnt(0)
	s_waitcnt_vscnt null, 0x0
	s_barrier
	buffer_gl0_inv
	s_clause 0x4
	scratch_load_b128 v[126:129], off, off offset:320
	scratch_load_b128 v[130:133], off, off offset:336
	;; [unrolled: 1-line block ×5, first 2 shown]
	v_mov_b32_e32 v1, 0
	ds_load_2addr_b64 v[146:149], v1 offset0:101 offset1:102
	ds_load_2addr_b64 v[150:153], v1 offset0:103 offset1:104
	scratch_load_b128 v[154:157], off, off offset:400
	s_mov_b32 s0, exec_lo
	s_waitcnt vmcnt(5) lgkmcnt(1)
	v_fma_f64 v[2:3], v[128:129], v[146:147], 0
	s_waitcnt vmcnt(4)
	s_delay_alu instid0(VALU_DEP_1) | instskip(SKIP_4) | instid1(VALU_DEP_1)
	v_fma_f64 v[2:3], v[130:131], v[148:149], v[2:3]
	scratch_load_b128 v[128:131], off, off offset:416
	s_waitcnt lgkmcnt(0)
	v_fma_f64 v[2:3], v[132:133], v[150:151], v[2:3]
	s_waitcnt vmcnt(4)
	v_fma_f64 v[2:3], v[134:135], v[152:153], v[2:3]
	ds_load_2addr_b64 v[132:135], v1 offset0:105 offset1:106
	ds_load_2addr_b64 v[146:149], v1 offset0:107 offset1:108
	scratch_load_b128 v[150:153], off, off offset:432
	s_waitcnt lgkmcnt(1)
	v_fma_f64 v[2:3], v[136:137], v[132:133], v[2:3]
	s_waitcnt vmcnt(4)
	s_delay_alu instid0(VALU_DEP_1) | instskip(SKIP_4) | instid1(VALU_DEP_1)
	v_fma_f64 v[2:3], v[138:139], v[134:135], v[2:3]
	scratch_load_b128 v[132:135], off, off offset:448
	s_waitcnt lgkmcnt(0)
	v_fma_f64 v[2:3], v[140:141], v[146:147], v[2:3]
	s_waitcnt vmcnt(4)
	v_fma_f64 v[2:3], v[142:143], v[148:149], v[2:3]
	ds_load_2addr_b64 v[136:139], v1 offset0:109 offset1:110
	ds_load_2addr_b64 v[140:143], v1 offset0:111 offset1:112
	s_waitcnt lgkmcnt(1)
	v_fma_f64 v[2:3], v[144:145], v[136:137], v[2:3]
	scratch_load_b128 v[144:147], off, off offset:464
	s_waitcnt vmcnt(4)
	v_fma_f64 v[2:3], v[154:155], v[138:139], v[2:3]
	s_waitcnt lgkmcnt(0)
	s_delay_alu instid0(VALU_DEP_1) | instskip(SKIP_1) | instid1(VALU_DEP_1)
	v_fma_f64 v[2:3], v[156:157], v[140:141], v[2:3]
	s_waitcnt vmcnt(3)
	v_fma_f64 v[2:3], v[128:129], v[142:143], v[2:3]
	ds_load_2addr_b64 v[136:139], v1 offset0:113 offset1:114
	ds_load_2addr_b64 v[140:143], v1 offset0:115 offset1:116
	s_waitcnt lgkmcnt(1)
	v_fma_f64 v[2:3], v[130:131], v[136:137], v[2:3]
	s_waitcnt vmcnt(2)
	s_delay_alu instid0(VALU_DEP_1) | instskip(SKIP_1) | instid1(VALU_DEP_1)
	v_fma_f64 v[2:3], v[150:151], v[138:139], v[2:3]
	s_waitcnt lgkmcnt(0)
	v_fma_f64 v[2:3], v[152:153], v[140:141], v[2:3]
	s_waitcnt vmcnt(1)
	s_delay_alu instid0(VALU_DEP_1)
	v_fma_f64 v[2:3], v[132:133], v[142:143], v[2:3]
	ds_load_2addr_b64 v[128:131], v1 offset0:117 offset1:118
	ds_load_b64 v[132:133], v1 offset:952
	s_waitcnt lgkmcnt(1)
	v_fma_f64 v[2:3], v[134:135], v[128:129], v[2:3]
	s_waitcnt vmcnt(0)
	s_delay_alu instid0(VALU_DEP_1) | instskip(SKIP_1) | instid1(VALU_DEP_1)
	v_fma_f64 v[2:3], v[144:145], v[130:131], v[2:3]
	s_waitcnt lgkmcnt(0)
	v_fma_f64 v[2:3], v[146:147], v[132:133], v[2:3]
	s_delay_alu instid0(VALU_DEP_1)
	v_add_f64 v[2:3], v[126:127], -v[2:3]
	scratch_store_b64 off, v[2:3], off offset:320
	v_cmpx_lt_u32_e32 39, v0
	s_cbranch_execz .LBB59_291
; %bb.290:
	scratch_load_b64 v[3:4], off, off offset:312
	v_mov_b32_e32 v2, v1
	scratch_store_b64 off, v[1:2], off offset:312
	s_waitcnt vmcnt(0)
	ds_store_b64 v5, v[3:4]
.LBB59_291:
	s_or_b32 exec_lo, exec_lo, s0
	s_waitcnt lgkmcnt(0)
	s_waitcnt_vscnt null, 0x0
	s_barrier
	buffer_gl0_inv
	s_clause 0x4
	scratch_load_b128 v[126:129], off, off offset:312
	scratch_load_b128 v[130:133], off, off offset:328
	;; [unrolled: 1-line block ×5, first 2 shown]
	ds_load_b128 v[146:149], v1 offset:800
	ds_load_b128 v[150:153], v1 offset:816
	scratch_load_b128 v[154:157], off, off offset:392
	s_mov_b32 s0, exec_lo
	s_waitcnt vmcnt(5) lgkmcnt(1)
	v_fma_f64 v[2:3], v[128:129], v[146:147], 0
	s_waitcnt vmcnt(4)
	s_delay_alu instid0(VALU_DEP_1) | instskip(SKIP_4) | instid1(VALU_DEP_1)
	v_fma_f64 v[2:3], v[130:131], v[148:149], v[2:3]
	scratch_load_b128 v[128:131], off, off offset:408
	s_waitcnt lgkmcnt(0)
	v_fma_f64 v[2:3], v[132:133], v[150:151], v[2:3]
	s_waitcnt vmcnt(4)
	v_fma_f64 v[2:3], v[134:135], v[152:153], v[2:3]
	ds_load_b128 v[132:135], v1 offset:832
	ds_load_b128 v[146:149], v1 offset:848
	scratch_load_b128 v[150:153], off, off offset:424
	s_waitcnt lgkmcnt(1)
	v_fma_f64 v[2:3], v[136:137], v[132:133], v[2:3]
	s_waitcnt vmcnt(4)
	s_delay_alu instid0(VALU_DEP_1) | instskip(SKIP_4) | instid1(VALU_DEP_1)
	v_fma_f64 v[2:3], v[138:139], v[134:135], v[2:3]
	scratch_load_b128 v[132:135], off, off offset:440
	s_waitcnt lgkmcnt(0)
	v_fma_f64 v[2:3], v[140:141], v[146:147], v[2:3]
	s_waitcnt vmcnt(4)
	v_fma_f64 v[2:3], v[142:143], v[148:149], v[2:3]
	ds_load_b128 v[136:139], v1 offset:864
	ds_load_b128 v[140:143], v1 offset:880
	scratch_load_b64 v[148:149], off, off offset:472
	s_waitcnt lgkmcnt(1)
	v_fma_f64 v[2:3], v[144:145], v[136:137], v[2:3]
	scratch_load_b128 v[144:147], off, off offset:456
	s_waitcnt vmcnt(5)
	v_fma_f64 v[2:3], v[154:155], v[138:139], v[2:3]
	s_waitcnt lgkmcnt(0)
	s_delay_alu instid0(VALU_DEP_1) | instskip(SKIP_1) | instid1(VALU_DEP_1)
	v_fma_f64 v[2:3], v[156:157], v[140:141], v[2:3]
	s_waitcnt vmcnt(4)
	v_fma_f64 v[2:3], v[128:129], v[142:143], v[2:3]
	ds_load_b128 v[136:139], v1 offset:896
	ds_load_b128 v[140:143], v1 offset:912
	s_waitcnt lgkmcnt(1)
	v_fma_f64 v[2:3], v[130:131], v[136:137], v[2:3]
	s_waitcnt vmcnt(3)
	s_delay_alu instid0(VALU_DEP_1) | instskip(SKIP_1) | instid1(VALU_DEP_1)
	v_fma_f64 v[2:3], v[150:151], v[138:139], v[2:3]
	s_waitcnt lgkmcnt(0)
	v_fma_f64 v[2:3], v[152:153], v[140:141], v[2:3]
	s_waitcnt vmcnt(2)
	s_delay_alu instid0(VALU_DEP_1)
	v_fma_f64 v[132:133], v[132:133], v[142:143], v[2:3]
	ds_load_b128 v[128:131], v1 offset:928
	ds_load_b128 v[1:4], v1 offset:944
	s_waitcnt lgkmcnt(1)
	v_fma_f64 v[128:129], v[134:135], v[128:129], v[132:133]
	s_waitcnt vmcnt(0)
	s_delay_alu instid0(VALU_DEP_1) | instskip(SKIP_1) | instid1(VALU_DEP_1)
	v_fma_f64 v[128:129], v[144:145], v[130:131], v[128:129]
	s_waitcnt lgkmcnt(0)
	v_fma_f64 v[1:2], v[146:147], v[1:2], v[128:129]
	s_delay_alu instid0(VALU_DEP_1) | instskip(NEXT) | instid1(VALU_DEP_1)
	v_fma_f64 v[1:2], v[148:149], v[3:4], v[1:2]
	v_add_f64 v[1:2], v[126:127], -v[1:2]
	scratch_store_b64 off, v[1:2], off offset:312
	v_cmpx_lt_u32_e32 38, v0
	s_cbranch_execz .LBB59_293
; %bb.292:
	scratch_load_b64 v[1:2], off, off offset:304
	v_mov_b32_e32 v3, 0
	s_delay_alu instid0(VALU_DEP_1)
	v_mov_b32_e32 v4, v3
	scratch_store_b64 off, v[3:4], off offset:304
	s_waitcnt vmcnt(0)
	ds_store_b64 v5, v[1:2]
.LBB59_293:
	s_or_b32 exec_lo, exec_lo, s0
	s_waitcnt lgkmcnt(0)
	s_waitcnt_vscnt null, 0x0
	s_barrier
	buffer_gl0_inv
	s_clause 0x4
	scratch_load_b128 v[126:129], off, off offset:304
	scratch_load_b128 v[130:133], off, off offset:320
	;; [unrolled: 1-line block ×5, first 2 shown]
	v_mov_b32_e32 v1, 0
	ds_load_2addr_b64 v[146:149], v1 offset0:99 offset1:100
	ds_load_2addr_b64 v[150:153], v1 offset0:101 offset1:102
	scratch_load_b128 v[154:157], off, off offset:384
	s_mov_b32 s0, exec_lo
	s_waitcnt vmcnt(5) lgkmcnt(1)
	v_fma_f64 v[2:3], v[128:129], v[146:147], 0
	s_waitcnt vmcnt(4)
	s_delay_alu instid0(VALU_DEP_1) | instskip(SKIP_4) | instid1(VALU_DEP_1)
	v_fma_f64 v[2:3], v[130:131], v[148:149], v[2:3]
	scratch_load_b128 v[128:131], off, off offset:400
	s_waitcnt lgkmcnt(0)
	v_fma_f64 v[2:3], v[132:133], v[150:151], v[2:3]
	s_waitcnt vmcnt(4)
	v_fma_f64 v[2:3], v[134:135], v[152:153], v[2:3]
	ds_load_2addr_b64 v[132:135], v1 offset0:103 offset1:104
	ds_load_2addr_b64 v[146:149], v1 offset0:105 offset1:106
	scratch_load_b128 v[150:153], off, off offset:416
	s_waitcnt lgkmcnt(1)
	v_fma_f64 v[2:3], v[136:137], v[132:133], v[2:3]
	s_waitcnt vmcnt(4)
	s_delay_alu instid0(VALU_DEP_1) | instskip(SKIP_4) | instid1(VALU_DEP_1)
	v_fma_f64 v[2:3], v[138:139], v[134:135], v[2:3]
	scratch_load_b128 v[132:135], off, off offset:432
	s_waitcnt lgkmcnt(0)
	v_fma_f64 v[2:3], v[140:141], v[146:147], v[2:3]
	s_waitcnt vmcnt(4)
	v_fma_f64 v[2:3], v[142:143], v[148:149], v[2:3]
	ds_load_2addr_b64 v[136:139], v1 offset0:107 offset1:108
	ds_load_2addr_b64 v[140:143], v1 offset0:109 offset1:110
	s_waitcnt lgkmcnt(1)
	v_fma_f64 v[2:3], v[144:145], v[136:137], v[2:3]
	scratch_load_b128 v[144:147], off, off offset:448
	s_waitcnt vmcnt(4)
	v_fma_f64 v[2:3], v[154:155], v[138:139], v[2:3]
	scratch_load_b128 v[136:139], off, off offset:464
	s_waitcnt lgkmcnt(0)
	v_fma_f64 v[2:3], v[156:157], v[140:141], v[2:3]
	s_waitcnt vmcnt(4)
	s_delay_alu instid0(VALU_DEP_1)
	v_fma_f64 v[2:3], v[128:129], v[142:143], v[2:3]
	ds_load_2addr_b64 v[140:143], v1 offset0:111 offset1:112
	ds_load_2addr_b64 v[154:157], v1 offset0:113 offset1:114
	s_waitcnt lgkmcnt(1)
	v_fma_f64 v[2:3], v[130:131], v[140:141], v[2:3]
	s_waitcnt vmcnt(3)
	s_delay_alu instid0(VALU_DEP_1)
	v_fma_f64 v[2:3], v[150:151], v[142:143], v[2:3]
	ds_load_2addr_b64 v[128:131], v1 offset0:115 offset1:116
	ds_load_2addr_b64 v[140:143], v1 offset0:117 offset1:118
	s_waitcnt lgkmcnt(2)
	v_fma_f64 v[2:3], v[152:153], v[154:155], v[2:3]
	s_waitcnt vmcnt(2)
	s_delay_alu instid0(VALU_DEP_1) | instskip(SKIP_1) | instid1(VALU_DEP_1)
	v_fma_f64 v[2:3], v[132:133], v[156:157], v[2:3]
	s_waitcnt lgkmcnt(1)
	v_fma_f64 v[2:3], v[134:135], v[128:129], v[2:3]
	ds_load_b64 v[128:129], v1 offset:952
	s_waitcnt vmcnt(1)
	v_fma_f64 v[2:3], v[144:145], v[130:131], v[2:3]
	s_waitcnt lgkmcnt(1)
	s_delay_alu instid0(VALU_DEP_1) | instskip(SKIP_1) | instid1(VALU_DEP_1)
	v_fma_f64 v[2:3], v[146:147], v[140:141], v[2:3]
	s_waitcnt vmcnt(0)
	v_fma_f64 v[2:3], v[136:137], v[142:143], v[2:3]
	s_waitcnt lgkmcnt(0)
	s_delay_alu instid0(VALU_DEP_1) | instskip(NEXT) | instid1(VALU_DEP_1)
	v_fma_f64 v[2:3], v[138:139], v[128:129], v[2:3]
	v_add_f64 v[2:3], v[126:127], -v[2:3]
	scratch_store_b64 off, v[2:3], off offset:304
	v_cmpx_lt_u32_e32 37, v0
	s_cbranch_execz .LBB59_295
; %bb.294:
	scratch_load_b64 v[3:4], off, off offset:296
	v_mov_b32_e32 v2, v1
	scratch_store_b64 off, v[1:2], off offset:296
	s_waitcnt vmcnt(0)
	ds_store_b64 v5, v[3:4]
.LBB59_295:
	s_or_b32 exec_lo, exec_lo, s0
	s_waitcnt lgkmcnt(0)
	s_waitcnt_vscnt null, 0x0
	s_barrier
	buffer_gl0_inv
	s_clause 0x4
	scratch_load_b128 v[126:129], off, off offset:296
	scratch_load_b128 v[130:133], off, off offset:312
	;; [unrolled: 1-line block ×5, first 2 shown]
	ds_load_b128 v[146:149], v1 offset:784
	ds_load_b128 v[150:153], v1 offset:800
	scratch_load_b128 v[154:157], off, off offset:376
	s_mov_b32 s0, exec_lo
	s_waitcnt vmcnt(5) lgkmcnt(1)
	v_fma_f64 v[2:3], v[128:129], v[146:147], 0
	s_waitcnt vmcnt(4)
	s_delay_alu instid0(VALU_DEP_1) | instskip(SKIP_4) | instid1(VALU_DEP_1)
	v_fma_f64 v[2:3], v[130:131], v[148:149], v[2:3]
	scratch_load_b128 v[128:131], off, off offset:392
	s_waitcnt lgkmcnt(0)
	v_fma_f64 v[2:3], v[132:133], v[150:151], v[2:3]
	s_waitcnt vmcnt(4)
	v_fma_f64 v[2:3], v[134:135], v[152:153], v[2:3]
	ds_load_b128 v[132:135], v1 offset:816
	ds_load_b128 v[146:149], v1 offset:832
	scratch_load_b128 v[150:153], off, off offset:408
	s_waitcnt lgkmcnt(1)
	v_fma_f64 v[2:3], v[136:137], v[132:133], v[2:3]
	s_waitcnt vmcnt(4)
	s_delay_alu instid0(VALU_DEP_1) | instskip(SKIP_4) | instid1(VALU_DEP_1)
	v_fma_f64 v[2:3], v[138:139], v[134:135], v[2:3]
	scratch_load_b128 v[132:135], off, off offset:424
	s_waitcnt lgkmcnt(0)
	v_fma_f64 v[2:3], v[140:141], v[146:147], v[2:3]
	s_waitcnt vmcnt(4)
	v_fma_f64 v[2:3], v[142:143], v[148:149], v[2:3]
	ds_load_b128 v[136:139], v1 offset:848
	ds_load_b128 v[140:143], v1 offset:864
	s_waitcnt lgkmcnt(1)
	v_fma_f64 v[2:3], v[144:145], v[136:137], v[2:3]
	scratch_load_b128 v[144:147], off, off offset:440
	s_waitcnt vmcnt(4)
	v_fma_f64 v[2:3], v[154:155], v[138:139], v[2:3]
	scratch_load_b128 v[136:139], off, off offset:456
	s_waitcnt lgkmcnt(0)
	v_fma_f64 v[2:3], v[156:157], v[140:141], v[2:3]
	s_waitcnt vmcnt(4)
	s_delay_alu instid0(VALU_DEP_1)
	v_fma_f64 v[2:3], v[128:129], v[142:143], v[2:3]
	ds_load_b128 v[140:143], v1 offset:880
	ds_load_b128 v[154:157], v1 offset:896
	scratch_load_b64 v[148:149], off, off offset:472
	s_waitcnt lgkmcnt(1)
	v_fma_f64 v[2:3], v[130:131], v[140:141], v[2:3]
	s_waitcnt vmcnt(4)
	s_delay_alu instid0(VALU_DEP_1)
	v_fma_f64 v[2:3], v[150:151], v[142:143], v[2:3]
	ds_load_b128 v[128:131], v1 offset:912
	ds_load_b128 v[140:143], v1 offset:928
	s_waitcnt lgkmcnt(2)
	v_fma_f64 v[2:3], v[152:153], v[154:155], v[2:3]
	s_waitcnt vmcnt(3)
	s_delay_alu instid0(VALU_DEP_1) | instskip(SKIP_1) | instid1(VALU_DEP_1)
	v_fma_f64 v[2:3], v[132:133], v[156:157], v[2:3]
	s_waitcnt lgkmcnt(1)
	v_fma_f64 v[2:3], v[134:135], v[128:129], v[2:3]
	s_waitcnt vmcnt(2)
	s_delay_alu instid0(VALU_DEP_1) | instskip(SKIP_1) | instid1(VALU_DEP_1)
	v_fma_f64 v[2:3], v[144:145], v[130:131], v[2:3]
	s_waitcnt lgkmcnt(0)
	v_fma_f64 v[2:3], v[146:147], v[140:141], v[2:3]
	s_waitcnt vmcnt(1)
	s_delay_alu instid0(VALU_DEP_1) | instskip(SKIP_4) | instid1(VALU_DEP_1)
	v_fma_f64 v[128:129], v[136:137], v[142:143], v[2:3]
	ds_load_b128 v[1:4], v1 offset:944
	s_waitcnt lgkmcnt(0)
	v_fma_f64 v[1:2], v[138:139], v[1:2], v[128:129]
	s_waitcnt vmcnt(0)
	v_fma_f64 v[1:2], v[148:149], v[3:4], v[1:2]
	s_delay_alu instid0(VALU_DEP_1)
	v_add_f64 v[1:2], v[126:127], -v[1:2]
	scratch_store_b64 off, v[1:2], off offset:296
	v_cmpx_lt_u32_e32 36, v0
	s_cbranch_execz .LBB59_297
; %bb.296:
	scratch_load_b64 v[1:2], off, off offset:288
	v_mov_b32_e32 v3, 0
	s_delay_alu instid0(VALU_DEP_1)
	v_mov_b32_e32 v4, v3
	scratch_store_b64 off, v[3:4], off offset:288
	s_waitcnt vmcnt(0)
	ds_store_b64 v5, v[1:2]
.LBB59_297:
	s_or_b32 exec_lo, exec_lo, s0
	s_waitcnt lgkmcnt(0)
	s_waitcnt_vscnt null, 0x0
	s_barrier
	buffer_gl0_inv
	s_clause 0x4
	scratch_load_b128 v[126:129], off, off offset:288
	scratch_load_b128 v[130:133], off, off offset:304
	;; [unrolled: 1-line block ×5, first 2 shown]
	v_mov_b32_e32 v1, 0
	ds_load_2addr_b64 v[146:149], v1 offset0:97 offset1:98
	ds_load_2addr_b64 v[150:153], v1 offset0:99 offset1:100
	scratch_load_b128 v[154:157], off, off offset:368
	s_mov_b32 s0, exec_lo
	s_waitcnt vmcnt(5) lgkmcnt(1)
	v_fma_f64 v[2:3], v[128:129], v[146:147], 0
	s_waitcnt vmcnt(4)
	s_delay_alu instid0(VALU_DEP_1) | instskip(SKIP_4) | instid1(VALU_DEP_1)
	v_fma_f64 v[2:3], v[130:131], v[148:149], v[2:3]
	scratch_load_b128 v[128:131], off, off offset:384
	s_waitcnt lgkmcnt(0)
	v_fma_f64 v[2:3], v[132:133], v[150:151], v[2:3]
	s_waitcnt vmcnt(4)
	v_fma_f64 v[2:3], v[134:135], v[152:153], v[2:3]
	ds_load_2addr_b64 v[132:135], v1 offset0:101 offset1:102
	ds_load_2addr_b64 v[146:149], v1 offset0:103 offset1:104
	scratch_load_b128 v[150:153], off, off offset:400
	s_waitcnt lgkmcnt(1)
	v_fma_f64 v[2:3], v[136:137], v[132:133], v[2:3]
	s_waitcnt vmcnt(4)
	s_delay_alu instid0(VALU_DEP_1) | instskip(SKIP_4) | instid1(VALU_DEP_1)
	v_fma_f64 v[2:3], v[138:139], v[134:135], v[2:3]
	scratch_load_b128 v[132:135], off, off offset:416
	s_waitcnt lgkmcnt(0)
	v_fma_f64 v[2:3], v[140:141], v[146:147], v[2:3]
	s_waitcnt vmcnt(4)
	v_fma_f64 v[2:3], v[142:143], v[148:149], v[2:3]
	ds_load_2addr_b64 v[136:139], v1 offset0:105 offset1:106
	ds_load_2addr_b64 v[140:143], v1 offset0:107 offset1:108
	s_waitcnt lgkmcnt(1)
	v_fma_f64 v[2:3], v[144:145], v[136:137], v[2:3]
	scratch_load_b128 v[144:147], off, off offset:432
	s_waitcnt vmcnt(4)
	v_fma_f64 v[2:3], v[154:155], v[138:139], v[2:3]
	scratch_load_b128 v[136:139], off, off offset:448
	s_waitcnt lgkmcnt(0)
	v_fma_f64 v[2:3], v[156:157], v[140:141], v[2:3]
	s_waitcnt vmcnt(4)
	s_delay_alu instid0(VALU_DEP_1)
	v_fma_f64 v[2:3], v[128:129], v[142:143], v[2:3]
	ds_load_2addr_b64 v[140:143], v1 offset0:109 offset1:110
	ds_load_2addr_b64 v[154:157], v1 offset0:111 offset1:112
	s_waitcnt lgkmcnt(1)
	v_fma_f64 v[2:3], v[130:131], v[140:141], v[2:3]
	scratch_load_b128 v[128:131], off, off offset:464
	s_waitcnt vmcnt(4)
	v_fma_f64 v[2:3], v[150:151], v[142:143], v[2:3]
	ds_load_2addr_b64 v[140:143], v1 offset0:113 offset1:114
	ds_load_2addr_b64 v[148:151], v1 offset0:115 offset1:116
	s_waitcnt lgkmcnt(2)
	v_fma_f64 v[2:3], v[152:153], v[154:155], v[2:3]
	s_waitcnt vmcnt(3)
	s_delay_alu instid0(VALU_DEP_1) | instskip(SKIP_1) | instid1(VALU_DEP_1)
	v_fma_f64 v[2:3], v[132:133], v[156:157], v[2:3]
	s_waitcnt lgkmcnt(1)
	v_fma_f64 v[2:3], v[134:135], v[140:141], v[2:3]
	s_waitcnt vmcnt(2)
	s_delay_alu instid0(VALU_DEP_1) | instskip(SKIP_1) | instid1(VALU_DEP_1)
	v_fma_f64 v[2:3], v[144:145], v[142:143], v[2:3]
	s_waitcnt lgkmcnt(0)
	v_fma_f64 v[2:3], v[146:147], v[148:149], v[2:3]
	s_waitcnt vmcnt(1)
	s_delay_alu instid0(VALU_DEP_1)
	v_fma_f64 v[2:3], v[136:137], v[150:151], v[2:3]
	ds_load_2addr_b64 v[132:135], v1 offset0:117 offset1:118
	ds_load_b64 v[136:137], v1 offset:952
	s_waitcnt lgkmcnt(1)
	v_fma_f64 v[2:3], v[138:139], v[132:133], v[2:3]
	s_waitcnt vmcnt(0)
	s_delay_alu instid0(VALU_DEP_1) | instskip(SKIP_1) | instid1(VALU_DEP_1)
	v_fma_f64 v[2:3], v[128:129], v[134:135], v[2:3]
	s_waitcnt lgkmcnt(0)
	v_fma_f64 v[2:3], v[130:131], v[136:137], v[2:3]
	s_delay_alu instid0(VALU_DEP_1)
	v_add_f64 v[2:3], v[126:127], -v[2:3]
	scratch_store_b64 off, v[2:3], off offset:288
	v_cmpx_lt_u32_e32 35, v0
	s_cbranch_execz .LBB59_299
; %bb.298:
	scratch_load_b64 v[3:4], off, off offset:280
	v_mov_b32_e32 v2, v1
	scratch_store_b64 off, v[1:2], off offset:280
	s_waitcnt vmcnt(0)
	ds_store_b64 v5, v[3:4]
.LBB59_299:
	s_or_b32 exec_lo, exec_lo, s0
	s_waitcnt lgkmcnt(0)
	s_waitcnt_vscnt null, 0x0
	s_barrier
	buffer_gl0_inv
	s_clause 0x4
	scratch_load_b128 v[126:129], off, off offset:280
	scratch_load_b128 v[130:133], off, off offset:296
	;; [unrolled: 1-line block ×5, first 2 shown]
	ds_load_b128 v[146:149], v1 offset:768
	ds_load_b128 v[150:153], v1 offset:784
	scratch_load_b128 v[154:157], off, off offset:360
	s_mov_b32 s0, exec_lo
	s_waitcnt vmcnt(5) lgkmcnt(1)
	v_fma_f64 v[2:3], v[128:129], v[146:147], 0
	s_waitcnt vmcnt(4)
	s_delay_alu instid0(VALU_DEP_1) | instskip(SKIP_4) | instid1(VALU_DEP_1)
	v_fma_f64 v[2:3], v[130:131], v[148:149], v[2:3]
	scratch_load_b128 v[128:131], off, off offset:376
	s_waitcnt lgkmcnt(0)
	v_fma_f64 v[2:3], v[132:133], v[150:151], v[2:3]
	s_waitcnt vmcnt(4)
	v_fma_f64 v[2:3], v[134:135], v[152:153], v[2:3]
	ds_load_b128 v[132:135], v1 offset:800
	ds_load_b128 v[146:149], v1 offset:816
	scratch_load_b128 v[150:153], off, off offset:392
	s_waitcnt lgkmcnt(1)
	v_fma_f64 v[2:3], v[136:137], v[132:133], v[2:3]
	s_waitcnt vmcnt(4)
	s_delay_alu instid0(VALU_DEP_1) | instskip(SKIP_4) | instid1(VALU_DEP_1)
	v_fma_f64 v[2:3], v[138:139], v[134:135], v[2:3]
	scratch_load_b128 v[132:135], off, off offset:408
	s_waitcnt lgkmcnt(0)
	v_fma_f64 v[2:3], v[140:141], v[146:147], v[2:3]
	s_waitcnt vmcnt(4)
	v_fma_f64 v[2:3], v[142:143], v[148:149], v[2:3]
	ds_load_b128 v[136:139], v1 offset:832
	ds_load_b128 v[140:143], v1 offset:848
	s_waitcnt lgkmcnt(1)
	v_fma_f64 v[2:3], v[144:145], v[136:137], v[2:3]
	scratch_load_b128 v[144:147], off, off offset:424
	s_waitcnt vmcnt(4)
	v_fma_f64 v[2:3], v[154:155], v[138:139], v[2:3]
	scratch_load_b128 v[136:139], off, off offset:440
	s_waitcnt lgkmcnt(0)
	v_fma_f64 v[2:3], v[156:157], v[140:141], v[2:3]
	s_waitcnt vmcnt(4)
	s_delay_alu instid0(VALU_DEP_1)
	v_fma_f64 v[2:3], v[128:129], v[142:143], v[2:3]
	ds_load_b128 v[140:143], v1 offset:864
	ds_load_b128 v[154:157], v1 offset:880
	s_waitcnt lgkmcnt(1)
	v_fma_f64 v[2:3], v[130:131], v[140:141], v[2:3]
	scratch_load_b128 v[128:131], off, off offset:456
	s_waitcnt vmcnt(4)
	v_fma_f64 v[2:3], v[150:151], v[142:143], v[2:3]
	s_waitcnt lgkmcnt(0)
	s_delay_alu instid0(VALU_DEP_1)
	v_fma_f64 v[2:3], v[152:153], v[154:155], v[2:3]
	scratch_load_b64 v[152:153], off, off offset:472
	ds_load_b128 v[140:143], v1 offset:896
	ds_load_b128 v[148:151], v1 offset:912
	s_waitcnt vmcnt(4)
	v_fma_f64 v[2:3], v[132:133], v[156:157], v[2:3]
	s_waitcnt lgkmcnt(1)
	s_delay_alu instid0(VALU_DEP_1) | instskip(SKIP_1) | instid1(VALU_DEP_1)
	v_fma_f64 v[2:3], v[134:135], v[140:141], v[2:3]
	s_waitcnt vmcnt(3)
	v_fma_f64 v[2:3], v[144:145], v[142:143], v[2:3]
	s_waitcnt lgkmcnt(0)
	s_delay_alu instid0(VALU_DEP_1) | instskip(SKIP_1) | instid1(VALU_DEP_1)
	v_fma_f64 v[2:3], v[146:147], v[148:149], v[2:3]
	s_waitcnt vmcnt(2)
	v_fma_f64 v[136:137], v[136:137], v[150:151], v[2:3]
	ds_load_b128 v[132:135], v1 offset:928
	ds_load_b128 v[1:4], v1 offset:944
	s_waitcnt lgkmcnt(1)
	v_fma_f64 v[132:133], v[138:139], v[132:133], v[136:137]
	s_waitcnt vmcnt(1)
	s_delay_alu instid0(VALU_DEP_1) | instskip(SKIP_1) | instid1(VALU_DEP_1)
	v_fma_f64 v[128:129], v[128:129], v[134:135], v[132:133]
	s_waitcnt lgkmcnt(0)
	v_fma_f64 v[1:2], v[130:131], v[1:2], v[128:129]
	s_waitcnt vmcnt(0)
	s_delay_alu instid0(VALU_DEP_1) | instskip(NEXT) | instid1(VALU_DEP_1)
	v_fma_f64 v[1:2], v[152:153], v[3:4], v[1:2]
	v_add_f64 v[1:2], v[126:127], -v[1:2]
	scratch_store_b64 off, v[1:2], off offset:280
	v_cmpx_lt_u32_e32 34, v0
	s_cbranch_execz .LBB59_301
; %bb.300:
	scratch_load_b64 v[1:2], off, off offset:272
	v_mov_b32_e32 v3, 0
	s_delay_alu instid0(VALU_DEP_1)
	v_mov_b32_e32 v4, v3
	scratch_store_b64 off, v[3:4], off offset:272
	s_waitcnt vmcnt(0)
	ds_store_b64 v5, v[1:2]
.LBB59_301:
	s_or_b32 exec_lo, exec_lo, s0
	s_waitcnt lgkmcnt(0)
	s_waitcnt_vscnt null, 0x0
	s_barrier
	buffer_gl0_inv
	s_clause 0x4
	scratch_load_b128 v[126:129], off, off offset:272
	scratch_load_b128 v[130:133], off, off offset:288
	;; [unrolled: 1-line block ×5, first 2 shown]
	v_mov_b32_e32 v1, 0
	ds_load_2addr_b64 v[146:149], v1 offset0:95 offset1:96
	ds_load_2addr_b64 v[150:153], v1 offset0:97 offset1:98
	scratch_load_b128 v[154:157], off, off offset:352
	s_mov_b32 s0, exec_lo
	s_waitcnt vmcnt(5) lgkmcnt(1)
	v_fma_f64 v[2:3], v[128:129], v[146:147], 0
	s_waitcnt vmcnt(4)
	s_delay_alu instid0(VALU_DEP_1) | instskip(SKIP_4) | instid1(VALU_DEP_1)
	v_fma_f64 v[2:3], v[130:131], v[148:149], v[2:3]
	scratch_load_b128 v[128:131], off, off offset:368
	s_waitcnt lgkmcnt(0)
	v_fma_f64 v[2:3], v[132:133], v[150:151], v[2:3]
	s_waitcnt vmcnt(4)
	v_fma_f64 v[2:3], v[134:135], v[152:153], v[2:3]
	ds_load_2addr_b64 v[132:135], v1 offset0:99 offset1:100
	ds_load_2addr_b64 v[146:149], v1 offset0:101 offset1:102
	scratch_load_b128 v[150:153], off, off offset:384
	s_waitcnt lgkmcnt(1)
	v_fma_f64 v[2:3], v[136:137], v[132:133], v[2:3]
	s_waitcnt vmcnt(4)
	s_delay_alu instid0(VALU_DEP_1) | instskip(SKIP_4) | instid1(VALU_DEP_1)
	v_fma_f64 v[2:3], v[138:139], v[134:135], v[2:3]
	scratch_load_b128 v[132:135], off, off offset:400
	s_waitcnt lgkmcnt(0)
	v_fma_f64 v[2:3], v[140:141], v[146:147], v[2:3]
	s_waitcnt vmcnt(4)
	v_fma_f64 v[2:3], v[142:143], v[148:149], v[2:3]
	ds_load_2addr_b64 v[136:139], v1 offset0:103 offset1:104
	ds_load_2addr_b64 v[140:143], v1 offset0:105 offset1:106
	s_waitcnt lgkmcnt(1)
	v_fma_f64 v[2:3], v[144:145], v[136:137], v[2:3]
	scratch_load_b128 v[144:147], off, off offset:416
	s_waitcnt vmcnt(4)
	v_fma_f64 v[2:3], v[154:155], v[138:139], v[2:3]
	scratch_load_b128 v[136:139], off, off offset:432
	s_waitcnt lgkmcnt(0)
	v_fma_f64 v[2:3], v[156:157], v[140:141], v[2:3]
	s_waitcnt vmcnt(4)
	s_delay_alu instid0(VALU_DEP_1)
	v_fma_f64 v[2:3], v[128:129], v[142:143], v[2:3]
	ds_load_2addr_b64 v[140:143], v1 offset0:107 offset1:108
	ds_load_2addr_b64 v[154:157], v1 offset0:109 offset1:110
	s_waitcnt lgkmcnt(1)
	v_fma_f64 v[2:3], v[130:131], v[140:141], v[2:3]
	scratch_load_b128 v[128:131], off, off offset:448
	s_waitcnt vmcnt(4)
	v_fma_f64 v[2:3], v[150:151], v[142:143], v[2:3]
	scratch_load_b128 v[140:143], off, off offset:464
	s_waitcnt lgkmcnt(0)
	v_fma_f64 v[2:3], v[152:153], v[154:155], v[2:3]
	ds_load_2addr_b64 v[148:151], v1 offset0:111 offset1:112
	ds_load_2addr_b64 v[152:155], v1 offset0:113 offset1:114
	s_waitcnt vmcnt(4)
	v_fma_f64 v[2:3], v[132:133], v[156:157], v[2:3]
	s_waitcnt lgkmcnt(1)
	s_delay_alu instid0(VALU_DEP_1) | instskip(SKIP_1) | instid1(VALU_DEP_1)
	v_fma_f64 v[2:3], v[134:135], v[148:149], v[2:3]
	s_waitcnt vmcnt(3)
	v_fma_f64 v[2:3], v[144:145], v[150:151], v[2:3]
	s_waitcnt lgkmcnt(0)
	s_delay_alu instid0(VALU_DEP_1)
	v_fma_f64 v[2:3], v[146:147], v[152:153], v[2:3]
	ds_load_2addr_b64 v[132:135], v1 offset0:115 offset1:116
	ds_load_2addr_b64 v[144:147], v1 offset0:117 offset1:118
	s_waitcnt vmcnt(2)
	v_fma_f64 v[2:3], v[136:137], v[154:155], v[2:3]
	s_waitcnt lgkmcnt(1)
	s_delay_alu instid0(VALU_DEP_1) | instskip(SKIP_1) | instid1(VALU_DEP_1)
	v_fma_f64 v[2:3], v[138:139], v[132:133], v[2:3]
	s_waitcnt vmcnt(1)
	v_fma_f64 v[2:3], v[128:129], v[134:135], v[2:3]
	ds_load_b64 v[128:129], v1 offset:952
	s_waitcnt lgkmcnt(1)
	v_fma_f64 v[2:3], v[130:131], v[144:145], v[2:3]
	s_waitcnt vmcnt(0)
	s_delay_alu instid0(VALU_DEP_1) | instskip(SKIP_1) | instid1(VALU_DEP_1)
	v_fma_f64 v[2:3], v[140:141], v[146:147], v[2:3]
	s_waitcnt lgkmcnt(0)
	v_fma_f64 v[2:3], v[142:143], v[128:129], v[2:3]
	s_delay_alu instid0(VALU_DEP_1)
	v_add_f64 v[2:3], v[126:127], -v[2:3]
	scratch_store_b64 off, v[2:3], off offset:272
	v_cmpx_lt_u32_e32 33, v0
	s_cbranch_execz .LBB59_303
; %bb.302:
	scratch_load_b64 v[3:4], off, off offset:264
	v_mov_b32_e32 v2, v1
	scratch_store_b64 off, v[1:2], off offset:264
	s_waitcnt vmcnt(0)
	ds_store_b64 v5, v[3:4]
.LBB59_303:
	s_or_b32 exec_lo, exec_lo, s0
	s_waitcnt lgkmcnt(0)
	s_waitcnt_vscnt null, 0x0
	s_barrier
	buffer_gl0_inv
	s_clause 0x4
	scratch_load_b128 v[126:129], off, off offset:264
	scratch_load_b128 v[130:133], off, off offset:280
	;; [unrolled: 1-line block ×5, first 2 shown]
	ds_load_b128 v[146:149], v1 offset:752
	ds_load_b128 v[150:153], v1 offset:768
	scratch_load_b128 v[154:157], off, off offset:344
	s_mov_b32 s0, exec_lo
	s_waitcnt vmcnt(5) lgkmcnt(1)
	v_fma_f64 v[2:3], v[128:129], v[146:147], 0
	s_waitcnt vmcnt(4)
	s_delay_alu instid0(VALU_DEP_1) | instskip(SKIP_4) | instid1(VALU_DEP_1)
	v_fma_f64 v[2:3], v[130:131], v[148:149], v[2:3]
	scratch_load_b128 v[128:131], off, off offset:360
	s_waitcnt lgkmcnt(0)
	v_fma_f64 v[2:3], v[132:133], v[150:151], v[2:3]
	s_waitcnt vmcnt(4)
	v_fma_f64 v[2:3], v[134:135], v[152:153], v[2:3]
	ds_load_b128 v[132:135], v1 offset:784
	ds_load_b128 v[146:149], v1 offset:800
	scratch_load_b128 v[150:153], off, off offset:376
	s_waitcnt lgkmcnt(1)
	v_fma_f64 v[2:3], v[136:137], v[132:133], v[2:3]
	s_waitcnt vmcnt(4)
	s_delay_alu instid0(VALU_DEP_1) | instskip(SKIP_4) | instid1(VALU_DEP_1)
	v_fma_f64 v[2:3], v[138:139], v[134:135], v[2:3]
	scratch_load_b128 v[132:135], off, off offset:392
	s_waitcnt lgkmcnt(0)
	v_fma_f64 v[2:3], v[140:141], v[146:147], v[2:3]
	s_waitcnt vmcnt(4)
	v_fma_f64 v[2:3], v[142:143], v[148:149], v[2:3]
	ds_load_b128 v[136:139], v1 offset:816
	ds_load_b128 v[140:143], v1 offset:832
	s_waitcnt lgkmcnt(1)
	v_fma_f64 v[2:3], v[144:145], v[136:137], v[2:3]
	scratch_load_b128 v[144:147], off, off offset:408
	s_waitcnt vmcnt(4)
	v_fma_f64 v[2:3], v[154:155], v[138:139], v[2:3]
	scratch_load_b128 v[136:139], off, off offset:424
	s_waitcnt lgkmcnt(0)
	v_fma_f64 v[2:3], v[156:157], v[140:141], v[2:3]
	s_waitcnt vmcnt(4)
	s_delay_alu instid0(VALU_DEP_1)
	v_fma_f64 v[2:3], v[128:129], v[142:143], v[2:3]
	ds_load_b128 v[140:143], v1 offset:848
	ds_load_b128 v[154:157], v1 offset:864
	s_waitcnt lgkmcnt(1)
	v_fma_f64 v[2:3], v[130:131], v[140:141], v[2:3]
	scratch_load_b128 v[128:131], off, off offset:440
	s_waitcnt vmcnt(4)
	v_fma_f64 v[2:3], v[150:151], v[142:143], v[2:3]
	scratch_load_b128 v[140:143], off, off offset:456
	s_waitcnt lgkmcnt(0)
	v_fma_f64 v[2:3], v[152:153], v[154:155], v[2:3]
	ds_load_b128 v[148:151], v1 offset:880
	ds_load_b128 v[152:155], v1 offset:896
	s_waitcnt vmcnt(4)
	v_fma_f64 v[2:3], v[132:133], v[156:157], v[2:3]
	s_waitcnt lgkmcnt(1)
	s_delay_alu instid0(VALU_DEP_1) | instskip(SKIP_4) | instid1(VALU_DEP_1)
	v_fma_f64 v[2:3], v[134:135], v[148:149], v[2:3]
	scratch_load_b64 v[148:149], off, off offset:472
	s_waitcnt vmcnt(4)
	v_fma_f64 v[2:3], v[144:145], v[150:151], v[2:3]
	s_waitcnt lgkmcnt(0)
	v_fma_f64 v[2:3], v[146:147], v[152:153], v[2:3]
	ds_load_b128 v[132:135], v1 offset:912
	ds_load_b128 v[144:147], v1 offset:928
	s_waitcnt vmcnt(3)
	v_fma_f64 v[2:3], v[136:137], v[154:155], v[2:3]
	s_waitcnt lgkmcnt(1)
	s_delay_alu instid0(VALU_DEP_1) | instskip(SKIP_1) | instid1(VALU_DEP_1)
	v_fma_f64 v[2:3], v[138:139], v[132:133], v[2:3]
	s_waitcnt vmcnt(2)
	v_fma_f64 v[2:3], v[128:129], v[134:135], v[2:3]
	s_waitcnt lgkmcnt(0)
	s_delay_alu instid0(VALU_DEP_1) | instskip(SKIP_1) | instid1(VALU_DEP_1)
	v_fma_f64 v[2:3], v[130:131], v[144:145], v[2:3]
	s_waitcnt vmcnt(1)
	v_fma_f64 v[128:129], v[140:141], v[146:147], v[2:3]
	ds_load_b128 v[1:4], v1 offset:944
	s_waitcnt lgkmcnt(0)
	v_fma_f64 v[1:2], v[142:143], v[1:2], v[128:129]
	s_waitcnt vmcnt(0)
	s_delay_alu instid0(VALU_DEP_1) | instskip(NEXT) | instid1(VALU_DEP_1)
	v_fma_f64 v[1:2], v[148:149], v[3:4], v[1:2]
	v_add_f64 v[1:2], v[126:127], -v[1:2]
	scratch_store_b64 off, v[1:2], off offset:264
	v_cmpx_lt_u32_e32 32, v0
	s_cbranch_execz .LBB59_305
; %bb.304:
	scratch_load_b64 v[1:2], off, off offset:256
	v_mov_b32_e32 v3, 0
	s_delay_alu instid0(VALU_DEP_1)
	v_mov_b32_e32 v4, v3
	scratch_store_b64 off, v[3:4], off offset:256
	s_waitcnt vmcnt(0)
	ds_store_b64 v5, v[1:2]
.LBB59_305:
	s_or_b32 exec_lo, exec_lo, s0
	s_waitcnt lgkmcnt(0)
	s_waitcnt_vscnt null, 0x0
	s_barrier
	buffer_gl0_inv
	s_clause 0x4
	scratch_load_b128 v[126:129], off, off offset:256
	scratch_load_b128 v[130:133], off, off offset:272
	;; [unrolled: 1-line block ×5, first 2 shown]
	v_mov_b32_e32 v1, 0
	ds_load_2addr_b64 v[146:149], v1 offset0:93 offset1:94
	ds_load_2addr_b64 v[150:153], v1 offset0:95 offset1:96
	scratch_load_b128 v[154:157], off, off offset:336
	s_mov_b32 s0, exec_lo
	s_waitcnt vmcnt(5) lgkmcnt(1)
	v_fma_f64 v[2:3], v[128:129], v[146:147], 0
	s_waitcnt vmcnt(4)
	s_delay_alu instid0(VALU_DEP_1) | instskip(SKIP_4) | instid1(VALU_DEP_1)
	v_fma_f64 v[2:3], v[130:131], v[148:149], v[2:3]
	scratch_load_b128 v[128:131], off, off offset:352
	s_waitcnt lgkmcnt(0)
	v_fma_f64 v[2:3], v[132:133], v[150:151], v[2:3]
	s_waitcnt vmcnt(4)
	v_fma_f64 v[2:3], v[134:135], v[152:153], v[2:3]
	ds_load_2addr_b64 v[132:135], v1 offset0:97 offset1:98
	ds_load_2addr_b64 v[146:149], v1 offset0:99 offset1:100
	scratch_load_b128 v[150:153], off, off offset:368
	s_waitcnt lgkmcnt(1)
	v_fma_f64 v[2:3], v[136:137], v[132:133], v[2:3]
	s_waitcnt vmcnt(4)
	s_delay_alu instid0(VALU_DEP_1) | instskip(SKIP_4) | instid1(VALU_DEP_1)
	v_fma_f64 v[2:3], v[138:139], v[134:135], v[2:3]
	scratch_load_b128 v[132:135], off, off offset:384
	s_waitcnt lgkmcnt(0)
	v_fma_f64 v[2:3], v[140:141], v[146:147], v[2:3]
	s_waitcnt vmcnt(4)
	v_fma_f64 v[2:3], v[142:143], v[148:149], v[2:3]
	ds_load_2addr_b64 v[136:139], v1 offset0:101 offset1:102
	ds_load_2addr_b64 v[140:143], v1 offset0:103 offset1:104
	s_waitcnt lgkmcnt(1)
	v_fma_f64 v[2:3], v[144:145], v[136:137], v[2:3]
	scratch_load_b128 v[144:147], off, off offset:400
	s_waitcnt vmcnt(4)
	v_fma_f64 v[2:3], v[154:155], v[138:139], v[2:3]
	scratch_load_b128 v[136:139], off, off offset:416
	s_waitcnt lgkmcnt(0)
	v_fma_f64 v[2:3], v[156:157], v[140:141], v[2:3]
	s_waitcnt vmcnt(4)
	s_delay_alu instid0(VALU_DEP_1)
	v_fma_f64 v[2:3], v[128:129], v[142:143], v[2:3]
	ds_load_2addr_b64 v[140:143], v1 offset0:105 offset1:106
	ds_load_2addr_b64 v[154:157], v1 offset0:107 offset1:108
	s_waitcnt lgkmcnt(1)
	v_fma_f64 v[2:3], v[130:131], v[140:141], v[2:3]
	scratch_load_b128 v[128:131], off, off offset:432
	s_waitcnt vmcnt(4)
	v_fma_f64 v[2:3], v[150:151], v[142:143], v[2:3]
	scratch_load_b128 v[140:143], off, off offset:448
	s_waitcnt lgkmcnt(0)
	v_fma_f64 v[2:3], v[152:153], v[154:155], v[2:3]
	ds_load_2addr_b64 v[148:151], v1 offset0:109 offset1:110
	ds_load_2addr_b64 v[152:155], v1 offset0:111 offset1:112
	s_waitcnt vmcnt(4)
	v_fma_f64 v[2:3], v[132:133], v[156:157], v[2:3]
	s_waitcnt lgkmcnt(1)
	s_delay_alu instid0(VALU_DEP_1) | instskip(SKIP_4) | instid1(VALU_DEP_1)
	v_fma_f64 v[2:3], v[134:135], v[148:149], v[2:3]
	scratch_load_b128 v[132:135], off, off offset:464
	s_waitcnt vmcnt(4)
	v_fma_f64 v[2:3], v[144:145], v[150:151], v[2:3]
	s_waitcnt lgkmcnt(0)
	v_fma_f64 v[2:3], v[146:147], v[152:153], v[2:3]
	ds_load_2addr_b64 v[144:147], v1 offset0:113 offset1:114
	ds_load_2addr_b64 v[148:151], v1 offset0:115 offset1:116
	s_waitcnt vmcnt(3)
	v_fma_f64 v[2:3], v[136:137], v[154:155], v[2:3]
	s_waitcnt lgkmcnt(1)
	s_delay_alu instid0(VALU_DEP_1) | instskip(SKIP_1) | instid1(VALU_DEP_1)
	v_fma_f64 v[2:3], v[138:139], v[144:145], v[2:3]
	s_waitcnt vmcnt(2)
	v_fma_f64 v[2:3], v[128:129], v[146:147], v[2:3]
	s_waitcnt lgkmcnt(0)
	s_delay_alu instid0(VALU_DEP_1)
	v_fma_f64 v[2:3], v[130:131], v[148:149], v[2:3]
	ds_load_2addr_b64 v[128:131], v1 offset0:117 offset1:118
	ds_load_b64 v[136:137], v1 offset:952
	s_waitcnt vmcnt(1)
	v_fma_f64 v[2:3], v[140:141], v[150:151], v[2:3]
	s_waitcnt lgkmcnt(1)
	s_delay_alu instid0(VALU_DEP_1) | instskip(SKIP_1) | instid1(VALU_DEP_1)
	v_fma_f64 v[2:3], v[142:143], v[128:129], v[2:3]
	s_waitcnt vmcnt(0)
	v_fma_f64 v[2:3], v[132:133], v[130:131], v[2:3]
	s_waitcnt lgkmcnt(0)
	s_delay_alu instid0(VALU_DEP_1) | instskip(NEXT) | instid1(VALU_DEP_1)
	v_fma_f64 v[2:3], v[134:135], v[136:137], v[2:3]
	v_add_f64 v[2:3], v[126:127], -v[2:3]
	scratch_store_b64 off, v[2:3], off offset:256
	v_cmpx_lt_u32_e32 31, v0
	s_cbranch_execz .LBB59_307
; %bb.306:
	scratch_load_b64 v[3:4], off, off offset:248
	v_mov_b32_e32 v2, v1
	scratch_store_b64 off, v[1:2], off offset:248
	s_waitcnt vmcnt(0)
	ds_store_b64 v5, v[3:4]
.LBB59_307:
	s_or_b32 exec_lo, exec_lo, s0
	s_waitcnt lgkmcnt(0)
	s_waitcnt_vscnt null, 0x0
	s_barrier
	buffer_gl0_inv
	s_clause 0x4
	scratch_load_b128 v[126:129], off, off offset:248
	scratch_load_b128 v[130:133], off, off offset:264
	;; [unrolled: 1-line block ×5, first 2 shown]
	ds_load_b128 v[146:149], v1 offset:736
	ds_load_b128 v[150:153], v1 offset:752
	scratch_load_b128 v[154:157], off, off offset:328
	s_mov_b32 s0, exec_lo
	s_waitcnt vmcnt(5) lgkmcnt(1)
	v_fma_f64 v[2:3], v[128:129], v[146:147], 0
	s_waitcnt vmcnt(4)
	s_delay_alu instid0(VALU_DEP_1) | instskip(SKIP_4) | instid1(VALU_DEP_1)
	v_fma_f64 v[2:3], v[130:131], v[148:149], v[2:3]
	scratch_load_b128 v[128:131], off, off offset:344
	s_waitcnt lgkmcnt(0)
	v_fma_f64 v[2:3], v[132:133], v[150:151], v[2:3]
	s_waitcnt vmcnt(4)
	v_fma_f64 v[2:3], v[134:135], v[152:153], v[2:3]
	ds_load_b128 v[132:135], v1 offset:768
	ds_load_b128 v[146:149], v1 offset:784
	scratch_load_b128 v[150:153], off, off offset:360
	s_waitcnt lgkmcnt(1)
	v_fma_f64 v[2:3], v[136:137], v[132:133], v[2:3]
	s_waitcnt vmcnt(4)
	s_delay_alu instid0(VALU_DEP_1) | instskip(SKIP_4) | instid1(VALU_DEP_1)
	v_fma_f64 v[2:3], v[138:139], v[134:135], v[2:3]
	scratch_load_b128 v[132:135], off, off offset:376
	s_waitcnt lgkmcnt(0)
	v_fma_f64 v[2:3], v[140:141], v[146:147], v[2:3]
	s_waitcnt vmcnt(4)
	v_fma_f64 v[2:3], v[142:143], v[148:149], v[2:3]
	ds_load_b128 v[136:139], v1 offset:800
	ds_load_b128 v[140:143], v1 offset:816
	s_waitcnt lgkmcnt(1)
	v_fma_f64 v[2:3], v[144:145], v[136:137], v[2:3]
	scratch_load_b128 v[144:147], off, off offset:392
	s_waitcnt vmcnt(4)
	v_fma_f64 v[2:3], v[154:155], v[138:139], v[2:3]
	scratch_load_b128 v[136:139], off, off offset:408
	s_waitcnt lgkmcnt(0)
	v_fma_f64 v[2:3], v[156:157], v[140:141], v[2:3]
	s_waitcnt vmcnt(4)
	s_delay_alu instid0(VALU_DEP_1)
	v_fma_f64 v[2:3], v[128:129], v[142:143], v[2:3]
	ds_load_b128 v[140:143], v1 offset:832
	ds_load_b128 v[154:157], v1 offset:848
	s_waitcnt lgkmcnt(1)
	v_fma_f64 v[2:3], v[130:131], v[140:141], v[2:3]
	scratch_load_b128 v[128:131], off, off offset:424
	s_waitcnt vmcnt(4)
	v_fma_f64 v[2:3], v[150:151], v[142:143], v[2:3]
	scratch_load_b128 v[140:143], off, off offset:440
	s_waitcnt lgkmcnt(0)
	v_fma_f64 v[2:3], v[152:153], v[154:155], v[2:3]
	ds_load_b128 v[148:151], v1 offset:864
	ds_load_b128 v[152:155], v1 offset:880
	s_waitcnt vmcnt(4)
	v_fma_f64 v[2:3], v[132:133], v[156:157], v[2:3]
	s_waitcnt lgkmcnt(1)
	s_delay_alu instid0(VALU_DEP_1) | instskip(SKIP_4) | instid1(VALU_DEP_1)
	v_fma_f64 v[2:3], v[134:135], v[148:149], v[2:3]
	scratch_load_b128 v[132:135], off, off offset:456
	s_waitcnt vmcnt(4)
	v_fma_f64 v[2:3], v[144:145], v[150:151], v[2:3]
	s_waitcnt lgkmcnt(0)
	v_fma_f64 v[2:3], v[146:147], v[152:153], v[2:3]
	scratch_load_b64 v[152:153], off, off offset:472
	ds_load_b128 v[144:147], v1 offset:896
	ds_load_b128 v[148:151], v1 offset:912
	s_waitcnt vmcnt(4)
	v_fma_f64 v[2:3], v[136:137], v[154:155], v[2:3]
	s_waitcnt lgkmcnt(1)
	s_delay_alu instid0(VALU_DEP_1) | instskip(SKIP_1) | instid1(VALU_DEP_1)
	v_fma_f64 v[2:3], v[138:139], v[144:145], v[2:3]
	s_waitcnt vmcnt(3)
	v_fma_f64 v[2:3], v[128:129], v[146:147], v[2:3]
	s_waitcnt lgkmcnt(0)
	s_delay_alu instid0(VALU_DEP_1) | instskip(SKIP_1) | instid1(VALU_DEP_1)
	v_fma_f64 v[2:3], v[130:131], v[148:149], v[2:3]
	s_waitcnt vmcnt(2)
	v_fma_f64 v[136:137], v[140:141], v[150:151], v[2:3]
	ds_load_b128 v[128:131], v1 offset:928
	ds_load_b128 v[1:4], v1 offset:944
	s_waitcnt lgkmcnt(1)
	v_fma_f64 v[128:129], v[142:143], v[128:129], v[136:137]
	s_waitcnt vmcnt(1)
	s_delay_alu instid0(VALU_DEP_1) | instskip(SKIP_1) | instid1(VALU_DEP_1)
	v_fma_f64 v[128:129], v[132:133], v[130:131], v[128:129]
	s_waitcnt lgkmcnt(0)
	v_fma_f64 v[1:2], v[134:135], v[1:2], v[128:129]
	s_waitcnt vmcnt(0)
	s_delay_alu instid0(VALU_DEP_1) | instskip(NEXT) | instid1(VALU_DEP_1)
	v_fma_f64 v[1:2], v[152:153], v[3:4], v[1:2]
	v_add_f64 v[1:2], v[126:127], -v[1:2]
	scratch_store_b64 off, v[1:2], off offset:248
	v_cmpx_lt_u32_e32 30, v0
	s_cbranch_execz .LBB59_309
; %bb.308:
	scratch_load_b64 v[1:2], off, off offset:240
	v_mov_b32_e32 v3, 0
	s_delay_alu instid0(VALU_DEP_1)
	v_mov_b32_e32 v4, v3
	scratch_store_b64 off, v[3:4], off offset:240
	s_waitcnt vmcnt(0)
	ds_store_b64 v5, v[1:2]
.LBB59_309:
	s_or_b32 exec_lo, exec_lo, s0
	s_waitcnt lgkmcnt(0)
	s_waitcnt_vscnt null, 0x0
	s_barrier
	buffer_gl0_inv
	s_clause 0x4
	scratch_load_b128 v[126:129], off, off offset:240
	scratch_load_b128 v[130:133], off, off offset:256
	;; [unrolled: 1-line block ×5, first 2 shown]
	v_mov_b32_e32 v1, 0
	ds_load_2addr_b64 v[146:149], v1 offset0:91 offset1:92
	ds_load_2addr_b64 v[150:153], v1 offset0:93 offset1:94
	scratch_load_b128 v[154:157], off, off offset:320
	s_mov_b32 s0, exec_lo
	s_waitcnt vmcnt(5) lgkmcnt(1)
	v_fma_f64 v[2:3], v[128:129], v[146:147], 0
	s_waitcnt vmcnt(4)
	s_delay_alu instid0(VALU_DEP_1) | instskip(SKIP_4) | instid1(VALU_DEP_1)
	v_fma_f64 v[2:3], v[130:131], v[148:149], v[2:3]
	scratch_load_b128 v[128:131], off, off offset:336
	s_waitcnt lgkmcnt(0)
	v_fma_f64 v[2:3], v[132:133], v[150:151], v[2:3]
	s_waitcnt vmcnt(4)
	v_fma_f64 v[2:3], v[134:135], v[152:153], v[2:3]
	ds_load_2addr_b64 v[132:135], v1 offset0:95 offset1:96
	ds_load_2addr_b64 v[146:149], v1 offset0:97 offset1:98
	scratch_load_b128 v[150:153], off, off offset:352
	s_waitcnt lgkmcnt(1)
	v_fma_f64 v[2:3], v[136:137], v[132:133], v[2:3]
	s_waitcnt vmcnt(4)
	s_delay_alu instid0(VALU_DEP_1) | instskip(SKIP_4) | instid1(VALU_DEP_1)
	v_fma_f64 v[2:3], v[138:139], v[134:135], v[2:3]
	scratch_load_b128 v[132:135], off, off offset:368
	s_waitcnt lgkmcnt(0)
	v_fma_f64 v[2:3], v[140:141], v[146:147], v[2:3]
	s_waitcnt vmcnt(4)
	v_fma_f64 v[2:3], v[142:143], v[148:149], v[2:3]
	ds_load_2addr_b64 v[136:139], v1 offset0:99 offset1:100
	ds_load_2addr_b64 v[140:143], v1 offset0:101 offset1:102
	s_waitcnt lgkmcnt(1)
	v_fma_f64 v[2:3], v[144:145], v[136:137], v[2:3]
	scratch_load_b128 v[144:147], off, off offset:384
	s_waitcnt vmcnt(4)
	v_fma_f64 v[2:3], v[154:155], v[138:139], v[2:3]
	scratch_load_b128 v[136:139], off, off offset:400
	s_waitcnt lgkmcnt(0)
	v_fma_f64 v[2:3], v[156:157], v[140:141], v[2:3]
	s_waitcnt vmcnt(4)
	s_delay_alu instid0(VALU_DEP_1)
	v_fma_f64 v[2:3], v[128:129], v[142:143], v[2:3]
	ds_load_2addr_b64 v[140:143], v1 offset0:103 offset1:104
	ds_load_2addr_b64 v[154:157], v1 offset0:105 offset1:106
	s_waitcnt lgkmcnt(1)
	v_fma_f64 v[2:3], v[130:131], v[140:141], v[2:3]
	scratch_load_b128 v[128:131], off, off offset:416
	s_waitcnt vmcnt(4)
	v_fma_f64 v[2:3], v[150:151], v[142:143], v[2:3]
	scratch_load_b128 v[140:143], off, off offset:432
	s_waitcnt lgkmcnt(0)
	v_fma_f64 v[2:3], v[152:153], v[154:155], v[2:3]
	ds_load_2addr_b64 v[148:151], v1 offset0:107 offset1:108
	ds_load_2addr_b64 v[152:155], v1 offset0:109 offset1:110
	s_waitcnt vmcnt(4)
	v_fma_f64 v[2:3], v[132:133], v[156:157], v[2:3]
	s_waitcnt lgkmcnt(1)
	s_delay_alu instid0(VALU_DEP_1) | instskip(SKIP_4) | instid1(VALU_DEP_1)
	v_fma_f64 v[2:3], v[134:135], v[148:149], v[2:3]
	scratch_load_b128 v[132:135], off, off offset:448
	s_waitcnt vmcnt(4)
	v_fma_f64 v[2:3], v[144:145], v[150:151], v[2:3]
	s_waitcnt lgkmcnt(0)
	v_fma_f64 v[2:3], v[146:147], v[152:153], v[2:3]
	scratch_load_b128 v[144:147], off, off offset:464
	s_waitcnt vmcnt(4)
	v_fma_f64 v[2:3], v[136:137], v[154:155], v[2:3]
	ds_load_2addr_b64 v[148:151], v1 offset0:111 offset1:112
	ds_load_2addr_b64 v[152:155], v1 offset0:113 offset1:114
	s_waitcnt lgkmcnt(1)
	v_fma_f64 v[2:3], v[138:139], v[148:149], v[2:3]
	s_waitcnt vmcnt(3)
	s_delay_alu instid0(VALU_DEP_1) | instskip(SKIP_1) | instid1(VALU_DEP_1)
	v_fma_f64 v[2:3], v[128:129], v[150:151], v[2:3]
	s_waitcnt lgkmcnt(0)
	v_fma_f64 v[2:3], v[130:131], v[152:153], v[2:3]
	ds_load_2addr_b64 v[128:131], v1 offset0:115 offset1:116
	ds_load_2addr_b64 v[136:139], v1 offset0:117 offset1:118
	s_waitcnt vmcnt(2)
	v_fma_f64 v[2:3], v[140:141], v[154:155], v[2:3]
	s_waitcnt lgkmcnt(1)
	s_delay_alu instid0(VALU_DEP_1) | instskip(SKIP_4) | instid1(VALU_DEP_1)
	v_fma_f64 v[2:3], v[142:143], v[128:129], v[2:3]
	ds_load_b64 v[128:129], v1 offset:952
	s_waitcnt vmcnt(1)
	v_fma_f64 v[2:3], v[132:133], v[130:131], v[2:3]
	s_waitcnt lgkmcnt(1)
	v_fma_f64 v[2:3], v[134:135], v[136:137], v[2:3]
	s_waitcnt vmcnt(0)
	s_delay_alu instid0(VALU_DEP_1) | instskip(SKIP_1) | instid1(VALU_DEP_1)
	v_fma_f64 v[2:3], v[144:145], v[138:139], v[2:3]
	s_waitcnt lgkmcnt(0)
	v_fma_f64 v[2:3], v[146:147], v[128:129], v[2:3]
	s_delay_alu instid0(VALU_DEP_1)
	v_add_f64 v[2:3], v[126:127], -v[2:3]
	scratch_store_b64 off, v[2:3], off offset:240
	v_cmpx_lt_u32_e32 29, v0
	s_cbranch_execz .LBB59_311
; %bb.310:
	scratch_load_b64 v[3:4], off, off offset:232
	v_mov_b32_e32 v2, v1
	scratch_store_b64 off, v[1:2], off offset:232
	s_waitcnt vmcnt(0)
	ds_store_b64 v5, v[3:4]
.LBB59_311:
	s_or_b32 exec_lo, exec_lo, s0
	s_waitcnt lgkmcnt(0)
	s_waitcnt_vscnt null, 0x0
	s_barrier
	buffer_gl0_inv
	s_clause 0x4
	scratch_load_b128 v[126:129], off, off offset:232
	scratch_load_b128 v[130:133], off, off offset:248
	;; [unrolled: 1-line block ×5, first 2 shown]
	ds_load_b128 v[146:149], v1 offset:720
	ds_load_b128 v[150:153], v1 offset:736
	scratch_load_b128 v[154:157], off, off offset:312
	s_mov_b32 s0, exec_lo
	s_waitcnt vmcnt(5) lgkmcnt(1)
	v_fma_f64 v[2:3], v[128:129], v[146:147], 0
	s_waitcnt vmcnt(4)
	s_delay_alu instid0(VALU_DEP_1) | instskip(SKIP_4) | instid1(VALU_DEP_1)
	v_fma_f64 v[2:3], v[130:131], v[148:149], v[2:3]
	scratch_load_b128 v[128:131], off, off offset:328
	s_waitcnt lgkmcnt(0)
	v_fma_f64 v[2:3], v[132:133], v[150:151], v[2:3]
	s_waitcnt vmcnt(4)
	v_fma_f64 v[2:3], v[134:135], v[152:153], v[2:3]
	ds_load_b128 v[132:135], v1 offset:752
	ds_load_b128 v[146:149], v1 offset:768
	scratch_load_b128 v[150:153], off, off offset:344
	s_waitcnt lgkmcnt(1)
	v_fma_f64 v[2:3], v[136:137], v[132:133], v[2:3]
	s_waitcnt vmcnt(4)
	s_delay_alu instid0(VALU_DEP_1) | instskip(SKIP_4) | instid1(VALU_DEP_1)
	v_fma_f64 v[2:3], v[138:139], v[134:135], v[2:3]
	scratch_load_b128 v[132:135], off, off offset:360
	s_waitcnt lgkmcnt(0)
	v_fma_f64 v[2:3], v[140:141], v[146:147], v[2:3]
	s_waitcnt vmcnt(4)
	v_fma_f64 v[2:3], v[142:143], v[148:149], v[2:3]
	ds_load_b128 v[136:139], v1 offset:784
	ds_load_b128 v[140:143], v1 offset:800
	s_waitcnt lgkmcnt(1)
	v_fma_f64 v[2:3], v[144:145], v[136:137], v[2:3]
	scratch_load_b128 v[144:147], off, off offset:376
	s_waitcnt vmcnt(4)
	v_fma_f64 v[2:3], v[154:155], v[138:139], v[2:3]
	scratch_load_b128 v[136:139], off, off offset:392
	s_waitcnt lgkmcnt(0)
	v_fma_f64 v[2:3], v[156:157], v[140:141], v[2:3]
	s_waitcnt vmcnt(4)
	s_delay_alu instid0(VALU_DEP_1)
	v_fma_f64 v[2:3], v[128:129], v[142:143], v[2:3]
	ds_load_b128 v[140:143], v1 offset:816
	ds_load_b128 v[154:157], v1 offset:832
	s_waitcnt lgkmcnt(1)
	v_fma_f64 v[2:3], v[130:131], v[140:141], v[2:3]
	scratch_load_b128 v[128:131], off, off offset:408
	s_waitcnt vmcnt(4)
	v_fma_f64 v[2:3], v[150:151], v[142:143], v[2:3]
	scratch_load_b128 v[140:143], off, off offset:424
	s_waitcnt lgkmcnt(0)
	v_fma_f64 v[2:3], v[152:153], v[154:155], v[2:3]
	ds_load_b128 v[148:151], v1 offset:848
	ds_load_b128 v[152:155], v1 offset:864
	s_waitcnt vmcnt(4)
	v_fma_f64 v[2:3], v[132:133], v[156:157], v[2:3]
	s_waitcnt lgkmcnt(1)
	s_delay_alu instid0(VALU_DEP_1) | instskip(SKIP_4) | instid1(VALU_DEP_1)
	v_fma_f64 v[2:3], v[134:135], v[148:149], v[2:3]
	scratch_load_b128 v[132:135], off, off offset:440
	s_waitcnt vmcnt(4)
	v_fma_f64 v[2:3], v[144:145], v[150:151], v[2:3]
	s_waitcnt lgkmcnt(0)
	v_fma_f64 v[2:3], v[146:147], v[152:153], v[2:3]
	scratch_load_b128 v[144:147], off, off offset:456
	s_waitcnt vmcnt(4)
	v_fma_f64 v[2:3], v[136:137], v[154:155], v[2:3]
	ds_load_b128 v[148:151], v1 offset:880
	ds_load_b128 v[152:155], v1 offset:896
	s_waitcnt lgkmcnt(1)
	v_fma_f64 v[2:3], v[138:139], v[148:149], v[2:3]
	scratch_load_b64 v[148:149], off, off offset:472
	s_waitcnt vmcnt(4)
	v_fma_f64 v[2:3], v[128:129], v[150:151], v[2:3]
	s_waitcnt lgkmcnt(0)
	s_delay_alu instid0(VALU_DEP_1)
	v_fma_f64 v[2:3], v[130:131], v[152:153], v[2:3]
	ds_load_b128 v[128:131], v1 offset:912
	ds_load_b128 v[136:139], v1 offset:928
	s_waitcnt vmcnt(3)
	v_fma_f64 v[2:3], v[140:141], v[154:155], v[2:3]
	s_waitcnt lgkmcnt(1)
	s_delay_alu instid0(VALU_DEP_1) | instskip(SKIP_1) | instid1(VALU_DEP_1)
	v_fma_f64 v[2:3], v[142:143], v[128:129], v[2:3]
	s_waitcnt vmcnt(2)
	v_fma_f64 v[2:3], v[132:133], v[130:131], v[2:3]
	s_waitcnt lgkmcnt(0)
	s_delay_alu instid0(VALU_DEP_1) | instskip(SKIP_1) | instid1(VALU_DEP_1)
	v_fma_f64 v[2:3], v[134:135], v[136:137], v[2:3]
	s_waitcnt vmcnt(1)
	v_fma_f64 v[128:129], v[144:145], v[138:139], v[2:3]
	ds_load_b128 v[1:4], v1 offset:944
	s_waitcnt lgkmcnt(0)
	v_fma_f64 v[1:2], v[146:147], v[1:2], v[128:129]
	s_waitcnt vmcnt(0)
	s_delay_alu instid0(VALU_DEP_1) | instskip(NEXT) | instid1(VALU_DEP_1)
	v_fma_f64 v[1:2], v[148:149], v[3:4], v[1:2]
	v_add_f64 v[1:2], v[126:127], -v[1:2]
	scratch_store_b64 off, v[1:2], off offset:232
	v_cmpx_lt_u32_e32 28, v0
	s_cbranch_execz .LBB59_313
; %bb.312:
	scratch_load_b64 v[1:2], off, off offset:224
	v_mov_b32_e32 v3, 0
	s_delay_alu instid0(VALU_DEP_1)
	v_mov_b32_e32 v4, v3
	scratch_store_b64 off, v[3:4], off offset:224
	s_waitcnt vmcnt(0)
	ds_store_b64 v5, v[1:2]
.LBB59_313:
	s_or_b32 exec_lo, exec_lo, s0
	s_waitcnt lgkmcnt(0)
	s_waitcnt_vscnt null, 0x0
	s_barrier
	buffer_gl0_inv
	s_clause 0x4
	scratch_load_b128 v[126:129], off, off offset:224
	scratch_load_b128 v[130:133], off, off offset:240
	;; [unrolled: 1-line block ×5, first 2 shown]
	v_mov_b32_e32 v1, 0
	ds_load_2addr_b64 v[146:149], v1 offset0:89 offset1:90
	ds_load_2addr_b64 v[150:153], v1 offset0:91 offset1:92
	scratch_load_b128 v[154:157], off, off offset:304
	s_mov_b32 s0, exec_lo
	s_waitcnt vmcnt(5) lgkmcnt(1)
	v_fma_f64 v[2:3], v[128:129], v[146:147], 0
	s_waitcnt vmcnt(4)
	s_delay_alu instid0(VALU_DEP_1) | instskip(SKIP_4) | instid1(VALU_DEP_1)
	v_fma_f64 v[2:3], v[130:131], v[148:149], v[2:3]
	scratch_load_b128 v[128:131], off, off offset:320
	s_waitcnt lgkmcnt(0)
	v_fma_f64 v[2:3], v[132:133], v[150:151], v[2:3]
	s_waitcnt vmcnt(4)
	v_fma_f64 v[2:3], v[134:135], v[152:153], v[2:3]
	ds_load_2addr_b64 v[132:135], v1 offset0:93 offset1:94
	ds_load_2addr_b64 v[146:149], v1 offset0:95 offset1:96
	scratch_load_b128 v[150:153], off, off offset:336
	s_waitcnt lgkmcnt(1)
	v_fma_f64 v[2:3], v[136:137], v[132:133], v[2:3]
	s_waitcnt vmcnt(4)
	s_delay_alu instid0(VALU_DEP_1) | instskip(SKIP_4) | instid1(VALU_DEP_1)
	v_fma_f64 v[2:3], v[138:139], v[134:135], v[2:3]
	scratch_load_b128 v[132:135], off, off offset:352
	s_waitcnt lgkmcnt(0)
	v_fma_f64 v[2:3], v[140:141], v[146:147], v[2:3]
	s_waitcnt vmcnt(4)
	v_fma_f64 v[2:3], v[142:143], v[148:149], v[2:3]
	ds_load_2addr_b64 v[136:139], v1 offset0:97 offset1:98
	ds_load_2addr_b64 v[140:143], v1 offset0:99 offset1:100
	s_waitcnt lgkmcnt(1)
	v_fma_f64 v[2:3], v[144:145], v[136:137], v[2:3]
	scratch_load_b128 v[144:147], off, off offset:368
	s_waitcnt vmcnt(4)
	v_fma_f64 v[2:3], v[154:155], v[138:139], v[2:3]
	scratch_load_b128 v[136:139], off, off offset:384
	s_waitcnt lgkmcnt(0)
	v_fma_f64 v[2:3], v[156:157], v[140:141], v[2:3]
	s_waitcnt vmcnt(4)
	s_delay_alu instid0(VALU_DEP_1)
	v_fma_f64 v[2:3], v[128:129], v[142:143], v[2:3]
	ds_load_2addr_b64 v[140:143], v1 offset0:101 offset1:102
	ds_load_2addr_b64 v[154:157], v1 offset0:103 offset1:104
	s_waitcnt lgkmcnt(1)
	v_fma_f64 v[2:3], v[130:131], v[140:141], v[2:3]
	scratch_load_b128 v[128:131], off, off offset:400
	s_waitcnt vmcnt(4)
	v_fma_f64 v[2:3], v[150:151], v[142:143], v[2:3]
	scratch_load_b128 v[140:143], off, off offset:416
	s_waitcnt lgkmcnt(0)
	v_fma_f64 v[2:3], v[152:153], v[154:155], v[2:3]
	ds_load_2addr_b64 v[148:151], v1 offset0:105 offset1:106
	ds_load_2addr_b64 v[152:155], v1 offset0:107 offset1:108
	s_waitcnt vmcnt(4)
	v_fma_f64 v[2:3], v[132:133], v[156:157], v[2:3]
	s_waitcnt lgkmcnt(1)
	s_delay_alu instid0(VALU_DEP_1) | instskip(SKIP_4) | instid1(VALU_DEP_1)
	v_fma_f64 v[2:3], v[134:135], v[148:149], v[2:3]
	scratch_load_b128 v[132:135], off, off offset:432
	s_waitcnt vmcnt(4)
	v_fma_f64 v[2:3], v[144:145], v[150:151], v[2:3]
	s_waitcnt lgkmcnt(0)
	v_fma_f64 v[2:3], v[146:147], v[152:153], v[2:3]
	scratch_load_b128 v[144:147], off, off offset:448
	s_waitcnt vmcnt(4)
	v_fma_f64 v[2:3], v[136:137], v[154:155], v[2:3]
	ds_load_2addr_b64 v[148:151], v1 offset0:109 offset1:110
	ds_load_2addr_b64 v[152:155], v1 offset0:111 offset1:112
	s_waitcnt lgkmcnt(1)
	v_fma_f64 v[2:3], v[138:139], v[148:149], v[2:3]
	scratch_load_b128 v[136:139], off, off offset:464
	s_waitcnt vmcnt(4)
	v_fma_f64 v[2:3], v[128:129], v[150:151], v[2:3]
	s_waitcnt lgkmcnt(0)
	s_delay_alu instid0(VALU_DEP_1)
	v_fma_f64 v[2:3], v[130:131], v[152:153], v[2:3]
	ds_load_2addr_b64 v[128:131], v1 offset0:113 offset1:114
	ds_load_2addr_b64 v[148:151], v1 offset0:115 offset1:116
	s_waitcnt vmcnt(3)
	v_fma_f64 v[2:3], v[140:141], v[154:155], v[2:3]
	s_waitcnt lgkmcnt(1)
	s_delay_alu instid0(VALU_DEP_1) | instskip(SKIP_1) | instid1(VALU_DEP_1)
	v_fma_f64 v[2:3], v[142:143], v[128:129], v[2:3]
	s_waitcnt vmcnt(2)
	v_fma_f64 v[2:3], v[132:133], v[130:131], v[2:3]
	ds_load_2addr_b64 v[128:131], v1 offset0:117 offset1:118
	ds_load_b64 v[132:133], v1 offset:952
	s_waitcnt lgkmcnt(2)
	v_fma_f64 v[2:3], v[134:135], v[148:149], v[2:3]
	s_waitcnt vmcnt(1)
	s_delay_alu instid0(VALU_DEP_1) | instskip(SKIP_1) | instid1(VALU_DEP_1)
	v_fma_f64 v[2:3], v[144:145], v[150:151], v[2:3]
	s_waitcnt lgkmcnt(1)
	v_fma_f64 v[2:3], v[146:147], v[128:129], v[2:3]
	s_waitcnt vmcnt(0)
	s_delay_alu instid0(VALU_DEP_1) | instskip(SKIP_1) | instid1(VALU_DEP_1)
	v_fma_f64 v[2:3], v[136:137], v[130:131], v[2:3]
	s_waitcnt lgkmcnt(0)
	v_fma_f64 v[2:3], v[138:139], v[132:133], v[2:3]
	s_delay_alu instid0(VALU_DEP_1)
	v_add_f64 v[2:3], v[126:127], -v[2:3]
	scratch_store_b64 off, v[2:3], off offset:224
	v_cmpx_lt_u32_e32 27, v0
	s_cbranch_execz .LBB59_315
; %bb.314:
	scratch_load_b64 v[3:4], off, off offset:216
	v_mov_b32_e32 v2, v1
	scratch_store_b64 off, v[1:2], off offset:216
	s_waitcnt vmcnt(0)
	ds_store_b64 v5, v[3:4]
.LBB59_315:
	s_or_b32 exec_lo, exec_lo, s0
	s_waitcnt lgkmcnt(0)
	s_waitcnt_vscnt null, 0x0
	s_barrier
	buffer_gl0_inv
	s_clause 0x4
	scratch_load_b128 v[126:129], off, off offset:216
	scratch_load_b128 v[130:133], off, off offset:232
	;; [unrolled: 1-line block ×5, first 2 shown]
	ds_load_b128 v[146:149], v1 offset:704
	ds_load_b128 v[150:153], v1 offset:720
	scratch_load_b128 v[154:157], off, off offset:296
	s_mov_b32 s0, exec_lo
	s_waitcnt vmcnt(5) lgkmcnt(1)
	v_fma_f64 v[2:3], v[128:129], v[146:147], 0
	s_waitcnt vmcnt(4)
	s_delay_alu instid0(VALU_DEP_1) | instskip(SKIP_4) | instid1(VALU_DEP_1)
	v_fma_f64 v[2:3], v[130:131], v[148:149], v[2:3]
	scratch_load_b128 v[128:131], off, off offset:312
	s_waitcnt lgkmcnt(0)
	v_fma_f64 v[2:3], v[132:133], v[150:151], v[2:3]
	s_waitcnt vmcnt(4)
	v_fma_f64 v[2:3], v[134:135], v[152:153], v[2:3]
	ds_load_b128 v[132:135], v1 offset:736
	ds_load_b128 v[146:149], v1 offset:752
	scratch_load_b128 v[150:153], off, off offset:328
	s_waitcnt lgkmcnt(1)
	v_fma_f64 v[2:3], v[136:137], v[132:133], v[2:3]
	s_waitcnt vmcnt(4)
	s_delay_alu instid0(VALU_DEP_1) | instskip(SKIP_4) | instid1(VALU_DEP_1)
	v_fma_f64 v[2:3], v[138:139], v[134:135], v[2:3]
	scratch_load_b128 v[132:135], off, off offset:344
	s_waitcnt lgkmcnt(0)
	v_fma_f64 v[2:3], v[140:141], v[146:147], v[2:3]
	s_waitcnt vmcnt(4)
	v_fma_f64 v[2:3], v[142:143], v[148:149], v[2:3]
	ds_load_b128 v[136:139], v1 offset:768
	ds_load_b128 v[140:143], v1 offset:784
	s_waitcnt lgkmcnt(1)
	v_fma_f64 v[2:3], v[144:145], v[136:137], v[2:3]
	scratch_load_b128 v[144:147], off, off offset:360
	s_waitcnt vmcnt(4)
	v_fma_f64 v[2:3], v[154:155], v[138:139], v[2:3]
	scratch_load_b128 v[136:139], off, off offset:376
	s_waitcnt lgkmcnt(0)
	v_fma_f64 v[2:3], v[156:157], v[140:141], v[2:3]
	s_waitcnt vmcnt(4)
	s_delay_alu instid0(VALU_DEP_1)
	v_fma_f64 v[2:3], v[128:129], v[142:143], v[2:3]
	ds_load_b128 v[140:143], v1 offset:800
	ds_load_b128 v[154:157], v1 offset:816
	s_waitcnt lgkmcnt(1)
	v_fma_f64 v[2:3], v[130:131], v[140:141], v[2:3]
	scratch_load_b128 v[128:131], off, off offset:392
	s_waitcnt vmcnt(4)
	v_fma_f64 v[2:3], v[150:151], v[142:143], v[2:3]
	scratch_load_b128 v[140:143], off, off offset:408
	s_waitcnt lgkmcnt(0)
	v_fma_f64 v[2:3], v[152:153], v[154:155], v[2:3]
	ds_load_b128 v[148:151], v1 offset:832
	ds_load_b128 v[152:155], v1 offset:848
	s_waitcnt vmcnt(4)
	v_fma_f64 v[2:3], v[132:133], v[156:157], v[2:3]
	s_waitcnt lgkmcnt(1)
	s_delay_alu instid0(VALU_DEP_1) | instskip(SKIP_4) | instid1(VALU_DEP_1)
	v_fma_f64 v[2:3], v[134:135], v[148:149], v[2:3]
	scratch_load_b128 v[132:135], off, off offset:424
	s_waitcnt vmcnt(4)
	v_fma_f64 v[2:3], v[144:145], v[150:151], v[2:3]
	s_waitcnt lgkmcnt(0)
	v_fma_f64 v[2:3], v[146:147], v[152:153], v[2:3]
	scratch_load_b128 v[144:147], off, off offset:440
	s_waitcnt vmcnt(4)
	v_fma_f64 v[2:3], v[136:137], v[154:155], v[2:3]
	ds_load_b128 v[148:151], v1 offset:864
	ds_load_b128 v[152:155], v1 offset:880
	s_waitcnt lgkmcnt(1)
	v_fma_f64 v[2:3], v[138:139], v[148:149], v[2:3]
	scratch_load_b128 v[136:139], off, off offset:456
	s_waitcnt vmcnt(4)
	v_fma_f64 v[2:3], v[128:129], v[150:151], v[2:3]
	s_waitcnt lgkmcnt(0)
	s_delay_alu instid0(VALU_DEP_1)
	v_fma_f64 v[2:3], v[130:131], v[152:153], v[2:3]
	scratch_load_b64 v[152:153], off, off offset:472
	ds_load_b128 v[128:131], v1 offset:896
	ds_load_b128 v[148:151], v1 offset:912
	s_waitcnt vmcnt(4)
	v_fma_f64 v[2:3], v[140:141], v[154:155], v[2:3]
	s_waitcnt lgkmcnt(1)
	s_delay_alu instid0(VALU_DEP_1) | instskip(SKIP_1) | instid1(VALU_DEP_1)
	v_fma_f64 v[2:3], v[142:143], v[128:129], v[2:3]
	s_waitcnt vmcnt(3)
	v_fma_f64 v[2:3], v[132:133], v[130:131], v[2:3]
	s_waitcnt lgkmcnt(0)
	s_delay_alu instid0(VALU_DEP_1) | instskip(SKIP_1) | instid1(VALU_DEP_1)
	v_fma_f64 v[2:3], v[134:135], v[148:149], v[2:3]
	s_waitcnt vmcnt(2)
	v_fma_f64 v[132:133], v[144:145], v[150:151], v[2:3]
	ds_load_b128 v[128:131], v1 offset:928
	ds_load_b128 v[1:4], v1 offset:944
	s_waitcnt lgkmcnt(1)
	v_fma_f64 v[128:129], v[146:147], v[128:129], v[132:133]
	s_waitcnt vmcnt(1)
	s_delay_alu instid0(VALU_DEP_1) | instskip(SKIP_1) | instid1(VALU_DEP_1)
	v_fma_f64 v[128:129], v[136:137], v[130:131], v[128:129]
	s_waitcnt lgkmcnt(0)
	v_fma_f64 v[1:2], v[138:139], v[1:2], v[128:129]
	s_waitcnt vmcnt(0)
	s_delay_alu instid0(VALU_DEP_1) | instskip(NEXT) | instid1(VALU_DEP_1)
	v_fma_f64 v[1:2], v[152:153], v[3:4], v[1:2]
	v_add_f64 v[1:2], v[126:127], -v[1:2]
	scratch_store_b64 off, v[1:2], off offset:216
	v_cmpx_lt_u32_e32 26, v0
	s_cbranch_execz .LBB59_317
; %bb.316:
	scratch_load_b64 v[1:2], off, off offset:208
	v_mov_b32_e32 v3, 0
	s_delay_alu instid0(VALU_DEP_1)
	v_mov_b32_e32 v4, v3
	scratch_store_b64 off, v[3:4], off offset:208
	s_waitcnt vmcnt(0)
	ds_store_b64 v5, v[1:2]
.LBB59_317:
	s_or_b32 exec_lo, exec_lo, s0
	s_waitcnt lgkmcnt(0)
	s_waitcnt_vscnt null, 0x0
	s_barrier
	buffer_gl0_inv
	s_clause 0x4
	scratch_load_b128 v[126:129], off, off offset:208
	scratch_load_b128 v[130:133], off, off offset:224
	;; [unrolled: 1-line block ×5, first 2 shown]
	v_mov_b32_e32 v1, 0
	ds_load_2addr_b64 v[146:149], v1 offset0:87 offset1:88
	ds_load_2addr_b64 v[150:153], v1 offset0:89 offset1:90
	scratch_load_b128 v[154:157], off, off offset:288
	s_mov_b32 s0, exec_lo
	s_waitcnt vmcnt(5) lgkmcnt(1)
	v_fma_f64 v[2:3], v[128:129], v[146:147], 0
	s_waitcnt vmcnt(4)
	s_delay_alu instid0(VALU_DEP_1) | instskip(SKIP_4) | instid1(VALU_DEP_1)
	v_fma_f64 v[2:3], v[130:131], v[148:149], v[2:3]
	scratch_load_b128 v[128:131], off, off offset:304
	s_waitcnt lgkmcnt(0)
	v_fma_f64 v[2:3], v[132:133], v[150:151], v[2:3]
	s_waitcnt vmcnt(4)
	v_fma_f64 v[2:3], v[134:135], v[152:153], v[2:3]
	ds_load_2addr_b64 v[132:135], v1 offset0:91 offset1:92
	ds_load_2addr_b64 v[146:149], v1 offset0:93 offset1:94
	scratch_load_b128 v[150:153], off, off offset:320
	s_waitcnt lgkmcnt(1)
	v_fma_f64 v[2:3], v[136:137], v[132:133], v[2:3]
	s_waitcnt vmcnt(4)
	s_delay_alu instid0(VALU_DEP_1) | instskip(SKIP_4) | instid1(VALU_DEP_1)
	v_fma_f64 v[2:3], v[138:139], v[134:135], v[2:3]
	scratch_load_b128 v[132:135], off, off offset:336
	s_waitcnt lgkmcnt(0)
	v_fma_f64 v[2:3], v[140:141], v[146:147], v[2:3]
	s_waitcnt vmcnt(4)
	v_fma_f64 v[2:3], v[142:143], v[148:149], v[2:3]
	ds_load_2addr_b64 v[136:139], v1 offset0:95 offset1:96
	ds_load_2addr_b64 v[140:143], v1 offset0:97 offset1:98
	s_waitcnt lgkmcnt(1)
	v_fma_f64 v[2:3], v[144:145], v[136:137], v[2:3]
	scratch_load_b128 v[144:147], off, off offset:352
	s_waitcnt vmcnt(4)
	v_fma_f64 v[2:3], v[154:155], v[138:139], v[2:3]
	scratch_load_b128 v[136:139], off, off offset:368
	s_waitcnt lgkmcnt(0)
	v_fma_f64 v[2:3], v[156:157], v[140:141], v[2:3]
	s_waitcnt vmcnt(4)
	s_delay_alu instid0(VALU_DEP_1)
	v_fma_f64 v[2:3], v[128:129], v[142:143], v[2:3]
	ds_load_2addr_b64 v[140:143], v1 offset0:99 offset1:100
	ds_load_2addr_b64 v[154:157], v1 offset0:101 offset1:102
	s_waitcnt lgkmcnt(1)
	v_fma_f64 v[2:3], v[130:131], v[140:141], v[2:3]
	scratch_load_b128 v[128:131], off, off offset:384
	s_waitcnt vmcnt(4)
	v_fma_f64 v[2:3], v[150:151], v[142:143], v[2:3]
	scratch_load_b128 v[140:143], off, off offset:400
	s_waitcnt lgkmcnt(0)
	v_fma_f64 v[2:3], v[152:153], v[154:155], v[2:3]
	ds_load_2addr_b64 v[148:151], v1 offset0:103 offset1:104
	ds_load_2addr_b64 v[152:155], v1 offset0:105 offset1:106
	s_waitcnt vmcnt(4)
	v_fma_f64 v[2:3], v[132:133], v[156:157], v[2:3]
	s_waitcnt lgkmcnt(1)
	s_delay_alu instid0(VALU_DEP_1) | instskip(SKIP_4) | instid1(VALU_DEP_1)
	v_fma_f64 v[2:3], v[134:135], v[148:149], v[2:3]
	scratch_load_b128 v[132:135], off, off offset:416
	s_waitcnt vmcnt(4)
	v_fma_f64 v[2:3], v[144:145], v[150:151], v[2:3]
	s_waitcnt lgkmcnt(0)
	v_fma_f64 v[2:3], v[146:147], v[152:153], v[2:3]
	scratch_load_b128 v[144:147], off, off offset:432
	s_waitcnt vmcnt(4)
	v_fma_f64 v[2:3], v[136:137], v[154:155], v[2:3]
	ds_load_2addr_b64 v[148:151], v1 offset0:107 offset1:108
	ds_load_2addr_b64 v[152:155], v1 offset0:109 offset1:110
	s_waitcnt lgkmcnt(1)
	v_fma_f64 v[2:3], v[138:139], v[148:149], v[2:3]
	scratch_load_b128 v[136:139], off, off offset:448
	s_waitcnt vmcnt(4)
	v_fma_f64 v[2:3], v[128:129], v[150:151], v[2:3]
	s_waitcnt lgkmcnt(0)
	s_delay_alu instid0(VALU_DEP_1)
	v_fma_f64 v[2:3], v[130:131], v[152:153], v[2:3]
	scratch_load_b128 v[128:131], off, off offset:464
	s_waitcnt vmcnt(4)
	v_fma_f64 v[2:3], v[140:141], v[154:155], v[2:3]
	ds_load_2addr_b64 v[148:151], v1 offset0:111 offset1:112
	ds_load_2addr_b64 v[152:155], v1 offset0:113 offset1:114
	s_waitcnt lgkmcnt(1)
	v_fma_f64 v[2:3], v[142:143], v[148:149], v[2:3]
	s_waitcnt vmcnt(3)
	s_delay_alu instid0(VALU_DEP_1) | instskip(SKIP_1) | instid1(VALU_DEP_1)
	v_fma_f64 v[2:3], v[132:133], v[150:151], v[2:3]
	s_waitcnt lgkmcnt(0)
	v_fma_f64 v[2:3], v[134:135], v[152:153], v[2:3]
	ds_load_2addr_b64 v[132:135], v1 offset0:115 offset1:116
	ds_load_2addr_b64 v[140:143], v1 offset0:117 offset1:118
	s_waitcnt vmcnt(2)
	v_fma_f64 v[2:3], v[144:145], v[154:155], v[2:3]
	s_waitcnt lgkmcnt(1)
	s_delay_alu instid0(VALU_DEP_1) | instskip(SKIP_1) | instid1(VALU_DEP_1)
	v_fma_f64 v[2:3], v[146:147], v[132:133], v[2:3]
	s_waitcnt vmcnt(1)
	v_fma_f64 v[2:3], v[136:137], v[134:135], v[2:3]
	s_waitcnt lgkmcnt(0)
	s_delay_alu instid0(VALU_DEP_1) | instskip(SKIP_1) | instid1(VALU_DEP_1)
	v_fma_f64 v[2:3], v[138:139], v[140:141], v[2:3]
	s_waitcnt vmcnt(0)
	v_fma_f64 v[2:3], v[128:129], v[142:143], v[2:3]
	ds_load_b64 v[128:129], v1 offset:952
	s_waitcnt lgkmcnt(0)
	v_fma_f64 v[2:3], v[130:131], v[128:129], v[2:3]
	s_delay_alu instid0(VALU_DEP_1)
	v_add_f64 v[2:3], v[126:127], -v[2:3]
	scratch_store_b64 off, v[2:3], off offset:208
	v_cmpx_lt_u32_e32 25, v0
	s_cbranch_execz .LBB59_319
; %bb.318:
	scratch_load_b64 v[3:4], off, off offset:200
	v_mov_b32_e32 v2, v1
	scratch_store_b64 off, v[1:2], off offset:200
	s_waitcnt vmcnt(0)
	ds_store_b64 v5, v[3:4]
.LBB59_319:
	s_or_b32 exec_lo, exec_lo, s0
	s_waitcnt lgkmcnt(0)
	s_waitcnt_vscnt null, 0x0
	s_barrier
	buffer_gl0_inv
	s_clause 0x4
	scratch_load_b128 v[126:129], off, off offset:200
	scratch_load_b128 v[130:133], off, off offset:216
	;; [unrolled: 1-line block ×5, first 2 shown]
	ds_load_b128 v[146:149], v1 offset:688
	ds_load_b128 v[150:153], v1 offset:704
	scratch_load_b128 v[154:157], off, off offset:280
	s_mov_b32 s0, exec_lo
	s_waitcnt vmcnt(5) lgkmcnt(1)
	v_fma_f64 v[2:3], v[128:129], v[146:147], 0
	s_waitcnt vmcnt(4)
	s_delay_alu instid0(VALU_DEP_1) | instskip(SKIP_4) | instid1(VALU_DEP_1)
	v_fma_f64 v[2:3], v[130:131], v[148:149], v[2:3]
	scratch_load_b128 v[128:131], off, off offset:296
	s_waitcnt lgkmcnt(0)
	v_fma_f64 v[2:3], v[132:133], v[150:151], v[2:3]
	s_waitcnt vmcnt(4)
	v_fma_f64 v[2:3], v[134:135], v[152:153], v[2:3]
	ds_load_b128 v[132:135], v1 offset:720
	ds_load_b128 v[146:149], v1 offset:736
	scratch_load_b128 v[150:153], off, off offset:312
	s_waitcnt lgkmcnt(1)
	v_fma_f64 v[2:3], v[136:137], v[132:133], v[2:3]
	s_waitcnt vmcnt(4)
	s_delay_alu instid0(VALU_DEP_1) | instskip(SKIP_4) | instid1(VALU_DEP_1)
	v_fma_f64 v[2:3], v[138:139], v[134:135], v[2:3]
	scratch_load_b128 v[132:135], off, off offset:328
	s_waitcnt lgkmcnt(0)
	v_fma_f64 v[2:3], v[140:141], v[146:147], v[2:3]
	s_waitcnt vmcnt(4)
	v_fma_f64 v[2:3], v[142:143], v[148:149], v[2:3]
	ds_load_b128 v[136:139], v1 offset:752
	ds_load_b128 v[140:143], v1 offset:768
	s_waitcnt lgkmcnt(1)
	v_fma_f64 v[2:3], v[144:145], v[136:137], v[2:3]
	scratch_load_b128 v[144:147], off, off offset:344
	s_waitcnt vmcnt(4)
	v_fma_f64 v[2:3], v[154:155], v[138:139], v[2:3]
	scratch_load_b128 v[136:139], off, off offset:360
	s_waitcnt lgkmcnt(0)
	v_fma_f64 v[2:3], v[156:157], v[140:141], v[2:3]
	s_waitcnt vmcnt(4)
	s_delay_alu instid0(VALU_DEP_1)
	v_fma_f64 v[2:3], v[128:129], v[142:143], v[2:3]
	ds_load_b128 v[140:143], v1 offset:784
	ds_load_b128 v[154:157], v1 offset:800
	s_waitcnt lgkmcnt(1)
	v_fma_f64 v[2:3], v[130:131], v[140:141], v[2:3]
	scratch_load_b128 v[128:131], off, off offset:376
	s_waitcnt vmcnt(4)
	v_fma_f64 v[2:3], v[150:151], v[142:143], v[2:3]
	scratch_load_b128 v[140:143], off, off offset:392
	s_waitcnt lgkmcnt(0)
	v_fma_f64 v[2:3], v[152:153], v[154:155], v[2:3]
	ds_load_b128 v[148:151], v1 offset:816
	ds_load_b128 v[152:155], v1 offset:832
	s_waitcnt vmcnt(4)
	v_fma_f64 v[2:3], v[132:133], v[156:157], v[2:3]
	s_waitcnt lgkmcnt(1)
	s_delay_alu instid0(VALU_DEP_1) | instskip(SKIP_4) | instid1(VALU_DEP_1)
	v_fma_f64 v[2:3], v[134:135], v[148:149], v[2:3]
	scratch_load_b128 v[132:135], off, off offset:408
	s_waitcnt vmcnt(4)
	v_fma_f64 v[2:3], v[144:145], v[150:151], v[2:3]
	s_waitcnt lgkmcnt(0)
	v_fma_f64 v[2:3], v[146:147], v[152:153], v[2:3]
	scratch_load_b128 v[144:147], off, off offset:424
	s_waitcnt vmcnt(4)
	v_fma_f64 v[2:3], v[136:137], v[154:155], v[2:3]
	ds_load_b128 v[148:151], v1 offset:848
	ds_load_b128 v[152:155], v1 offset:864
	s_waitcnt lgkmcnt(1)
	v_fma_f64 v[2:3], v[138:139], v[148:149], v[2:3]
	scratch_load_b128 v[136:139], off, off offset:440
	s_waitcnt vmcnt(4)
	v_fma_f64 v[2:3], v[128:129], v[150:151], v[2:3]
	s_waitcnt lgkmcnt(0)
	s_delay_alu instid0(VALU_DEP_1)
	v_fma_f64 v[2:3], v[130:131], v[152:153], v[2:3]
	scratch_load_b128 v[128:131], off, off offset:456
	s_waitcnt vmcnt(4)
	v_fma_f64 v[2:3], v[140:141], v[154:155], v[2:3]
	ds_load_b128 v[148:151], v1 offset:880
	ds_load_b128 v[152:155], v1 offset:896
	s_waitcnt lgkmcnt(1)
	v_fma_f64 v[2:3], v[142:143], v[148:149], v[2:3]
	scratch_load_b64 v[148:149], off, off offset:472
	s_waitcnt vmcnt(4)
	v_fma_f64 v[2:3], v[132:133], v[150:151], v[2:3]
	s_waitcnt lgkmcnt(0)
	s_delay_alu instid0(VALU_DEP_1)
	v_fma_f64 v[2:3], v[134:135], v[152:153], v[2:3]
	ds_load_b128 v[132:135], v1 offset:912
	ds_load_b128 v[140:143], v1 offset:928
	s_waitcnt vmcnt(3)
	v_fma_f64 v[2:3], v[144:145], v[154:155], v[2:3]
	s_waitcnt lgkmcnt(1)
	s_delay_alu instid0(VALU_DEP_1) | instskip(SKIP_1) | instid1(VALU_DEP_1)
	v_fma_f64 v[2:3], v[146:147], v[132:133], v[2:3]
	s_waitcnt vmcnt(2)
	v_fma_f64 v[2:3], v[136:137], v[134:135], v[2:3]
	s_waitcnt lgkmcnt(0)
	s_delay_alu instid0(VALU_DEP_1) | instskip(SKIP_1) | instid1(VALU_DEP_1)
	v_fma_f64 v[2:3], v[138:139], v[140:141], v[2:3]
	s_waitcnt vmcnt(1)
	v_fma_f64 v[128:129], v[128:129], v[142:143], v[2:3]
	ds_load_b128 v[1:4], v1 offset:944
	s_waitcnt lgkmcnt(0)
	v_fma_f64 v[1:2], v[130:131], v[1:2], v[128:129]
	s_waitcnt vmcnt(0)
	s_delay_alu instid0(VALU_DEP_1) | instskip(NEXT) | instid1(VALU_DEP_1)
	v_fma_f64 v[1:2], v[148:149], v[3:4], v[1:2]
	v_add_f64 v[1:2], v[126:127], -v[1:2]
	scratch_store_b64 off, v[1:2], off offset:200
	v_cmpx_lt_u32_e32 24, v0
	s_cbranch_execz .LBB59_321
; %bb.320:
	scratch_load_b64 v[1:2], off, off offset:192
	v_mov_b32_e32 v3, 0
	s_delay_alu instid0(VALU_DEP_1)
	v_mov_b32_e32 v4, v3
	scratch_store_b64 off, v[3:4], off offset:192
	s_waitcnt vmcnt(0)
	ds_store_b64 v5, v[1:2]
.LBB59_321:
	s_or_b32 exec_lo, exec_lo, s0
	s_waitcnt lgkmcnt(0)
	s_waitcnt_vscnt null, 0x0
	s_barrier
	buffer_gl0_inv
	s_clause 0x4
	scratch_load_b128 v[126:129], off, off offset:192
	scratch_load_b128 v[130:133], off, off offset:208
	;; [unrolled: 1-line block ×5, first 2 shown]
	v_mov_b32_e32 v1, 0
	ds_load_2addr_b64 v[146:149], v1 offset0:85 offset1:86
	ds_load_2addr_b64 v[150:153], v1 offset0:87 offset1:88
	scratch_load_b128 v[154:157], off, off offset:272
	s_mov_b32 s0, exec_lo
	s_waitcnt vmcnt(5) lgkmcnt(1)
	v_fma_f64 v[2:3], v[128:129], v[146:147], 0
	s_waitcnt vmcnt(4)
	s_delay_alu instid0(VALU_DEP_1) | instskip(SKIP_4) | instid1(VALU_DEP_1)
	v_fma_f64 v[2:3], v[130:131], v[148:149], v[2:3]
	scratch_load_b128 v[128:131], off, off offset:288
	s_waitcnt lgkmcnt(0)
	v_fma_f64 v[2:3], v[132:133], v[150:151], v[2:3]
	s_waitcnt vmcnt(4)
	v_fma_f64 v[2:3], v[134:135], v[152:153], v[2:3]
	ds_load_2addr_b64 v[132:135], v1 offset0:89 offset1:90
	ds_load_2addr_b64 v[146:149], v1 offset0:91 offset1:92
	scratch_load_b128 v[150:153], off, off offset:304
	s_waitcnt lgkmcnt(1)
	v_fma_f64 v[2:3], v[136:137], v[132:133], v[2:3]
	s_waitcnt vmcnt(4)
	s_delay_alu instid0(VALU_DEP_1) | instskip(SKIP_4) | instid1(VALU_DEP_1)
	v_fma_f64 v[2:3], v[138:139], v[134:135], v[2:3]
	scratch_load_b128 v[132:135], off, off offset:320
	s_waitcnt lgkmcnt(0)
	v_fma_f64 v[2:3], v[140:141], v[146:147], v[2:3]
	s_waitcnt vmcnt(4)
	v_fma_f64 v[2:3], v[142:143], v[148:149], v[2:3]
	ds_load_2addr_b64 v[136:139], v1 offset0:93 offset1:94
	ds_load_2addr_b64 v[140:143], v1 offset0:95 offset1:96
	s_waitcnt lgkmcnt(1)
	v_fma_f64 v[2:3], v[144:145], v[136:137], v[2:3]
	scratch_load_b128 v[144:147], off, off offset:336
	s_waitcnt vmcnt(4)
	v_fma_f64 v[2:3], v[154:155], v[138:139], v[2:3]
	scratch_load_b128 v[136:139], off, off offset:352
	s_waitcnt lgkmcnt(0)
	v_fma_f64 v[2:3], v[156:157], v[140:141], v[2:3]
	s_waitcnt vmcnt(4)
	s_delay_alu instid0(VALU_DEP_1)
	v_fma_f64 v[2:3], v[128:129], v[142:143], v[2:3]
	ds_load_2addr_b64 v[140:143], v1 offset0:97 offset1:98
	ds_load_2addr_b64 v[154:157], v1 offset0:99 offset1:100
	s_waitcnt lgkmcnt(1)
	v_fma_f64 v[2:3], v[130:131], v[140:141], v[2:3]
	scratch_load_b128 v[128:131], off, off offset:368
	s_waitcnt vmcnt(4)
	v_fma_f64 v[2:3], v[150:151], v[142:143], v[2:3]
	scratch_load_b128 v[140:143], off, off offset:384
	s_waitcnt lgkmcnt(0)
	v_fma_f64 v[2:3], v[152:153], v[154:155], v[2:3]
	ds_load_2addr_b64 v[148:151], v1 offset0:101 offset1:102
	ds_load_2addr_b64 v[152:155], v1 offset0:103 offset1:104
	s_waitcnt vmcnt(4)
	v_fma_f64 v[2:3], v[132:133], v[156:157], v[2:3]
	s_waitcnt lgkmcnt(1)
	s_delay_alu instid0(VALU_DEP_1) | instskip(SKIP_4) | instid1(VALU_DEP_1)
	v_fma_f64 v[2:3], v[134:135], v[148:149], v[2:3]
	scratch_load_b128 v[132:135], off, off offset:400
	s_waitcnt vmcnt(4)
	v_fma_f64 v[2:3], v[144:145], v[150:151], v[2:3]
	s_waitcnt lgkmcnt(0)
	v_fma_f64 v[2:3], v[146:147], v[152:153], v[2:3]
	scratch_load_b128 v[144:147], off, off offset:416
	s_waitcnt vmcnt(4)
	v_fma_f64 v[2:3], v[136:137], v[154:155], v[2:3]
	ds_load_2addr_b64 v[148:151], v1 offset0:105 offset1:106
	ds_load_2addr_b64 v[152:155], v1 offset0:107 offset1:108
	s_waitcnt lgkmcnt(1)
	v_fma_f64 v[2:3], v[138:139], v[148:149], v[2:3]
	scratch_load_b128 v[136:139], off, off offset:432
	s_waitcnt vmcnt(4)
	v_fma_f64 v[2:3], v[128:129], v[150:151], v[2:3]
	s_waitcnt lgkmcnt(0)
	s_delay_alu instid0(VALU_DEP_1)
	v_fma_f64 v[2:3], v[130:131], v[152:153], v[2:3]
	scratch_load_b128 v[128:131], off, off offset:448
	s_waitcnt vmcnt(4)
	v_fma_f64 v[2:3], v[140:141], v[154:155], v[2:3]
	ds_load_2addr_b64 v[148:151], v1 offset0:109 offset1:110
	ds_load_2addr_b64 v[152:155], v1 offset0:111 offset1:112
	s_waitcnt lgkmcnt(1)
	v_fma_f64 v[2:3], v[142:143], v[148:149], v[2:3]
	scratch_load_b128 v[140:143], off, off offset:464
	s_waitcnt vmcnt(4)
	v_fma_f64 v[2:3], v[132:133], v[150:151], v[2:3]
	s_waitcnt lgkmcnt(0)
	s_delay_alu instid0(VALU_DEP_1)
	v_fma_f64 v[2:3], v[134:135], v[152:153], v[2:3]
	ds_load_2addr_b64 v[132:135], v1 offset0:113 offset1:114
	ds_load_2addr_b64 v[148:151], v1 offset0:115 offset1:116
	s_waitcnt vmcnt(3)
	v_fma_f64 v[2:3], v[144:145], v[154:155], v[2:3]
	s_waitcnt lgkmcnt(1)
	s_delay_alu instid0(VALU_DEP_1) | instskip(SKIP_1) | instid1(VALU_DEP_1)
	v_fma_f64 v[2:3], v[146:147], v[132:133], v[2:3]
	s_waitcnt vmcnt(2)
	v_fma_f64 v[2:3], v[136:137], v[134:135], v[2:3]
	s_waitcnt lgkmcnt(0)
	s_delay_alu instid0(VALU_DEP_1) | instskip(SKIP_1) | instid1(VALU_DEP_1)
	v_fma_f64 v[2:3], v[138:139], v[148:149], v[2:3]
	s_waitcnt vmcnt(1)
	v_fma_f64 v[2:3], v[128:129], v[150:151], v[2:3]
	ds_load_2addr_b64 v[132:135], v1 offset0:117 offset1:118
	ds_load_b64 v[128:129], v1 offset:952
	s_waitcnt lgkmcnt(1)
	v_fma_f64 v[2:3], v[130:131], v[132:133], v[2:3]
	s_waitcnt vmcnt(0)
	s_delay_alu instid0(VALU_DEP_1) | instskip(SKIP_1) | instid1(VALU_DEP_1)
	v_fma_f64 v[2:3], v[140:141], v[134:135], v[2:3]
	s_waitcnt lgkmcnt(0)
	v_fma_f64 v[2:3], v[142:143], v[128:129], v[2:3]
	s_delay_alu instid0(VALU_DEP_1)
	v_add_f64 v[2:3], v[126:127], -v[2:3]
	scratch_store_b64 off, v[2:3], off offset:192
	v_cmpx_lt_u32_e32 23, v0
	s_cbranch_execz .LBB59_323
; %bb.322:
	scratch_load_b64 v[3:4], off, off offset:184
	v_mov_b32_e32 v2, v1
	scratch_store_b64 off, v[1:2], off offset:184
	s_waitcnt vmcnt(0)
	ds_store_b64 v5, v[3:4]
.LBB59_323:
	s_or_b32 exec_lo, exec_lo, s0
	s_waitcnt lgkmcnt(0)
	s_waitcnt_vscnt null, 0x0
	s_barrier
	buffer_gl0_inv
	s_clause 0x4
	scratch_load_b128 v[126:129], off, off offset:184
	scratch_load_b128 v[130:133], off, off offset:200
	;; [unrolled: 1-line block ×5, first 2 shown]
	ds_load_b128 v[146:149], v1 offset:672
	ds_load_b128 v[150:153], v1 offset:688
	scratch_load_b128 v[154:157], off, off offset:264
	s_mov_b32 s0, exec_lo
	s_waitcnt vmcnt(5) lgkmcnt(1)
	v_fma_f64 v[2:3], v[128:129], v[146:147], 0
	s_waitcnt vmcnt(4)
	s_delay_alu instid0(VALU_DEP_1) | instskip(SKIP_4) | instid1(VALU_DEP_1)
	v_fma_f64 v[2:3], v[130:131], v[148:149], v[2:3]
	scratch_load_b128 v[128:131], off, off offset:280
	s_waitcnt lgkmcnt(0)
	v_fma_f64 v[2:3], v[132:133], v[150:151], v[2:3]
	s_waitcnt vmcnt(4)
	v_fma_f64 v[2:3], v[134:135], v[152:153], v[2:3]
	ds_load_b128 v[132:135], v1 offset:704
	ds_load_b128 v[146:149], v1 offset:720
	scratch_load_b128 v[150:153], off, off offset:296
	s_waitcnt lgkmcnt(1)
	v_fma_f64 v[2:3], v[136:137], v[132:133], v[2:3]
	s_waitcnt vmcnt(4)
	s_delay_alu instid0(VALU_DEP_1) | instskip(SKIP_4) | instid1(VALU_DEP_1)
	v_fma_f64 v[2:3], v[138:139], v[134:135], v[2:3]
	scratch_load_b128 v[132:135], off, off offset:312
	s_waitcnt lgkmcnt(0)
	v_fma_f64 v[2:3], v[140:141], v[146:147], v[2:3]
	s_waitcnt vmcnt(4)
	v_fma_f64 v[2:3], v[142:143], v[148:149], v[2:3]
	ds_load_b128 v[136:139], v1 offset:736
	ds_load_b128 v[140:143], v1 offset:752
	s_waitcnt lgkmcnt(1)
	v_fma_f64 v[2:3], v[144:145], v[136:137], v[2:3]
	scratch_load_b128 v[144:147], off, off offset:328
	s_waitcnt vmcnt(4)
	v_fma_f64 v[2:3], v[154:155], v[138:139], v[2:3]
	scratch_load_b128 v[136:139], off, off offset:344
	s_waitcnt lgkmcnt(0)
	v_fma_f64 v[2:3], v[156:157], v[140:141], v[2:3]
	s_waitcnt vmcnt(4)
	s_delay_alu instid0(VALU_DEP_1)
	v_fma_f64 v[2:3], v[128:129], v[142:143], v[2:3]
	ds_load_b128 v[140:143], v1 offset:768
	ds_load_b128 v[154:157], v1 offset:784
	s_waitcnt lgkmcnt(1)
	v_fma_f64 v[2:3], v[130:131], v[140:141], v[2:3]
	scratch_load_b128 v[128:131], off, off offset:360
	s_waitcnt vmcnt(4)
	v_fma_f64 v[2:3], v[150:151], v[142:143], v[2:3]
	scratch_load_b128 v[140:143], off, off offset:376
	s_waitcnt lgkmcnt(0)
	v_fma_f64 v[2:3], v[152:153], v[154:155], v[2:3]
	ds_load_b128 v[148:151], v1 offset:800
	ds_load_b128 v[152:155], v1 offset:816
	s_waitcnt vmcnt(4)
	v_fma_f64 v[2:3], v[132:133], v[156:157], v[2:3]
	s_waitcnt lgkmcnt(1)
	s_delay_alu instid0(VALU_DEP_1) | instskip(SKIP_4) | instid1(VALU_DEP_1)
	v_fma_f64 v[2:3], v[134:135], v[148:149], v[2:3]
	scratch_load_b128 v[132:135], off, off offset:392
	s_waitcnt vmcnt(4)
	v_fma_f64 v[2:3], v[144:145], v[150:151], v[2:3]
	s_waitcnt lgkmcnt(0)
	v_fma_f64 v[2:3], v[146:147], v[152:153], v[2:3]
	scratch_load_b128 v[144:147], off, off offset:408
	s_waitcnt vmcnt(4)
	v_fma_f64 v[2:3], v[136:137], v[154:155], v[2:3]
	ds_load_b128 v[148:151], v1 offset:832
	ds_load_b128 v[152:155], v1 offset:848
	s_waitcnt lgkmcnt(1)
	v_fma_f64 v[2:3], v[138:139], v[148:149], v[2:3]
	scratch_load_b128 v[136:139], off, off offset:424
	s_waitcnt vmcnt(4)
	v_fma_f64 v[2:3], v[128:129], v[150:151], v[2:3]
	s_waitcnt lgkmcnt(0)
	s_delay_alu instid0(VALU_DEP_1)
	v_fma_f64 v[2:3], v[130:131], v[152:153], v[2:3]
	scratch_load_b128 v[128:131], off, off offset:440
	s_waitcnt vmcnt(4)
	v_fma_f64 v[2:3], v[140:141], v[154:155], v[2:3]
	ds_load_b128 v[148:151], v1 offset:864
	ds_load_b128 v[152:155], v1 offset:880
	s_waitcnt lgkmcnt(1)
	v_fma_f64 v[2:3], v[142:143], v[148:149], v[2:3]
	scratch_load_b128 v[140:143], off, off offset:456
	s_waitcnt vmcnt(4)
	v_fma_f64 v[2:3], v[132:133], v[150:151], v[2:3]
	s_waitcnt lgkmcnt(0)
	s_delay_alu instid0(VALU_DEP_1)
	v_fma_f64 v[2:3], v[134:135], v[152:153], v[2:3]
	scratch_load_b64 v[152:153], off, off offset:472
	ds_load_b128 v[132:135], v1 offset:896
	ds_load_b128 v[148:151], v1 offset:912
	s_waitcnt vmcnt(4)
	v_fma_f64 v[2:3], v[144:145], v[154:155], v[2:3]
	s_waitcnt lgkmcnt(1)
	s_delay_alu instid0(VALU_DEP_1) | instskip(SKIP_1) | instid1(VALU_DEP_1)
	v_fma_f64 v[2:3], v[146:147], v[132:133], v[2:3]
	s_waitcnt vmcnt(3)
	v_fma_f64 v[2:3], v[136:137], v[134:135], v[2:3]
	s_waitcnt lgkmcnt(0)
	s_delay_alu instid0(VALU_DEP_1) | instskip(SKIP_1) | instid1(VALU_DEP_1)
	v_fma_f64 v[2:3], v[138:139], v[148:149], v[2:3]
	s_waitcnt vmcnt(2)
	v_fma_f64 v[128:129], v[128:129], v[150:151], v[2:3]
	ds_load_b128 v[132:135], v1 offset:928
	ds_load_b128 v[1:4], v1 offset:944
	s_waitcnt lgkmcnt(1)
	v_fma_f64 v[128:129], v[130:131], v[132:133], v[128:129]
	s_waitcnt vmcnt(1)
	s_delay_alu instid0(VALU_DEP_1) | instskip(SKIP_1) | instid1(VALU_DEP_1)
	v_fma_f64 v[128:129], v[140:141], v[134:135], v[128:129]
	s_waitcnt lgkmcnt(0)
	v_fma_f64 v[1:2], v[142:143], v[1:2], v[128:129]
	s_waitcnt vmcnt(0)
	s_delay_alu instid0(VALU_DEP_1) | instskip(NEXT) | instid1(VALU_DEP_1)
	v_fma_f64 v[1:2], v[152:153], v[3:4], v[1:2]
	v_add_f64 v[1:2], v[126:127], -v[1:2]
	scratch_store_b64 off, v[1:2], off offset:184
	v_cmpx_lt_u32_e32 22, v0
	s_cbranch_execz .LBB59_325
; %bb.324:
	scratch_load_b64 v[1:2], off, off offset:176
	v_mov_b32_e32 v3, 0
	s_delay_alu instid0(VALU_DEP_1)
	v_mov_b32_e32 v4, v3
	scratch_store_b64 off, v[3:4], off offset:176
	s_waitcnt vmcnt(0)
	ds_store_b64 v5, v[1:2]
.LBB59_325:
	s_or_b32 exec_lo, exec_lo, s0
	s_waitcnt lgkmcnt(0)
	s_waitcnt_vscnt null, 0x0
	s_barrier
	buffer_gl0_inv
	s_clause 0x4
	scratch_load_b128 v[126:129], off, off offset:176
	scratch_load_b128 v[130:133], off, off offset:192
	;; [unrolled: 1-line block ×5, first 2 shown]
	v_mov_b32_e32 v1, 0
	ds_load_2addr_b64 v[146:149], v1 offset0:83 offset1:84
	ds_load_2addr_b64 v[150:153], v1 offset0:85 offset1:86
	scratch_load_b128 v[154:157], off, off offset:256
	s_mov_b32 s0, exec_lo
	s_waitcnt vmcnt(5) lgkmcnt(1)
	v_fma_f64 v[2:3], v[128:129], v[146:147], 0
	s_waitcnt vmcnt(4)
	s_delay_alu instid0(VALU_DEP_1) | instskip(SKIP_4) | instid1(VALU_DEP_1)
	v_fma_f64 v[2:3], v[130:131], v[148:149], v[2:3]
	scratch_load_b128 v[128:131], off, off offset:272
	s_waitcnt lgkmcnt(0)
	v_fma_f64 v[2:3], v[132:133], v[150:151], v[2:3]
	s_waitcnt vmcnt(4)
	v_fma_f64 v[2:3], v[134:135], v[152:153], v[2:3]
	ds_load_2addr_b64 v[132:135], v1 offset0:87 offset1:88
	ds_load_2addr_b64 v[146:149], v1 offset0:89 offset1:90
	scratch_load_b128 v[150:153], off, off offset:288
	s_waitcnt lgkmcnt(1)
	v_fma_f64 v[2:3], v[136:137], v[132:133], v[2:3]
	s_waitcnt vmcnt(4)
	s_delay_alu instid0(VALU_DEP_1) | instskip(SKIP_4) | instid1(VALU_DEP_1)
	v_fma_f64 v[2:3], v[138:139], v[134:135], v[2:3]
	scratch_load_b128 v[132:135], off, off offset:304
	s_waitcnt lgkmcnt(0)
	v_fma_f64 v[2:3], v[140:141], v[146:147], v[2:3]
	s_waitcnt vmcnt(4)
	v_fma_f64 v[2:3], v[142:143], v[148:149], v[2:3]
	ds_load_2addr_b64 v[136:139], v1 offset0:91 offset1:92
	ds_load_2addr_b64 v[140:143], v1 offset0:93 offset1:94
	s_waitcnt lgkmcnt(1)
	v_fma_f64 v[2:3], v[144:145], v[136:137], v[2:3]
	scratch_load_b128 v[144:147], off, off offset:320
	s_waitcnt vmcnt(4)
	v_fma_f64 v[2:3], v[154:155], v[138:139], v[2:3]
	scratch_load_b128 v[136:139], off, off offset:336
	s_waitcnt lgkmcnt(0)
	v_fma_f64 v[2:3], v[156:157], v[140:141], v[2:3]
	s_waitcnt vmcnt(4)
	s_delay_alu instid0(VALU_DEP_1)
	v_fma_f64 v[2:3], v[128:129], v[142:143], v[2:3]
	ds_load_2addr_b64 v[140:143], v1 offset0:95 offset1:96
	ds_load_2addr_b64 v[154:157], v1 offset0:97 offset1:98
	s_waitcnt lgkmcnt(1)
	v_fma_f64 v[2:3], v[130:131], v[140:141], v[2:3]
	scratch_load_b128 v[128:131], off, off offset:352
	s_waitcnt vmcnt(4)
	v_fma_f64 v[2:3], v[150:151], v[142:143], v[2:3]
	scratch_load_b128 v[140:143], off, off offset:368
	s_waitcnt lgkmcnt(0)
	v_fma_f64 v[2:3], v[152:153], v[154:155], v[2:3]
	ds_load_2addr_b64 v[148:151], v1 offset0:99 offset1:100
	ds_load_2addr_b64 v[152:155], v1 offset0:101 offset1:102
	s_waitcnt vmcnt(4)
	v_fma_f64 v[2:3], v[132:133], v[156:157], v[2:3]
	s_waitcnt lgkmcnt(1)
	s_delay_alu instid0(VALU_DEP_1) | instskip(SKIP_4) | instid1(VALU_DEP_1)
	v_fma_f64 v[2:3], v[134:135], v[148:149], v[2:3]
	scratch_load_b128 v[132:135], off, off offset:384
	s_waitcnt vmcnt(4)
	v_fma_f64 v[2:3], v[144:145], v[150:151], v[2:3]
	s_waitcnt lgkmcnt(0)
	v_fma_f64 v[2:3], v[146:147], v[152:153], v[2:3]
	scratch_load_b128 v[144:147], off, off offset:400
	s_waitcnt vmcnt(4)
	v_fma_f64 v[2:3], v[136:137], v[154:155], v[2:3]
	ds_load_2addr_b64 v[148:151], v1 offset0:103 offset1:104
	ds_load_2addr_b64 v[152:155], v1 offset0:105 offset1:106
	s_waitcnt lgkmcnt(1)
	v_fma_f64 v[2:3], v[138:139], v[148:149], v[2:3]
	scratch_load_b128 v[136:139], off, off offset:416
	s_waitcnt vmcnt(4)
	v_fma_f64 v[2:3], v[128:129], v[150:151], v[2:3]
	s_waitcnt lgkmcnt(0)
	s_delay_alu instid0(VALU_DEP_1)
	v_fma_f64 v[2:3], v[130:131], v[152:153], v[2:3]
	scratch_load_b128 v[128:131], off, off offset:432
	s_waitcnt vmcnt(4)
	v_fma_f64 v[2:3], v[140:141], v[154:155], v[2:3]
	ds_load_2addr_b64 v[148:151], v1 offset0:107 offset1:108
	ds_load_2addr_b64 v[152:155], v1 offset0:109 offset1:110
	s_waitcnt lgkmcnt(1)
	v_fma_f64 v[2:3], v[142:143], v[148:149], v[2:3]
	scratch_load_b128 v[140:143], off, off offset:448
	s_waitcnt vmcnt(4)
	v_fma_f64 v[2:3], v[132:133], v[150:151], v[2:3]
	s_waitcnt lgkmcnt(0)
	s_delay_alu instid0(VALU_DEP_1)
	v_fma_f64 v[2:3], v[134:135], v[152:153], v[2:3]
	scratch_load_b128 v[132:135], off, off offset:464
	s_waitcnt vmcnt(4)
	v_fma_f64 v[2:3], v[144:145], v[154:155], v[2:3]
	ds_load_2addr_b64 v[148:151], v1 offset0:111 offset1:112
	ds_load_2addr_b64 v[152:155], v1 offset0:113 offset1:114
	s_waitcnt lgkmcnt(1)
	v_fma_f64 v[2:3], v[146:147], v[148:149], v[2:3]
	s_waitcnt vmcnt(3)
	s_delay_alu instid0(VALU_DEP_1) | instskip(SKIP_1) | instid1(VALU_DEP_1)
	v_fma_f64 v[2:3], v[136:137], v[150:151], v[2:3]
	s_waitcnt lgkmcnt(0)
	v_fma_f64 v[2:3], v[138:139], v[152:153], v[2:3]
	ds_load_2addr_b64 v[136:139], v1 offset0:115 offset1:116
	ds_load_2addr_b64 v[144:147], v1 offset0:117 offset1:118
	s_waitcnt vmcnt(2)
	v_fma_f64 v[2:3], v[128:129], v[154:155], v[2:3]
	ds_load_b64 v[128:129], v1 offset:952
	s_waitcnt lgkmcnt(2)
	v_fma_f64 v[2:3], v[130:131], v[136:137], v[2:3]
	s_waitcnt vmcnt(1)
	s_delay_alu instid0(VALU_DEP_1) | instskip(SKIP_1) | instid1(VALU_DEP_1)
	v_fma_f64 v[2:3], v[140:141], v[138:139], v[2:3]
	s_waitcnt lgkmcnt(1)
	v_fma_f64 v[2:3], v[142:143], v[144:145], v[2:3]
	s_waitcnt vmcnt(0)
	s_delay_alu instid0(VALU_DEP_1) | instskip(SKIP_1) | instid1(VALU_DEP_1)
	v_fma_f64 v[2:3], v[132:133], v[146:147], v[2:3]
	s_waitcnt lgkmcnt(0)
	v_fma_f64 v[2:3], v[134:135], v[128:129], v[2:3]
	s_delay_alu instid0(VALU_DEP_1)
	v_add_f64 v[2:3], v[126:127], -v[2:3]
	scratch_store_b64 off, v[2:3], off offset:176
	v_cmpx_lt_u32_e32 21, v0
	s_cbranch_execz .LBB59_327
; %bb.326:
	scratch_load_b64 v[3:4], off, off offset:168
	v_mov_b32_e32 v2, v1
	scratch_store_b64 off, v[1:2], off offset:168
	s_waitcnt vmcnt(0)
	ds_store_b64 v5, v[3:4]
.LBB59_327:
	s_or_b32 exec_lo, exec_lo, s0
	s_waitcnt lgkmcnt(0)
	s_waitcnt_vscnt null, 0x0
	s_barrier
	buffer_gl0_inv
	s_clause 0x4
	scratch_load_b128 v[126:129], off, off offset:168
	scratch_load_b128 v[130:133], off, off offset:184
	;; [unrolled: 1-line block ×5, first 2 shown]
	ds_load_b128 v[146:149], v1 offset:656
	ds_load_b128 v[150:153], v1 offset:672
	scratch_load_b128 v[154:157], off, off offset:248
	s_mov_b32 s0, exec_lo
	s_waitcnt vmcnt(5) lgkmcnt(1)
	v_fma_f64 v[2:3], v[128:129], v[146:147], 0
	s_waitcnt vmcnt(4)
	s_delay_alu instid0(VALU_DEP_1) | instskip(SKIP_4) | instid1(VALU_DEP_1)
	v_fma_f64 v[2:3], v[130:131], v[148:149], v[2:3]
	scratch_load_b128 v[128:131], off, off offset:264
	s_waitcnt lgkmcnt(0)
	v_fma_f64 v[2:3], v[132:133], v[150:151], v[2:3]
	s_waitcnt vmcnt(4)
	v_fma_f64 v[2:3], v[134:135], v[152:153], v[2:3]
	ds_load_b128 v[132:135], v1 offset:688
	ds_load_b128 v[146:149], v1 offset:704
	scratch_load_b128 v[150:153], off, off offset:280
	s_waitcnt lgkmcnt(1)
	v_fma_f64 v[2:3], v[136:137], v[132:133], v[2:3]
	s_waitcnt vmcnt(4)
	s_delay_alu instid0(VALU_DEP_1) | instskip(SKIP_4) | instid1(VALU_DEP_1)
	v_fma_f64 v[2:3], v[138:139], v[134:135], v[2:3]
	scratch_load_b128 v[132:135], off, off offset:296
	s_waitcnt lgkmcnt(0)
	v_fma_f64 v[2:3], v[140:141], v[146:147], v[2:3]
	s_waitcnt vmcnt(4)
	v_fma_f64 v[2:3], v[142:143], v[148:149], v[2:3]
	ds_load_b128 v[136:139], v1 offset:720
	ds_load_b128 v[140:143], v1 offset:736
	s_waitcnt lgkmcnt(1)
	v_fma_f64 v[2:3], v[144:145], v[136:137], v[2:3]
	scratch_load_b128 v[144:147], off, off offset:312
	s_waitcnt vmcnt(4)
	v_fma_f64 v[2:3], v[154:155], v[138:139], v[2:3]
	scratch_load_b128 v[136:139], off, off offset:328
	s_waitcnt lgkmcnt(0)
	v_fma_f64 v[2:3], v[156:157], v[140:141], v[2:3]
	s_waitcnt vmcnt(4)
	s_delay_alu instid0(VALU_DEP_1)
	v_fma_f64 v[2:3], v[128:129], v[142:143], v[2:3]
	ds_load_b128 v[140:143], v1 offset:752
	ds_load_b128 v[154:157], v1 offset:768
	s_waitcnt lgkmcnt(1)
	v_fma_f64 v[2:3], v[130:131], v[140:141], v[2:3]
	scratch_load_b128 v[128:131], off, off offset:344
	s_waitcnt vmcnt(4)
	v_fma_f64 v[2:3], v[150:151], v[142:143], v[2:3]
	scratch_load_b128 v[140:143], off, off offset:360
	s_waitcnt lgkmcnt(0)
	v_fma_f64 v[2:3], v[152:153], v[154:155], v[2:3]
	ds_load_b128 v[148:151], v1 offset:784
	ds_load_b128 v[152:155], v1 offset:800
	s_waitcnt vmcnt(4)
	v_fma_f64 v[2:3], v[132:133], v[156:157], v[2:3]
	s_waitcnt lgkmcnt(1)
	s_delay_alu instid0(VALU_DEP_1) | instskip(SKIP_4) | instid1(VALU_DEP_1)
	v_fma_f64 v[2:3], v[134:135], v[148:149], v[2:3]
	scratch_load_b128 v[132:135], off, off offset:376
	s_waitcnt vmcnt(4)
	v_fma_f64 v[2:3], v[144:145], v[150:151], v[2:3]
	s_waitcnt lgkmcnt(0)
	v_fma_f64 v[2:3], v[146:147], v[152:153], v[2:3]
	scratch_load_b128 v[144:147], off, off offset:392
	s_waitcnt vmcnt(4)
	v_fma_f64 v[2:3], v[136:137], v[154:155], v[2:3]
	ds_load_b128 v[148:151], v1 offset:816
	ds_load_b128 v[152:155], v1 offset:832
	s_waitcnt lgkmcnt(1)
	v_fma_f64 v[2:3], v[138:139], v[148:149], v[2:3]
	scratch_load_b128 v[136:139], off, off offset:408
	s_waitcnt vmcnt(4)
	v_fma_f64 v[2:3], v[128:129], v[150:151], v[2:3]
	s_waitcnt lgkmcnt(0)
	s_delay_alu instid0(VALU_DEP_1)
	v_fma_f64 v[2:3], v[130:131], v[152:153], v[2:3]
	scratch_load_b128 v[128:131], off, off offset:424
	s_waitcnt vmcnt(4)
	v_fma_f64 v[2:3], v[140:141], v[154:155], v[2:3]
	ds_load_b128 v[148:151], v1 offset:848
	ds_load_b128 v[152:155], v1 offset:864
	s_waitcnt lgkmcnt(1)
	v_fma_f64 v[2:3], v[142:143], v[148:149], v[2:3]
	scratch_load_b128 v[140:143], off, off offset:440
	s_waitcnt vmcnt(4)
	v_fma_f64 v[2:3], v[132:133], v[150:151], v[2:3]
	s_waitcnt lgkmcnt(0)
	s_delay_alu instid0(VALU_DEP_1)
	v_fma_f64 v[2:3], v[134:135], v[152:153], v[2:3]
	scratch_load_b128 v[132:135], off, off offset:456
	s_waitcnt vmcnt(4)
	v_fma_f64 v[2:3], v[144:145], v[154:155], v[2:3]
	ds_load_b128 v[148:151], v1 offset:880
	ds_load_b128 v[152:155], v1 offset:896
	s_waitcnt lgkmcnt(1)
	v_fma_f64 v[2:3], v[146:147], v[148:149], v[2:3]
	scratch_load_b64 v[148:149], off, off offset:472
	s_waitcnt vmcnt(4)
	v_fma_f64 v[2:3], v[136:137], v[150:151], v[2:3]
	s_waitcnt lgkmcnt(0)
	s_delay_alu instid0(VALU_DEP_1)
	v_fma_f64 v[2:3], v[138:139], v[152:153], v[2:3]
	ds_load_b128 v[136:139], v1 offset:912
	ds_load_b128 v[144:147], v1 offset:928
	s_waitcnt vmcnt(3)
	v_fma_f64 v[2:3], v[128:129], v[154:155], v[2:3]
	s_waitcnt lgkmcnt(1)
	s_delay_alu instid0(VALU_DEP_1) | instskip(SKIP_1) | instid1(VALU_DEP_1)
	v_fma_f64 v[2:3], v[130:131], v[136:137], v[2:3]
	s_waitcnt vmcnt(2)
	v_fma_f64 v[2:3], v[140:141], v[138:139], v[2:3]
	s_waitcnt lgkmcnt(0)
	s_delay_alu instid0(VALU_DEP_1) | instskip(SKIP_1) | instid1(VALU_DEP_1)
	v_fma_f64 v[2:3], v[142:143], v[144:145], v[2:3]
	s_waitcnt vmcnt(1)
	v_fma_f64 v[128:129], v[132:133], v[146:147], v[2:3]
	ds_load_b128 v[1:4], v1 offset:944
	s_waitcnt lgkmcnt(0)
	v_fma_f64 v[1:2], v[134:135], v[1:2], v[128:129]
	s_waitcnt vmcnt(0)
	s_delay_alu instid0(VALU_DEP_1) | instskip(NEXT) | instid1(VALU_DEP_1)
	v_fma_f64 v[1:2], v[148:149], v[3:4], v[1:2]
	v_add_f64 v[1:2], v[126:127], -v[1:2]
	scratch_store_b64 off, v[1:2], off offset:168
	v_cmpx_lt_u32_e32 20, v0
	s_cbranch_execz .LBB59_329
; %bb.328:
	scratch_load_b64 v[1:2], off, off offset:160
	v_mov_b32_e32 v3, 0
	s_delay_alu instid0(VALU_DEP_1)
	v_mov_b32_e32 v4, v3
	scratch_store_b64 off, v[3:4], off offset:160
	s_waitcnt vmcnt(0)
	ds_store_b64 v5, v[1:2]
.LBB59_329:
	s_or_b32 exec_lo, exec_lo, s0
	s_waitcnt lgkmcnt(0)
	s_waitcnt_vscnt null, 0x0
	s_barrier
	buffer_gl0_inv
	s_clause 0x4
	scratch_load_b128 v[126:129], off, off offset:160
	scratch_load_b128 v[130:133], off, off offset:176
	;; [unrolled: 1-line block ×5, first 2 shown]
	v_mov_b32_e32 v1, 0
	ds_load_2addr_b64 v[146:149], v1 offset0:81 offset1:82
	ds_load_2addr_b64 v[150:153], v1 offset0:83 offset1:84
	scratch_load_b128 v[154:157], off, off offset:240
	s_mov_b32 s0, exec_lo
	s_waitcnt vmcnt(5) lgkmcnt(1)
	v_fma_f64 v[2:3], v[128:129], v[146:147], 0
	s_waitcnt vmcnt(4)
	s_delay_alu instid0(VALU_DEP_1) | instskip(SKIP_4) | instid1(VALU_DEP_1)
	v_fma_f64 v[2:3], v[130:131], v[148:149], v[2:3]
	scratch_load_b128 v[128:131], off, off offset:256
	s_waitcnt lgkmcnt(0)
	v_fma_f64 v[2:3], v[132:133], v[150:151], v[2:3]
	s_waitcnt vmcnt(4)
	v_fma_f64 v[2:3], v[134:135], v[152:153], v[2:3]
	ds_load_2addr_b64 v[132:135], v1 offset0:85 offset1:86
	ds_load_2addr_b64 v[146:149], v1 offset0:87 offset1:88
	scratch_load_b128 v[150:153], off, off offset:272
	s_waitcnt lgkmcnt(1)
	v_fma_f64 v[2:3], v[136:137], v[132:133], v[2:3]
	s_waitcnt vmcnt(4)
	s_delay_alu instid0(VALU_DEP_1) | instskip(SKIP_4) | instid1(VALU_DEP_1)
	v_fma_f64 v[2:3], v[138:139], v[134:135], v[2:3]
	scratch_load_b128 v[132:135], off, off offset:288
	s_waitcnt lgkmcnt(0)
	v_fma_f64 v[2:3], v[140:141], v[146:147], v[2:3]
	s_waitcnt vmcnt(4)
	v_fma_f64 v[2:3], v[142:143], v[148:149], v[2:3]
	ds_load_2addr_b64 v[136:139], v1 offset0:89 offset1:90
	ds_load_2addr_b64 v[140:143], v1 offset0:91 offset1:92
	s_waitcnt lgkmcnt(1)
	v_fma_f64 v[2:3], v[144:145], v[136:137], v[2:3]
	scratch_load_b128 v[144:147], off, off offset:304
	s_waitcnt vmcnt(4)
	v_fma_f64 v[2:3], v[154:155], v[138:139], v[2:3]
	scratch_load_b128 v[136:139], off, off offset:320
	s_waitcnt lgkmcnt(0)
	v_fma_f64 v[2:3], v[156:157], v[140:141], v[2:3]
	s_waitcnt vmcnt(4)
	s_delay_alu instid0(VALU_DEP_1)
	v_fma_f64 v[2:3], v[128:129], v[142:143], v[2:3]
	ds_load_2addr_b64 v[140:143], v1 offset0:93 offset1:94
	ds_load_2addr_b64 v[154:157], v1 offset0:95 offset1:96
	s_waitcnt lgkmcnt(1)
	v_fma_f64 v[2:3], v[130:131], v[140:141], v[2:3]
	scratch_load_b128 v[128:131], off, off offset:336
	s_waitcnt vmcnt(4)
	v_fma_f64 v[2:3], v[150:151], v[142:143], v[2:3]
	scratch_load_b128 v[140:143], off, off offset:352
	s_waitcnt lgkmcnt(0)
	v_fma_f64 v[2:3], v[152:153], v[154:155], v[2:3]
	ds_load_2addr_b64 v[148:151], v1 offset0:97 offset1:98
	ds_load_2addr_b64 v[152:155], v1 offset0:99 offset1:100
	s_waitcnt vmcnt(4)
	v_fma_f64 v[2:3], v[132:133], v[156:157], v[2:3]
	s_waitcnt lgkmcnt(1)
	s_delay_alu instid0(VALU_DEP_1) | instskip(SKIP_4) | instid1(VALU_DEP_1)
	v_fma_f64 v[2:3], v[134:135], v[148:149], v[2:3]
	scratch_load_b128 v[132:135], off, off offset:368
	s_waitcnt vmcnt(4)
	v_fma_f64 v[2:3], v[144:145], v[150:151], v[2:3]
	s_waitcnt lgkmcnt(0)
	v_fma_f64 v[2:3], v[146:147], v[152:153], v[2:3]
	scratch_load_b128 v[144:147], off, off offset:384
	s_waitcnt vmcnt(4)
	v_fma_f64 v[2:3], v[136:137], v[154:155], v[2:3]
	ds_load_2addr_b64 v[148:151], v1 offset0:101 offset1:102
	ds_load_2addr_b64 v[152:155], v1 offset0:103 offset1:104
	s_waitcnt lgkmcnt(1)
	v_fma_f64 v[2:3], v[138:139], v[148:149], v[2:3]
	scratch_load_b128 v[136:139], off, off offset:400
	s_waitcnt vmcnt(4)
	v_fma_f64 v[2:3], v[128:129], v[150:151], v[2:3]
	s_waitcnt lgkmcnt(0)
	s_delay_alu instid0(VALU_DEP_1)
	v_fma_f64 v[2:3], v[130:131], v[152:153], v[2:3]
	scratch_load_b128 v[128:131], off, off offset:416
	s_waitcnt vmcnt(4)
	v_fma_f64 v[2:3], v[140:141], v[154:155], v[2:3]
	ds_load_2addr_b64 v[148:151], v1 offset0:105 offset1:106
	ds_load_2addr_b64 v[152:155], v1 offset0:107 offset1:108
	s_waitcnt lgkmcnt(1)
	v_fma_f64 v[2:3], v[142:143], v[148:149], v[2:3]
	scratch_load_b128 v[140:143], off, off offset:432
	s_waitcnt vmcnt(4)
	v_fma_f64 v[2:3], v[132:133], v[150:151], v[2:3]
	s_waitcnt lgkmcnt(0)
	s_delay_alu instid0(VALU_DEP_1)
	;; [unrolled: 13-line block ×3, first 2 shown]
	v_fma_f64 v[2:3], v[138:139], v[152:153], v[2:3]
	ds_load_2addr_b64 v[136:139], v1 offset0:113 offset1:114
	ds_load_2addr_b64 v[148:151], v1 offset0:115 offset1:116
	s_waitcnt vmcnt(3)
	v_fma_f64 v[2:3], v[128:129], v[154:155], v[2:3]
	s_waitcnt lgkmcnt(1)
	s_delay_alu instid0(VALU_DEP_1) | instskip(SKIP_1) | instid1(VALU_DEP_1)
	v_fma_f64 v[2:3], v[130:131], v[136:137], v[2:3]
	s_waitcnt vmcnt(2)
	v_fma_f64 v[2:3], v[140:141], v[138:139], v[2:3]
	s_waitcnt lgkmcnt(0)
	s_delay_alu instid0(VALU_DEP_1) | instskip(SKIP_1) | instid1(VALU_DEP_1)
	v_fma_f64 v[2:3], v[142:143], v[148:149], v[2:3]
	s_waitcnt vmcnt(1)
	v_fma_f64 v[2:3], v[132:133], v[150:151], v[2:3]
	ds_load_2addr_b64 v[128:131], v1 offset0:117 offset1:118
	ds_load_b64 v[132:133], v1 offset:952
	s_waitcnt lgkmcnt(1)
	v_fma_f64 v[2:3], v[134:135], v[128:129], v[2:3]
	s_waitcnt vmcnt(0)
	s_delay_alu instid0(VALU_DEP_1) | instskip(SKIP_1) | instid1(VALU_DEP_1)
	v_fma_f64 v[2:3], v[144:145], v[130:131], v[2:3]
	s_waitcnt lgkmcnt(0)
	v_fma_f64 v[2:3], v[146:147], v[132:133], v[2:3]
	s_delay_alu instid0(VALU_DEP_1)
	v_add_f64 v[2:3], v[126:127], -v[2:3]
	scratch_store_b64 off, v[2:3], off offset:160
	v_cmpx_lt_u32_e32 19, v0
	s_cbranch_execz .LBB59_331
; %bb.330:
	scratch_load_b64 v[3:4], off, off offset:152
	v_mov_b32_e32 v2, v1
	scratch_store_b64 off, v[1:2], off offset:152
	s_waitcnt vmcnt(0)
	ds_store_b64 v5, v[3:4]
.LBB59_331:
	s_or_b32 exec_lo, exec_lo, s0
	s_waitcnt lgkmcnt(0)
	s_waitcnt_vscnt null, 0x0
	s_barrier
	buffer_gl0_inv
	s_clause 0x4
	scratch_load_b128 v[126:129], off, off offset:152
	scratch_load_b128 v[130:133], off, off offset:168
	;; [unrolled: 1-line block ×5, first 2 shown]
	ds_load_b128 v[146:149], v1 offset:640
	ds_load_b128 v[150:153], v1 offset:656
	scratch_load_b128 v[154:157], off, off offset:232
	s_mov_b32 s0, exec_lo
	s_waitcnt vmcnt(5) lgkmcnt(1)
	v_fma_f64 v[2:3], v[128:129], v[146:147], 0
	s_waitcnt vmcnt(4)
	s_delay_alu instid0(VALU_DEP_1) | instskip(SKIP_4) | instid1(VALU_DEP_1)
	v_fma_f64 v[2:3], v[130:131], v[148:149], v[2:3]
	scratch_load_b128 v[128:131], off, off offset:248
	s_waitcnt lgkmcnt(0)
	v_fma_f64 v[2:3], v[132:133], v[150:151], v[2:3]
	s_waitcnt vmcnt(4)
	v_fma_f64 v[2:3], v[134:135], v[152:153], v[2:3]
	ds_load_b128 v[132:135], v1 offset:672
	ds_load_b128 v[146:149], v1 offset:688
	scratch_load_b128 v[150:153], off, off offset:264
	s_waitcnt lgkmcnt(1)
	v_fma_f64 v[2:3], v[136:137], v[132:133], v[2:3]
	s_waitcnt vmcnt(4)
	s_delay_alu instid0(VALU_DEP_1) | instskip(SKIP_4) | instid1(VALU_DEP_1)
	v_fma_f64 v[2:3], v[138:139], v[134:135], v[2:3]
	scratch_load_b128 v[132:135], off, off offset:280
	s_waitcnt lgkmcnt(0)
	v_fma_f64 v[2:3], v[140:141], v[146:147], v[2:3]
	s_waitcnt vmcnt(4)
	v_fma_f64 v[2:3], v[142:143], v[148:149], v[2:3]
	ds_load_b128 v[136:139], v1 offset:704
	ds_load_b128 v[140:143], v1 offset:720
	s_waitcnt lgkmcnt(1)
	v_fma_f64 v[2:3], v[144:145], v[136:137], v[2:3]
	scratch_load_b128 v[144:147], off, off offset:296
	s_waitcnt vmcnt(4)
	v_fma_f64 v[2:3], v[154:155], v[138:139], v[2:3]
	scratch_load_b128 v[136:139], off, off offset:312
	s_waitcnt lgkmcnt(0)
	v_fma_f64 v[2:3], v[156:157], v[140:141], v[2:3]
	s_waitcnt vmcnt(4)
	s_delay_alu instid0(VALU_DEP_1)
	v_fma_f64 v[2:3], v[128:129], v[142:143], v[2:3]
	ds_load_b128 v[140:143], v1 offset:736
	ds_load_b128 v[154:157], v1 offset:752
	s_waitcnt lgkmcnt(1)
	v_fma_f64 v[2:3], v[130:131], v[140:141], v[2:3]
	scratch_load_b128 v[128:131], off, off offset:328
	s_waitcnt vmcnt(4)
	v_fma_f64 v[2:3], v[150:151], v[142:143], v[2:3]
	scratch_load_b128 v[140:143], off, off offset:344
	s_waitcnt lgkmcnt(0)
	v_fma_f64 v[2:3], v[152:153], v[154:155], v[2:3]
	ds_load_b128 v[148:151], v1 offset:768
	ds_load_b128 v[152:155], v1 offset:784
	s_waitcnt vmcnt(4)
	v_fma_f64 v[2:3], v[132:133], v[156:157], v[2:3]
	s_waitcnt lgkmcnt(1)
	s_delay_alu instid0(VALU_DEP_1) | instskip(SKIP_4) | instid1(VALU_DEP_1)
	v_fma_f64 v[2:3], v[134:135], v[148:149], v[2:3]
	scratch_load_b128 v[132:135], off, off offset:360
	s_waitcnt vmcnt(4)
	v_fma_f64 v[2:3], v[144:145], v[150:151], v[2:3]
	s_waitcnt lgkmcnt(0)
	v_fma_f64 v[2:3], v[146:147], v[152:153], v[2:3]
	scratch_load_b128 v[144:147], off, off offset:376
	s_waitcnt vmcnt(4)
	v_fma_f64 v[2:3], v[136:137], v[154:155], v[2:3]
	ds_load_b128 v[148:151], v1 offset:800
	ds_load_b128 v[152:155], v1 offset:816
	s_waitcnt lgkmcnt(1)
	v_fma_f64 v[2:3], v[138:139], v[148:149], v[2:3]
	scratch_load_b128 v[136:139], off, off offset:392
	s_waitcnt vmcnt(4)
	v_fma_f64 v[2:3], v[128:129], v[150:151], v[2:3]
	s_waitcnt lgkmcnt(0)
	s_delay_alu instid0(VALU_DEP_1)
	v_fma_f64 v[2:3], v[130:131], v[152:153], v[2:3]
	scratch_load_b128 v[128:131], off, off offset:408
	s_waitcnt vmcnt(4)
	v_fma_f64 v[2:3], v[140:141], v[154:155], v[2:3]
	ds_load_b128 v[148:151], v1 offset:832
	ds_load_b128 v[152:155], v1 offset:848
	s_waitcnt lgkmcnt(1)
	v_fma_f64 v[2:3], v[142:143], v[148:149], v[2:3]
	scratch_load_b128 v[140:143], off, off offset:424
	s_waitcnt vmcnt(4)
	v_fma_f64 v[2:3], v[132:133], v[150:151], v[2:3]
	s_waitcnt lgkmcnt(0)
	s_delay_alu instid0(VALU_DEP_1)
	;; [unrolled: 13-line block ×3, first 2 shown]
	v_fma_f64 v[2:3], v[138:139], v[152:153], v[2:3]
	scratch_load_b64 v[152:153], off, off offset:472
	ds_load_b128 v[136:139], v1 offset:896
	ds_load_b128 v[148:151], v1 offset:912
	s_waitcnt vmcnt(4)
	v_fma_f64 v[2:3], v[128:129], v[154:155], v[2:3]
	s_waitcnt lgkmcnt(1)
	s_delay_alu instid0(VALU_DEP_1) | instskip(SKIP_1) | instid1(VALU_DEP_1)
	v_fma_f64 v[2:3], v[130:131], v[136:137], v[2:3]
	s_waitcnt vmcnt(3)
	v_fma_f64 v[2:3], v[140:141], v[138:139], v[2:3]
	s_waitcnt lgkmcnt(0)
	s_delay_alu instid0(VALU_DEP_1) | instskip(SKIP_1) | instid1(VALU_DEP_1)
	v_fma_f64 v[2:3], v[142:143], v[148:149], v[2:3]
	s_waitcnt vmcnt(2)
	v_fma_f64 v[132:133], v[132:133], v[150:151], v[2:3]
	ds_load_b128 v[128:131], v1 offset:928
	ds_load_b128 v[1:4], v1 offset:944
	s_waitcnt lgkmcnt(1)
	v_fma_f64 v[128:129], v[134:135], v[128:129], v[132:133]
	s_waitcnt vmcnt(1)
	s_delay_alu instid0(VALU_DEP_1) | instskip(SKIP_1) | instid1(VALU_DEP_1)
	v_fma_f64 v[128:129], v[144:145], v[130:131], v[128:129]
	s_waitcnt lgkmcnt(0)
	v_fma_f64 v[1:2], v[146:147], v[1:2], v[128:129]
	s_waitcnt vmcnt(0)
	s_delay_alu instid0(VALU_DEP_1) | instskip(NEXT) | instid1(VALU_DEP_1)
	v_fma_f64 v[1:2], v[152:153], v[3:4], v[1:2]
	v_add_f64 v[1:2], v[126:127], -v[1:2]
	scratch_store_b64 off, v[1:2], off offset:152
	v_cmpx_lt_u32_e32 18, v0
	s_cbranch_execz .LBB59_333
; %bb.332:
	scratch_load_b64 v[1:2], off, off offset:144
	v_mov_b32_e32 v3, 0
	s_delay_alu instid0(VALU_DEP_1)
	v_mov_b32_e32 v4, v3
	scratch_store_b64 off, v[3:4], off offset:144
	s_waitcnt vmcnt(0)
	ds_store_b64 v5, v[1:2]
.LBB59_333:
	s_or_b32 exec_lo, exec_lo, s0
	s_waitcnt lgkmcnt(0)
	s_waitcnt_vscnt null, 0x0
	s_barrier
	buffer_gl0_inv
	s_clause 0x4
	scratch_load_b128 v[126:129], off, off offset:144
	scratch_load_b128 v[130:133], off, off offset:160
	;; [unrolled: 1-line block ×5, first 2 shown]
	v_mov_b32_e32 v1, 0
	ds_load_2addr_b64 v[146:149], v1 offset0:79 offset1:80
	ds_load_2addr_b64 v[150:153], v1 offset0:81 offset1:82
	scratch_load_b128 v[154:157], off, off offset:224
	s_mov_b32 s0, exec_lo
	s_waitcnt vmcnt(5) lgkmcnt(1)
	v_fma_f64 v[2:3], v[128:129], v[146:147], 0
	s_waitcnt vmcnt(4)
	s_delay_alu instid0(VALU_DEP_1) | instskip(SKIP_4) | instid1(VALU_DEP_1)
	v_fma_f64 v[2:3], v[130:131], v[148:149], v[2:3]
	scratch_load_b128 v[128:131], off, off offset:240
	s_waitcnt lgkmcnt(0)
	v_fma_f64 v[2:3], v[132:133], v[150:151], v[2:3]
	s_waitcnt vmcnt(4)
	v_fma_f64 v[2:3], v[134:135], v[152:153], v[2:3]
	ds_load_2addr_b64 v[132:135], v1 offset0:83 offset1:84
	ds_load_2addr_b64 v[146:149], v1 offset0:85 offset1:86
	scratch_load_b128 v[150:153], off, off offset:256
	s_waitcnt lgkmcnt(1)
	v_fma_f64 v[2:3], v[136:137], v[132:133], v[2:3]
	s_waitcnt vmcnt(4)
	s_delay_alu instid0(VALU_DEP_1) | instskip(SKIP_4) | instid1(VALU_DEP_1)
	v_fma_f64 v[2:3], v[138:139], v[134:135], v[2:3]
	scratch_load_b128 v[132:135], off, off offset:272
	s_waitcnt lgkmcnt(0)
	v_fma_f64 v[2:3], v[140:141], v[146:147], v[2:3]
	s_waitcnt vmcnt(4)
	v_fma_f64 v[2:3], v[142:143], v[148:149], v[2:3]
	ds_load_2addr_b64 v[136:139], v1 offset0:87 offset1:88
	ds_load_2addr_b64 v[140:143], v1 offset0:89 offset1:90
	s_waitcnt lgkmcnt(1)
	v_fma_f64 v[2:3], v[144:145], v[136:137], v[2:3]
	scratch_load_b128 v[144:147], off, off offset:288
	s_waitcnt vmcnt(4)
	v_fma_f64 v[2:3], v[154:155], v[138:139], v[2:3]
	scratch_load_b128 v[136:139], off, off offset:304
	s_waitcnt lgkmcnt(0)
	v_fma_f64 v[2:3], v[156:157], v[140:141], v[2:3]
	s_waitcnt vmcnt(4)
	s_delay_alu instid0(VALU_DEP_1)
	v_fma_f64 v[2:3], v[128:129], v[142:143], v[2:3]
	ds_load_2addr_b64 v[140:143], v1 offset0:91 offset1:92
	ds_load_2addr_b64 v[154:157], v1 offset0:93 offset1:94
	s_waitcnt lgkmcnt(1)
	v_fma_f64 v[2:3], v[130:131], v[140:141], v[2:3]
	scratch_load_b128 v[128:131], off, off offset:320
	s_waitcnt vmcnt(4)
	v_fma_f64 v[2:3], v[150:151], v[142:143], v[2:3]
	scratch_load_b128 v[140:143], off, off offset:336
	s_waitcnt lgkmcnt(0)
	v_fma_f64 v[2:3], v[152:153], v[154:155], v[2:3]
	ds_load_2addr_b64 v[148:151], v1 offset0:95 offset1:96
	ds_load_2addr_b64 v[152:155], v1 offset0:97 offset1:98
	s_waitcnt vmcnt(4)
	v_fma_f64 v[2:3], v[132:133], v[156:157], v[2:3]
	s_waitcnt lgkmcnt(1)
	s_delay_alu instid0(VALU_DEP_1) | instskip(SKIP_4) | instid1(VALU_DEP_1)
	v_fma_f64 v[2:3], v[134:135], v[148:149], v[2:3]
	scratch_load_b128 v[132:135], off, off offset:352
	s_waitcnt vmcnt(4)
	v_fma_f64 v[2:3], v[144:145], v[150:151], v[2:3]
	s_waitcnt lgkmcnt(0)
	v_fma_f64 v[2:3], v[146:147], v[152:153], v[2:3]
	scratch_load_b128 v[144:147], off, off offset:368
	s_waitcnt vmcnt(4)
	v_fma_f64 v[2:3], v[136:137], v[154:155], v[2:3]
	ds_load_2addr_b64 v[148:151], v1 offset0:99 offset1:100
	ds_load_2addr_b64 v[152:155], v1 offset0:101 offset1:102
	s_waitcnt lgkmcnt(1)
	v_fma_f64 v[2:3], v[138:139], v[148:149], v[2:3]
	scratch_load_b128 v[136:139], off, off offset:384
	s_waitcnt vmcnt(4)
	v_fma_f64 v[2:3], v[128:129], v[150:151], v[2:3]
	s_waitcnt lgkmcnt(0)
	s_delay_alu instid0(VALU_DEP_1)
	v_fma_f64 v[2:3], v[130:131], v[152:153], v[2:3]
	scratch_load_b128 v[128:131], off, off offset:400
	s_waitcnt vmcnt(4)
	v_fma_f64 v[2:3], v[140:141], v[154:155], v[2:3]
	ds_load_2addr_b64 v[148:151], v1 offset0:103 offset1:104
	ds_load_2addr_b64 v[152:155], v1 offset0:105 offset1:106
	s_waitcnt lgkmcnt(1)
	v_fma_f64 v[2:3], v[142:143], v[148:149], v[2:3]
	scratch_load_b128 v[140:143], off, off offset:416
	s_waitcnt vmcnt(4)
	v_fma_f64 v[2:3], v[132:133], v[150:151], v[2:3]
	s_waitcnt lgkmcnt(0)
	s_delay_alu instid0(VALU_DEP_1)
	;; [unrolled: 13-line block ×3, first 2 shown]
	v_fma_f64 v[2:3], v[138:139], v[152:153], v[2:3]
	scratch_load_b128 v[136:139], off, off offset:464
	s_waitcnt vmcnt(4)
	v_fma_f64 v[2:3], v[128:129], v[154:155], v[2:3]
	ds_load_2addr_b64 v[148:151], v1 offset0:111 offset1:112
	ds_load_2addr_b64 v[152:155], v1 offset0:113 offset1:114
	s_waitcnt lgkmcnt(1)
	v_fma_f64 v[2:3], v[130:131], v[148:149], v[2:3]
	s_waitcnt vmcnt(3)
	s_delay_alu instid0(VALU_DEP_1) | instskip(SKIP_1) | instid1(VALU_DEP_1)
	v_fma_f64 v[2:3], v[140:141], v[150:151], v[2:3]
	s_waitcnt lgkmcnt(0)
	v_fma_f64 v[2:3], v[142:143], v[152:153], v[2:3]
	ds_load_2addr_b64 v[128:131], v1 offset0:115 offset1:116
	ds_load_2addr_b64 v[140:143], v1 offset0:117 offset1:118
	s_waitcnt vmcnt(2)
	v_fma_f64 v[2:3], v[132:133], v[154:155], v[2:3]
	s_waitcnt lgkmcnt(1)
	s_delay_alu instid0(VALU_DEP_1) | instskip(SKIP_4) | instid1(VALU_DEP_1)
	v_fma_f64 v[2:3], v[134:135], v[128:129], v[2:3]
	ds_load_b64 v[128:129], v1 offset:952
	s_waitcnt vmcnt(1)
	v_fma_f64 v[2:3], v[144:145], v[130:131], v[2:3]
	s_waitcnt lgkmcnt(1)
	v_fma_f64 v[2:3], v[146:147], v[140:141], v[2:3]
	s_waitcnt vmcnt(0)
	s_delay_alu instid0(VALU_DEP_1) | instskip(SKIP_1) | instid1(VALU_DEP_1)
	v_fma_f64 v[2:3], v[136:137], v[142:143], v[2:3]
	s_waitcnt lgkmcnt(0)
	v_fma_f64 v[2:3], v[138:139], v[128:129], v[2:3]
	s_delay_alu instid0(VALU_DEP_1)
	v_add_f64 v[2:3], v[126:127], -v[2:3]
	scratch_store_b64 off, v[2:3], off offset:144
	v_cmpx_lt_u32_e32 17, v0
	s_cbranch_execz .LBB59_335
; %bb.334:
	scratch_load_b64 v[3:4], off, off offset:136
	v_mov_b32_e32 v2, v1
	scratch_store_b64 off, v[1:2], off offset:136
	s_waitcnt vmcnt(0)
	ds_store_b64 v5, v[3:4]
.LBB59_335:
	s_or_b32 exec_lo, exec_lo, s0
	s_waitcnt lgkmcnt(0)
	s_waitcnt_vscnt null, 0x0
	s_barrier
	buffer_gl0_inv
	s_clause 0x4
	scratch_load_b128 v[126:129], off, off offset:136
	scratch_load_b128 v[130:133], off, off offset:152
	;; [unrolled: 1-line block ×5, first 2 shown]
	ds_load_b128 v[146:149], v1 offset:624
	ds_load_b128 v[150:153], v1 offset:640
	scratch_load_b128 v[154:157], off, off offset:216
	s_mov_b32 s0, exec_lo
	s_waitcnt vmcnt(5) lgkmcnt(1)
	v_fma_f64 v[2:3], v[128:129], v[146:147], 0
	s_waitcnt vmcnt(4)
	s_delay_alu instid0(VALU_DEP_1) | instskip(SKIP_4) | instid1(VALU_DEP_1)
	v_fma_f64 v[2:3], v[130:131], v[148:149], v[2:3]
	scratch_load_b128 v[128:131], off, off offset:232
	s_waitcnt lgkmcnt(0)
	v_fma_f64 v[2:3], v[132:133], v[150:151], v[2:3]
	s_waitcnt vmcnt(4)
	v_fma_f64 v[2:3], v[134:135], v[152:153], v[2:3]
	ds_load_b128 v[132:135], v1 offset:656
	ds_load_b128 v[146:149], v1 offset:672
	scratch_load_b128 v[150:153], off, off offset:248
	s_waitcnt lgkmcnt(1)
	v_fma_f64 v[2:3], v[136:137], v[132:133], v[2:3]
	s_waitcnt vmcnt(4)
	s_delay_alu instid0(VALU_DEP_1) | instskip(SKIP_4) | instid1(VALU_DEP_1)
	v_fma_f64 v[2:3], v[138:139], v[134:135], v[2:3]
	scratch_load_b128 v[132:135], off, off offset:264
	s_waitcnt lgkmcnt(0)
	v_fma_f64 v[2:3], v[140:141], v[146:147], v[2:3]
	s_waitcnt vmcnt(4)
	v_fma_f64 v[2:3], v[142:143], v[148:149], v[2:3]
	ds_load_b128 v[136:139], v1 offset:688
	ds_load_b128 v[140:143], v1 offset:704
	s_waitcnt lgkmcnt(1)
	v_fma_f64 v[2:3], v[144:145], v[136:137], v[2:3]
	scratch_load_b128 v[144:147], off, off offset:280
	s_waitcnt vmcnt(4)
	v_fma_f64 v[2:3], v[154:155], v[138:139], v[2:3]
	scratch_load_b128 v[136:139], off, off offset:296
	s_waitcnt lgkmcnt(0)
	v_fma_f64 v[2:3], v[156:157], v[140:141], v[2:3]
	s_waitcnt vmcnt(4)
	s_delay_alu instid0(VALU_DEP_1)
	v_fma_f64 v[2:3], v[128:129], v[142:143], v[2:3]
	ds_load_b128 v[140:143], v1 offset:720
	ds_load_b128 v[154:157], v1 offset:736
	s_waitcnt lgkmcnt(1)
	v_fma_f64 v[2:3], v[130:131], v[140:141], v[2:3]
	scratch_load_b128 v[128:131], off, off offset:312
	s_waitcnt vmcnt(4)
	v_fma_f64 v[2:3], v[150:151], v[142:143], v[2:3]
	scratch_load_b128 v[140:143], off, off offset:328
	s_waitcnt lgkmcnt(0)
	v_fma_f64 v[2:3], v[152:153], v[154:155], v[2:3]
	ds_load_b128 v[148:151], v1 offset:752
	ds_load_b128 v[152:155], v1 offset:768
	s_waitcnt vmcnt(4)
	v_fma_f64 v[2:3], v[132:133], v[156:157], v[2:3]
	s_waitcnt lgkmcnt(1)
	s_delay_alu instid0(VALU_DEP_1) | instskip(SKIP_4) | instid1(VALU_DEP_1)
	v_fma_f64 v[2:3], v[134:135], v[148:149], v[2:3]
	scratch_load_b128 v[132:135], off, off offset:344
	s_waitcnt vmcnt(4)
	v_fma_f64 v[2:3], v[144:145], v[150:151], v[2:3]
	s_waitcnt lgkmcnt(0)
	v_fma_f64 v[2:3], v[146:147], v[152:153], v[2:3]
	scratch_load_b128 v[144:147], off, off offset:360
	s_waitcnt vmcnt(4)
	v_fma_f64 v[2:3], v[136:137], v[154:155], v[2:3]
	ds_load_b128 v[148:151], v1 offset:784
	ds_load_b128 v[152:155], v1 offset:800
	s_waitcnt lgkmcnt(1)
	v_fma_f64 v[2:3], v[138:139], v[148:149], v[2:3]
	scratch_load_b128 v[136:139], off, off offset:376
	s_waitcnt vmcnt(4)
	v_fma_f64 v[2:3], v[128:129], v[150:151], v[2:3]
	s_waitcnt lgkmcnt(0)
	s_delay_alu instid0(VALU_DEP_1)
	v_fma_f64 v[2:3], v[130:131], v[152:153], v[2:3]
	scratch_load_b128 v[128:131], off, off offset:392
	s_waitcnt vmcnt(4)
	v_fma_f64 v[2:3], v[140:141], v[154:155], v[2:3]
	ds_load_b128 v[148:151], v1 offset:816
	ds_load_b128 v[152:155], v1 offset:832
	s_waitcnt lgkmcnt(1)
	v_fma_f64 v[2:3], v[142:143], v[148:149], v[2:3]
	scratch_load_b128 v[140:143], off, off offset:408
	s_waitcnt vmcnt(4)
	v_fma_f64 v[2:3], v[132:133], v[150:151], v[2:3]
	s_waitcnt lgkmcnt(0)
	s_delay_alu instid0(VALU_DEP_1)
	;; [unrolled: 13-line block ×3, first 2 shown]
	v_fma_f64 v[2:3], v[138:139], v[152:153], v[2:3]
	scratch_load_b128 v[136:139], off, off offset:456
	s_waitcnt vmcnt(4)
	v_fma_f64 v[2:3], v[128:129], v[154:155], v[2:3]
	ds_load_b128 v[148:151], v1 offset:880
	ds_load_b128 v[152:155], v1 offset:896
	s_waitcnt lgkmcnt(1)
	v_fma_f64 v[2:3], v[130:131], v[148:149], v[2:3]
	scratch_load_b64 v[148:149], off, off offset:472
	s_waitcnt vmcnt(4)
	v_fma_f64 v[2:3], v[140:141], v[150:151], v[2:3]
	s_waitcnt lgkmcnt(0)
	s_delay_alu instid0(VALU_DEP_1)
	v_fma_f64 v[2:3], v[142:143], v[152:153], v[2:3]
	ds_load_b128 v[128:131], v1 offset:912
	ds_load_b128 v[140:143], v1 offset:928
	s_waitcnt vmcnt(3)
	v_fma_f64 v[2:3], v[132:133], v[154:155], v[2:3]
	s_waitcnt lgkmcnt(1)
	s_delay_alu instid0(VALU_DEP_1) | instskip(SKIP_1) | instid1(VALU_DEP_1)
	v_fma_f64 v[2:3], v[134:135], v[128:129], v[2:3]
	s_waitcnt vmcnt(2)
	v_fma_f64 v[2:3], v[144:145], v[130:131], v[2:3]
	s_waitcnt lgkmcnt(0)
	s_delay_alu instid0(VALU_DEP_1) | instskip(SKIP_1) | instid1(VALU_DEP_1)
	v_fma_f64 v[2:3], v[146:147], v[140:141], v[2:3]
	s_waitcnt vmcnt(1)
	v_fma_f64 v[128:129], v[136:137], v[142:143], v[2:3]
	ds_load_b128 v[1:4], v1 offset:944
	s_waitcnt lgkmcnt(0)
	v_fma_f64 v[1:2], v[138:139], v[1:2], v[128:129]
	s_waitcnt vmcnt(0)
	s_delay_alu instid0(VALU_DEP_1) | instskip(NEXT) | instid1(VALU_DEP_1)
	v_fma_f64 v[1:2], v[148:149], v[3:4], v[1:2]
	v_add_f64 v[1:2], v[126:127], -v[1:2]
	scratch_store_b64 off, v[1:2], off offset:136
	v_cmpx_lt_u32_e32 16, v0
	s_cbranch_execz .LBB59_337
; %bb.336:
	scratch_load_b64 v[1:2], off, off offset:128
	v_mov_b32_e32 v3, 0
	s_delay_alu instid0(VALU_DEP_1)
	v_mov_b32_e32 v4, v3
	scratch_store_b64 off, v[3:4], off offset:128
	s_waitcnt vmcnt(0)
	ds_store_b64 v5, v[1:2]
.LBB59_337:
	s_or_b32 exec_lo, exec_lo, s0
	s_waitcnt lgkmcnt(0)
	s_waitcnt_vscnt null, 0x0
	s_barrier
	buffer_gl0_inv
	s_clause 0x4
	scratch_load_b128 v[126:129], off, off offset:128
	scratch_load_b128 v[130:133], off, off offset:144
	;; [unrolled: 1-line block ×5, first 2 shown]
	v_mov_b32_e32 v1, 0
	ds_load_2addr_b64 v[146:149], v1 offset0:77 offset1:78
	ds_load_2addr_b64 v[150:153], v1 offset0:79 offset1:80
	scratch_load_b128 v[154:157], off, off offset:208
	s_mov_b32 s0, exec_lo
	s_waitcnt vmcnt(5) lgkmcnt(1)
	v_fma_f64 v[2:3], v[128:129], v[146:147], 0
	s_waitcnt vmcnt(4)
	s_delay_alu instid0(VALU_DEP_1) | instskip(SKIP_4) | instid1(VALU_DEP_1)
	v_fma_f64 v[2:3], v[130:131], v[148:149], v[2:3]
	scratch_load_b128 v[128:131], off, off offset:224
	s_waitcnt lgkmcnt(0)
	v_fma_f64 v[2:3], v[132:133], v[150:151], v[2:3]
	s_waitcnt vmcnt(4)
	v_fma_f64 v[2:3], v[134:135], v[152:153], v[2:3]
	ds_load_2addr_b64 v[132:135], v1 offset0:81 offset1:82
	ds_load_2addr_b64 v[146:149], v1 offset0:83 offset1:84
	scratch_load_b128 v[150:153], off, off offset:240
	s_waitcnt lgkmcnt(1)
	v_fma_f64 v[2:3], v[136:137], v[132:133], v[2:3]
	s_waitcnt vmcnt(4)
	s_delay_alu instid0(VALU_DEP_1) | instskip(SKIP_4) | instid1(VALU_DEP_1)
	v_fma_f64 v[2:3], v[138:139], v[134:135], v[2:3]
	scratch_load_b128 v[132:135], off, off offset:256
	s_waitcnt lgkmcnt(0)
	v_fma_f64 v[2:3], v[140:141], v[146:147], v[2:3]
	s_waitcnt vmcnt(4)
	v_fma_f64 v[2:3], v[142:143], v[148:149], v[2:3]
	ds_load_2addr_b64 v[136:139], v1 offset0:85 offset1:86
	ds_load_2addr_b64 v[140:143], v1 offset0:87 offset1:88
	s_waitcnt lgkmcnt(1)
	v_fma_f64 v[2:3], v[144:145], v[136:137], v[2:3]
	scratch_load_b128 v[144:147], off, off offset:272
	s_waitcnt vmcnt(4)
	v_fma_f64 v[2:3], v[154:155], v[138:139], v[2:3]
	scratch_load_b128 v[136:139], off, off offset:288
	s_waitcnt lgkmcnt(0)
	v_fma_f64 v[2:3], v[156:157], v[140:141], v[2:3]
	s_waitcnt vmcnt(4)
	s_delay_alu instid0(VALU_DEP_1)
	v_fma_f64 v[2:3], v[128:129], v[142:143], v[2:3]
	ds_load_2addr_b64 v[140:143], v1 offset0:89 offset1:90
	ds_load_2addr_b64 v[154:157], v1 offset0:91 offset1:92
	s_waitcnt lgkmcnt(1)
	v_fma_f64 v[2:3], v[130:131], v[140:141], v[2:3]
	scratch_load_b128 v[128:131], off, off offset:304
	s_waitcnt vmcnt(4)
	v_fma_f64 v[2:3], v[150:151], v[142:143], v[2:3]
	scratch_load_b128 v[140:143], off, off offset:320
	s_waitcnt lgkmcnt(0)
	v_fma_f64 v[2:3], v[152:153], v[154:155], v[2:3]
	ds_load_2addr_b64 v[148:151], v1 offset0:93 offset1:94
	ds_load_2addr_b64 v[152:155], v1 offset0:95 offset1:96
	s_waitcnt vmcnt(4)
	v_fma_f64 v[2:3], v[132:133], v[156:157], v[2:3]
	s_waitcnt lgkmcnt(1)
	s_delay_alu instid0(VALU_DEP_1) | instskip(SKIP_4) | instid1(VALU_DEP_1)
	v_fma_f64 v[2:3], v[134:135], v[148:149], v[2:3]
	scratch_load_b128 v[132:135], off, off offset:336
	s_waitcnt vmcnt(4)
	v_fma_f64 v[2:3], v[144:145], v[150:151], v[2:3]
	s_waitcnt lgkmcnt(0)
	v_fma_f64 v[2:3], v[146:147], v[152:153], v[2:3]
	scratch_load_b128 v[144:147], off, off offset:352
	s_waitcnt vmcnt(4)
	v_fma_f64 v[2:3], v[136:137], v[154:155], v[2:3]
	ds_load_2addr_b64 v[148:151], v1 offset0:97 offset1:98
	ds_load_2addr_b64 v[152:155], v1 offset0:99 offset1:100
	s_waitcnt lgkmcnt(1)
	v_fma_f64 v[2:3], v[138:139], v[148:149], v[2:3]
	scratch_load_b128 v[136:139], off, off offset:368
	s_waitcnt vmcnt(4)
	v_fma_f64 v[2:3], v[128:129], v[150:151], v[2:3]
	s_waitcnt lgkmcnt(0)
	s_delay_alu instid0(VALU_DEP_1)
	v_fma_f64 v[2:3], v[130:131], v[152:153], v[2:3]
	scratch_load_b128 v[128:131], off, off offset:384
	s_waitcnt vmcnt(4)
	v_fma_f64 v[2:3], v[140:141], v[154:155], v[2:3]
	ds_load_2addr_b64 v[148:151], v1 offset0:101 offset1:102
	ds_load_2addr_b64 v[152:155], v1 offset0:103 offset1:104
	s_waitcnt lgkmcnt(1)
	v_fma_f64 v[2:3], v[142:143], v[148:149], v[2:3]
	scratch_load_b128 v[140:143], off, off offset:400
	s_waitcnt vmcnt(4)
	v_fma_f64 v[2:3], v[132:133], v[150:151], v[2:3]
	s_waitcnt lgkmcnt(0)
	s_delay_alu instid0(VALU_DEP_1)
	;; [unrolled: 13-line block ×4, first 2 shown]
	v_fma_f64 v[2:3], v[142:143], v[152:153], v[2:3]
	ds_load_2addr_b64 v[140:143], v1 offset0:113 offset1:114
	ds_load_2addr_b64 v[148:151], v1 offset0:115 offset1:116
	s_waitcnt vmcnt(3)
	v_fma_f64 v[2:3], v[132:133], v[154:155], v[2:3]
	s_waitcnt lgkmcnt(1)
	s_delay_alu instid0(VALU_DEP_1) | instskip(SKIP_1) | instid1(VALU_DEP_1)
	v_fma_f64 v[2:3], v[134:135], v[140:141], v[2:3]
	s_waitcnt vmcnt(2)
	v_fma_f64 v[2:3], v[144:145], v[142:143], v[2:3]
	s_waitcnt lgkmcnt(0)
	s_delay_alu instid0(VALU_DEP_1) | instskip(SKIP_1) | instid1(VALU_DEP_1)
	v_fma_f64 v[2:3], v[146:147], v[148:149], v[2:3]
	s_waitcnt vmcnt(1)
	v_fma_f64 v[2:3], v[136:137], v[150:151], v[2:3]
	ds_load_2addr_b64 v[132:135], v1 offset0:117 offset1:118
	ds_load_b64 v[136:137], v1 offset:952
	s_waitcnt lgkmcnt(1)
	v_fma_f64 v[2:3], v[138:139], v[132:133], v[2:3]
	s_waitcnt vmcnt(0)
	s_delay_alu instid0(VALU_DEP_1) | instskip(SKIP_1) | instid1(VALU_DEP_1)
	v_fma_f64 v[2:3], v[128:129], v[134:135], v[2:3]
	s_waitcnt lgkmcnt(0)
	v_fma_f64 v[2:3], v[130:131], v[136:137], v[2:3]
	s_delay_alu instid0(VALU_DEP_1)
	v_add_f64 v[2:3], v[126:127], -v[2:3]
	scratch_store_b64 off, v[2:3], off offset:128
	v_cmpx_lt_u32_e32 15, v0
	s_cbranch_execz .LBB59_339
; %bb.338:
	scratch_load_b64 v[3:4], off, off offset:120
	v_mov_b32_e32 v2, v1
	scratch_store_b64 off, v[1:2], off offset:120
	s_waitcnt vmcnt(0)
	ds_store_b64 v5, v[3:4]
.LBB59_339:
	s_or_b32 exec_lo, exec_lo, s0
	s_waitcnt lgkmcnt(0)
	s_waitcnt_vscnt null, 0x0
	s_barrier
	buffer_gl0_inv
	s_clause 0x4
	scratch_load_b128 v[126:129], off, off offset:120
	scratch_load_b128 v[130:133], off, off offset:136
	;; [unrolled: 1-line block ×5, first 2 shown]
	ds_load_b128 v[146:149], v1 offset:608
	ds_load_b128 v[150:153], v1 offset:624
	scratch_load_b128 v[154:157], off, off offset:200
	s_mov_b32 s0, exec_lo
	s_waitcnt vmcnt(5) lgkmcnt(1)
	v_fma_f64 v[2:3], v[128:129], v[146:147], 0
	s_waitcnt vmcnt(4)
	s_delay_alu instid0(VALU_DEP_1) | instskip(SKIP_4) | instid1(VALU_DEP_1)
	v_fma_f64 v[2:3], v[130:131], v[148:149], v[2:3]
	scratch_load_b128 v[128:131], off, off offset:216
	s_waitcnt lgkmcnt(0)
	v_fma_f64 v[2:3], v[132:133], v[150:151], v[2:3]
	s_waitcnt vmcnt(4)
	v_fma_f64 v[2:3], v[134:135], v[152:153], v[2:3]
	ds_load_b128 v[132:135], v1 offset:640
	ds_load_b128 v[146:149], v1 offset:656
	scratch_load_b128 v[150:153], off, off offset:232
	s_waitcnt lgkmcnt(1)
	v_fma_f64 v[2:3], v[136:137], v[132:133], v[2:3]
	s_waitcnt vmcnt(4)
	s_delay_alu instid0(VALU_DEP_1) | instskip(SKIP_4) | instid1(VALU_DEP_1)
	v_fma_f64 v[2:3], v[138:139], v[134:135], v[2:3]
	scratch_load_b128 v[132:135], off, off offset:248
	s_waitcnt lgkmcnt(0)
	v_fma_f64 v[2:3], v[140:141], v[146:147], v[2:3]
	s_waitcnt vmcnt(4)
	v_fma_f64 v[2:3], v[142:143], v[148:149], v[2:3]
	ds_load_b128 v[136:139], v1 offset:672
	ds_load_b128 v[140:143], v1 offset:688
	s_waitcnt lgkmcnt(1)
	v_fma_f64 v[2:3], v[144:145], v[136:137], v[2:3]
	scratch_load_b128 v[144:147], off, off offset:264
	s_waitcnt vmcnt(4)
	v_fma_f64 v[2:3], v[154:155], v[138:139], v[2:3]
	scratch_load_b128 v[136:139], off, off offset:280
	s_waitcnt lgkmcnt(0)
	v_fma_f64 v[2:3], v[156:157], v[140:141], v[2:3]
	s_waitcnt vmcnt(4)
	s_delay_alu instid0(VALU_DEP_1)
	v_fma_f64 v[2:3], v[128:129], v[142:143], v[2:3]
	ds_load_b128 v[140:143], v1 offset:704
	ds_load_b128 v[154:157], v1 offset:720
	s_waitcnt lgkmcnt(1)
	v_fma_f64 v[2:3], v[130:131], v[140:141], v[2:3]
	scratch_load_b128 v[128:131], off, off offset:296
	s_waitcnt vmcnt(4)
	v_fma_f64 v[2:3], v[150:151], v[142:143], v[2:3]
	scratch_load_b128 v[140:143], off, off offset:312
	s_waitcnt lgkmcnt(0)
	v_fma_f64 v[2:3], v[152:153], v[154:155], v[2:3]
	ds_load_b128 v[148:151], v1 offset:736
	ds_load_b128 v[152:155], v1 offset:752
	s_waitcnt vmcnt(4)
	v_fma_f64 v[2:3], v[132:133], v[156:157], v[2:3]
	s_waitcnt lgkmcnt(1)
	s_delay_alu instid0(VALU_DEP_1) | instskip(SKIP_4) | instid1(VALU_DEP_1)
	v_fma_f64 v[2:3], v[134:135], v[148:149], v[2:3]
	scratch_load_b128 v[132:135], off, off offset:328
	s_waitcnt vmcnt(4)
	v_fma_f64 v[2:3], v[144:145], v[150:151], v[2:3]
	s_waitcnt lgkmcnt(0)
	v_fma_f64 v[2:3], v[146:147], v[152:153], v[2:3]
	scratch_load_b128 v[144:147], off, off offset:344
	s_waitcnt vmcnt(4)
	v_fma_f64 v[2:3], v[136:137], v[154:155], v[2:3]
	ds_load_b128 v[148:151], v1 offset:768
	ds_load_b128 v[152:155], v1 offset:784
	s_waitcnt lgkmcnt(1)
	v_fma_f64 v[2:3], v[138:139], v[148:149], v[2:3]
	scratch_load_b128 v[136:139], off, off offset:360
	s_waitcnt vmcnt(4)
	v_fma_f64 v[2:3], v[128:129], v[150:151], v[2:3]
	s_waitcnt lgkmcnt(0)
	s_delay_alu instid0(VALU_DEP_1)
	v_fma_f64 v[2:3], v[130:131], v[152:153], v[2:3]
	scratch_load_b128 v[128:131], off, off offset:376
	s_waitcnt vmcnt(4)
	v_fma_f64 v[2:3], v[140:141], v[154:155], v[2:3]
	ds_load_b128 v[148:151], v1 offset:800
	ds_load_b128 v[152:155], v1 offset:816
	s_waitcnt lgkmcnt(1)
	v_fma_f64 v[2:3], v[142:143], v[148:149], v[2:3]
	scratch_load_b128 v[140:143], off, off offset:392
	s_waitcnt vmcnt(4)
	v_fma_f64 v[2:3], v[132:133], v[150:151], v[2:3]
	s_waitcnt lgkmcnt(0)
	s_delay_alu instid0(VALU_DEP_1)
	;; [unrolled: 13-line block ×4, first 2 shown]
	v_fma_f64 v[2:3], v[142:143], v[152:153], v[2:3]
	scratch_load_b64 v[152:153], off, off offset:472
	ds_load_b128 v[140:143], v1 offset:896
	ds_load_b128 v[148:151], v1 offset:912
	s_waitcnt vmcnt(4)
	v_fma_f64 v[2:3], v[132:133], v[154:155], v[2:3]
	s_waitcnt lgkmcnt(1)
	s_delay_alu instid0(VALU_DEP_1) | instskip(SKIP_1) | instid1(VALU_DEP_1)
	v_fma_f64 v[2:3], v[134:135], v[140:141], v[2:3]
	s_waitcnt vmcnt(3)
	v_fma_f64 v[2:3], v[144:145], v[142:143], v[2:3]
	s_waitcnt lgkmcnt(0)
	s_delay_alu instid0(VALU_DEP_1) | instskip(SKIP_1) | instid1(VALU_DEP_1)
	v_fma_f64 v[2:3], v[146:147], v[148:149], v[2:3]
	s_waitcnt vmcnt(2)
	v_fma_f64 v[136:137], v[136:137], v[150:151], v[2:3]
	ds_load_b128 v[132:135], v1 offset:928
	ds_load_b128 v[1:4], v1 offset:944
	s_waitcnt lgkmcnt(1)
	v_fma_f64 v[132:133], v[138:139], v[132:133], v[136:137]
	s_waitcnt vmcnt(1)
	s_delay_alu instid0(VALU_DEP_1) | instskip(SKIP_1) | instid1(VALU_DEP_1)
	v_fma_f64 v[128:129], v[128:129], v[134:135], v[132:133]
	s_waitcnt lgkmcnt(0)
	v_fma_f64 v[1:2], v[130:131], v[1:2], v[128:129]
	s_waitcnt vmcnt(0)
	s_delay_alu instid0(VALU_DEP_1) | instskip(NEXT) | instid1(VALU_DEP_1)
	v_fma_f64 v[1:2], v[152:153], v[3:4], v[1:2]
	v_add_f64 v[1:2], v[126:127], -v[1:2]
	scratch_store_b64 off, v[1:2], off offset:120
	v_cmpx_lt_u32_e32 14, v0
	s_cbranch_execz .LBB59_341
; %bb.340:
	scratch_load_b64 v[1:2], off, off offset:112
	v_mov_b32_e32 v3, 0
	s_delay_alu instid0(VALU_DEP_1)
	v_mov_b32_e32 v4, v3
	scratch_store_b64 off, v[3:4], off offset:112
	s_waitcnt vmcnt(0)
	ds_store_b64 v5, v[1:2]
.LBB59_341:
	s_or_b32 exec_lo, exec_lo, s0
	s_waitcnt lgkmcnt(0)
	s_waitcnt_vscnt null, 0x0
	s_barrier
	buffer_gl0_inv
	s_clause 0x4
	scratch_load_b128 v[1:4], off, off offset:112
	scratch_load_b128 v[127:130], off, off offset:128
	;; [unrolled: 1-line block ×5, first 2 shown]
	v_mov_b32_e32 v126, 0
	ds_load_2addr_b64 v[143:146], v126 offset0:75 offset1:76
	ds_load_2addr_b64 v[147:150], v126 offset0:77 offset1:78
	scratch_load_b128 v[151:154], off, off offset:192
	s_mov_b32 s0, exec_lo
	s_waitcnt vmcnt(5) lgkmcnt(1)
	v_fma_f64 v[3:4], v[3:4], v[143:144], 0
	s_waitcnt vmcnt(4)
	s_delay_alu instid0(VALU_DEP_1) | instskip(SKIP_1) | instid1(VALU_DEP_1)
	v_fma_f64 v[3:4], v[127:128], v[145:146], v[3:4]
	s_waitcnt lgkmcnt(0)
	v_fma_f64 v[3:4], v[129:130], v[147:148], v[3:4]
	scratch_load_b128 v[127:130], off, off offset:208
	s_waitcnt vmcnt(4)
	v_fma_f64 v[3:4], v[131:132], v[149:150], v[3:4]
	ds_load_2addr_b64 v[143:146], v126 offset0:79 offset1:80
	ds_load_2addr_b64 v[147:150], v126 offset0:81 offset1:82
	s_waitcnt lgkmcnt(1)
	v_fma_f64 v[3:4], v[133:134], v[143:144], v[3:4]
	scratch_load_b128 v[131:134], off, off offset:224
	s_waitcnt vmcnt(4)
	v_fma_f64 v[3:4], v[135:136], v[145:146], v[3:4]
	s_waitcnt lgkmcnt(0)
	s_delay_alu instid0(VALU_DEP_1)
	v_fma_f64 v[3:4], v[137:138], v[147:148], v[3:4]
	scratch_load_b128 v[135:138], off, off offset:240
	s_waitcnt vmcnt(4)
	v_fma_f64 v[3:4], v[139:140], v[149:150], v[3:4]
	ds_load_2addr_b64 v[143:146], v126 offset0:83 offset1:84
	ds_load_2addr_b64 v[147:150], v126 offset0:85 offset1:86
	s_waitcnt lgkmcnt(1)
	v_fma_f64 v[3:4], v[141:142], v[143:144], v[3:4]
	scratch_load_b128 v[139:142], off, off offset:256
	s_waitcnt vmcnt(4)
	v_fma_f64 v[3:4], v[151:152], v[145:146], v[3:4]
	scratch_load_b128 v[143:146], off, off offset:272
	s_waitcnt lgkmcnt(0)
	v_fma_f64 v[3:4], v[153:154], v[147:148], v[3:4]
	s_waitcnt vmcnt(4)
	s_delay_alu instid0(VALU_DEP_1)
	v_fma_f64 v[3:4], v[127:128], v[149:150], v[3:4]
	ds_load_2addr_b64 v[147:150], v126 offset0:87 offset1:88
	ds_load_2addr_b64 v[151:154], v126 offset0:89 offset1:90
	s_waitcnt lgkmcnt(1)
	v_fma_f64 v[3:4], v[129:130], v[147:148], v[3:4]
	scratch_load_b128 v[127:130], off, off offset:288
	s_waitcnt vmcnt(4)
	v_fma_f64 v[3:4], v[131:132], v[149:150], v[3:4]
	s_waitcnt lgkmcnt(0)
	s_delay_alu instid0(VALU_DEP_1)
	v_fma_f64 v[3:4], v[133:134], v[151:152], v[3:4]
	scratch_load_b128 v[131:134], off, off offset:304
	s_waitcnt vmcnt(4)
	v_fma_f64 v[3:4], v[135:136], v[153:154], v[3:4]
	ds_load_2addr_b64 v[147:150], v126 offset0:91 offset1:92
	ds_load_2addr_b64 v[151:154], v126 offset0:93 offset1:94
	s_waitcnt lgkmcnt(1)
	v_fma_f64 v[3:4], v[137:138], v[147:148], v[3:4]
	scratch_load_b128 v[135:138], off, off offset:320
	s_waitcnt vmcnt(4)
	v_fma_f64 v[3:4], v[139:140], v[149:150], v[3:4]
	s_waitcnt lgkmcnt(0)
	s_delay_alu instid0(VALU_DEP_1)
	v_fma_f64 v[3:4], v[141:142], v[151:152], v[3:4]
	scratch_load_b128 v[139:142], off, off offset:336
	s_waitcnt vmcnt(4)
	;; [unrolled: 13-line block ×6, first 2 shown]
	v_fma_f64 v[3:4], v[135:136], v[153:154], v[3:4]
	ds_load_2addr_b64 v[147:150], v126 offset0:111 offset1:112
	ds_load_2addr_b64 v[151:154], v126 offset0:113 offset1:114
	s_waitcnt lgkmcnt(1)
	v_fma_f64 v[3:4], v[137:138], v[147:148], v[3:4]
	s_waitcnt vmcnt(3)
	s_delay_alu instid0(VALU_DEP_1) | instskip(SKIP_1) | instid1(VALU_DEP_1)
	v_fma_f64 v[3:4], v[139:140], v[149:150], v[3:4]
	s_waitcnt lgkmcnt(0)
	v_fma_f64 v[3:4], v[141:142], v[151:152], v[3:4]
	ds_load_2addr_b64 v[135:138], v126 offset0:115 offset1:116
	ds_load_2addr_b64 v[139:142], v126 offset0:117 offset1:118
	s_waitcnt vmcnt(2)
	v_fma_f64 v[3:4], v[143:144], v[153:154], v[3:4]
	s_waitcnt lgkmcnt(1)
	s_delay_alu instid0(VALU_DEP_1) | instskip(SKIP_1) | instid1(VALU_DEP_1)
	v_fma_f64 v[3:4], v[145:146], v[135:136], v[3:4]
	s_waitcnt vmcnt(1)
	v_fma_f64 v[3:4], v[127:128], v[137:138], v[3:4]
	ds_load_b64 v[127:128], v126 offset:952
	s_waitcnt lgkmcnt(1)
	v_fma_f64 v[3:4], v[129:130], v[139:140], v[3:4]
	s_waitcnt vmcnt(0)
	s_delay_alu instid0(VALU_DEP_1) | instskip(SKIP_1) | instid1(VALU_DEP_1)
	v_fma_f64 v[3:4], v[131:132], v[141:142], v[3:4]
	s_waitcnt lgkmcnt(0)
	v_fma_f64 v[3:4], v[133:134], v[127:128], v[3:4]
	s_delay_alu instid0(VALU_DEP_1)
	v_add_f64 v[1:2], v[1:2], -v[3:4]
	scratch_store_b64 off, v[1:2], off offset:112
	v_cmpx_lt_u32_e32 13, v0
	s_cbranch_execz .LBB59_343
; %bb.342:
	scratch_load_b64 v[1:2], off, off offset:104
	v_mov_b32_e32 v127, v126
	scratch_store_b64 off, v[126:127], off offset:104
	s_waitcnt vmcnt(0)
	ds_store_b64 v5, v[1:2]
.LBB59_343:
	s_or_b32 exec_lo, exec_lo, s0
	s_waitcnt lgkmcnt(0)
	s_waitcnt_vscnt null, 0x0
	s_barrier
	buffer_gl0_inv
	s_clause 0x4
	scratch_load_b128 v[1:4], off, off offset:104
	scratch_load_b128 v[127:130], off, off offset:120
	;; [unrolled: 1-line block ×5, first 2 shown]
	ds_load_b128 v[143:146], v126 offset:592
	ds_load_b128 v[147:150], v126 offset:608
	scratch_load_b128 v[151:154], off, off offset:184
	s_mov_b32 s0, exec_lo
	s_waitcnt vmcnt(5) lgkmcnt(1)
	v_fma_f64 v[3:4], v[3:4], v[143:144], 0
	s_waitcnt vmcnt(4)
	s_delay_alu instid0(VALU_DEP_1) | instskip(SKIP_1) | instid1(VALU_DEP_1)
	v_fma_f64 v[3:4], v[127:128], v[145:146], v[3:4]
	s_waitcnt lgkmcnt(0)
	v_fma_f64 v[3:4], v[129:130], v[147:148], v[3:4]
	scratch_load_b128 v[127:130], off, off offset:200
	s_waitcnt vmcnt(4)
	v_fma_f64 v[3:4], v[131:132], v[149:150], v[3:4]
	ds_load_b128 v[143:146], v126 offset:624
	ds_load_b128 v[147:150], v126 offset:640
	s_waitcnt lgkmcnt(1)
	v_fma_f64 v[3:4], v[133:134], v[143:144], v[3:4]
	scratch_load_b128 v[131:134], off, off offset:216
	s_waitcnt vmcnt(4)
	v_fma_f64 v[3:4], v[135:136], v[145:146], v[3:4]
	s_waitcnt lgkmcnt(0)
	s_delay_alu instid0(VALU_DEP_1)
	v_fma_f64 v[3:4], v[137:138], v[147:148], v[3:4]
	scratch_load_b128 v[135:138], off, off offset:232
	s_waitcnt vmcnt(4)
	v_fma_f64 v[3:4], v[139:140], v[149:150], v[3:4]
	ds_load_b128 v[143:146], v126 offset:656
	ds_load_b128 v[147:150], v126 offset:672
	s_waitcnt lgkmcnt(1)
	v_fma_f64 v[3:4], v[141:142], v[143:144], v[3:4]
	scratch_load_b128 v[139:142], off, off offset:248
	s_waitcnt vmcnt(4)
	v_fma_f64 v[3:4], v[151:152], v[145:146], v[3:4]
	scratch_load_b128 v[143:146], off, off offset:264
	s_waitcnt lgkmcnt(0)
	v_fma_f64 v[3:4], v[153:154], v[147:148], v[3:4]
	s_waitcnt vmcnt(4)
	s_delay_alu instid0(VALU_DEP_1)
	v_fma_f64 v[3:4], v[127:128], v[149:150], v[3:4]
	ds_load_b128 v[147:150], v126 offset:688
	ds_load_b128 v[151:154], v126 offset:704
	s_waitcnt lgkmcnt(1)
	v_fma_f64 v[3:4], v[129:130], v[147:148], v[3:4]
	scratch_load_b128 v[127:130], off, off offset:280
	s_waitcnt vmcnt(4)
	v_fma_f64 v[3:4], v[131:132], v[149:150], v[3:4]
	s_waitcnt lgkmcnt(0)
	s_delay_alu instid0(VALU_DEP_1)
	v_fma_f64 v[3:4], v[133:134], v[151:152], v[3:4]
	scratch_load_b128 v[131:134], off, off offset:296
	s_waitcnt vmcnt(4)
	v_fma_f64 v[3:4], v[135:136], v[153:154], v[3:4]
	ds_load_b128 v[147:150], v126 offset:720
	ds_load_b128 v[151:154], v126 offset:736
	s_waitcnt lgkmcnt(1)
	v_fma_f64 v[3:4], v[137:138], v[147:148], v[3:4]
	scratch_load_b128 v[135:138], off, off offset:312
	s_waitcnt vmcnt(4)
	v_fma_f64 v[3:4], v[139:140], v[149:150], v[3:4]
	s_waitcnt lgkmcnt(0)
	s_delay_alu instid0(VALU_DEP_1)
	v_fma_f64 v[3:4], v[141:142], v[151:152], v[3:4]
	scratch_load_b128 v[139:142], off, off offset:328
	s_waitcnt vmcnt(4)
	;; [unrolled: 13-line block ×6, first 2 shown]
	v_fma_f64 v[3:4], v[135:136], v[153:154], v[3:4]
	ds_load_b128 v[147:150], v126 offset:880
	ds_load_b128 v[151:154], v126 offset:896
	s_waitcnt lgkmcnt(1)
	v_fma_f64 v[3:4], v[137:138], v[147:148], v[3:4]
	scratch_load_b64 v[147:148], off, off offset:472
	s_waitcnt vmcnt(4)
	v_fma_f64 v[3:4], v[139:140], v[149:150], v[3:4]
	s_waitcnt lgkmcnt(0)
	s_delay_alu instid0(VALU_DEP_1)
	v_fma_f64 v[3:4], v[141:142], v[151:152], v[3:4]
	ds_load_b128 v[135:138], v126 offset:912
	ds_load_b128 v[139:142], v126 offset:928
	s_waitcnt vmcnt(3)
	v_fma_f64 v[3:4], v[143:144], v[153:154], v[3:4]
	s_waitcnt lgkmcnt(1)
	s_delay_alu instid0(VALU_DEP_1) | instskip(SKIP_1) | instid1(VALU_DEP_1)
	v_fma_f64 v[3:4], v[145:146], v[135:136], v[3:4]
	s_waitcnt vmcnt(2)
	v_fma_f64 v[3:4], v[127:128], v[137:138], v[3:4]
	s_waitcnt lgkmcnt(0)
	s_delay_alu instid0(VALU_DEP_1) | instskip(SKIP_4) | instid1(VALU_DEP_1)
	v_fma_f64 v[3:4], v[129:130], v[139:140], v[3:4]
	ds_load_b128 v[126:129], v126 offset:944
	s_waitcnt vmcnt(1)
	v_fma_f64 v[3:4], v[131:132], v[141:142], v[3:4]
	s_waitcnt lgkmcnt(0)
	v_fma_f64 v[3:4], v[133:134], v[126:127], v[3:4]
	s_waitcnt vmcnt(0)
	s_delay_alu instid0(VALU_DEP_1) | instskip(NEXT) | instid1(VALU_DEP_1)
	v_fma_f64 v[3:4], v[147:148], v[128:129], v[3:4]
	v_add_f64 v[1:2], v[1:2], -v[3:4]
	scratch_store_b64 off, v[1:2], off offset:104
	v_cmpx_lt_u32_e32 12, v0
	s_cbranch_execz .LBB59_345
; %bb.344:
	scratch_load_b64 v[1:2], off, off offset:96
	v_mov_b32_e32 v3, 0
	s_delay_alu instid0(VALU_DEP_1)
	v_mov_b32_e32 v4, v3
	scratch_store_b64 off, v[3:4], off offset:96
	s_waitcnt vmcnt(0)
	ds_store_b64 v5, v[1:2]
.LBB59_345:
	s_or_b32 exec_lo, exec_lo, s0
	s_waitcnt lgkmcnt(0)
	s_waitcnt_vscnt null, 0x0
	s_barrier
	buffer_gl0_inv
	s_clause 0x4
	scratch_load_b128 v[1:4], off, off offset:96
	scratch_load_b128 v[127:130], off, off offset:112
	;; [unrolled: 1-line block ×5, first 2 shown]
	v_mov_b32_e32 v126, 0
	ds_load_2addr_b64 v[143:146], v126 offset0:73 offset1:74
	ds_load_2addr_b64 v[147:150], v126 offset0:75 offset1:76
	scratch_load_b128 v[151:154], off, off offset:176
	s_mov_b32 s0, exec_lo
	s_waitcnt vmcnt(5) lgkmcnt(1)
	v_fma_f64 v[3:4], v[3:4], v[143:144], 0
	s_waitcnt vmcnt(4)
	s_delay_alu instid0(VALU_DEP_1) | instskip(SKIP_1) | instid1(VALU_DEP_1)
	v_fma_f64 v[3:4], v[127:128], v[145:146], v[3:4]
	s_waitcnt lgkmcnt(0)
	v_fma_f64 v[3:4], v[129:130], v[147:148], v[3:4]
	scratch_load_b128 v[127:130], off, off offset:192
	s_waitcnt vmcnt(4)
	v_fma_f64 v[3:4], v[131:132], v[149:150], v[3:4]
	ds_load_2addr_b64 v[143:146], v126 offset0:77 offset1:78
	ds_load_2addr_b64 v[147:150], v126 offset0:79 offset1:80
	s_waitcnt lgkmcnt(1)
	v_fma_f64 v[3:4], v[133:134], v[143:144], v[3:4]
	scratch_load_b128 v[131:134], off, off offset:208
	s_waitcnt vmcnt(4)
	v_fma_f64 v[3:4], v[135:136], v[145:146], v[3:4]
	s_waitcnt lgkmcnt(0)
	s_delay_alu instid0(VALU_DEP_1)
	v_fma_f64 v[3:4], v[137:138], v[147:148], v[3:4]
	scratch_load_b128 v[135:138], off, off offset:224
	s_waitcnt vmcnt(4)
	v_fma_f64 v[3:4], v[139:140], v[149:150], v[3:4]
	ds_load_2addr_b64 v[143:146], v126 offset0:81 offset1:82
	ds_load_2addr_b64 v[147:150], v126 offset0:83 offset1:84
	s_waitcnt lgkmcnt(1)
	v_fma_f64 v[3:4], v[141:142], v[143:144], v[3:4]
	scratch_load_b128 v[139:142], off, off offset:240
	s_waitcnt vmcnt(4)
	v_fma_f64 v[3:4], v[151:152], v[145:146], v[3:4]
	scratch_load_b128 v[143:146], off, off offset:256
	s_waitcnt lgkmcnt(0)
	v_fma_f64 v[3:4], v[153:154], v[147:148], v[3:4]
	s_waitcnt vmcnt(4)
	s_delay_alu instid0(VALU_DEP_1)
	v_fma_f64 v[3:4], v[127:128], v[149:150], v[3:4]
	ds_load_2addr_b64 v[147:150], v126 offset0:85 offset1:86
	ds_load_2addr_b64 v[151:154], v126 offset0:87 offset1:88
	s_waitcnt lgkmcnt(1)
	v_fma_f64 v[3:4], v[129:130], v[147:148], v[3:4]
	scratch_load_b128 v[127:130], off, off offset:272
	s_waitcnt vmcnt(4)
	v_fma_f64 v[3:4], v[131:132], v[149:150], v[3:4]
	s_waitcnt lgkmcnt(0)
	s_delay_alu instid0(VALU_DEP_1)
	v_fma_f64 v[3:4], v[133:134], v[151:152], v[3:4]
	scratch_load_b128 v[131:134], off, off offset:288
	s_waitcnt vmcnt(4)
	v_fma_f64 v[3:4], v[135:136], v[153:154], v[3:4]
	ds_load_2addr_b64 v[147:150], v126 offset0:89 offset1:90
	ds_load_2addr_b64 v[151:154], v126 offset0:91 offset1:92
	s_waitcnt lgkmcnt(1)
	v_fma_f64 v[3:4], v[137:138], v[147:148], v[3:4]
	scratch_load_b128 v[135:138], off, off offset:304
	s_waitcnt vmcnt(4)
	v_fma_f64 v[3:4], v[139:140], v[149:150], v[3:4]
	s_waitcnt lgkmcnt(0)
	s_delay_alu instid0(VALU_DEP_1)
	v_fma_f64 v[3:4], v[141:142], v[151:152], v[3:4]
	scratch_load_b128 v[139:142], off, off offset:320
	s_waitcnt vmcnt(4)
	;; [unrolled: 13-line block ×6, first 2 shown]
	v_fma_f64 v[3:4], v[135:136], v[153:154], v[3:4]
	ds_load_2addr_b64 v[147:150], v126 offset0:109 offset1:110
	ds_load_2addr_b64 v[151:154], v126 offset0:111 offset1:112
	s_waitcnt lgkmcnt(1)
	v_fma_f64 v[3:4], v[137:138], v[147:148], v[3:4]
	scratch_load_b128 v[135:138], off, off offset:464
	s_waitcnt vmcnt(4)
	v_fma_f64 v[3:4], v[139:140], v[149:150], v[3:4]
	s_waitcnt lgkmcnt(0)
	s_delay_alu instid0(VALU_DEP_1)
	v_fma_f64 v[3:4], v[141:142], v[151:152], v[3:4]
	ds_load_2addr_b64 v[139:142], v126 offset0:113 offset1:114
	ds_load_2addr_b64 v[147:150], v126 offset0:115 offset1:116
	s_waitcnt vmcnt(3)
	v_fma_f64 v[3:4], v[143:144], v[153:154], v[3:4]
	s_waitcnt lgkmcnt(1)
	s_delay_alu instid0(VALU_DEP_1) | instskip(SKIP_1) | instid1(VALU_DEP_1)
	v_fma_f64 v[3:4], v[145:146], v[139:140], v[3:4]
	s_waitcnt vmcnt(2)
	v_fma_f64 v[3:4], v[127:128], v[141:142], v[3:4]
	s_waitcnt lgkmcnt(0)
	s_delay_alu instid0(VALU_DEP_1) | instskip(SKIP_1) | instid1(VALU_DEP_1)
	v_fma_f64 v[3:4], v[129:130], v[147:148], v[3:4]
	s_waitcnt vmcnt(1)
	v_fma_f64 v[3:4], v[131:132], v[149:150], v[3:4]
	ds_load_2addr_b64 v[127:130], v126 offset0:117 offset1:118
	ds_load_b64 v[131:132], v126 offset:952
	s_waitcnt lgkmcnt(1)
	v_fma_f64 v[3:4], v[133:134], v[127:128], v[3:4]
	s_waitcnt vmcnt(0)
	s_delay_alu instid0(VALU_DEP_1) | instskip(SKIP_1) | instid1(VALU_DEP_1)
	v_fma_f64 v[3:4], v[135:136], v[129:130], v[3:4]
	s_waitcnt lgkmcnt(0)
	v_fma_f64 v[3:4], v[137:138], v[131:132], v[3:4]
	s_delay_alu instid0(VALU_DEP_1)
	v_add_f64 v[1:2], v[1:2], -v[3:4]
	scratch_store_b64 off, v[1:2], off offset:96
	v_cmpx_lt_u32_e32 11, v0
	s_cbranch_execz .LBB59_347
; %bb.346:
	scratch_load_b64 v[1:2], off, off offset:88
	v_mov_b32_e32 v127, v126
	scratch_store_b64 off, v[126:127], off offset:88
	s_waitcnt vmcnt(0)
	ds_store_b64 v5, v[1:2]
.LBB59_347:
	s_or_b32 exec_lo, exec_lo, s0
	s_waitcnt lgkmcnt(0)
	s_waitcnt_vscnt null, 0x0
	s_barrier
	buffer_gl0_inv
	s_clause 0x4
	scratch_load_b128 v[1:4], off, off offset:88
	scratch_load_b128 v[127:130], off, off offset:104
	;; [unrolled: 1-line block ×5, first 2 shown]
	ds_load_b128 v[143:146], v126 offset:576
	ds_load_b128 v[147:150], v126 offset:592
	scratch_load_b128 v[151:154], off, off offset:168
	s_mov_b32 s0, exec_lo
	s_waitcnt vmcnt(5) lgkmcnt(1)
	v_fma_f64 v[3:4], v[3:4], v[143:144], 0
	s_waitcnt vmcnt(4)
	s_delay_alu instid0(VALU_DEP_1) | instskip(SKIP_1) | instid1(VALU_DEP_1)
	v_fma_f64 v[3:4], v[127:128], v[145:146], v[3:4]
	s_waitcnt lgkmcnt(0)
	v_fma_f64 v[3:4], v[129:130], v[147:148], v[3:4]
	scratch_load_b128 v[127:130], off, off offset:184
	s_waitcnt vmcnt(4)
	v_fma_f64 v[3:4], v[131:132], v[149:150], v[3:4]
	ds_load_b128 v[143:146], v126 offset:608
	ds_load_b128 v[147:150], v126 offset:624
	s_waitcnt lgkmcnt(1)
	v_fma_f64 v[3:4], v[133:134], v[143:144], v[3:4]
	scratch_load_b128 v[131:134], off, off offset:200
	s_waitcnt vmcnt(4)
	v_fma_f64 v[3:4], v[135:136], v[145:146], v[3:4]
	s_waitcnt lgkmcnt(0)
	s_delay_alu instid0(VALU_DEP_1)
	v_fma_f64 v[3:4], v[137:138], v[147:148], v[3:4]
	scratch_load_b128 v[135:138], off, off offset:216
	s_waitcnt vmcnt(4)
	v_fma_f64 v[3:4], v[139:140], v[149:150], v[3:4]
	ds_load_b128 v[143:146], v126 offset:640
	ds_load_b128 v[147:150], v126 offset:656
	s_waitcnt lgkmcnt(1)
	v_fma_f64 v[3:4], v[141:142], v[143:144], v[3:4]
	scratch_load_b128 v[139:142], off, off offset:232
	s_waitcnt vmcnt(4)
	v_fma_f64 v[3:4], v[151:152], v[145:146], v[3:4]
	scratch_load_b128 v[143:146], off, off offset:248
	s_waitcnt lgkmcnt(0)
	v_fma_f64 v[3:4], v[153:154], v[147:148], v[3:4]
	s_waitcnt vmcnt(4)
	s_delay_alu instid0(VALU_DEP_1)
	v_fma_f64 v[3:4], v[127:128], v[149:150], v[3:4]
	ds_load_b128 v[147:150], v126 offset:672
	ds_load_b128 v[151:154], v126 offset:688
	s_waitcnt lgkmcnt(1)
	v_fma_f64 v[3:4], v[129:130], v[147:148], v[3:4]
	scratch_load_b128 v[127:130], off, off offset:264
	s_waitcnt vmcnt(4)
	v_fma_f64 v[3:4], v[131:132], v[149:150], v[3:4]
	s_waitcnt lgkmcnt(0)
	s_delay_alu instid0(VALU_DEP_1)
	v_fma_f64 v[3:4], v[133:134], v[151:152], v[3:4]
	scratch_load_b128 v[131:134], off, off offset:280
	s_waitcnt vmcnt(4)
	v_fma_f64 v[3:4], v[135:136], v[153:154], v[3:4]
	ds_load_b128 v[147:150], v126 offset:704
	ds_load_b128 v[151:154], v126 offset:720
	s_waitcnt lgkmcnt(1)
	v_fma_f64 v[3:4], v[137:138], v[147:148], v[3:4]
	scratch_load_b128 v[135:138], off, off offset:296
	s_waitcnt vmcnt(4)
	v_fma_f64 v[3:4], v[139:140], v[149:150], v[3:4]
	s_waitcnt lgkmcnt(0)
	s_delay_alu instid0(VALU_DEP_1)
	v_fma_f64 v[3:4], v[141:142], v[151:152], v[3:4]
	scratch_load_b128 v[139:142], off, off offset:312
	s_waitcnt vmcnt(4)
	;; [unrolled: 13-line block ×6, first 2 shown]
	v_fma_f64 v[3:4], v[135:136], v[153:154], v[3:4]
	ds_load_b128 v[147:150], v126 offset:864
	ds_load_b128 v[151:154], v126 offset:880
	s_waitcnt lgkmcnt(1)
	v_fma_f64 v[3:4], v[137:138], v[147:148], v[3:4]
	scratch_load_b128 v[135:138], off, off offset:456
	s_waitcnt vmcnt(4)
	v_fma_f64 v[3:4], v[139:140], v[149:150], v[3:4]
	s_waitcnt lgkmcnt(0)
	s_delay_alu instid0(VALU_DEP_1)
	v_fma_f64 v[3:4], v[141:142], v[151:152], v[3:4]
	scratch_load_b64 v[151:152], off, off offset:472
	ds_load_b128 v[139:142], v126 offset:896
	ds_load_b128 v[147:150], v126 offset:912
	s_waitcnt vmcnt(4)
	v_fma_f64 v[3:4], v[143:144], v[153:154], v[3:4]
	s_waitcnt lgkmcnt(1)
	s_delay_alu instid0(VALU_DEP_1) | instskip(SKIP_1) | instid1(VALU_DEP_1)
	v_fma_f64 v[3:4], v[145:146], v[139:140], v[3:4]
	s_waitcnt vmcnt(3)
	v_fma_f64 v[3:4], v[127:128], v[141:142], v[3:4]
	s_waitcnt lgkmcnt(0)
	s_delay_alu instid0(VALU_DEP_1)
	v_fma_f64 v[3:4], v[129:130], v[147:148], v[3:4]
	ds_load_b128 v[127:130], v126 offset:928
	ds_load_b128 v[139:142], v126 offset:944
	s_waitcnt vmcnt(2)
	v_fma_f64 v[3:4], v[131:132], v[149:150], v[3:4]
	s_waitcnt lgkmcnt(1)
	s_delay_alu instid0(VALU_DEP_1) | instskip(SKIP_1) | instid1(VALU_DEP_1)
	v_fma_f64 v[3:4], v[133:134], v[127:128], v[3:4]
	s_waitcnt vmcnt(1)
	v_fma_f64 v[3:4], v[135:136], v[129:130], v[3:4]
	s_waitcnt lgkmcnt(0)
	s_delay_alu instid0(VALU_DEP_1) | instskip(SKIP_1) | instid1(VALU_DEP_1)
	v_fma_f64 v[3:4], v[137:138], v[139:140], v[3:4]
	s_waitcnt vmcnt(0)
	v_fma_f64 v[3:4], v[151:152], v[141:142], v[3:4]
	s_delay_alu instid0(VALU_DEP_1)
	v_add_f64 v[1:2], v[1:2], -v[3:4]
	scratch_store_b64 off, v[1:2], off offset:88
	v_cmpx_lt_u32_e32 10, v0
	s_cbranch_execz .LBB59_349
; %bb.348:
	scratch_load_b64 v[1:2], off, off offset:80
	v_mov_b32_e32 v3, 0
	s_delay_alu instid0(VALU_DEP_1)
	v_mov_b32_e32 v4, v3
	scratch_store_b64 off, v[3:4], off offset:80
	s_waitcnt vmcnt(0)
	ds_store_b64 v5, v[1:2]
.LBB59_349:
	s_or_b32 exec_lo, exec_lo, s0
	s_waitcnt lgkmcnt(0)
	s_waitcnt_vscnt null, 0x0
	s_barrier
	buffer_gl0_inv
	s_clause 0x4
	scratch_load_b128 v[1:4], off, off offset:80
	scratch_load_b128 v[127:130], off, off offset:96
	scratch_load_b128 v[131:134], off, off offset:112
	scratch_load_b128 v[135:138], off, off offset:128
	scratch_load_b128 v[139:142], off, off offset:144
	v_mov_b32_e32 v126, 0
	ds_load_2addr_b64 v[143:146], v126 offset0:71 offset1:72
	ds_load_2addr_b64 v[147:150], v126 offset0:73 offset1:74
	scratch_load_b128 v[151:154], off, off offset:160
	s_mov_b32 s0, exec_lo
	s_waitcnt vmcnt(5) lgkmcnt(1)
	v_fma_f64 v[3:4], v[3:4], v[143:144], 0
	s_waitcnt vmcnt(4)
	s_delay_alu instid0(VALU_DEP_1) | instskip(SKIP_1) | instid1(VALU_DEP_1)
	v_fma_f64 v[3:4], v[127:128], v[145:146], v[3:4]
	s_waitcnt lgkmcnt(0)
	v_fma_f64 v[3:4], v[129:130], v[147:148], v[3:4]
	scratch_load_b128 v[127:130], off, off offset:176
	s_waitcnt vmcnt(4)
	v_fma_f64 v[3:4], v[131:132], v[149:150], v[3:4]
	ds_load_2addr_b64 v[143:146], v126 offset0:75 offset1:76
	ds_load_2addr_b64 v[147:150], v126 offset0:77 offset1:78
	s_waitcnt lgkmcnt(1)
	v_fma_f64 v[3:4], v[133:134], v[143:144], v[3:4]
	scratch_load_b128 v[131:134], off, off offset:192
	s_waitcnt vmcnt(4)
	v_fma_f64 v[3:4], v[135:136], v[145:146], v[3:4]
	s_waitcnt lgkmcnt(0)
	s_delay_alu instid0(VALU_DEP_1)
	v_fma_f64 v[3:4], v[137:138], v[147:148], v[3:4]
	scratch_load_b128 v[135:138], off, off offset:208
	s_waitcnt vmcnt(4)
	v_fma_f64 v[3:4], v[139:140], v[149:150], v[3:4]
	ds_load_2addr_b64 v[143:146], v126 offset0:79 offset1:80
	ds_load_2addr_b64 v[147:150], v126 offset0:81 offset1:82
	s_waitcnt lgkmcnt(1)
	v_fma_f64 v[3:4], v[141:142], v[143:144], v[3:4]
	scratch_load_b128 v[139:142], off, off offset:224
	s_waitcnt vmcnt(4)
	v_fma_f64 v[3:4], v[151:152], v[145:146], v[3:4]
	scratch_load_b128 v[143:146], off, off offset:240
	s_waitcnt lgkmcnt(0)
	v_fma_f64 v[3:4], v[153:154], v[147:148], v[3:4]
	s_waitcnt vmcnt(4)
	s_delay_alu instid0(VALU_DEP_1)
	v_fma_f64 v[3:4], v[127:128], v[149:150], v[3:4]
	ds_load_2addr_b64 v[147:150], v126 offset0:83 offset1:84
	ds_load_2addr_b64 v[151:154], v126 offset0:85 offset1:86
	s_waitcnt lgkmcnt(1)
	v_fma_f64 v[3:4], v[129:130], v[147:148], v[3:4]
	scratch_load_b128 v[127:130], off, off offset:256
	s_waitcnt vmcnt(4)
	v_fma_f64 v[3:4], v[131:132], v[149:150], v[3:4]
	s_waitcnt lgkmcnt(0)
	s_delay_alu instid0(VALU_DEP_1)
	v_fma_f64 v[3:4], v[133:134], v[151:152], v[3:4]
	scratch_load_b128 v[131:134], off, off offset:272
	s_waitcnt vmcnt(4)
	v_fma_f64 v[3:4], v[135:136], v[153:154], v[3:4]
	ds_load_2addr_b64 v[147:150], v126 offset0:87 offset1:88
	ds_load_2addr_b64 v[151:154], v126 offset0:89 offset1:90
	s_waitcnt lgkmcnt(1)
	v_fma_f64 v[3:4], v[137:138], v[147:148], v[3:4]
	scratch_load_b128 v[135:138], off, off offset:288
	s_waitcnt vmcnt(4)
	v_fma_f64 v[3:4], v[139:140], v[149:150], v[3:4]
	s_waitcnt lgkmcnt(0)
	s_delay_alu instid0(VALU_DEP_1)
	v_fma_f64 v[3:4], v[141:142], v[151:152], v[3:4]
	scratch_load_b128 v[139:142], off, off offset:304
	s_waitcnt vmcnt(4)
	;; [unrolled: 13-line block ×7, first 2 shown]
	v_fma_f64 v[3:4], v[143:144], v[153:154], v[3:4]
	ds_load_2addr_b64 v[147:150], v126 offset0:111 offset1:112
	ds_load_2addr_b64 v[151:154], v126 offset0:113 offset1:114
	s_waitcnt lgkmcnt(1)
	v_fma_f64 v[3:4], v[145:146], v[147:148], v[3:4]
	s_waitcnt vmcnt(3)
	s_delay_alu instid0(VALU_DEP_1) | instskip(SKIP_1) | instid1(VALU_DEP_1)
	v_fma_f64 v[3:4], v[127:128], v[149:150], v[3:4]
	s_waitcnt lgkmcnt(0)
	v_fma_f64 v[3:4], v[129:130], v[151:152], v[3:4]
	ds_load_2addr_b64 v[127:130], v126 offset0:115 offset1:116
	ds_load_2addr_b64 v[143:146], v126 offset0:117 offset1:118
	s_waitcnt vmcnt(2)
	v_fma_f64 v[3:4], v[131:132], v[153:154], v[3:4]
	s_waitcnt lgkmcnt(1)
	s_delay_alu instid0(VALU_DEP_1) | instskip(SKIP_4) | instid1(VALU_DEP_1)
	v_fma_f64 v[3:4], v[133:134], v[127:128], v[3:4]
	ds_load_b64 v[127:128], v126 offset:952
	s_waitcnt vmcnt(1)
	v_fma_f64 v[3:4], v[135:136], v[129:130], v[3:4]
	s_waitcnt lgkmcnt(1)
	v_fma_f64 v[3:4], v[137:138], v[143:144], v[3:4]
	s_waitcnt vmcnt(0)
	s_delay_alu instid0(VALU_DEP_1) | instskip(SKIP_1) | instid1(VALU_DEP_1)
	v_fma_f64 v[3:4], v[139:140], v[145:146], v[3:4]
	s_waitcnt lgkmcnt(0)
	v_fma_f64 v[3:4], v[141:142], v[127:128], v[3:4]
	s_delay_alu instid0(VALU_DEP_1)
	v_add_f64 v[1:2], v[1:2], -v[3:4]
	scratch_store_b64 off, v[1:2], off offset:80
	v_cmpx_lt_u32_e32 9, v0
	s_cbranch_execz .LBB59_351
; %bb.350:
	scratch_load_b64 v[1:2], off, off offset:72
	v_mov_b32_e32 v127, v126
	scratch_store_b64 off, v[126:127], off offset:72
	s_waitcnt vmcnt(0)
	ds_store_b64 v5, v[1:2]
.LBB59_351:
	s_or_b32 exec_lo, exec_lo, s0
	s_waitcnt lgkmcnt(0)
	s_waitcnt_vscnt null, 0x0
	s_barrier
	buffer_gl0_inv
	s_clause 0x4
	scratch_load_b128 v[1:4], off, off offset:72
	scratch_load_b128 v[127:130], off, off offset:88
	scratch_load_b128 v[131:134], off, off offset:104
	scratch_load_b128 v[135:138], off, off offset:120
	scratch_load_b128 v[139:142], off, off offset:136
	ds_load_b128 v[143:146], v126 offset:560
	ds_load_b128 v[147:150], v126 offset:576
	scratch_load_b128 v[151:154], off, off offset:152
	s_mov_b32 s0, exec_lo
	s_waitcnt vmcnt(5) lgkmcnt(1)
	v_fma_f64 v[3:4], v[3:4], v[143:144], 0
	s_waitcnt vmcnt(4)
	s_delay_alu instid0(VALU_DEP_1) | instskip(SKIP_1) | instid1(VALU_DEP_1)
	v_fma_f64 v[3:4], v[127:128], v[145:146], v[3:4]
	s_waitcnt lgkmcnt(0)
	v_fma_f64 v[3:4], v[129:130], v[147:148], v[3:4]
	scratch_load_b128 v[127:130], off, off offset:168
	s_waitcnt vmcnt(4)
	v_fma_f64 v[3:4], v[131:132], v[149:150], v[3:4]
	ds_load_b128 v[143:146], v126 offset:592
	ds_load_b128 v[147:150], v126 offset:608
	s_waitcnt lgkmcnt(1)
	v_fma_f64 v[3:4], v[133:134], v[143:144], v[3:4]
	scratch_load_b128 v[131:134], off, off offset:184
	s_waitcnt vmcnt(4)
	v_fma_f64 v[3:4], v[135:136], v[145:146], v[3:4]
	s_waitcnt lgkmcnt(0)
	s_delay_alu instid0(VALU_DEP_1)
	v_fma_f64 v[3:4], v[137:138], v[147:148], v[3:4]
	scratch_load_b128 v[135:138], off, off offset:200
	s_waitcnt vmcnt(4)
	v_fma_f64 v[3:4], v[139:140], v[149:150], v[3:4]
	ds_load_b128 v[143:146], v126 offset:624
	ds_load_b128 v[147:150], v126 offset:640
	s_waitcnt lgkmcnt(1)
	v_fma_f64 v[3:4], v[141:142], v[143:144], v[3:4]
	scratch_load_b128 v[139:142], off, off offset:216
	s_waitcnt vmcnt(4)
	v_fma_f64 v[3:4], v[151:152], v[145:146], v[3:4]
	scratch_load_b128 v[143:146], off, off offset:232
	s_waitcnt lgkmcnt(0)
	v_fma_f64 v[3:4], v[153:154], v[147:148], v[3:4]
	s_waitcnt vmcnt(4)
	s_delay_alu instid0(VALU_DEP_1)
	v_fma_f64 v[3:4], v[127:128], v[149:150], v[3:4]
	ds_load_b128 v[147:150], v126 offset:656
	ds_load_b128 v[151:154], v126 offset:672
	s_waitcnt lgkmcnt(1)
	v_fma_f64 v[3:4], v[129:130], v[147:148], v[3:4]
	scratch_load_b128 v[127:130], off, off offset:248
	s_waitcnt vmcnt(4)
	v_fma_f64 v[3:4], v[131:132], v[149:150], v[3:4]
	s_waitcnt lgkmcnt(0)
	s_delay_alu instid0(VALU_DEP_1)
	v_fma_f64 v[3:4], v[133:134], v[151:152], v[3:4]
	scratch_load_b128 v[131:134], off, off offset:264
	s_waitcnt vmcnt(4)
	v_fma_f64 v[3:4], v[135:136], v[153:154], v[3:4]
	ds_load_b128 v[147:150], v126 offset:688
	ds_load_b128 v[151:154], v126 offset:704
	s_waitcnt lgkmcnt(1)
	v_fma_f64 v[3:4], v[137:138], v[147:148], v[3:4]
	scratch_load_b128 v[135:138], off, off offset:280
	s_waitcnt vmcnt(4)
	v_fma_f64 v[3:4], v[139:140], v[149:150], v[3:4]
	s_waitcnt lgkmcnt(0)
	s_delay_alu instid0(VALU_DEP_1)
	v_fma_f64 v[3:4], v[141:142], v[151:152], v[3:4]
	scratch_load_b128 v[139:142], off, off offset:296
	s_waitcnt vmcnt(4)
	;; [unrolled: 13-line block ×7, first 2 shown]
	v_fma_f64 v[3:4], v[143:144], v[153:154], v[3:4]
	ds_load_b128 v[147:150], v126 offset:880
	ds_load_b128 v[151:154], v126 offset:896
	s_waitcnt lgkmcnt(1)
	v_fma_f64 v[3:4], v[145:146], v[147:148], v[3:4]
	scratch_load_b64 v[147:148], off, off offset:472
	s_waitcnt vmcnt(4)
	v_fma_f64 v[3:4], v[127:128], v[149:150], v[3:4]
	s_waitcnt lgkmcnt(0)
	s_delay_alu instid0(VALU_DEP_1)
	v_fma_f64 v[3:4], v[129:130], v[151:152], v[3:4]
	ds_load_b128 v[127:130], v126 offset:912
	ds_load_b128 v[143:146], v126 offset:928
	s_waitcnt vmcnt(3)
	v_fma_f64 v[3:4], v[131:132], v[153:154], v[3:4]
	s_waitcnt lgkmcnt(1)
	s_delay_alu instid0(VALU_DEP_1) | instskip(SKIP_1) | instid1(VALU_DEP_1)
	v_fma_f64 v[3:4], v[133:134], v[127:128], v[3:4]
	s_waitcnt vmcnt(2)
	v_fma_f64 v[3:4], v[135:136], v[129:130], v[3:4]
	ds_load_b128 v[126:129], v126 offset:944
	s_waitcnt lgkmcnt(1)
	v_fma_f64 v[3:4], v[137:138], v[143:144], v[3:4]
	s_waitcnt vmcnt(1)
	s_delay_alu instid0(VALU_DEP_1) | instskip(SKIP_1) | instid1(VALU_DEP_1)
	v_fma_f64 v[3:4], v[139:140], v[145:146], v[3:4]
	s_waitcnt lgkmcnt(0)
	v_fma_f64 v[3:4], v[141:142], v[126:127], v[3:4]
	s_waitcnt vmcnt(0)
	s_delay_alu instid0(VALU_DEP_1) | instskip(NEXT) | instid1(VALU_DEP_1)
	v_fma_f64 v[3:4], v[147:148], v[128:129], v[3:4]
	v_add_f64 v[1:2], v[1:2], -v[3:4]
	scratch_store_b64 off, v[1:2], off offset:72
	v_cmpx_lt_u32_e32 8, v0
	s_cbranch_execz .LBB59_353
; %bb.352:
	scratch_load_b64 v[1:2], off, off offset:64
	v_mov_b32_e32 v3, 0
	s_delay_alu instid0(VALU_DEP_1)
	v_mov_b32_e32 v4, v3
	scratch_store_b64 off, v[3:4], off offset:64
	s_waitcnt vmcnt(0)
	ds_store_b64 v5, v[1:2]
.LBB59_353:
	s_or_b32 exec_lo, exec_lo, s0
	s_waitcnt lgkmcnt(0)
	s_waitcnt_vscnt null, 0x0
	s_barrier
	buffer_gl0_inv
	s_clause 0x4
	scratch_load_b128 v[1:4], off, off offset:64
	scratch_load_b128 v[127:130], off, off offset:80
	;; [unrolled: 1-line block ×5, first 2 shown]
	v_mov_b32_e32 v126, 0
	ds_load_2addr_b64 v[143:146], v126 offset0:69 offset1:70
	ds_load_2addr_b64 v[147:150], v126 offset0:71 offset1:72
	scratch_load_b128 v[151:154], off, off offset:144
	s_mov_b32 s0, exec_lo
	s_waitcnt vmcnt(5) lgkmcnt(1)
	v_fma_f64 v[3:4], v[3:4], v[143:144], 0
	s_waitcnt vmcnt(4)
	s_delay_alu instid0(VALU_DEP_1) | instskip(SKIP_1) | instid1(VALU_DEP_1)
	v_fma_f64 v[3:4], v[127:128], v[145:146], v[3:4]
	s_waitcnt lgkmcnt(0)
	v_fma_f64 v[3:4], v[129:130], v[147:148], v[3:4]
	scratch_load_b128 v[127:130], off, off offset:160
	s_waitcnt vmcnt(4)
	v_fma_f64 v[3:4], v[131:132], v[149:150], v[3:4]
	ds_load_2addr_b64 v[143:146], v126 offset0:73 offset1:74
	ds_load_2addr_b64 v[147:150], v126 offset0:75 offset1:76
	s_waitcnt lgkmcnt(1)
	v_fma_f64 v[3:4], v[133:134], v[143:144], v[3:4]
	scratch_load_b128 v[131:134], off, off offset:176
	s_waitcnt vmcnt(4)
	v_fma_f64 v[3:4], v[135:136], v[145:146], v[3:4]
	s_waitcnt lgkmcnt(0)
	s_delay_alu instid0(VALU_DEP_1)
	v_fma_f64 v[3:4], v[137:138], v[147:148], v[3:4]
	scratch_load_b128 v[135:138], off, off offset:192
	s_waitcnt vmcnt(4)
	v_fma_f64 v[3:4], v[139:140], v[149:150], v[3:4]
	ds_load_2addr_b64 v[143:146], v126 offset0:77 offset1:78
	ds_load_2addr_b64 v[147:150], v126 offset0:79 offset1:80
	s_waitcnt lgkmcnt(1)
	v_fma_f64 v[3:4], v[141:142], v[143:144], v[3:4]
	scratch_load_b128 v[139:142], off, off offset:208
	s_waitcnt vmcnt(4)
	v_fma_f64 v[3:4], v[151:152], v[145:146], v[3:4]
	scratch_load_b128 v[143:146], off, off offset:224
	s_waitcnt lgkmcnt(0)
	v_fma_f64 v[3:4], v[153:154], v[147:148], v[3:4]
	s_waitcnt vmcnt(4)
	s_delay_alu instid0(VALU_DEP_1)
	v_fma_f64 v[3:4], v[127:128], v[149:150], v[3:4]
	ds_load_2addr_b64 v[147:150], v126 offset0:81 offset1:82
	ds_load_2addr_b64 v[151:154], v126 offset0:83 offset1:84
	s_waitcnt lgkmcnt(1)
	v_fma_f64 v[3:4], v[129:130], v[147:148], v[3:4]
	scratch_load_b128 v[127:130], off, off offset:240
	s_waitcnt vmcnt(4)
	v_fma_f64 v[3:4], v[131:132], v[149:150], v[3:4]
	s_waitcnt lgkmcnt(0)
	s_delay_alu instid0(VALU_DEP_1)
	v_fma_f64 v[3:4], v[133:134], v[151:152], v[3:4]
	scratch_load_b128 v[131:134], off, off offset:256
	s_waitcnt vmcnt(4)
	v_fma_f64 v[3:4], v[135:136], v[153:154], v[3:4]
	ds_load_2addr_b64 v[147:150], v126 offset0:85 offset1:86
	ds_load_2addr_b64 v[151:154], v126 offset0:87 offset1:88
	s_waitcnt lgkmcnt(1)
	v_fma_f64 v[3:4], v[137:138], v[147:148], v[3:4]
	scratch_load_b128 v[135:138], off, off offset:272
	s_waitcnt vmcnt(4)
	v_fma_f64 v[3:4], v[139:140], v[149:150], v[3:4]
	s_waitcnt lgkmcnt(0)
	s_delay_alu instid0(VALU_DEP_1)
	v_fma_f64 v[3:4], v[141:142], v[151:152], v[3:4]
	scratch_load_b128 v[139:142], off, off offset:288
	s_waitcnt vmcnt(4)
	;; [unrolled: 13-line block ×7, first 2 shown]
	v_fma_f64 v[3:4], v[143:144], v[153:154], v[3:4]
	ds_load_2addr_b64 v[147:150], v126 offset0:109 offset1:110
	ds_load_2addr_b64 v[151:154], v126 offset0:111 offset1:112
	s_waitcnt lgkmcnt(1)
	v_fma_f64 v[3:4], v[145:146], v[147:148], v[3:4]
	scratch_load_b128 v[143:146], off, off offset:464
	s_waitcnt vmcnt(4)
	v_fma_f64 v[3:4], v[127:128], v[149:150], v[3:4]
	s_waitcnt lgkmcnt(0)
	s_delay_alu instid0(VALU_DEP_1)
	v_fma_f64 v[3:4], v[129:130], v[151:152], v[3:4]
	ds_load_2addr_b64 v[127:130], v126 offset0:113 offset1:114
	ds_load_2addr_b64 v[147:150], v126 offset0:115 offset1:116
	s_waitcnt vmcnt(3)
	v_fma_f64 v[3:4], v[131:132], v[153:154], v[3:4]
	s_waitcnt lgkmcnt(1)
	s_delay_alu instid0(VALU_DEP_1) | instskip(SKIP_1) | instid1(VALU_DEP_1)
	v_fma_f64 v[3:4], v[133:134], v[127:128], v[3:4]
	s_waitcnt vmcnt(2)
	v_fma_f64 v[3:4], v[135:136], v[129:130], v[3:4]
	ds_load_2addr_b64 v[127:130], v126 offset0:117 offset1:118
	ds_load_b64 v[131:132], v126 offset:952
	s_waitcnt lgkmcnt(2)
	v_fma_f64 v[3:4], v[137:138], v[147:148], v[3:4]
	s_waitcnt vmcnt(1)
	s_delay_alu instid0(VALU_DEP_1) | instskip(SKIP_1) | instid1(VALU_DEP_1)
	v_fma_f64 v[3:4], v[139:140], v[149:150], v[3:4]
	s_waitcnt lgkmcnt(1)
	v_fma_f64 v[3:4], v[141:142], v[127:128], v[3:4]
	s_waitcnt vmcnt(0)
	s_delay_alu instid0(VALU_DEP_1) | instskip(SKIP_1) | instid1(VALU_DEP_1)
	v_fma_f64 v[3:4], v[143:144], v[129:130], v[3:4]
	s_waitcnt lgkmcnt(0)
	v_fma_f64 v[3:4], v[145:146], v[131:132], v[3:4]
	s_delay_alu instid0(VALU_DEP_1)
	v_add_f64 v[1:2], v[1:2], -v[3:4]
	scratch_store_b64 off, v[1:2], off offset:64
	v_cmpx_lt_u32_e32 7, v0
	s_cbranch_execz .LBB59_355
; %bb.354:
	scratch_load_b64 v[1:2], off, off offset:56
	v_mov_b32_e32 v127, v126
	scratch_store_b64 off, v[126:127], off offset:56
	s_waitcnt vmcnt(0)
	ds_store_b64 v5, v[1:2]
.LBB59_355:
	s_or_b32 exec_lo, exec_lo, s0
	s_waitcnt lgkmcnt(0)
	s_waitcnt_vscnt null, 0x0
	s_barrier
	buffer_gl0_inv
	s_clause 0x4
	scratch_load_b128 v[1:4], off, off offset:56
	scratch_load_b128 v[127:130], off, off offset:72
	;; [unrolled: 1-line block ×5, first 2 shown]
	ds_load_b128 v[143:146], v126 offset:544
	ds_load_b128 v[147:150], v126 offset:560
	scratch_load_b128 v[151:154], off, off offset:136
	s_mov_b32 s0, exec_lo
	s_waitcnt vmcnt(5) lgkmcnt(1)
	v_fma_f64 v[3:4], v[3:4], v[143:144], 0
	s_waitcnt vmcnt(4)
	s_delay_alu instid0(VALU_DEP_1) | instskip(SKIP_1) | instid1(VALU_DEP_1)
	v_fma_f64 v[3:4], v[127:128], v[145:146], v[3:4]
	s_waitcnt lgkmcnt(0)
	v_fma_f64 v[3:4], v[129:130], v[147:148], v[3:4]
	scratch_load_b128 v[127:130], off, off offset:152
	s_waitcnt vmcnt(4)
	v_fma_f64 v[3:4], v[131:132], v[149:150], v[3:4]
	ds_load_b128 v[143:146], v126 offset:576
	ds_load_b128 v[147:150], v126 offset:592
	s_waitcnt lgkmcnt(1)
	v_fma_f64 v[3:4], v[133:134], v[143:144], v[3:4]
	scratch_load_b128 v[131:134], off, off offset:168
	s_waitcnt vmcnt(4)
	v_fma_f64 v[3:4], v[135:136], v[145:146], v[3:4]
	s_waitcnt lgkmcnt(0)
	s_delay_alu instid0(VALU_DEP_1)
	v_fma_f64 v[3:4], v[137:138], v[147:148], v[3:4]
	scratch_load_b128 v[135:138], off, off offset:184
	s_waitcnt vmcnt(4)
	v_fma_f64 v[3:4], v[139:140], v[149:150], v[3:4]
	ds_load_b128 v[143:146], v126 offset:608
	ds_load_b128 v[147:150], v126 offset:624
	s_waitcnt lgkmcnt(1)
	v_fma_f64 v[3:4], v[141:142], v[143:144], v[3:4]
	scratch_load_b128 v[139:142], off, off offset:200
	s_waitcnt vmcnt(4)
	v_fma_f64 v[3:4], v[151:152], v[145:146], v[3:4]
	scratch_load_b128 v[143:146], off, off offset:216
	s_waitcnt lgkmcnt(0)
	v_fma_f64 v[3:4], v[153:154], v[147:148], v[3:4]
	s_waitcnt vmcnt(4)
	s_delay_alu instid0(VALU_DEP_1)
	v_fma_f64 v[3:4], v[127:128], v[149:150], v[3:4]
	ds_load_b128 v[147:150], v126 offset:640
	ds_load_b128 v[151:154], v126 offset:656
	s_waitcnt lgkmcnt(1)
	v_fma_f64 v[3:4], v[129:130], v[147:148], v[3:4]
	scratch_load_b128 v[127:130], off, off offset:232
	s_waitcnt vmcnt(4)
	v_fma_f64 v[3:4], v[131:132], v[149:150], v[3:4]
	s_waitcnt lgkmcnt(0)
	s_delay_alu instid0(VALU_DEP_1)
	v_fma_f64 v[3:4], v[133:134], v[151:152], v[3:4]
	scratch_load_b128 v[131:134], off, off offset:248
	s_waitcnt vmcnt(4)
	v_fma_f64 v[3:4], v[135:136], v[153:154], v[3:4]
	ds_load_b128 v[147:150], v126 offset:672
	ds_load_b128 v[151:154], v126 offset:688
	s_waitcnt lgkmcnt(1)
	v_fma_f64 v[3:4], v[137:138], v[147:148], v[3:4]
	scratch_load_b128 v[135:138], off, off offset:264
	s_waitcnt vmcnt(4)
	v_fma_f64 v[3:4], v[139:140], v[149:150], v[3:4]
	s_waitcnt lgkmcnt(0)
	s_delay_alu instid0(VALU_DEP_1)
	v_fma_f64 v[3:4], v[141:142], v[151:152], v[3:4]
	scratch_load_b128 v[139:142], off, off offset:280
	s_waitcnt vmcnt(4)
	;; [unrolled: 13-line block ×7, first 2 shown]
	v_fma_f64 v[3:4], v[143:144], v[153:154], v[3:4]
	ds_load_b128 v[147:150], v126 offset:864
	ds_load_b128 v[151:154], v126 offset:880
	s_waitcnt lgkmcnt(1)
	v_fma_f64 v[3:4], v[145:146], v[147:148], v[3:4]
	scratch_load_b128 v[143:146], off, off offset:456
	s_waitcnt vmcnt(4)
	v_fma_f64 v[3:4], v[127:128], v[149:150], v[3:4]
	s_waitcnt lgkmcnt(0)
	s_delay_alu instid0(VALU_DEP_1)
	v_fma_f64 v[3:4], v[129:130], v[151:152], v[3:4]
	scratch_load_b64 v[151:152], off, off offset:472
	ds_load_b128 v[127:130], v126 offset:896
	ds_load_b128 v[147:150], v126 offset:912
	s_waitcnt vmcnt(4)
	v_fma_f64 v[3:4], v[131:132], v[153:154], v[3:4]
	s_waitcnt lgkmcnt(1)
	s_delay_alu instid0(VALU_DEP_1) | instskip(SKIP_1) | instid1(VALU_DEP_1)
	v_fma_f64 v[3:4], v[133:134], v[127:128], v[3:4]
	s_waitcnt vmcnt(3)
	v_fma_f64 v[3:4], v[135:136], v[129:130], v[3:4]
	ds_load_b128 v[127:130], v126 offset:928
	ds_load_b128 v[131:134], v126 offset:944
	s_waitcnt lgkmcnt(2)
	v_fma_f64 v[3:4], v[137:138], v[147:148], v[3:4]
	s_waitcnt vmcnt(2)
	s_delay_alu instid0(VALU_DEP_1) | instskip(SKIP_1) | instid1(VALU_DEP_1)
	v_fma_f64 v[3:4], v[139:140], v[149:150], v[3:4]
	s_waitcnt lgkmcnt(1)
	v_fma_f64 v[3:4], v[141:142], v[127:128], v[3:4]
	s_waitcnt vmcnt(1)
	s_delay_alu instid0(VALU_DEP_1) | instskip(SKIP_1) | instid1(VALU_DEP_1)
	v_fma_f64 v[3:4], v[143:144], v[129:130], v[3:4]
	s_waitcnt lgkmcnt(0)
	v_fma_f64 v[3:4], v[145:146], v[131:132], v[3:4]
	s_waitcnt vmcnt(0)
	s_delay_alu instid0(VALU_DEP_1) | instskip(NEXT) | instid1(VALU_DEP_1)
	v_fma_f64 v[3:4], v[151:152], v[133:134], v[3:4]
	v_add_f64 v[1:2], v[1:2], -v[3:4]
	scratch_store_b64 off, v[1:2], off offset:56
	v_cmpx_lt_u32_e32 6, v0
	s_cbranch_execz .LBB59_357
; %bb.356:
	scratch_load_b64 v[1:2], off, off offset:48
	v_mov_b32_e32 v3, 0
	s_delay_alu instid0(VALU_DEP_1)
	v_mov_b32_e32 v4, v3
	scratch_store_b64 off, v[3:4], off offset:48
	s_waitcnt vmcnt(0)
	ds_store_b64 v5, v[1:2]
.LBB59_357:
	s_or_b32 exec_lo, exec_lo, s0
	s_waitcnt lgkmcnt(0)
	s_waitcnt_vscnt null, 0x0
	s_barrier
	buffer_gl0_inv
	s_clause 0x4
	scratch_load_b128 v[1:4], off, off offset:48
	scratch_load_b128 v[127:130], off, off offset:64
	;; [unrolled: 1-line block ×5, first 2 shown]
	v_mov_b32_e32 v126, 0
	ds_load_2addr_b64 v[143:146], v126 offset0:67 offset1:68
	ds_load_2addr_b64 v[147:150], v126 offset0:69 offset1:70
	scratch_load_b128 v[151:154], off, off offset:128
	s_mov_b32 s0, exec_lo
	s_waitcnt vmcnt(5) lgkmcnt(1)
	v_fma_f64 v[3:4], v[3:4], v[143:144], 0
	s_waitcnt vmcnt(4)
	s_delay_alu instid0(VALU_DEP_1) | instskip(SKIP_1) | instid1(VALU_DEP_1)
	v_fma_f64 v[3:4], v[127:128], v[145:146], v[3:4]
	s_waitcnt lgkmcnt(0)
	v_fma_f64 v[3:4], v[129:130], v[147:148], v[3:4]
	scratch_load_b128 v[127:130], off, off offset:144
	s_waitcnt vmcnt(4)
	v_fma_f64 v[3:4], v[131:132], v[149:150], v[3:4]
	ds_load_2addr_b64 v[143:146], v126 offset0:71 offset1:72
	ds_load_2addr_b64 v[147:150], v126 offset0:73 offset1:74
	s_waitcnt lgkmcnt(1)
	v_fma_f64 v[3:4], v[133:134], v[143:144], v[3:4]
	scratch_load_b128 v[131:134], off, off offset:160
	s_waitcnt vmcnt(4)
	v_fma_f64 v[3:4], v[135:136], v[145:146], v[3:4]
	s_waitcnt lgkmcnt(0)
	s_delay_alu instid0(VALU_DEP_1)
	v_fma_f64 v[3:4], v[137:138], v[147:148], v[3:4]
	scratch_load_b128 v[135:138], off, off offset:176
	s_waitcnt vmcnt(4)
	v_fma_f64 v[3:4], v[139:140], v[149:150], v[3:4]
	ds_load_2addr_b64 v[143:146], v126 offset0:75 offset1:76
	ds_load_2addr_b64 v[147:150], v126 offset0:77 offset1:78
	s_waitcnt lgkmcnt(1)
	v_fma_f64 v[3:4], v[141:142], v[143:144], v[3:4]
	scratch_load_b128 v[139:142], off, off offset:192
	s_waitcnt vmcnt(4)
	v_fma_f64 v[3:4], v[151:152], v[145:146], v[3:4]
	scratch_load_b128 v[143:146], off, off offset:208
	s_waitcnt lgkmcnt(0)
	v_fma_f64 v[3:4], v[153:154], v[147:148], v[3:4]
	s_waitcnt vmcnt(4)
	s_delay_alu instid0(VALU_DEP_1)
	v_fma_f64 v[3:4], v[127:128], v[149:150], v[3:4]
	ds_load_2addr_b64 v[147:150], v126 offset0:79 offset1:80
	ds_load_2addr_b64 v[151:154], v126 offset0:81 offset1:82
	s_waitcnt lgkmcnt(1)
	v_fma_f64 v[3:4], v[129:130], v[147:148], v[3:4]
	scratch_load_b128 v[127:130], off, off offset:224
	s_waitcnt vmcnt(4)
	v_fma_f64 v[3:4], v[131:132], v[149:150], v[3:4]
	s_waitcnt lgkmcnt(0)
	s_delay_alu instid0(VALU_DEP_1)
	v_fma_f64 v[3:4], v[133:134], v[151:152], v[3:4]
	scratch_load_b128 v[131:134], off, off offset:240
	s_waitcnt vmcnt(4)
	v_fma_f64 v[3:4], v[135:136], v[153:154], v[3:4]
	ds_load_2addr_b64 v[147:150], v126 offset0:83 offset1:84
	ds_load_2addr_b64 v[151:154], v126 offset0:85 offset1:86
	s_waitcnt lgkmcnt(1)
	v_fma_f64 v[3:4], v[137:138], v[147:148], v[3:4]
	scratch_load_b128 v[135:138], off, off offset:256
	s_waitcnt vmcnt(4)
	v_fma_f64 v[3:4], v[139:140], v[149:150], v[3:4]
	s_waitcnt lgkmcnt(0)
	s_delay_alu instid0(VALU_DEP_1)
	v_fma_f64 v[3:4], v[141:142], v[151:152], v[3:4]
	scratch_load_b128 v[139:142], off, off offset:272
	s_waitcnt vmcnt(4)
	;; [unrolled: 13-line block ×8, first 2 shown]
	v_fma_f64 v[3:4], v[131:132], v[153:154], v[3:4]
	ds_load_2addr_b64 v[147:150], v126 offset0:111 offset1:112
	ds_load_2addr_b64 v[151:154], v126 offset0:113 offset1:114
	s_waitcnt lgkmcnt(1)
	v_fma_f64 v[3:4], v[133:134], v[147:148], v[3:4]
	s_waitcnt vmcnt(3)
	s_delay_alu instid0(VALU_DEP_1) | instskip(SKIP_1) | instid1(VALU_DEP_1)
	v_fma_f64 v[3:4], v[135:136], v[149:150], v[3:4]
	s_waitcnt lgkmcnt(0)
	v_fma_f64 v[3:4], v[137:138], v[151:152], v[3:4]
	ds_load_2addr_b64 v[131:134], v126 offset0:115 offset1:116
	ds_load_2addr_b64 v[135:138], v126 offset0:117 offset1:118
	s_waitcnt vmcnt(2)
	v_fma_f64 v[3:4], v[139:140], v[153:154], v[3:4]
	s_waitcnt lgkmcnt(1)
	s_delay_alu instid0(VALU_DEP_1) | instskip(SKIP_1) | instid1(VALU_DEP_1)
	v_fma_f64 v[3:4], v[141:142], v[131:132], v[3:4]
	s_waitcnt vmcnt(1)
	v_fma_f64 v[3:4], v[143:144], v[133:134], v[3:4]
	s_waitcnt lgkmcnt(0)
	s_delay_alu instid0(VALU_DEP_1) | instskip(SKIP_1) | instid1(VALU_DEP_1)
	v_fma_f64 v[3:4], v[145:146], v[135:136], v[3:4]
	s_waitcnt vmcnt(0)
	v_fma_f64 v[3:4], v[127:128], v[137:138], v[3:4]
	ds_load_b64 v[127:128], v126 offset:952
	s_waitcnt lgkmcnt(0)
	v_fma_f64 v[3:4], v[129:130], v[127:128], v[3:4]
	s_delay_alu instid0(VALU_DEP_1)
	v_add_f64 v[1:2], v[1:2], -v[3:4]
	scratch_store_b64 off, v[1:2], off offset:48
	v_cmpx_lt_u32_e32 5, v0
	s_cbranch_execz .LBB59_359
; %bb.358:
	scratch_load_b64 v[1:2], off, off offset:40
	v_mov_b32_e32 v127, v126
	scratch_store_b64 off, v[126:127], off offset:40
	s_waitcnt vmcnt(0)
	ds_store_b64 v5, v[1:2]
.LBB59_359:
	s_or_b32 exec_lo, exec_lo, s0
	s_waitcnt lgkmcnt(0)
	s_waitcnt_vscnt null, 0x0
	s_barrier
	buffer_gl0_inv
	s_clause 0x4
	scratch_load_b128 v[1:4], off, off offset:40
	scratch_load_b128 v[127:130], off, off offset:56
	;; [unrolled: 1-line block ×5, first 2 shown]
	ds_load_b128 v[143:146], v126 offset:528
	ds_load_b128 v[147:150], v126 offset:544
	scratch_load_b128 v[151:154], off, off offset:120
	s_mov_b32 s0, exec_lo
	s_waitcnt vmcnt(5) lgkmcnt(1)
	v_fma_f64 v[3:4], v[3:4], v[143:144], 0
	s_waitcnt vmcnt(4)
	s_delay_alu instid0(VALU_DEP_1) | instskip(SKIP_1) | instid1(VALU_DEP_1)
	v_fma_f64 v[3:4], v[127:128], v[145:146], v[3:4]
	s_waitcnt lgkmcnt(0)
	v_fma_f64 v[3:4], v[129:130], v[147:148], v[3:4]
	scratch_load_b128 v[127:130], off, off offset:136
	s_waitcnt vmcnt(4)
	v_fma_f64 v[3:4], v[131:132], v[149:150], v[3:4]
	ds_load_b128 v[143:146], v126 offset:560
	ds_load_b128 v[147:150], v126 offset:576
	s_waitcnt lgkmcnt(1)
	v_fma_f64 v[3:4], v[133:134], v[143:144], v[3:4]
	scratch_load_b128 v[131:134], off, off offset:152
	s_waitcnt vmcnt(4)
	v_fma_f64 v[3:4], v[135:136], v[145:146], v[3:4]
	s_waitcnt lgkmcnt(0)
	s_delay_alu instid0(VALU_DEP_1)
	v_fma_f64 v[3:4], v[137:138], v[147:148], v[3:4]
	scratch_load_b128 v[135:138], off, off offset:168
	s_waitcnt vmcnt(4)
	v_fma_f64 v[3:4], v[139:140], v[149:150], v[3:4]
	ds_load_b128 v[143:146], v126 offset:592
	ds_load_b128 v[147:150], v126 offset:608
	s_waitcnt lgkmcnt(1)
	v_fma_f64 v[3:4], v[141:142], v[143:144], v[3:4]
	scratch_load_b128 v[139:142], off, off offset:184
	s_waitcnt vmcnt(4)
	v_fma_f64 v[3:4], v[151:152], v[145:146], v[3:4]
	scratch_load_b128 v[143:146], off, off offset:200
	s_waitcnt lgkmcnt(0)
	v_fma_f64 v[3:4], v[153:154], v[147:148], v[3:4]
	s_waitcnt vmcnt(4)
	s_delay_alu instid0(VALU_DEP_1)
	v_fma_f64 v[3:4], v[127:128], v[149:150], v[3:4]
	ds_load_b128 v[147:150], v126 offset:624
	ds_load_b128 v[151:154], v126 offset:640
	s_waitcnt lgkmcnt(1)
	v_fma_f64 v[3:4], v[129:130], v[147:148], v[3:4]
	scratch_load_b128 v[127:130], off, off offset:216
	s_waitcnt vmcnt(4)
	v_fma_f64 v[3:4], v[131:132], v[149:150], v[3:4]
	s_waitcnt lgkmcnt(0)
	s_delay_alu instid0(VALU_DEP_1)
	v_fma_f64 v[3:4], v[133:134], v[151:152], v[3:4]
	scratch_load_b128 v[131:134], off, off offset:232
	s_waitcnt vmcnt(4)
	v_fma_f64 v[3:4], v[135:136], v[153:154], v[3:4]
	ds_load_b128 v[147:150], v126 offset:656
	ds_load_b128 v[151:154], v126 offset:672
	s_waitcnt lgkmcnt(1)
	v_fma_f64 v[3:4], v[137:138], v[147:148], v[3:4]
	scratch_load_b128 v[135:138], off, off offset:248
	s_waitcnt vmcnt(4)
	v_fma_f64 v[3:4], v[139:140], v[149:150], v[3:4]
	s_waitcnt lgkmcnt(0)
	s_delay_alu instid0(VALU_DEP_1)
	v_fma_f64 v[3:4], v[141:142], v[151:152], v[3:4]
	scratch_load_b128 v[139:142], off, off offset:264
	s_waitcnt vmcnt(4)
	;; [unrolled: 13-line block ×8, first 2 shown]
	v_fma_f64 v[3:4], v[131:132], v[153:154], v[3:4]
	ds_load_b128 v[147:150], v126 offset:880
	ds_load_b128 v[151:154], v126 offset:896
	s_waitcnt lgkmcnt(1)
	v_fma_f64 v[3:4], v[133:134], v[147:148], v[3:4]
	scratch_load_b64 v[147:148], off, off offset:472
	s_waitcnt vmcnt(4)
	v_fma_f64 v[3:4], v[135:136], v[149:150], v[3:4]
	s_waitcnt lgkmcnt(0)
	s_delay_alu instid0(VALU_DEP_1)
	v_fma_f64 v[3:4], v[137:138], v[151:152], v[3:4]
	ds_load_b128 v[131:134], v126 offset:912
	ds_load_b128 v[135:138], v126 offset:928
	s_waitcnt vmcnt(3)
	v_fma_f64 v[3:4], v[139:140], v[153:154], v[3:4]
	s_waitcnt lgkmcnt(1)
	s_delay_alu instid0(VALU_DEP_1) | instskip(SKIP_1) | instid1(VALU_DEP_1)
	v_fma_f64 v[3:4], v[141:142], v[131:132], v[3:4]
	s_waitcnt vmcnt(2)
	v_fma_f64 v[3:4], v[143:144], v[133:134], v[3:4]
	ds_load_b128 v[131:134], v126 offset:944
	s_waitcnt lgkmcnt(1)
	v_fma_f64 v[3:4], v[145:146], v[135:136], v[3:4]
	s_waitcnt vmcnt(1)
	s_delay_alu instid0(VALU_DEP_1) | instskip(SKIP_1) | instid1(VALU_DEP_1)
	v_fma_f64 v[3:4], v[127:128], v[137:138], v[3:4]
	s_waitcnt lgkmcnt(0)
	v_fma_f64 v[3:4], v[129:130], v[131:132], v[3:4]
	s_waitcnt vmcnt(0)
	s_delay_alu instid0(VALU_DEP_1) | instskip(NEXT) | instid1(VALU_DEP_1)
	v_fma_f64 v[3:4], v[147:148], v[133:134], v[3:4]
	v_add_f64 v[1:2], v[1:2], -v[3:4]
	scratch_store_b64 off, v[1:2], off offset:40
	v_cmpx_lt_u32_e32 4, v0
	s_cbranch_execz .LBB59_361
; %bb.360:
	scratch_load_b64 v[1:2], off, off offset:32
	v_mov_b32_e32 v3, 0
	s_delay_alu instid0(VALU_DEP_1)
	v_mov_b32_e32 v4, v3
	scratch_store_b64 off, v[3:4], off offset:32
	s_waitcnt vmcnt(0)
	ds_store_b64 v5, v[1:2]
.LBB59_361:
	s_or_b32 exec_lo, exec_lo, s0
	s_waitcnt lgkmcnt(0)
	s_waitcnt_vscnt null, 0x0
	s_barrier
	buffer_gl0_inv
	s_clause 0x4
	scratch_load_b128 v[1:4], off, off offset:32
	scratch_load_b128 v[127:130], off, off offset:48
	;; [unrolled: 1-line block ×5, first 2 shown]
	v_mov_b32_e32 v126, 0
	ds_load_2addr_b64 v[143:146], v126 offset0:65 offset1:66
	ds_load_2addr_b64 v[147:150], v126 offset0:67 offset1:68
	scratch_load_b128 v[151:154], off, off offset:112
	s_mov_b32 s0, exec_lo
	s_waitcnt vmcnt(5) lgkmcnt(1)
	v_fma_f64 v[3:4], v[3:4], v[143:144], 0
	s_waitcnt vmcnt(4)
	s_delay_alu instid0(VALU_DEP_1) | instskip(SKIP_1) | instid1(VALU_DEP_1)
	v_fma_f64 v[3:4], v[127:128], v[145:146], v[3:4]
	s_waitcnt lgkmcnt(0)
	v_fma_f64 v[3:4], v[129:130], v[147:148], v[3:4]
	scratch_load_b128 v[127:130], off, off offset:128
	s_waitcnt vmcnt(4)
	v_fma_f64 v[3:4], v[131:132], v[149:150], v[3:4]
	ds_load_2addr_b64 v[143:146], v126 offset0:69 offset1:70
	ds_load_2addr_b64 v[147:150], v126 offset0:71 offset1:72
	s_waitcnt lgkmcnt(1)
	v_fma_f64 v[3:4], v[133:134], v[143:144], v[3:4]
	scratch_load_b128 v[131:134], off, off offset:144
	s_waitcnt vmcnt(4)
	v_fma_f64 v[3:4], v[135:136], v[145:146], v[3:4]
	s_waitcnt lgkmcnt(0)
	s_delay_alu instid0(VALU_DEP_1)
	v_fma_f64 v[3:4], v[137:138], v[147:148], v[3:4]
	scratch_load_b128 v[135:138], off, off offset:160
	s_waitcnt vmcnt(4)
	v_fma_f64 v[3:4], v[139:140], v[149:150], v[3:4]
	ds_load_2addr_b64 v[143:146], v126 offset0:73 offset1:74
	ds_load_2addr_b64 v[147:150], v126 offset0:75 offset1:76
	s_waitcnt lgkmcnt(1)
	v_fma_f64 v[3:4], v[141:142], v[143:144], v[3:4]
	scratch_load_b128 v[139:142], off, off offset:176
	s_waitcnt vmcnt(4)
	v_fma_f64 v[3:4], v[151:152], v[145:146], v[3:4]
	scratch_load_b128 v[143:146], off, off offset:192
	s_waitcnt lgkmcnt(0)
	v_fma_f64 v[3:4], v[153:154], v[147:148], v[3:4]
	s_waitcnt vmcnt(4)
	s_delay_alu instid0(VALU_DEP_1)
	v_fma_f64 v[3:4], v[127:128], v[149:150], v[3:4]
	ds_load_2addr_b64 v[147:150], v126 offset0:77 offset1:78
	ds_load_2addr_b64 v[151:154], v126 offset0:79 offset1:80
	s_waitcnt lgkmcnt(1)
	v_fma_f64 v[3:4], v[129:130], v[147:148], v[3:4]
	scratch_load_b128 v[127:130], off, off offset:208
	s_waitcnt vmcnt(4)
	v_fma_f64 v[3:4], v[131:132], v[149:150], v[3:4]
	s_waitcnt lgkmcnt(0)
	s_delay_alu instid0(VALU_DEP_1)
	v_fma_f64 v[3:4], v[133:134], v[151:152], v[3:4]
	scratch_load_b128 v[131:134], off, off offset:224
	s_waitcnt vmcnt(4)
	v_fma_f64 v[3:4], v[135:136], v[153:154], v[3:4]
	ds_load_2addr_b64 v[147:150], v126 offset0:81 offset1:82
	ds_load_2addr_b64 v[151:154], v126 offset0:83 offset1:84
	s_waitcnt lgkmcnt(1)
	v_fma_f64 v[3:4], v[137:138], v[147:148], v[3:4]
	scratch_load_b128 v[135:138], off, off offset:240
	s_waitcnt vmcnt(4)
	v_fma_f64 v[3:4], v[139:140], v[149:150], v[3:4]
	s_waitcnt lgkmcnt(0)
	s_delay_alu instid0(VALU_DEP_1)
	v_fma_f64 v[3:4], v[141:142], v[151:152], v[3:4]
	scratch_load_b128 v[139:142], off, off offset:256
	s_waitcnt vmcnt(4)
	;; [unrolled: 13-line block ×8, first 2 shown]
	v_fma_f64 v[3:4], v[131:132], v[153:154], v[3:4]
	ds_load_2addr_b64 v[147:150], v126 offset0:109 offset1:110
	ds_load_2addr_b64 v[151:154], v126 offset0:111 offset1:112
	s_waitcnt lgkmcnt(1)
	v_fma_f64 v[3:4], v[133:134], v[147:148], v[3:4]
	scratch_load_b128 v[131:134], off, off offset:464
	s_waitcnt vmcnt(4)
	v_fma_f64 v[3:4], v[135:136], v[149:150], v[3:4]
	s_waitcnt lgkmcnt(0)
	s_delay_alu instid0(VALU_DEP_1)
	v_fma_f64 v[3:4], v[137:138], v[151:152], v[3:4]
	ds_load_2addr_b64 v[135:138], v126 offset0:113 offset1:114
	ds_load_2addr_b64 v[147:150], v126 offset0:115 offset1:116
	s_waitcnt vmcnt(3)
	v_fma_f64 v[3:4], v[139:140], v[153:154], v[3:4]
	s_waitcnt lgkmcnt(1)
	s_delay_alu instid0(VALU_DEP_1) | instskip(SKIP_1) | instid1(VALU_DEP_1)
	v_fma_f64 v[3:4], v[141:142], v[135:136], v[3:4]
	s_waitcnt vmcnt(2)
	v_fma_f64 v[3:4], v[143:144], v[137:138], v[3:4]
	s_waitcnt lgkmcnt(0)
	s_delay_alu instid0(VALU_DEP_1) | instskip(SKIP_1) | instid1(VALU_DEP_1)
	v_fma_f64 v[3:4], v[145:146], v[147:148], v[3:4]
	s_waitcnt vmcnt(1)
	v_fma_f64 v[3:4], v[127:128], v[149:150], v[3:4]
	ds_load_2addr_b64 v[135:138], v126 offset0:117 offset1:118
	ds_load_b64 v[127:128], v126 offset:952
	s_waitcnt lgkmcnt(1)
	v_fma_f64 v[3:4], v[129:130], v[135:136], v[3:4]
	s_waitcnt vmcnt(0)
	s_delay_alu instid0(VALU_DEP_1) | instskip(SKIP_1) | instid1(VALU_DEP_1)
	v_fma_f64 v[3:4], v[131:132], v[137:138], v[3:4]
	s_waitcnt lgkmcnt(0)
	v_fma_f64 v[3:4], v[133:134], v[127:128], v[3:4]
	s_delay_alu instid0(VALU_DEP_1)
	v_add_f64 v[1:2], v[1:2], -v[3:4]
	scratch_store_b64 off, v[1:2], off offset:32
	v_cmpx_lt_u32_e32 3, v0
	s_cbranch_execz .LBB59_363
; %bb.362:
	scratch_load_b64 v[1:2], off, off offset:24
	v_mov_b32_e32 v127, v126
	scratch_store_b64 off, v[126:127], off offset:24
	s_waitcnt vmcnt(0)
	ds_store_b64 v5, v[1:2]
.LBB59_363:
	s_or_b32 exec_lo, exec_lo, s0
	s_waitcnt lgkmcnt(0)
	s_waitcnt_vscnt null, 0x0
	s_barrier
	buffer_gl0_inv
	s_clause 0x4
	scratch_load_b128 v[1:4], off, off offset:24
	scratch_load_b128 v[127:130], off, off offset:40
	;; [unrolled: 1-line block ×5, first 2 shown]
	ds_load_b128 v[143:146], v126 offset:512
	ds_load_b128 v[147:150], v126 offset:528
	scratch_load_b128 v[151:154], off, off offset:104
	s_mov_b32 s0, exec_lo
	s_waitcnt vmcnt(5) lgkmcnt(1)
	v_fma_f64 v[3:4], v[3:4], v[143:144], 0
	s_waitcnt vmcnt(4)
	s_delay_alu instid0(VALU_DEP_1) | instskip(SKIP_1) | instid1(VALU_DEP_1)
	v_fma_f64 v[3:4], v[127:128], v[145:146], v[3:4]
	s_waitcnt lgkmcnt(0)
	v_fma_f64 v[3:4], v[129:130], v[147:148], v[3:4]
	scratch_load_b128 v[127:130], off, off offset:120
	s_waitcnt vmcnt(4)
	v_fma_f64 v[3:4], v[131:132], v[149:150], v[3:4]
	ds_load_b128 v[143:146], v126 offset:544
	ds_load_b128 v[147:150], v126 offset:560
	s_waitcnt lgkmcnt(1)
	v_fma_f64 v[3:4], v[133:134], v[143:144], v[3:4]
	scratch_load_b128 v[131:134], off, off offset:136
	s_waitcnt vmcnt(4)
	v_fma_f64 v[3:4], v[135:136], v[145:146], v[3:4]
	s_waitcnt lgkmcnt(0)
	s_delay_alu instid0(VALU_DEP_1)
	v_fma_f64 v[3:4], v[137:138], v[147:148], v[3:4]
	scratch_load_b128 v[135:138], off, off offset:152
	s_waitcnt vmcnt(4)
	v_fma_f64 v[3:4], v[139:140], v[149:150], v[3:4]
	ds_load_b128 v[143:146], v126 offset:576
	ds_load_b128 v[147:150], v126 offset:592
	s_waitcnt lgkmcnt(1)
	v_fma_f64 v[3:4], v[141:142], v[143:144], v[3:4]
	scratch_load_b128 v[139:142], off, off offset:168
	s_waitcnt vmcnt(4)
	v_fma_f64 v[3:4], v[151:152], v[145:146], v[3:4]
	scratch_load_b128 v[143:146], off, off offset:184
	s_waitcnt lgkmcnt(0)
	v_fma_f64 v[3:4], v[153:154], v[147:148], v[3:4]
	s_waitcnt vmcnt(4)
	s_delay_alu instid0(VALU_DEP_1)
	v_fma_f64 v[3:4], v[127:128], v[149:150], v[3:4]
	ds_load_b128 v[147:150], v126 offset:608
	ds_load_b128 v[151:154], v126 offset:624
	s_waitcnt lgkmcnt(1)
	v_fma_f64 v[3:4], v[129:130], v[147:148], v[3:4]
	scratch_load_b128 v[127:130], off, off offset:200
	s_waitcnt vmcnt(4)
	v_fma_f64 v[3:4], v[131:132], v[149:150], v[3:4]
	s_waitcnt lgkmcnt(0)
	s_delay_alu instid0(VALU_DEP_1)
	v_fma_f64 v[3:4], v[133:134], v[151:152], v[3:4]
	scratch_load_b128 v[131:134], off, off offset:216
	s_waitcnt vmcnt(4)
	v_fma_f64 v[3:4], v[135:136], v[153:154], v[3:4]
	ds_load_b128 v[147:150], v126 offset:640
	ds_load_b128 v[151:154], v126 offset:656
	s_waitcnt lgkmcnt(1)
	v_fma_f64 v[3:4], v[137:138], v[147:148], v[3:4]
	scratch_load_b128 v[135:138], off, off offset:232
	s_waitcnt vmcnt(4)
	v_fma_f64 v[3:4], v[139:140], v[149:150], v[3:4]
	s_waitcnt lgkmcnt(0)
	s_delay_alu instid0(VALU_DEP_1)
	v_fma_f64 v[3:4], v[141:142], v[151:152], v[3:4]
	scratch_load_b128 v[139:142], off, off offset:248
	s_waitcnt vmcnt(4)
	;; [unrolled: 13-line block ×8, first 2 shown]
	v_fma_f64 v[3:4], v[131:132], v[153:154], v[3:4]
	ds_load_b128 v[147:150], v126 offset:864
	ds_load_b128 v[151:154], v126 offset:880
	s_waitcnt lgkmcnt(1)
	v_fma_f64 v[3:4], v[133:134], v[147:148], v[3:4]
	scratch_load_b128 v[131:134], off, off offset:456
	s_waitcnt vmcnt(4)
	v_fma_f64 v[3:4], v[135:136], v[149:150], v[3:4]
	s_waitcnt lgkmcnt(0)
	s_delay_alu instid0(VALU_DEP_1)
	v_fma_f64 v[3:4], v[137:138], v[151:152], v[3:4]
	scratch_load_b64 v[151:152], off, off offset:472
	ds_load_b128 v[135:138], v126 offset:896
	ds_load_b128 v[147:150], v126 offset:912
	s_waitcnt vmcnt(4)
	v_fma_f64 v[3:4], v[139:140], v[153:154], v[3:4]
	s_waitcnt lgkmcnt(1)
	s_delay_alu instid0(VALU_DEP_1) | instskip(SKIP_1) | instid1(VALU_DEP_1)
	v_fma_f64 v[3:4], v[141:142], v[135:136], v[3:4]
	s_waitcnt vmcnt(3)
	v_fma_f64 v[3:4], v[143:144], v[137:138], v[3:4]
	ds_load_b128 v[135:138], v126 offset:928
	ds_load_b128 v[139:142], v126 offset:944
	s_waitcnt lgkmcnt(2)
	v_fma_f64 v[3:4], v[145:146], v[147:148], v[3:4]
	s_waitcnt vmcnt(2)
	s_delay_alu instid0(VALU_DEP_1) | instskip(SKIP_1) | instid1(VALU_DEP_1)
	v_fma_f64 v[3:4], v[127:128], v[149:150], v[3:4]
	s_waitcnt lgkmcnt(1)
	v_fma_f64 v[3:4], v[129:130], v[135:136], v[3:4]
	s_waitcnt vmcnt(1)
	s_delay_alu instid0(VALU_DEP_1) | instskip(SKIP_1) | instid1(VALU_DEP_1)
	v_fma_f64 v[3:4], v[131:132], v[137:138], v[3:4]
	s_waitcnt lgkmcnt(0)
	v_fma_f64 v[3:4], v[133:134], v[139:140], v[3:4]
	s_waitcnt vmcnt(0)
	s_delay_alu instid0(VALU_DEP_1) | instskip(NEXT) | instid1(VALU_DEP_1)
	v_fma_f64 v[3:4], v[151:152], v[141:142], v[3:4]
	v_add_f64 v[1:2], v[1:2], -v[3:4]
	scratch_store_b64 off, v[1:2], off offset:24
	v_cmpx_lt_u32_e32 2, v0
	s_cbranch_execz .LBB59_365
; %bb.364:
	scratch_load_b64 v[1:2], off, off offset:16
	v_mov_b32_e32 v3, 0
	s_delay_alu instid0(VALU_DEP_1)
	v_mov_b32_e32 v4, v3
	scratch_store_b64 off, v[3:4], off offset:16
	s_waitcnt vmcnt(0)
	ds_store_b64 v5, v[1:2]
.LBB59_365:
	s_or_b32 exec_lo, exec_lo, s0
	s_waitcnt lgkmcnt(0)
	s_waitcnt_vscnt null, 0x0
	s_barrier
	buffer_gl0_inv
	s_clause 0x4
	scratch_load_b128 v[1:4], off, off offset:16
	scratch_load_b128 v[127:130], off, off offset:32
	;; [unrolled: 1-line block ×5, first 2 shown]
	v_mov_b32_e32 v126, 0
	ds_load_2addr_b64 v[143:146], v126 offset0:63 offset1:64
	ds_load_2addr_b64 v[147:150], v126 offset0:65 offset1:66
	scratch_load_b128 v[151:154], off, off offset:96
	s_mov_b32 s0, exec_lo
	s_waitcnt vmcnt(5) lgkmcnt(1)
	v_fma_f64 v[3:4], v[3:4], v[143:144], 0
	s_waitcnt vmcnt(4)
	s_delay_alu instid0(VALU_DEP_1) | instskip(SKIP_1) | instid1(VALU_DEP_1)
	v_fma_f64 v[3:4], v[127:128], v[145:146], v[3:4]
	s_waitcnt lgkmcnt(0)
	v_fma_f64 v[3:4], v[129:130], v[147:148], v[3:4]
	scratch_load_b128 v[127:130], off, off offset:112
	s_waitcnt vmcnt(4)
	v_fma_f64 v[3:4], v[131:132], v[149:150], v[3:4]
	ds_load_2addr_b64 v[143:146], v126 offset0:67 offset1:68
	ds_load_2addr_b64 v[147:150], v126 offset0:69 offset1:70
	s_waitcnt lgkmcnt(1)
	v_fma_f64 v[3:4], v[133:134], v[143:144], v[3:4]
	scratch_load_b128 v[131:134], off, off offset:128
	s_waitcnt vmcnt(4)
	v_fma_f64 v[3:4], v[135:136], v[145:146], v[3:4]
	s_waitcnt lgkmcnt(0)
	s_delay_alu instid0(VALU_DEP_1)
	v_fma_f64 v[3:4], v[137:138], v[147:148], v[3:4]
	scratch_load_b128 v[135:138], off, off offset:144
	s_waitcnt vmcnt(4)
	v_fma_f64 v[3:4], v[139:140], v[149:150], v[3:4]
	ds_load_2addr_b64 v[143:146], v126 offset0:71 offset1:72
	ds_load_2addr_b64 v[147:150], v126 offset0:73 offset1:74
	s_waitcnt lgkmcnt(1)
	v_fma_f64 v[3:4], v[141:142], v[143:144], v[3:4]
	scratch_load_b128 v[139:142], off, off offset:160
	s_waitcnt vmcnt(4)
	v_fma_f64 v[3:4], v[151:152], v[145:146], v[3:4]
	scratch_load_b128 v[143:146], off, off offset:176
	s_waitcnt lgkmcnt(0)
	v_fma_f64 v[3:4], v[153:154], v[147:148], v[3:4]
	s_waitcnt vmcnt(4)
	s_delay_alu instid0(VALU_DEP_1)
	v_fma_f64 v[3:4], v[127:128], v[149:150], v[3:4]
	ds_load_2addr_b64 v[147:150], v126 offset0:75 offset1:76
	ds_load_2addr_b64 v[151:154], v126 offset0:77 offset1:78
	s_waitcnt lgkmcnt(1)
	v_fma_f64 v[3:4], v[129:130], v[147:148], v[3:4]
	scratch_load_b128 v[127:130], off, off offset:192
	s_waitcnt vmcnt(4)
	v_fma_f64 v[3:4], v[131:132], v[149:150], v[3:4]
	s_waitcnt lgkmcnt(0)
	s_delay_alu instid0(VALU_DEP_1)
	v_fma_f64 v[3:4], v[133:134], v[151:152], v[3:4]
	scratch_load_b128 v[131:134], off, off offset:208
	s_waitcnt vmcnt(4)
	v_fma_f64 v[3:4], v[135:136], v[153:154], v[3:4]
	ds_load_2addr_b64 v[147:150], v126 offset0:79 offset1:80
	ds_load_2addr_b64 v[151:154], v126 offset0:81 offset1:82
	s_waitcnt lgkmcnt(1)
	v_fma_f64 v[3:4], v[137:138], v[147:148], v[3:4]
	scratch_load_b128 v[135:138], off, off offset:224
	s_waitcnt vmcnt(4)
	v_fma_f64 v[3:4], v[139:140], v[149:150], v[3:4]
	s_waitcnt lgkmcnt(0)
	s_delay_alu instid0(VALU_DEP_1)
	v_fma_f64 v[3:4], v[141:142], v[151:152], v[3:4]
	scratch_load_b128 v[139:142], off, off offset:240
	s_waitcnt vmcnt(4)
	;; [unrolled: 13-line block ×9, first 2 shown]
	v_fma_f64 v[3:4], v[139:140], v[153:154], v[3:4]
	ds_load_2addr_b64 v[147:150], v126 offset0:111 offset1:112
	ds_load_2addr_b64 v[151:154], v126 offset0:113 offset1:114
	s_waitcnt lgkmcnt(1)
	v_fma_f64 v[3:4], v[141:142], v[147:148], v[3:4]
	s_waitcnt vmcnt(3)
	s_delay_alu instid0(VALU_DEP_1) | instskip(SKIP_1) | instid1(VALU_DEP_1)
	v_fma_f64 v[3:4], v[143:144], v[149:150], v[3:4]
	s_waitcnt lgkmcnt(0)
	v_fma_f64 v[3:4], v[145:146], v[151:152], v[3:4]
	ds_load_2addr_b64 v[139:142], v126 offset0:115 offset1:116
	ds_load_2addr_b64 v[143:146], v126 offset0:117 offset1:118
	s_waitcnt vmcnt(2)
	v_fma_f64 v[3:4], v[127:128], v[153:154], v[3:4]
	ds_load_b64 v[127:128], v126 offset:952
	s_waitcnt lgkmcnt(2)
	v_fma_f64 v[3:4], v[129:130], v[139:140], v[3:4]
	s_waitcnt vmcnt(1)
	s_delay_alu instid0(VALU_DEP_1) | instskip(SKIP_1) | instid1(VALU_DEP_1)
	v_fma_f64 v[3:4], v[131:132], v[141:142], v[3:4]
	s_waitcnt lgkmcnt(1)
	v_fma_f64 v[3:4], v[133:134], v[143:144], v[3:4]
	s_waitcnt vmcnt(0)
	s_delay_alu instid0(VALU_DEP_1) | instskip(SKIP_1) | instid1(VALU_DEP_1)
	v_fma_f64 v[3:4], v[135:136], v[145:146], v[3:4]
	s_waitcnt lgkmcnt(0)
	v_fma_f64 v[3:4], v[137:138], v[127:128], v[3:4]
	s_delay_alu instid0(VALU_DEP_1)
	v_add_f64 v[1:2], v[1:2], -v[3:4]
	scratch_store_b64 off, v[1:2], off offset:16
	v_cmpx_lt_u32_e32 1, v0
	s_cbranch_execz .LBB59_367
; %bb.366:
	scratch_load_b64 v[1:2], off, off offset:8
	v_mov_b32_e32 v127, v126
	scratch_store_b64 off, v[126:127], off offset:8
	s_waitcnt vmcnt(0)
	ds_store_b64 v5, v[1:2]
.LBB59_367:
	s_or_b32 exec_lo, exec_lo, s0
	s_waitcnt lgkmcnt(0)
	s_waitcnt_vscnt null, 0x0
	s_barrier
	buffer_gl0_inv
	s_clause 0x4
	scratch_load_b128 v[1:4], off, off offset:8
	scratch_load_b128 v[127:130], off, off offset:24
	;; [unrolled: 1-line block ×5, first 2 shown]
	ds_load_b128 v[143:146], v126 offset:496
	ds_load_b128 v[147:150], v126 offset:512
	scratch_load_b128 v[151:154], off, off offset:88
	s_mov_b32 s0, exec_lo
	s_waitcnt vmcnt(5) lgkmcnt(1)
	v_fma_f64 v[3:4], v[3:4], v[143:144], 0
	s_waitcnt vmcnt(4)
	s_delay_alu instid0(VALU_DEP_1) | instskip(SKIP_1) | instid1(VALU_DEP_1)
	v_fma_f64 v[3:4], v[127:128], v[145:146], v[3:4]
	s_waitcnt lgkmcnt(0)
	v_fma_f64 v[3:4], v[129:130], v[147:148], v[3:4]
	scratch_load_b128 v[127:130], off, off offset:104
	s_waitcnt vmcnt(4)
	v_fma_f64 v[3:4], v[131:132], v[149:150], v[3:4]
	ds_load_b128 v[143:146], v126 offset:528
	ds_load_b128 v[147:150], v126 offset:544
	s_waitcnt lgkmcnt(1)
	v_fma_f64 v[3:4], v[133:134], v[143:144], v[3:4]
	scratch_load_b128 v[131:134], off, off offset:120
	s_waitcnt vmcnt(4)
	v_fma_f64 v[3:4], v[135:136], v[145:146], v[3:4]
	s_waitcnt lgkmcnt(0)
	s_delay_alu instid0(VALU_DEP_1)
	v_fma_f64 v[3:4], v[137:138], v[147:148], v[3:4]
	scratch_load_b128 v[135:138], off, off offset:136
	s_waitcnt vmcnt(4)
	v_fma_f64 v[3:4], v[139:140], v[149:150], v[3:4]
	ds_load_b128 v[143:146], v126 offset:560
	ds_load_b128 v[147:150], v126 offset:576
	s_waitcnt lgkmcnt(1)
	v_fma_f64 v[3:4], v[141:142], v[143:144], v[3:4]
	scratch_load_b128 v[139:142], off, off offset:152
	s_waitcnt vmcnt(4)
	v_fma_f64 v[3:4], v[151:152], v[145:146], v[3:4]
	scratch_load_b128 v[143:146], off, off offset:168
	s_waitcnt lgkmcnt(0)
	v_fma_f64 v[3:4], v[153:154], v[147:148], v[3:4]
	s_waitcnt vmcnt(4)
	s_delay_alu instid0(VALU_DEP_1)
	v_fma_f64 v[3:4], v[127:128], v[149:150], v[3:4]
	ds_load_b128 v[147:150], v126 offset:592
	ds_load_b128 v[151:154], v126 offset:608
	s_waitcnt lgkmcnt(1)
	v_fma_f64 v[3:4], v[129:130], v[147:148], v[3:4]
	scratch_load_b128 v[127:130], off, off offset:184
	s_waitcnt vmcnt(4)
	v_fma_f64 v[3:4], v[131:132], v[149:150], v[3:4]
	s_waitcnt lgkmcnt(0)
	s_delay_alu instid0(VALU_DEP_1)
	v_fma_f64 v[3:4], v[133:134], v[151:152], v[3:4]
	scratch_load_b128 v[131:134], off, off offset:200
	s_waitcnt vmcnt(4)
	v_fma_f64 v[3:4], v[135:136], v[153:154], v[3:4]
	ds_load_b128 v[147:150], v126 offset:624
	ds_load_b128 v[151:154], v126 offset:640
	s_waitcnt lgkmcnt(1)
	v_fma_f64 v[3:4], v[137:138], v[147:148], v[3:4]
	scratch_load_b128 v[135:138], off, off offset:216
	s_waitcnt vmcnt(4)
	v_fma_f64 v[3:4], v[139:140], v[149:150], v[3:4]
	s_waitcnt lgkmcnt(0)
	s_delay_alu instid0(VALU_DEP_1)
	v_fma_f64 v[3:4], v[141:142], v[151:152], v[3:4]
	scratch_load_b128 v[139:142], off, off offset:232
	s_waitcnt vmcnt(4)
	;; [unrolled: 13-line block ×9, first 2 shown]
	v_fma_f64 v[3:4], v[139:140], v[153:154], v[3:4]
	ds_load_b128 v[147:150], v126 offset:880
	ds_load_b128 v[151:154], v126 offset:896
	s_waitcnt lgkmcnt(1)
	v_fma_f64 v[3:4], v[141:142], v[147:148], v[3:4]
	scratch_load_b64 v[147:148], off, off offset:472
	s_waitcnt vmcnt(4)
	v_fma_f64 v[3:4], v[143:144], v[149:150], v[3:4]
	s_waitcnt lgkmcnt(0)
	s_delay_alu instid0(VALU_DEP_1)
	v_fma_f64 v[3:4], v[145:146], v[151:152], v[3:4]
	ds_load_b128 v[139:142], v126 offset:912
	ds_load_b128 v[143:146], v126 offset:928
	s_waitcnt vmcnt(3)
	v_fma_f64 v[3:4], v[127:128], v[153:154], v[3:4]
	s_waitcnt lgkmcnt(1)
	s_delay_alu instid0(VALU_DEP_1) | instskip(SKIP_4) | instid1(VALU_DEP_1)
	v_fma_f64 v[3:4], v[129:130], v[139:140], v[3:4]
	ds_load_b128 v[126:129], v126 offset:944
	s_waitcnt vmcnt(2)
	v_fma_f64 v[3:4], v[131:132], v[141:142], v[3:4]
	s_waitcnt lgkmcnt(1)
	v_fma_f64 v[3:4], v[133:134], v[143:144], v[3:4]
	s_waitcnt vmcnt(1)
	s_delay_alu instid0(VALU_DEP_1) | instskip(SKIP_1) | instid1(VALU_DEP_1)
	v_fma_f64 v[3:4], v[135:136], v[145:146], v[3:4]
	s_waitcnt lgkmcnt(0)
	v_fma_f64 v[3:4], v[137:138], v[126:127], v[3:4]
	s_waitcnt vmcnt(0)
	s_delay_alu instid0(VALU_DEP_1) | instskip(NEXT) | instid1(VALU_DEP_1)
	v_fma_f64 v[3:4], v[147:148], v[128:129], v[3:4]
	v_add_f64 v[1:2], v[1:2], -v[3:4]
	scratch_store_b64 off, v[1:2], off offset:8
	v_cmpx_ne_u32_e32 0, v0
	s_cbranch_execz .LBB59_369
; %bb.368:
	scratch_load_b64 v[0:1], off, off
	v_mov_b32_e32 v2, 0
	s_delay_alu instid0(VALU_DEP_1)
	v_mov_b32_e32 v3, v2
	scratch_store_b64 off, v[2:3], off
	s_waitcnt vmcnt(0)
	ds_store_b64 v5, v[0:1]
.LBB59_369:
	s_or_b32 exec_lo, exec_lo, s0
	s_waitcnt lgkmcnt(0)
	s_waitcnt_vscnt null, 0x0
	s_barrier
	buffer_gl0_inv
	s_clause 0x4
	scratch_load_b128 v[0:3], off, off
	scratch_load_b128 v[127:130], off, off offset:16
	scratch_load_b128 v[131:134], off, off offset:32
	scratch_load_b128 v[135:138], off, off offset:48
	scratch_load_b128 v[139:142], off, off offset:64
	v_mov_b32_e32 v126, 0
	ds_load_2addr_b64 v[143:146], v126 offset0:61 offset1:62
	ds_load_2addr_b64 v[147:150], v126 offset0:63 offset1:64
	s_and_b32 vcc_lo, exec_lo, s16
	s_waitcnt vmcnt(4) lgkmcnt(1)
	v_fma_f64 v[143:144], v[2:3], v[143:144], 0
	scratch_load_b128 v[2:5], off, off offset:80
	s_waitcnt vmcnt(4)
	v_fma_f64 v[127:128], v[127:128], v[145:146], v[143:144]
	s_waitcnt lgkmcnt(0)
	s_delay_alu instid0(VALU_DEP_1)
	v_fma_f64 v[143:144], v[129:130], v[147:148], v[127:128]
	scratch_load_b128 v[127:130], off, off offset:96
	s_waitcnt vmcnt(4)
	v_fma_f64 v[131:132], v[131:132], v[149:150], v[143:144]
	ds_load_2addr_b64 v[143:146], v126 offset0:65 offset1:66
	ds_load_2addr_b64 v[147:150], v126 offset0:67 offset1:68
	s_waitcnt lgkmcnt(1)
	v_fma_f64 v[143:144], v[133:134], v[143:144], v[131:132]
	scratch_load_b128 v[131:134], off, off offset:112
	s_waitcnt vmcnt(4)
	v_fma_f64 v[135:136], v[135:136], v[145:146], v[143:144]
	s_waitcnt lgkmcnt(0)
	s_delay_alu instid0(VALU_DEP_1)
	v_fma_f64 v[143:144], v[137:138], v[147:148], v[135:136]
	scratch_load_b128 v[135:138], off, off offset:128
	s_waitcnt vmcnt(4)
	v_fma_f64 v[139:140], v[139:140], v[149:150], v[143:144]
	ds_load_2addr_b64 v[143:146], v126 offset0:69 offset1:70
	ds_load_2addr_b64 v[147:150], v126 offset0:71 offset1:72
	s_waitcnt lgkmcnt(1)
	;; [unrolled: 13-line block ×9, first 2 shown]
	v_fma_f64 v[143:144], v[137:138], v[143:144], v[135:136]
	scratch_load_b128 v[135:138], off, off offset:368
	s_waitcnt vmcnt(4)
	v_fma_f64 v[139:140], v[139:140], v[145:146], v[143:144]
	s_waitcnt lgkmcnt(0)
	s_delay_alu instid0(VALU_DEP_1)
	v_fma_f64 v[143:144], v[141:142], v[147:148], v[139:140]
	scratch_load_b128 v[139:142], off, off offset:384
	s_waitcnt vmcnt(4)
	v_fma_f64 v[2:3], v[2:3], v[149:150], v[143:144]
	ds_load_2addr_b64 v[143:146], v126 offset0:101 offset1:102
	ds_load_2addr_b64 v[147:150], v126 offset0:103 offset1:104
	scratch_load_b128 v[151:154], off, off offset:400
	s_waitcnt lgkmcnt(1)
	v_fma_f64 v[2:3], v[4:5], v[143:144], v[2:3]
	s_waitcnt vmcnt(4)
	s_delay_alu instid0(VALU_DEP_1) | instskip(SKIP_1) | instid1(VALU_DEP_1)
	v_fma_f64 v[2:3], v[127:128], v[145:146], v[2:3]
	s_waitcnt lgkmcnt(0)
	v_fma_f64 v[2:3], v[129:130], v[147:148], v[2:3]
	scratch_load_b128 v[127:130], off, off offset:416
	s_waitcnt vmcnt(4)
	v_fma_f64 v[131:132], v[131:132], v[149:150], v[2:3]
	ds_load_2addr_b64 v[2:5], v126 offset0:105 offset1:106
	ds_load_2addr_b64 v[143:146], v126 offset0:107 offset1:108
	s_waitcnt lgkmcnt(1)
	v_fma_f64 v[2:3], v[133:134], v[2:3], v[131:132]
	scratch_load_b128 v[131:134], off, off offset:432
	s_waitcnt vmcnt(4)
	v_fma_f64 v[2:3], v[135:136], v[4:5], v[2:3]
	s_waitcnt lgkmcnt(0)
	s_delay_alu instid0(VALU_DEP_1)
	v_fma_f64 v[2:3], v[137:138], v[143:144], v[2:3]
	scratch_load_b128 v[135:138], off, off offset:448
	s_waitcnt vmcnt(4)
	v_fma_f64 v[2:3], v[139:140], v[145:146], v[2:3]
	ds_load_2addr_b64 v[143:146], v126 offset0:109 offset1:110
	ds_load_2addr_b64 v[147:150], v126 offset0:111 offset1:112
	s_waitcnt lgkmcnt(1)
	v_fma_f64 v[139:140], v[141:142], v[143:144], v[2:3]
	scratch_load_b128 v[2:5], off, off offset:464
	s_waitcnt vmcnt(4)
	v_fma_f64 v[139:140], v[151:152], v[145:146], v[139:140]
	s_waitcnt lgkmcnt(0)
	s_delay_alu instid0(VALU_DEP_1) | instskip(SKIP_1) | instid1(VALU_DEP_1)
	v_fma_f64 v[139:140], v[153:154], v[147:148], v[139:140]
	s_waitcnt vmcnt(3)
	v_fma_f64 v[127:128], v[127:128], v[149:150], v[139:140]
	ds_load_2addr_b64 v[139:142], v126 offset0:113 offset1:114
	ds_load_2addr_b64 v[143:146], v126 offset0:115 offset1:116
	s_waitcnt lgkmcnt(1)
	v_fma_f64 v[127:128], v[129:130], v[139:140], v[127:128]
	s_waitcnt vmcnt(2)
	s_delay_alu instid0(VALU_DEP_1) | instskip(SKIP_1) | instid1(VALU_DEP_1)
	v_fma_f64 v[127:128], v[131:132], v[141:142], v[127:128]
	s_waitcnt lgkmcnt(0)
	v_fma_f64 v[127:128], v[133:134], v[143:144], v[127:128]
	s_waitcnt vmcnt(1)
	s_delay_alu instid0(VALU_DEP_1)
	v_fma_f64 v[131:132], v[135:136], v[145:146], v[127:128]
	ds_load_2addr_b64 v[127:130], v126 offset0:117 offset1:118
	ds_load_b64 v[133:134], v126 offset:952
	s_waitcnt lgkmcnt(1)
	v_fma_f64 v[126:127], v[137:138], v[127:128], v[131:132]
	s_waitcnt vmcnt(0)
	s_delay_alu instid0(VALU_DEP_1) | instskip(SKIP_1) | instid1(VALU_DEP_1)
	v_fma_f64 v[126:127], v[2:3], v[129:130], v[126:127]
	s_waitcnt lgkmcnt(0)
	v_fma_f64 v[4:5], v[4:5], v[133:134], v[126:127]
	s_delay_alu instid0(VALU_DEP_1)
	v_add_f64 v[0:1], v[0:1], -v[4:5]
	scratch_store_b64 off, v[0:1], off
	s_cbranch_vccz .LBB59_489
; %bb.370:
	v_dual_mov_b32 v0, s12 :: v_dual_mov_b32 v1, s13
	s_mov_b32 s0, exec_lo
	flat_load_b32 v0, v[0:1] offset:232
	s_waitcnt vmcnt(0) lgkmcnt(0)
	v_cmpx_ne_u32_e32 59, v0
	s_cbranch_execz .LBB59_372
; %bb.371:
	v_lshl_add_u32 v4, v0, 3, 0
	scratch_load_b64 v[0:1], v4, off offset:-8
	s_waitcnt vmcnt(0)
	scratch_store_b64 off, v[0:1], off offset:464
	scratch_store_b64 v4, v[2:3], off offset:-8
.LBB59_372:
	s_or_b32 exec_lo, exec_lo, s0
	v_dual_mov_b32 v0, s12 :: v_dual_mov_b32 v1, s13
	s_mov_b32 s0, exec_lo
	flat_load_b32 v0, v[0:1] offset:228
	s_waitcnt vmcnt(0) lgkmcnt(0)
	v_cmpx_ne_u32_e32 58, v0
	s_cbranch_execz .LBB59_374
; %bb.373:
	v_lshl_add_u32 v4, v0, 3, 0
	scratch_load_b64 v[0:1], v4, off offset:-8
	scratch_load_b64 v[2:3], off, off offset:456
	s_waitcnt vmcnt(1)
	scratch_store_b64 off, v[0:1], off offset:456
	s_waitcnt vmcnt(0)
	scratch_store_b64 v4, v[2:3], off offset:-8
.LBB59_374:
	s_or_b32 exec_lo, exec_lo, s0
	v_dual_mov_b32 v0, s12 :: v_dual_mov_b32 v1, s13
	s_mov_b32 s0, exec_lo
	flat_load_b32 v0, v[0:1] offset:224
	s_waitcnt vmcnt(0) lgkmcnt(0)
	v_cmpx_ne_u32_e32 57, v0
	s_cbranch_execz .LBB59_376
; %bb.375:
	v_lshl_add_u32 v4, v0, 3, 0
	scratch_load_b64 v[0:1], v4, off offset:-8
	scratch_load_b64 v[2:3], off, off offset:448
	s_waitcnt vmcnt(1)
	scratch_store_b64 off, v[0:1], off offset:448
	s_waitcnt vmcnt(0)
	scratch_store_b64 v4, v[2:3], off offset:-8
.LBB59_376:
	;; [unrolled: 16-line block ×57, first 2 shown]
	s_or_b32 exec_lo, exec_lo, s0
	v_dual_mov_b32 v0, s12 :: v_dual_mov_b32 v1, s13
	s_mov_b32 s0, exec_lo
	flat_load_b32 v2, v[0:1]
	scratch_load_b64 v[0:1], off, off
	s_waitcnt vmcnt(1) lgkmcnt(0)
	v_cmpx_ne_u32_e32 1, v2
	s_cbranch_execz .LBB59_488
; %bb.487:
	v_lshl_add_u32 v4, v2, 3, 0
	scratch_load_b64 v[2:3], v4, off offset:-8
	s_waitcnt vmcnt(0)
	scratch_store_b64 off, v[2:3], off
	scratch_store_b64 v4, v[0:1], off offset:-8
	scratch_load_b64 v[0:1], off, off
.LBB59_488:
	s_or_b32 exec_lo, exec_lo, s0
.LBB59_489:
	s_clause 0x9
	scratch_load_b128 v[2:5], off, off offset:8
	scratch_load_b128 v[126:129], off, off offset:24
	;; [unrolled: 1-line block ×10, first 2 shown]
	s_waitcnt vmcnt(10)
	global_store_b64 v[32:33], v[0:1], off
	s_clause 0x3
	scratch_load_b128 v[162:165], off, off offset:168
	scratch_load_b128 v[166:169], off, off offset:200
	scratch_load_b128 v[170:173], off, off offset:216
	scratch_load_b128 v[174:177], off, off offset:280
	s_waitcnt vmcnt(13)
	s_clause 0x1
	global_store_b64 v[20:21], v[2:3], off
	global_store_b64 v[14:15], v[4:5], off
	s_waitcnt vmcnt(12)
	s_clause 0x1
	global_store_b64 v[10:11], v[126:127], off
	global_store_b64 v[54:55], v[128:129], off
	;; [unrolled: 4-line block ×9, first 2 shown]
	s_clause 0xf
	scratch_load_b128 v[0:3], off, off offset:184
	scratch_load_b128 v[126:129], off, off offset:232
	;; [unrolled: 1-line block ×15, first 2 shown]
	scratch_load_b64 v[4:5], off, off offset:472
	s_waitcnt vmcnt(20)
	s_clause 0x1
	global_store_b64 v[8:9], v[158:159], off
	global_store_b64 v[16:17], v[160:161], off
	s_waitcnt vmcnt(19)
	s_clause 0x1
	global_store_b64 v[18:19], v[162:163], off
	global_store_b64 v[42:43], v[164:165], off
	s_waitcnt vmcnt(15)
	s_clause 0x5
	global_store_b64 v[48:49], v[0:1], off
	global_store_b64 v[56:57], v[2:3], off
	global_store_b64 v[58:59], v[166:167], off
	global_store_b64 v[60:61], v[168:169], off
	;; [unrolled: 1-line block ×4, first 2 shown]
	s_waitcnt vmcnt(14)
	s_clause 0x1
	global_store_b64 v[66:67], v[126:127], off
	global_store_b64 v[68:69], v[128:129], off
	s_waitcnt vmcnt(13)
	s_clause 0x1
	global_store_b64 v[70:71], v[52:53], off
	global_store_b64 v[72:73], v[54:55], off
	s_waitcnt vmcnt(12)
	s_clause 0x3
	global_store_b64 v[74:75], v[130:131], off
	global_store_b64 v[76:77], v[132:133], off
	global_store_b64 v[78:79], v[174:175], off
	global_store_b64 v[80:81], v[176:177], off
	s_waitcnt vmcnt(11)
	s_clause 0x1
	global_store_b64 v[82:83], v[44:45], off
	global_store_b64 v[84:85], v[46:47], off
	s_waitcnt vmcnt(10)
	s_clause 0x1
	global_store_b64 v[86:87], v[134:135], off
	global_store_b64 v[88:89], v[136:137], off
	s_waitcnt vmcnt(9)
	s_clause 0x1
	global_store_b64 v[90:91], v[38:39], off
	global_store_b64 v[92:93], v[40:41], off
	s_waitcnt vmcnt(8)
	s_clause 0x1
	global_store_b64 v[94:95], v[138:139], off
	global_store_b64 v[96:97], v[140:141], off
	s_waitcnt vmcnt(7)
	s_clause 0x1
	global_store_b64 v[98:99], v[32:33], off
	global_store_b64 v[100:101], v[34:35], off
	s_waitcnt vmcnt(6)
	s_clause 0x1
	global_store_b64 v[102:103], v[142:143], off
	global_store_b64 v[104:105], v[144:145], off
	s_waitcnt vmcnt(5)
	s_clause 0x1
	global_store_b64 v[106:107], v[28:29], off
	global_store_b64 v[108:109], v[30:31], off
	s_waitcnt vmcnt(4)
	s_clause 0x1
	global_store_b64 v[110:111], v[146:147], off
	global_store_b64 v[112:113], v[148:149], off
	s_waitcnt vmcnt(3)
	s_clause 0x1
	global_store_b64 v[114:115], v[20:21], off
	global_store_b64 v[116:117], v[22:23], off
	s_waitcnt vmcnt(2)
	s_clause 0x1
	global_store_b64 v[118:119], v[10:11], off
	global_store_b64 v[120:121], v[12:13], off
	s_waitcnt vmcnt(1)
	s_clause 0x1
	global_store_b64 v[122:123], v[24:25], off
	global_store_b64 v[124:125], v[26:27], off
	s_waitcnt vmcnt(0)
	global_store_b64 v[6:7], v[4:5], off
	s_endpgm
	.section	.rodata,"a",@progbits
	.p2align	6, 0x0
	.amdhsa_kernel _ZN9rocsolver6v33100L18getri_kernel_smallILi60EdPdEEvT1_iilPiilS4_bb
		.amdhsa_group_segment_fixed_size 968
		.amdhsa_private_segment_fixed_size 496
		.amdhsa_kernarg_size 60
		.amdhsa_user_sgpr_count 15
		.amdhsa_user_sgpr_dispatch_ptr 0
		.amdhsa_user_sgpr_queue_ptr 0
		.amdhsa_user_sgpr_kernarg_segment_ptr 1
		.amdhsa_user_sgpr_dispatch_id 0
		.amdhsa_user_sgpr_private_segment_size 0
		.amdhsa_wavefront_size32 1
		.amdhsa_uses_dynamic_stack 0
		.amdhsa_enable_private_segment 1
		.amdhsa_system_sgpr_workgroup_id_x 1
		.amdhsa_system_sgpr_workgroup_id_y 0
		.amdhsa_system_sgpr_workgroup_id_z 0
		.amdhsa_system_sgpr_workgroup_info 0
		.amdhsa_system_vgpr_workitem_id 0
		.amdhsa_next_free_vgpr 178
		.amdhsa_next_free_sgpr 18
		.amdhsa_reserve_vcc 1
		.amdhsa_float_round_mode_32 0
		.amdhsa_float_round_mode_16_64 0
		.amdhsa_float_denorm_mode_32 3
		.amdhsa_float_denorm_mode_16_64 3
		.amdhsa_dx10_clamp 1
		.amdhsa_ieee_mode 1
		.amdhsa_fp16_overflow 0
		.amdhsa_workgroup_processor_mode 1
		.amdhsa_memory_ordered 1
		.amdhsa_forward_progress 0
		.amdhsa_shared_vgpr_count 0
		.amdhsa_exception_fp_ieee_invalid_op 0
		.amdhsa_exception_fp_denorm_src 0
		.amdhsa_exception_fp_ieee_div_zero 0
		.amdhsa_exception_fp_ieee_overflow 0
		.amdhsa_exception_fp_ieee_underflow 0
		.amdhsa_exception_fp_ieee_inexact 0
		.amdhsa_exception_int_div_zero 0
	.end_amdhsa_kernel
	.section	.text._ZN9rocsolver6v33100L18getri_kernel_smallILi60EdPdEEvT1_iilPiilS4_bb,"axG",@progbits,_ZN9rocsolver6v33100L18getri_kernel_smallILi60EdPdEEvT1_iilPiilS4_bb,comdat
.Lfunc_end59:
	.size	_ZN9rocsolver6v33100L18getri_kernel_smallILi60EdPdEEvT1_iilPiilS4_bb, .Lfunc_end59-_ZN9rocsolver6v33100L18getri_kernel_smallILi60EdPdEEvT1_iilPiilS4_bb
                                        ; -- End function
	.section	.AMDGPU.csdata,"",@progbits
; Kernel info:
; codeLenInByte = 64148
; NumSgprs: 20
; NumVgprs: 178
; ScratchSize: 496
; MemoryBound: 0
; FloatMode: 240
; IeeeMode: 1
; LDSByteSize: 968 bytes/workgroup (compile time only)
; SGPRBlocks: 2
; VGPRBlocks: 22
; NumSGPRsForWavesPerEU: 20
; NumVGPRsForWavesPerEU: 178
; Occupancy: 8
; WaveLimiterHint : 1
; COMPUTE_PGM_RSRC2:SCRATCH_EN: 1
; COMPUTE_PGM_RSRC2:USER_SGPR: 15
; COMPUTE_PGM_RSRC2:TRAP_HANDLER: 0
; COMPUTE_PGM_RSRC2:TGID_X_EN: 1
; COMPUTE_PGM_RSRC2:TGID_Y_EN: 0
; COMPUTE_PGM_RSRC2:TGID_Z_EN: 0
; COMPUTE_PGM_RSRC2:TIDIG_COMP_CNT: 0
	.section	.text._ZN9rocsolver6v33100L18getri_kernel_smallILi61EdPdEEvT1_iilPiilS4_bb,"axG",@progbits,_ZN9rocsolver6v33100L18getri_kernel_smallILi61EdPdEEvT1_iilPiilS4_bb,comdat
	.globl	_ZN9rocsolver6v33100L18getri_kernel_smallILi61EdPdEEvT1_iilPiilS4_bb ; -- Begin function _ZN9rocsolver6v33100L18getri_kernel_smallILi61EdPdEEvT1_iilPiilS4_bb
	.p2align	8
	.type	_ZN9rocsolver6v33100L18getri_kernel_smallILi61EdPdEEvT1_iilPiilS4_bb,@function
_ZN9rocsolver6v33100L18getri_kernel_smallILi61EdPdEEvT1_iilPiilS4_bb: ; @_ZN9rocsolver6v33100L18getri_kernel_smallILi61EdPdEEvT1_iilPiilS4_bb
; %bb.0:
	s_mov_b32 s2, exec_lo
	v_cmpx_gt_u32_e32 61, v0
	s_cbranch_execz .LBB60_254
; %bb.1:
	s_clause 0x2
	s_load_b32 s17, s[0:1], 0x38
	s_load_b128 s[8:11], s[0:1], 0x10
	s_load_b128 s[4:7], s[0:1], 0x28
	s_mov_b32 s14, s15
                                        ; implicit-def: $sgpr12_sgpr13
	s_waitcnt lgkmcnt(0)
	s_bitcmp1_b32 s17, 8
	s_cselect_b32 s16, -1, 0
	s_bfe_u32 s2, s17, 0x10008
	s_ashr_i32 s15, s15, 31
	s_cmp_eq_u32 s2, 0
	s_cbranch_scc1 .LBB60_3
; %bb.2:
	s_load_b32 s2, s[0:1], 0x20
	s_mul_i32 s3, s14, s5
	s_mul_hi_u32 s5, s14, s4
	s_mul_i32 s12, s15, s4
	s_add_i32 s3, s5, s3
	s_mul_i32 s4, s14, s4
	s_add_i32 s5, s3, s12
	s_delay_alu instid0(SALU_CYCLE_1)
	s_lshl_b64 s[4:5], s[4:5], 2
	s_waitcnt lgkmcnt(0)
	s_ashr_i32 s3, s2, 31
	s_add_u32 s4, s10, s4
	s_addc_u32 s5, s11, s5
	s_lshl_b64 s[2:3], s[2:3], 2
	s_delay_alu instid0(SALU_CYCLE_1)
	s_add_u32 s12, s4, s2
	s_addc_u32 s13, s5, s3
.LBB60_3:
	s_load_b128 s[0:3], s[0:1], 0x0
	s_mul_i32 s4, s14, s9
	s_mul_hi_u32 s5, s14, s8
	s_mul_i32 s9, s15, s8
	s_add_i32 s5, s5, s4
	s_mul_i32 s4, s14, s8
	s_add_i32 s5, s5, s9
	v_lshlrev_b32_e32 v139, 3, v0
	s_lshl_b64 s[4:5], s[4:5], 3
	s_waitcnt lgkmcnt(0)
	v_add3_u32 v3, s3, s3, v0
	s_ashr_i32 s9, s2, 31
	s_mov_b32 s8, s2
	s_add_u32 s2, s0, s4
	s_addc_u32 s5, s1, s5
	v_add_nc_u32_e32 v5, s3, v3
	s_lshl_b64 s[0:1], s[8:9], 3
	v_ashrrev_i32_e32 v4, 31, v3
	s_add_u32 s0, s2, s0
	s_addc_u32 s1, s5, s1
	v_add_nc_u32_e32 v7, s3, v5
	v_add_co_u32 v37, s2, s0, v139
	s_mov_b32 s4, s3
	s_ashr_i32 s5, s3, 31
	v_add_co_ci_u32_e64 v38, null, s1, 0, s2
	v_lshlrev_b64 v[3:4], 3, v[3:4]
	s_lshl_b64 s[4:5], s[4:5], 3
	v_add_nc_u32_e32 v9, s3, v7
	v_ashrrev_i32_e32 v6, 31, v5
	v_add_co_u32 v39, vcc_lo, v37, s4
	v_add_co_ci_u32_e32 v40, vcc_lo, s5, v38, vcc_lo
	v_add_co_u32 v41, vcc_lo, s0, v3
	v_add_nc_u32_e32 v3, s3, v9
	v_lshlrev_b64 v[5:6], 3, v[5:6]
	v_ashrrev_i32_e32 v8, 31, v7
	v_ashrrev_i32_e32 v10, 31, v9
	v_add_co_ci_u32_e32 v42, vcc_lo, s1, v4, vcc_lo
	v_add_nc_u32_e32 v11, s3, v3
	s_delay_alu instid0(VALU_DEP_4)
	v_lshlrev_b64 v[7:8], 3, v[7:8]
	v_add_co_u32 v43, vcc_lo, s0, v5
	v_ashrrev_i32_e32 v4, 31, v3
	v_add_co_ci_u32_e32 v44, vcc_lo, s1, v6, vcc_lo
	v_lshlrev_b64 v[5:6], 3, v[9:10]
	v_add_nc_u32_e32 v15, s3, v11
	v_add_co_u32 v45, vcc_lo, s0, v7
	v_lshlrev_b64 v[13:14], 3, v[3:4]
	v_ashrrev_i32_e32 v12, 31, v11
	v_add_co_ci_u32_e32 v46, vcc_lo, s1, v8, vcc_lo
	v_add_co_u32 v47, vcc_lo, s0, v5
	v_ashrrev_i32_e32 v16, 31, v15
	v_add_nc_u32_e32 v19, s3, v15
	v_add_co_ci_u32_e32 v48, vcc_lo, s1, v6, vcc_lo
	v_lshlrev_b64 v[17:18], 3, v[11:12]
	v_add_co_u32 v49, vcc_lo, s0, v13
	v_add_co_ci_u32_e32 v50, vcc_lo, s1, v14, vcc_lo
	v_lshlrev_b64 v[13:14], 3, v[15:16]
	v_ashrrev_i32_e32 v20, 31, v19
	v_add_nc_u32_e32 v15, s3, v19
	v_add_co_u32 v51, vcc_lo, s0, v17
	v_add_co_ci_u32_e32 v52, vcc_lo, s1, v18, vcc_lo
	s_delay_alu instid0(VALU_DEP_4) | instskip(NEXT) | instid1(VALU_DEP_4)
	v_lshlrev_b64 v[17:18], 3, v[19:20]
	v_ashrrev_i32_e32 v16, 31, v15
	v_add_nc_u32_e32 v19, s3, v15
	v_add_co_u32 v53, vcc_lo, s0, v13
	v_add_co_ci_u32_e32 v54, vcc_lo, s1, v14, vcc_lo
	s_delay_alu instid0(VALU_DEP_4) | instskip(NEXT) | instid1(VALU_DEP_4)
	;; [unrolled: 6-line block ×5, first 2 shown]
	v_lshlrev_b64 v[17:18], 3, v[19:20]
	v_add_nc_u32_e32 v19, s3, v15
	v_ashrrev_i32_e32 v16, 31, v15
	s_clause 0x4
	global_load_b64 v[1:2], v139, s[0:1]
	global_load_b64 v[3:4], v[39:40], off
	global_load_b64 v[5:6], v[41:42], off
	;; [unrolled: 1-line block ×4, first 2 shown]
	v_add_co_u32 v61, vcc_lo, s0, v13
	v_ashrrev_i32_e32 v20, 31, v19
	global_load_b64 v[11:12], v[47:48], off
	v_add_co_ci_u32_e32 v62, vcc_lo, s1, v14, vcc_lo
	v_lshlrev_b64 v[13:14], 3, v[15:16]
	v_add_co_u32 v63, vcc_lo, s0, v17
	v_add_co_ci_u32_e32 v64, vcc_lo, s1, v18, vcc_lo
	v_lshlrev_b64 v[17:18], 3, v[19:20]
	s_delay_alu instid0(VALU_DEP_4)
	v_add_co_u32 v65, vcc_lo, s0, v13
	v_add_co_ci_u32_e32 v66, vcc_lo, s1, v14, vcc_lo
	s_clause 0x5
	global_load_b64 v[140:141], v[49:50], off
	global_load_b64 v[142:143], v[51:52], off
	;; [unrolled: 1-line block ×6, first 2 shown]
	v_add_co_u32 v67, vcc_lo, s0, v17
	v_add_co_ci_u32_e32 v68, vcc_lo, s1, v18, vcc_lo
	s_clause 0x3
	global_load_b64 v[152:153], v[61:62], off
	global_load_b64 v[154:155], v[63:64], off
	;; [unrolled: 1-line block ×4, first 2 shown]
	v_add_nc_u32_e32 v15, s3, v19
	s_bitcmp0_b32 s17, 0
	s_delay_alu instid0(VALU_DEP_1) | instskip(SKIP_1) | instid1(VALU_DEP_2)
	v_ashrrev_i32_e32 v16, 31, v15
	v_add_nc_u32_e32 v19, s3, v15
	v_lshlrev_b64 v[13:14], 3, v[15:16]
	s_delay_alu instid0(VALU_DEP_2) | instskip(SKIP_1) | instid1(VALU_DEP_2)
	v_ashrrev_i32_e32 v20, 31, v19
	v_add_nc_u32_e32 v15, s3, v19
	v_lshlrev_b64 v[17:18], 3, v[19:20]
	s_delay_alu instid0(VALU_DEP_2) | instskip(SKIP_3) | instid1(VALU_DEP_4)
	v_ashrrev_i32_e32 v16, 31, v15
	v_add_nc_u32_e32 v19, s3, v15
	v_add_co_u32 v85, vcc_lo, s0, v13
	v_add_co_ci_u32_e32 v86, vcc_lo, s1, v14, vcc_lo
	v_lshlrev_b64 v[13:14], 3, v[15:16]
	s_delay_alu instid0(VALU_DEP_4) | instskip(SKIP_3) | instid1(VALU_DEP_4)
	v_ashrrev_i32_e32 v20, 31, v19
	v_add_nc_u32_e32 v15, s3, v19
	v_add_co_u32 v83, vcc_lo, s0, v17
	v_add_co_ci_u32_e32 v84, vcc_lo, s1, v18, vcc_lo
	v_lshlrev_b64 v[17:18], 3, v[19:20]
	s_delay_alu instid0(VALU_DEP_4) | instskip(SKIP_3) | instid1(VALU_DEP_4)
	v_ashrrev_i32_e32 v16, 31, v15
	v_add_nc_u32_e32 v19, s3, v15
	v_add_co_u32 v79, vcc_lo, s0, v13
	v_add_co_ci_u32_e32 v80, vcc_lo, s1, v14, vcc_lo
	v_lshlrev_b64 v[13:14], 3, v[15:16]
	s_delay_alu instid0(VALU_DEP_4) | instskip(SKIP_2) | instid1(VALU_DEP_3)
	v_ashrrev_i32_e32 v20, 31, v19
	v_add_co_u32 v73, vcc_lo, s0, v17
	v_add_co_ci_u32_e32 v74, vcc_lo, s1, v18, vcc_lo
	v_lshlrev_b64 v[15:16], 3, v[19:20]
	v_add_co_u32 v71, vcc_lo, s0, v13
	v_add_nc_u32_e32 v13, s3, v19
	v_add_co_ci_u32_e32 v72, vcc_lo, s1, v14, vcc_lo
	s_delay_alu instid0(VALU_DEP_4) | instskip(NEXT) | instid1(VALU_DEP_3)
	v_add_co_u32 v69, vcc_lo, s0, v15
	v_add_nc_u32_e32 v15, s3, v13
	v_ashrrev_i32_e32 v14, 31, v13
	v_add_co_ci_u32_e32 v70, vcc_lo, s1, v16, vcc_lo
	s_clause 0x1
	global_load_b64 v[29:30], v[85:86], off
	global_load_b64 v[31:32], v[83:84], off
	v_add_nc_u32_e32 v17, s3, v15
	v_ashrrev_i32_e32 v16, 31, v15
	v_lshlrev_b64 v[13:14], 3, v[13:14]
	s_clause 0x3
	global_load_b64 v[21:22], v[79:80], off
	global_load_b64 v[23:24], v[73:74], off
	;; [unrolled: 1-line block ×4, first 2 shown]
	v_ashrrev_i32_e32 v18, 31, v17
	v_add_nc_u32_e32 v19, s3, v17
	v_lshlrev_b64 v[15:16], 3, v[15:16]
	v_add_co_u32 v75, vcc_lo, s0, v13
	v_add_co_ci_u32_e32 v76, vcc_lo, s1, v14, vcc_lo
	v_lshlrev_b64 v[13:14], 3, v[17:18]
	v_ashrrev_i32_e32 v20, 31, v19
	v_add_nc_u32_e32 v17, s3, v19
	v_add_co_u32 v77, vcc_lo, s0, v15
	v_add_co_ci_u32_e32 v78, vcc_lo, s1, v16, vcc_lo
	s_delay_alu instid0(VALU_DEP_4) | instskip(NEXT) | instid1(VALU_DEP_4)
	v_lshlrev_b64 v[15:16], 3, v[19:20]
	v_add_nc_u32_e32 v19, s3, v17
	v_ashrrev_i32_e32 v18, 31, v17
	v_add_co_u32 v81, vcc_lo, s0, v13
	v_add_co_ci_u32_e32 v82, vcc_lo, s1, v14, vcc_lo
	s_delay_alu instid0(VALU_DEP_4) | instskip(SKIP_3) | instid1(VALU_DEP_4)
	v_add_nc_u32_e32 v91, s3, v19
	v_ashrrev_i32_e32 v20, 31, v19
	v_lshlrev_b64 v[89:90], 3, v[17:18]
	v_add_co_u32 v87, vcc_lo, s0, v15
	v_add_nc_u32_e32 v93, s3, v91
	s_delay_alu instid0(VALU_DEP_4) | instskip(SKIP_2) | instid1(VALU_DEP_4)
	v_lshlrev_b64 v[19:20], 3, v[19:20]
	v_ashrrev_i32_e32 v92, 31, v91
	v_add_co_ci_u32_e32 v88, vcc_lo, s1, v16, vcc_lo
	v_add_nc_u32_e32 v97, s3, v93
	v_add_co_u32 v89, vcc_lo, s0, v89
	v_ashrrev_i32_e32 v94, 31, v93
	v_add_co_ci_u32_e32 v90, vcc_lo, s1, v90, vcc_lo
	s_delay_alu instid0(VALU_DEP_4) | instskip(SKIP_3) | instid1(VALU_DEP_4)
	v_add_nc_u32_e32 v99, s3, v97
	v_lshlrev_b64 v[95:96], 3, v[91:92]
	v_add_co_u32 v91, vcc_lo, s0, v19
	v_add_co_ci_u32_e32 v92, vcc_lo, s1, v20, vcc_lo
	v_add_nc_u32_e32 v101, s3, v99
	v_lshlrev_b64 v[19:20], 3, v[93:94]
	v_ashrrev_i32_e32 v98, 31, v97
	v_add_co_u32 v93, vcc_lo, s0, v95
	s_delay_alu instid0(VALU_DEP_4) | instskip(SKIP_3) | instid1(VALU_DEP_4)
	v_add_nc_u32_e32 v103, s3, v101
	v_ashrrev_i32_e32 v100, 31, v99
	v_add_co_ci_u32_e32 v94, vcc_lo, s1, v96, vcc_lo
	v_lshlrev_b64 v[97:98], 3, v[97:98]
	v_add_nc_u32_e32 v105, s3, v103
	v_add_co_u32 v95, vcc_lo, s0, v19
	v_add_co_ci_u32_e32 v96, vcc_lo, s1, v20, vcc_lo
	s_delay_alu instid0(VALU_DEP_3) | instskip(SKIP_3) | instid1(VALU_DEP_4)
	v_add_nc_u32_e32 v107, s3, v105
	v_lshlrev_b64 v[19:20], 3, v[99:100]
	v_ashrrev_i32_e32 v102, 31, v101
	v_add_co_u32 v97, vcc_lo, s0, v97
	v_add_nc_u32_e32 v109, s3, v107
	v_ashrrev_i32_e32 v104, 31, v103
	v_add_co_ci_u32_e32 v98, vcc_lo, s1, v98, vcc_lo
	v_lshlrev_b64 v[101:102], 3, v[101:102]
	s_delay_alu instid0(VALU_DEP_4) | instskip(SKIP_2) | instid1(VALU_DEP_3)
	v_add_nc_u32_e32 v111, s3, v109
	v_add_co_u32 v99, vcc_lo, s0, v19
	v_add_co_ci_u32_e32 v100, vcc_lo, s1, v20, vcc_lo
	v_add_nc_u32_e32 v113, s3, v111
	v_lshlrev_b64 v[19:20], 3, v[103:104]
	v_ashrrev_i32_e32 v106, 31, v105
	v_add_co_u32 v101, vcc_lo, s0, v101
	s_delay_alu instid0(VALU_DEP_4) | instskip(SKIP_3) | instid1(VALU_DEP_4)
	v_add_nc_u32_e32 v115, s3, v113
	v_ashrrev_i32_e32 v108, 31, v107
	v_add_co_ci_u32_e32 v102, vcc_lo, s1, v102, vcc_lo
	v_lshlrev_b64 v[105:106], 3, v[105:106]
	v_add_nc_u32_e32 v117, s3, v115
	v_add_co_u32 v103, vcc_lo, s0, v19
	v_add_co_ci_u32_e32 v104, vcc_lo, s1, v20, vcc_lo
	s_delay_alu instid0(VALU_DEP_3) | instskip(SKIP_3) | instid1(VALU_DEP_4)
	v_add_nc_u32_e32 v119, s3, v117
	v_lshlrev_b64 v[19:20], 3, v[107:108]
	v_ashrrev_i32_e32 v110, 31, v109
	v_add_co_u32 v105, vcc_lo, s0, v105
	v_add_nc_u32_e32 v121, s3, v119
	v_ashrrev_i32_e32 v112, 31, v111
	v_add_co_ci_u32_e32 v106, vcc_lo, s1, v106, vcc_lo
	v_lshlrev_b64 v[109:110], 3, v[109:110]
	v_add_co_u32 v107, vcc_lo, s0, v19
	v_add_nc_u32_e32 v123, s3, v121
	v_add_co_ci_u32_e32 v108, vcc_lo, s1, v20, vcc_lo
	v_lshlrev_b64 v[19:20], 3, v[111:112]
	v_ashrrev_i32_e32 v114, 31, v113
	v_add_co_u32 v109, vcc_lo, s0, v109
	v_ashrrev_i32_e32 v116, 31, v115
	v_add_nc_u32_e32 v125, s3, v123
	v_add_co_ci_u32_e32 v110, vcc_lo, s1, v110, vcc_lo
	v_lshlrev_b64 v[113:114], 3, v[113:114]
	v_add_co_u32 v111, vcc_lo, s0, v19
	v_add_co_ci_u32_e32 v112, vcc_lo, s1, v20, vcc_lo
	v_ashrrev_i32_e32 v118, 31, v117
	v_lshlrev_b64 v[19:20], 3, v[115:116]
	v_add_nc_u32_e32 v127, s3, v125
	v_add_co_u32 v113, vcc_lo, s0, v113
	v_ashrrev_i32_e32 v120, 31, v119
	v_add_co_ci_u32_e32 v114, vcc_lo, s1, v114, vcc_lo
	v_lshlrev_b64 v[117:118], 3, v[117:118]
	v_add_nc_u32_e32 v129, s3, v127
	v_add_co_u32 v115, vcc_lo, s0, v19
	v_add_co_ci_u32_e32 v116, vcc_lo, s1, v20, vcc_lo
	v_lshlrev_b64 v[19:20], 3, v[119:120]
	v_ashrrev_i32_e32 v122, 31, v121
	v_add_nc_u32_e32 v131, s3, v129
	v_add_co_u32 v117, vcc_lo, s0, v117
	v_ashrrev_i32_e32 v124, 31, v123
	v_add_co_ci_u32_e32 v118, vcc_lo, s1, v118, vcc_lo
	v_lshlrev_b64 v[121:122], 3, v[121:122]
	v_add_co_u32 v119, vcc_lo, s0, v19
	v_add_nc_u32_e32 v133, s3, v131
	v_add_co_ci_u32_e32 v120, vcc_lo, s1, v20, vcc_lo
	v_lshlrev_b64 v[19:20], 3, v[123:124]
	v_ashrrev_i32_e32 v126, 31, v125
	v_add_co_u32 v121, vcc_lo, s0, v121
	v_ashrrev_i32_e32 v128, 31, v127
	v_add_nc_u32_e32 v135, s3, v133
	v_add_co_ci_u32_e32 v122, vcc_lo, s1, v122, vcc_lo
	v_lshlrev_b64 v[125:126], 3, v[125:126]
	v_add_co_u32 v123, vcc_lo, s0, v19
	v_add_co_ci_u32_e32 v124, vcc_lo, s1, v20, vcc_lo
	v_lshlrev_b64 v[19:20], 3, v[127:128]
	v_ashrrev_i32_e32 v130, 31, v129
	v_add_nc_u32_e32 v137, s3, v135
	v_add_co_u32 v125, vcc_lo, s0, v125
	v_ashrrev_i32_e32 v132, 31, v131
	v_add_co_ci_u32_e32 v126, vcc_lo, s1, v126, vcc_lo
	v_lshlrev_b64 v[129:130], 3, v[129:130]
	v_add_co_u32 v127, vcc_lo, s0, v19
	v_ashrrev_i32_e32 v134, 31, v133
	v_add_nc_u32_e32 v166, s3, v137
	v_add_co_ci_u32_e32 v128, vcc_lo, s1, v20, vcc_lo
	v_lshlrev_b64 v[19:20], 3, v[131:132]
	v_ashrrev_i32_e32 v136, 31, v135
	v_add_co_u32 v129, vcc_lo, s0, v129
	v_lshlrev_b64 v[133:134], 3, v[133:134]
	v_add_nc_u32_e32 v168, s3, v166
	v_ashrrev_i32_e32 v138, 31, v137
	v_add_co_ci_u32_e32 v130, vcc_lo, s1, v130, vcc_lo
	v_add_co_u32 v131, vcc_lo, s0, v19
	v_lshlrev_b64 v[135:136], 3, v[135:136]
	v_ashrrev_i32_e32 v167, 31, v166
	s_clause 0x2
	global_load_b64 v[13:14], v[75:76], off
	global_load_b64 v[15:16], v[77:78], off
	;; [unrolled: 1-line block ×3, first 2 shown]
	v_add_co_ci_u32_e32 v132, vcc_lo, s1, v20, vcc_lo
	s_clause 0x3
	global_load_b64 v[19:20], v[87:88], off
	global_load_b64 v[156:157], v[89:90], off
	;; [unrolled: 1-line block ×4, first 2 shown]
	v_add_co_u32 v133, vcc_lo, s0, v133
	v_ashrrev_i32_e32 v169, 31, v168
	v_add_co_ci_u32_e32 v134, vcc_lo, s1, v134, vcc_lo
	v_add_co_u32 v135, vcc_lo, s0, v135
	v_add_co_ci_u32_e32 v136, vcc_lo, s1, v136, vcc_lo
	s_waitcnt vmcnt(27)
	scratch_store_b128 off, v[1:4], off
	s_waitcnt vmcnt(25)
	scratch_store_b128 off, v[5:8], off offset:16
	s_waitcnt vmcnt(23)
	scratch_store_b128 off, v[9:12], off offset:32
	v_add_nc_u32_e32 v10, s3, v168
	v_lshlrev_b64 v[6:7], 3, v[137:138]
	v_lshlrev_b64 v[8:9], 3, v[166:167]
	;; [unrolled: 1-line block ×3, first 2 shown]
	s_clause 0x3
	global_load_b64 v[162:163], v[95:96], off
	global_load_b64 v[1:2], v[97:98], off
	;; [unrolled: 1-line block ×4, first 2 shown]
	v_ashrrev_i32_e32 v11, 31, v10
	v_add_nc_u32_e32 v170, s3, v10
	v_add_co_u32 v6, vcc_lo, s0, v6
	v_add_co_ci_u32_e32 v7, vcc_lo, s1, v7, vcc_lo
	v_add_co_u32 v8, vcc_lo, s0, v8
	s_waitcnt vmcnt(25)
	scratch_store_b128 off, v[140:143], off offset:48
	s_waitcnt vmcnt(23)
	scratch_store_b128 off, v[144:147], off offset:64
	;; [unrolled: 2-line block ×3, first 2 shown]
	v_lshlrev_b64 v[146:147], 3, v[10:11]
	v_add_co_ci_u32_e32 v9, vcc_lo, s1, v9, vcc_lo
	v_add_co_u32 v10, vcc_lo, s0, v137
	v_add_co_ci_u32_e32 v11, vcc_lo, s1, v138, vcc_lo
	s_delay_alu instid0(VALU_DEP_4)
	v_add_co_u32 v137, vcc_lo, s0, v146
	s_clause 0x3
	global_load_b64 v[166:167], v[103:104], off
	global_load_b64 v[140:141], v[105:106], off
	;; [unrolled: 1-line block ×4, first 2 shown]
	s_waitcnt vmcnt(23)
	scratch_store_b128 off, v[152:155], off offset:96
	s_waitcnt vmcnt(21)
	scratch_store_b128 off, v[33:36], off offset:112
	v_add_co_ci_u32_e32 v138, vcc_lo, s1, v147, vcc_lo
	s_clause 0x2
	global_load_b64 v[146:147], v[111:112], off
	global_load_b64 v[148:149], v[113:114], off
	;; [unrolled: 1-line block ×3, first 2 shown]
	v_add_nc_u32_e32 v152, s3, v170
	v_ashrrev_i32_e32 v171, 31, v170
	s_delay_alu instid0(VALU_DEP_2) | instskip(SKIP_1) | instid1(VALU_DEP_3)
	v_add_nc_u32_e32 v154, s3, v152
	v_ashrrev_i32_e32 v153, 31, v152
	v_lshlrev_b64 v[33:34], 3, v[170:171]
	s_delay_alu instid0(VALU_DEP_3) | instskip(NEXT) | instid1(VALU_DEP_3)
	v_ashrrev_i32_e32 v155, 31, v154
	v_lshlrev_b64 v[35:36], 3, v[152:153]
	s_waitcnt vmcnt(22)
	scratch_store_b128 off, v[29:32], off offset:128
	v_add_nc_u32_e32 v31, s3, v154
	s_waitcnt vmcnt(20)
	scratch_store_b128 off, v[21:24], off offset:144
	s_waitcnt vmcnt(18)
	scratch_store_b128 off, v[25:28], off offset:160
	v_add_co_u32 v29, vcc_lo, s0, v33
	v_ashrrev_i32_e32 v32, 31, v31
	v_add_nc_u32_e32 v25, s3, v31
	v_add_co_ci_u32_e32 v30, vcc_lo, s1, v34, vcc_lo
	v_lshlrev_b64 v[33:34], 3, v[154:155]
	s_delay_alu instid0(VALU_DEP_4) | instskip(NEXT) | instid1(VALU_DEP_4)
	v_lshlrev_b64 v[27:28], 3, v[31:32]
	v_add_nc_u32_e32 v31, s3, v25
	v_ashrrev_i32_e32 v26, 31, v25
	v_add_co_u32 v21, vcc_lo, s0, v35
	v_add_co_ci_u32_e32 v22, vcc_lo, s1, v36, vcc_lo
	s_delay_alu instid0(VALU_DEP_4) | instskip(SKIP_3) | instid1(VALU_DEP_4)
	v_add_nc_u32_e32 v35, s3, v31
	v_ashrrev_i32_e32 v32, 31, v31
	v_add_co_u32 v23, vcc_lo, s0, v33
	v_lshlrev_b64 v[25:26], 3, v[25:26]
	v_ashrrev_i32_e32 v36, 31, v35
	v_add_co_ci_u32_e32 v24, vcc_lo, s1, v34, vcc_lo
	v_add_co_u32 v27, vcc_lo, s0, v27
	v_lshlrev_b64 v[31:32], 3, v[31:32]
	v_add_co_ci_u32_e32 v28, vcc_lo, s1, v28, vcc_lo
	v_add_co_u32 v33, vcc_lo, s0, v25
	v_lshlrev_b64 v[35:36], 3, v[35:36]
	v_add_co_ci_u32_e32 v34, vcc_lo, s1, v26, vcc_lo
	v_add_co_u32 v25, vcc_lo, s0, v31
	v_add_co_ci_u32_e32 v26, vcc_lo, s1, v32, vcc_lo
	s_delay_alu instid0(VALU_DEP_4)
	v_add_co_u32 v31, vcc_lo, s0, v35
	v_add_co_ci_u32_e32 v32, vcc_lo, s1, v36, vcc_lo
	s_clause 0x1
	global_load_b64 v[152:153], v[117:118], off
	global_load_b64 v[154:155], v[119:120], off
	s_mov_b32 s1, -1
	s_waitcnt vmcnt(18)
	scratch_store_b128 off, v[13:16], off offset:176
	s_waitcnt vmcnt(16)
	scratch_store_b128 off, v[17:20], off offset:192
	s_clause 0x2
	global_load_b64 v[12:13], v[121:122], off
	global_load_b64 v[14:15], v[123:124], off
	global_load_b64 v[16:17], v[125:126], off
	s_waitcnt vmcnt(17)
	scratch_store_b128 off, v[156:159], off offset:208
	s_waitcnt vmcnt(15)
	scratch_store_b128 off, v[160:163], off offset:224
	s_clause 0x3
	global_load_b64 v[18:19], v[127:128], off
	global_load_b64 v[156:157], v[129:130], off
	global_load_b64 v[158:159], v[131:132], off
	global_load_b64 v[160:161], v[133:134], off
	s_waitcnt vmcnt(17)
	scratch_store_b128 off, v[1:4], off offset:240
	s_waitcnt vmcnt(15)
	scratch_store_b128 off, v[164:167], off offset:256
	s_clause 0x3
	global_load_b64 v[162:163], v[135:136], off
	global_load_b64 v[1:2], v[6:7], off
	global_load_b64 v[3:4], v[8:9], off
	global_load_b64 v[164:165], v[10:11], off
	s_waitcnt vmcnt(17)
	scratch_store_b128 off, v[140:143], off offset:272
	s_waitcnt vmcnt(15)
	scratch_store_b128 off, v[144:147], off offset:288
	s_clause 0x3
	global_load_b64 v[166:167], v[137:138], off
	global_load_b64 v[140:141], v[29:30], off
	global_load_b64 v[142:143], v[21:22], off
	;; [unrolled: 1-line block ×3, first 2 shown]
	s_waitcnt vmcnt(17)
	scratch_store_b128 off, v[148:151], off offset:304
	s_clause 0x3
	global_load_b64 v[146:147], v[27:28], off
	global_load_b64 v[148:149], v[33:34], off
	global_load_b64 v[150:151], v[25:26], off
	global_load_b64 v[35:36], v[31:32], off
	s_waitcnt vmcnt(19)
	scratch_store_b128 off, v[152:155], off offset:320
	s_waitcnt vmcnt(17)
	scratch_store_b128 off, v[12:15], off offset:336
	;; [unrolled: 2-line block ×10, first 2 shown]
	s_waitcnt vmcnt(0)
	scratch_store_b64 off, v[35:36], off offset:480
	s_cbranch_scc1 .LBB60_252
; %bb.4:
	v_cmp_eq_u32_e64 s0, 0, v0
	s_delay_alu instid0(VALU_DEP_1)
	s_and_saveexec_b32 s1, s0
	s_cbranch_execz .LBB60_6
; %bb.5:
	v_mov_b32_e32 v1, 0
	ds_store_b32 v1, v1 offset:488
.LBB60_6:
	s_or_b32 exec_lo, exec_lo, s1
	s_waitcnt lgkmcnt(0)
	s_waitcnt_vscnt null, 0x0
	s_barrier
	buffer_gl0_inv
	scratch_load_b64 v[1:2], v139, off
	s_mov_b32 s2, exec_lo
	s_waitcnt vmcnt(0)
	v_cmpx_eq_f64_e32 0, v[1:2]
	s_cbranch_execz .LBB60_10
; %bb.7:
	v_mov_b32_e32 v1, 0
	s_mov_b32 s3, 0
	ds_load_b32 v2, v1 offset:488
	s_waitcnt lgkmcnt(0)
	v_readfirstlane_b32 s1, v2
	v_add_nc_u32_e32 v2, 1, v0
	s_delay_alu instid0(VALU_DEP_2) | instskip(NEXT) | instid1(VALU_DEP_1)
	s_cmp_eq_u32 s1, 0
	v_cmp_gt_i32_e32 vcc_lo, s1, v2
	s_cselect_b32 s4, -1, 0
	s_delay_alu instid0(SALU_CYCLE_1) | instskip(NEXT) | instid1(SALU_CYCLE_1)
	s_or_b32 s4, s4, vcc_lo
	s_and_b32 exec_lo, exec_lo, s4
	s_cbranch_execz .LBB60_10
; %bb.8:
	v_mov_b32_e32 v3, s1
.LBB60_9:                               ; =>This Inner Loop Header: Depth=1
	ds_cmpstore_rtn_b32 v3, v1, v2, v3 offset:488
	s_waitcnt lgkmcnt(0)
	v_cmp_ne_u32_e32 vcc_lo, 0, v3
	v_cmp_le_i32_e64 s1, v3, v2
	s_delay_alu instid0(VALU_DEP_1) | instskip(NEXT) | instid1(SALU_CYCLE_1)
	s_and_b32 s1, vcc_lo, s1
	s_and_b32 s1, exec_lo, s1
	s_delay_alu instid0(SALU_CYCLE_1) | instskip(NEXT) | instid1(SALU_CYCLE_1)
	s_or_b32 s3, s1, s3
	s_and_not1_b32 exec_lo, exec_lo, s3
	s_cbranch_execnz .LBB60_9
.LBB60_10:
	s_or_b32 exec_lo, exec_lo, s2
	v_mov_b32_e32 v1, 0
	s_barrier
	buffer_gl0_inv
	ds_load_b32 v2, v1 offset:488
	s_and_saveexec_b32 s1, s0
	s_cbranch_execz .LBB60_12
; %bb.11:
	s_lshl_b64 s[2:3], s[14:15], 2
	s_delay_alu instid0(SALU_CYCLE_1)
	s_add_u32 s2, s6, s2
	s_addc_u32 s3, s7, s3
	s_waitcnt lgkmcnt(0)
	global_store_b32 v1, v2, s[2:3]
.LBB60_12:
	s_or_b32 exec_lo, exec_lo, s1
	s_waitcnt lgkmcnt(0)
	v_cmp_ne_u32_e32 vcc_lo, 0, v2
	s_mov_b32 s1, 0
	s_cbranch_vccnz .LBB60_252
; %bb.13:
	v_add_nc_u32_e32 v3, 0, v139
	scratch_load_b64 v[1:2], v3, off
	s_waitcnt vmcnt(0)
	v_div_scale_f64 v[4:5], null, v[1:2], v[1:2], 1.0
	v_div_scale_f64 v[16:17], vcc_lo, 1.0, v[1:2], 1.0
	s_delay_alu instid0(VALU_DEP_2) | instskip(SKIP_2) | instid1(VALU_DEP_1)
	v_rcp_f64_e32 v[12:13], v[4:5]
	s_waitcnt_depctr 0xfff
	v_fma_f64 v[14:15], -v[4:5], v[12:13], 1.0
	v_fma_f64 v[12:13], v[12:13], v[14:15], v[12:13]
	s_delay_alu instid0(VALU_DEP_1) | instskip(NEXT) | instid1(VALU_DEP_1)
	v_fma_f64 v[14:15], -v[4:5], v[12:13], 1.0
	v_fma_f64 v[12:13], v[12:13], v[14:15], v[12:13]
	s_delay_alu instid0(VALU_DEP_1) | instskip(NEXT) | instid1(VALU_DEP_1)
	v_mul_f64 v[14:15], v[16:17], v[12:13]
	v_fma_f64 v[4:5], -v[4:5], v[14:15], v[16:17]
	s_delay_alu instid0(VALU_DEP_1) | instskip(NEXT) | instid1(VALU_DEP_1)
	v_div_fmas_f64 v[4:5], v[4:5], v[12:13], v[14:15]
	v_div_fixup_f64 v[1:2], v[4:5], v[1:2], 1.0
	v_add_nc_u32_e32 v4, 0x1f0, v139
	scratch_store_b64 v3, v[1:2], off
	scratch_load_b64 v[12:13], off, off offset:8
	v_xor_b32_e32 v2, 0x80000000, v2
	s_waitcnt vmcnt(0)
	ds_store_2addr_b64 v139, v[1:2], v[12:13] offset1:62
	s_waitcnt lgkmcnt(0)
	s_waitcnt_vscnt null, 0x0
	s_barrier
	buffer_gl0_inv
	s_and_saveexec_b32 s1, s0
	s_cbranch_execz .LBB60_15
; %bb.14:
	scratch_load_b64 v[1:2], v3, off
	ds_load_b64 v[12:13], v4
	v_mov_b32_e32 v5, 0
	s_waitcnt vmcnt(0) lgkmcnt(0)
	v_fma_f64 v[1:2], v[1:2], v[12:13], 0
	ds_load_b64 v[12:13], v5 offset:8
	s_waitcnt lgkmcnt(0)
	v_mul_f64 v[1:2], v[1:2], v[12:13]
	scratch_store_b64 off, v[1:2], off offset:8
.LBB60_15:
	s_or_b32 exec_lo, exec_lo, s1
	s_waitcnt_vscnt null, 0x0
	s_barrier
	buffer_gl0_inv
	scratch_load_b64 v[1:2], off, off offset:16
	s_mov_b32 s1, exec_lo
	s_waitcnt vmcnt(0)
	ds_store_b64 v4, v[1:2]
	s_waitcnt lgkmcnt(0)
	s_barrier
	buffer_gl0_inv
	v_cmpx_gt_u32_e32 2, v0
	s_cbranch_execz .LBB60_19
; %bb.16:
	scratch_load_b64 v[1:2], v3, off
	ds_load_b64 v[12:13], v4
	s_waitcnt vmcnt(0) lgkmcnt(0)
	v_fma_f64 v[1:2], v[1:2], v[12:13], 0
	s_and_saveexec_b32 s2, s0
	s_cbranch_execz .LBB60_18
; %bb.17:
	scratch_load_b64 v[12:13], off, off offset:8
	v_mov_b32_e32 v5, 0
	ds_load_b64 v[14:15], v5 offset:504
	s_waitcnt vmcnt(0) lgkmcnt(0)
	v_fma_f64 v[1:2], v[12:13], v[14:15], v[1:2]
.LBB60_18:
	s_or_b32 exec_lo, exec_lo, s2
	v_mov_b32_e32 v5, 0
	ds_load_b64 v[12:13], v5 offset:16
	s_waitcnt lgkmcnt(0)
	v_mul_f64 v[1:2], v[1:2], v[12:13]
	scratch_store_b64 off, v[1:2], off offset:16
.LBB60_19:
	s_or_b32 exec_lo, exec_lo, s1
	s_waitcnt_vscnt null, 0x0
	s_barrier
	buffer_gl0_inv
	scratch_load_b64 v[1:2], off, off offset:24
	v_add_nc_u32_e32 v5, -1, v0
	s_mov_b32 s0, exec_lo
	s_waitcnt vmcnt(0)
	ds_store_b64 v4, v[1:2]
	s_waitcnt lgkmcnt(0)
	s_barrier
	buffer_gl0_inv
	v_cmpx_gt_u32_e32 3, v0
	s_cbranch_execz .LBB60_23
; %bb.20:
	v_dual_mov_b32 v1, 0 :: v_dual_add_nc_u32 v12, -1, v0
	v_dual_mov_b32 v2, 0 :: v_dual_add_nc_u32 v13, 0x1f0, v139
	v_add_nc_u32_e32 v14, 0, v139
	s_mov_b32 s1, 0
.LBB60_21:                              ; =>This Inner Loop Header: Depth=1
	scratch_load_b64 v[15:16], v14, off
	ds_load_b64 v[17:18], v13
	v_add_nc_u32_e32 v12, 1, v12
	v_add_nc_u32_e32 v13, 8, v13
	v_add_nc_u32_e32 v14, 8, v14
	s_delay_alu instid0(VALU_DEP_3)
	v_cmp_lt_u32_e32 vcc_lo, 1, v12
	s_or_b32 s1, vcc_lo, s1
	s_waitcnt vmcnt(0) lgkmcnt(0)
	v_fma_f64 v[1:2], v[15:16], v[17:18], v[1:2]
	s_and_not1_b32 exec_lo, exec_lo, s1
	s_cbranch_execnz .LBB60_21
; %bb.22:
	s_or_b32 exec_lo, exec_lo, s1
	v_mov_b32_e32 v12, 0
	ds_load_b64 v[12:13], v12 offset:24
	s_waitcnt lgkmcnt(0)
	v_mul_f64 v[1:2], v[1:2], v[12:13]
	scratch_store_b64 off, v[1:2], off offset:24
.LBB60_23:
	s_or_b32 exec_lo, exec_lo, s0
	s_waitcnt_vscnt null, 0x0
	s_barrier
	buffer_gl0_inv
	scratch_load_b64 v[1:2], off, off offset:32
	s_mov_b32 s0, exec_lo
	s_waitcnt vmcnt(0)
	ds_store_b64 v4, v[1:2]
	s_waitcnt lgkmcnt(0)
	s_barrier
	buffer_gl0_inv
	v_cmpx_gt_u32_e32 4, v0
	s_cbranch_execz .LBB60_27
; %bb.24:
	v_dual_mov_b32 v1, 0 :: v_dual_add_nc_u32 v12, -1, v0
	v_dual_mov_b32 v2, 0 :: v_dual_add_nc_u32 v13, 0x1f0, v139
	v_add_nc_u32_e32 v14, 0, v139
	s_mov_b32 s1, 0
.LBB60_25:                              ; =>This Inner Loop Header: Depth=1
	scratch_load_b64 v[15:16], v14, off
	ds_load_b64 v[17:18], v13
	v_add_nc_u32_e32 v12, 1, v12
	v_add_nc_u32_e32 v13, 8, v13
	v_add_nc_u32_e32 v14, 8, v14
	s_delay_alu instid0(VALU_DEP_3)
	v_cmp_lt_u32_e32 vcc_lo, 2, v12
	s_or_b32 s1, vcc_lo, s1
	s_waitcnt vmcnt(0) lgkmcnt(0)
	v_fma_f64 v[1:2], v[15:16], v[17:18], v[1:2]
	s_and_not1_b32 exec_lo, exec_lo, s1
	s_cbranch_execnz .LBB60_25
; %bb.26:
	s_or_b32 exec_lo, exec_lo, s1
	v_mov_b32_e32 v12, 0
	ds_load_b64 v[12:13], v12 offset:32
	s_waitcnt lgkmcnt(0)
	v_mul_f64 v[1:2], v[1:2], v[12:13]
	scratch_store_b64 off, v[1:2], off offset:32
.LBB60_27:
	s_or_b32 exec_lo, exec_lo, s0
	s_waitcnt_vscnt null, 0x0
	s_barrier
	buffer_gl0_inv
	scratch_load_b64 v[1:2], off, off offset:40
	;; [unrolled: 39-line block ×20, first 2 shown]
	s_mov_b32 s0, exec_lo
	s_waitcnt vmcnt(0)
	ds_store_b64 v4, v[1:2]
	s_waitcnt lgkmcnt(0)
	s_barrier
	buffer_gl0_inv
	v_cmpx_gt_u32_e32 23, v0
	s_cbranch_execz .LBB60_103
; %bb.100:
	v_dual_mov_b32 v1, 0 :: v_dual_add_nc_u32 v12, -1, v0
	v_dual_mov_b32 v2, 0 :: v_dual_add_nc_u32 v13, 0x1f0, v139
	v_add_nc_u32_e32 v14, 0, v139
	s_mov_b32 s1, 0
.LBB60_101:                             ; =>This Inner Loop Header: Depth=1
	scratch_load_b64 v[15:16], v14, off
	ds_load_b64 v[17:18], v13
	v_add_nc_u32_e32 v12, 1, v12
	v_add_nc_u32_e32 v13, 8, v13
	v_add_nc_u32_e32 v14, 8, v14
	s_delay_alu instid0(VALU_DEP_3)
	v_cmp_lt_u32_e32 vcc_lo, 21, v12
	s_or_b32 s1, vcc_lo, s1
	s_waitcnt vmcnt(0) lgkmcnt(0)
	v_fma_f64 v[1:2], v[15:16], v[17:18], v[1:2]
	s_and_not1_b32 exec_lo, exec_lo, s1
	s_cbranch_execnz .LBB60_101
; %bb.102:
	s_or_b32 exec_lo, exec_lo, s1
	v_mov_b32_e32 v12, 0
	ds_load_b64 v[12:13], v12 offset:184
	s_waitcnt lgkmcnt(0)
	v_mul_f64 v[1:2], v[1:2], v[12:13]
	scratch_store_b64 off, v[1:2], off offset:184
.LBB60_103:
	s_or_b32 exec_lo, exec_lo, s0
	s_waitcnt_vscnt null, 0x0
	s_barrier
	buffer_gl0_inv
	scratch_load_b64 v[1:2], off, off offset:192
	s_mov_b32 s0, exec_lo
	s_waitcnt vmcnt(0)
	ds_store_b64 v4, v[1:2]
	s_waitcnt lgkmcnt(0)
	s_barrier
	buffer_gl0_inv
	v_cmpx_gt_u32_e32 24, v0
	s_cbranch_execz .LBB60_107
; %bb.104:
	v_dual_mov_b32 v1, 0 :: v_dual_add_nc_u32 v12, -1, v0
	v_dual_mov_b32 v2, 0 :: v_dual_add_nc_u32 v13, 0x1f0, v139
	v_add_nc_u32_e32 v14, 0, v139
	s_mov_b32 s1, 0
.LBB60_105:                             ; =>This Inner Loop Header: Depth=1
	scratch_load_b64 v[15:16], v14, off
	ds_load_b64 v[17:18], v13
	v_add_nc_u32_e32 v12, 1, v12
	v_add_nc_u32_e32 v13, 8, v13
	v_add_nc_u32_e32 v14, 8, v14
	s_delay_alu instid0(VALU_DEP_3)
	v_cmp_lt_u32_e32 vcc_lo, 22, v12
	s_or_b32 s1, vcc_lo, s1
	s_waitcnt vmcnt(0) lgkmcnt(0)
	v_fma_f64 v[1:2], v[15:16], v[17:18], v[1:2]
	s_and_not1_b32 exec_lo, exec_lo, s1
	s_cbranch_execnz .LBB60_105
; %bb.106:
	s_or_b32 exec_lo, exec_lo, s1
	v_mov_b32_e32 v12, 0
	ds_load_b64 v[12:13], v12 offset:192
	s_waitcnt lgkmcnt(0)
	v_mul_f64 v[1:2], v[1:2], v[12:13]
	scratch_store_b64 off, v[1:2], off offset:192
.LBB60_107:
	s_or_b32 exec_lo, exec_lo, s0
	s_waitcnt_vscnt null, 0x0
	s_barrier
	buffer_gl0_inv
	scratch_load_b64 v[1:2], off, off offset:200
	;; [unrolled: 39-line block ×37, first 2 shown]
	s_mov_b32 s0, exec_lo
	s_waitcnt vmcnt(0)
	ds_store_b64 v4, v[1:2]
	s_waitcnt lgkmcnt(0)
	s_barrier
	buffer_gl0_inv
	v_cmpx_ne_u32_e32 60, v0
	s_cbranch_execz .LBB60_251
; %bb.248:
	v_mov_b32_e32 v1, 0
	v_mov_b32_e32 v2, 0
	s_mov_b32 s1, 0
.LBB60_249:                             ; =>This Inner Loop Header: Depth=1
	scratch_load_b64 v[12:13], v3, off
	ds_load_b64 v[14:15], v4
	v_add_nc_u32_e32 v5, 1, v5
	v_add_nc_u32_e32 v4, 8, v4
	;; [unrolled: 1-line block ×3, first 2 shown]
	s_delay_alu instid0(VALU_DEP_3)
	v_cmp_lt_u32_e32 vcc_lo, 58, v5
	s_or_b32 s1, vcc_lo, s1
	s_waitcnt vmcnt(0) lgkmcnt(0)
	v_fma_f64 v[1:2], v[12:13], v[14:15], v[1:2]
	s_and_not1_b32 exec_lo, exec_lo, s1
	s_cbranch_execnz .LBB60_249
; %bb.250:
	s_or_b32 exec_lo, exec_lo, s1
	v_mov_b32_e32 v3, 0
	ds_load_b64 v[3:4], v3 offset:480
	s_waitcnt lgkmcnt(0)
	v_mul_f64 v[1:2], v[1:2], v[3:4]
	scratch_store_b64 off, v[1:2], off offset:480
.LBB60_251:
	s_or_b32 exec_lo, exec_lo, s0
	s_mov_b32 s1, -1
	s_waitcnt_vscnt null, 0x0
	s_barrier
	buffer_gl0_inv
.LBB60_252:
	s_and_b32 vcc_lo, exec_lo, s1
	s_cbranch_vccz .LBB60_254
; %bb.253:
	s_lshl_b64 s[0:1], s[14:15], 2
	v_mov_b32_e32 v1, 0
	s_add_u32 s0, s6, s0
	s_addc_u32 s1, s7, s1
	global_load_b32 v1, v1, s[0:1]
	s_waitcnt vmcnt(0)
	v_cmp_ne_u32_e32 vcc_lo, 0, v1
	s_cbranch_vccz .LBB60_255
.LBB60_254:
	s_endpgm
.LBB60_255:
	v_lshl_add_u32 v5, v0, 3, 0x1f0
	s_mov_b32 s0, exec_lo
	v_cmpx_eq_u32_e32 60, v0
	s_cbranch_execz .LBB60_257
; %bb.256:
	scratch_load_b64 v[1:2], off, off offset:472
	v_mov_b32_e32 v3, 0
	s_delay_alu instid0(VALU_DEP_1)
	v_mov_b32_e32 v4, v3
	scratch_store_b64 off, v[3:4], off offset:472
	s_waitcnt vmcnt(0)
	ds_store_b64 v5, v[1:2]
.LBB60_257:
	s_or_b32 exec_lo, exec_lo, s0
	s_waitcnt lgkmcnt(0)
	s_waitcnt_vscnt null, 0x0
	s_barrier
	buffer_gl0_inv
	scratch_load_b128 v[12:15], off, off offset:472
	v_mov_b32_e32 v1, 0
	s_mov_b32 s0, exec_lo
	ds_load_b64 v[2:3], v1 offset:976
	s_waitcnt vmcnt(0) lgkmcnt(0)
	v_fma_f64 v[2:3], v[14:15], v[2:3], 0
	s_delay_alu instid0(VALU_DEP_1)
	v_add_f64 v[2:3], v[12:13], -v[2:3]
	scratch_store_b64 off, v[2:3], off offset:472
	v_cmpx_lt_u32_e32 58, v0
	s_cbranch_execz .LBB60_259
; %bb.258:
	scratch_load_b64 v[3:4], off, off offset:464
	v_mov_b32_e32 v2, v1
	scratch_store_b64 off, v[1:2], off offset:464
	s_waitcnt vmcnt(0)
	ds_store_b64 v5, v[3:4]
.LBB60_259:
	s_or_b32 exec_lo, exec_lo, s0
	s_waitcnt lgkmcnt(0)
	s_waitcnt_vscnt null, 0x0
	s_barrier
	buffer_gl0_inv
	s_clause 0x1
	scratch_load_b128 v[12:15], off, off offset:464
	scratch_load_b64 v[16:17], off, off offset:480
	ds_load_2addr_b64 v[1:4], v1 offset0:121 offset1:122
	s_mov_b32 s0, exec_lo
	s_waitcnt vmcnt(1) lgkmcnt(0)
	v_fma_f64 v[1:2], v[14:15], v[1:2], 0
	s_waitcnt vmcnt(0)
	s_delay_alu instid0(VALU_DEP_1) | instskip(NEXT) | instid1(VALU_DEP_1)
	v_fma_f64 v[1:2], v[16:17], v[3:4], v[1:2]
	v_add_f64 v[1:2], v[12:13], -v[1:2]
	scratch_store_b64 off, v[1:2], off offset:464
	v_cmpx_lt_u32_e32 57, v0
	s_cbranch_execz .LBB60_261
; %bb.260:
	scratch_load_b64 v[1:2], off, off offset:456
	v_mov_b32_e32 v3, 0
	s_delay_alu instid0(VALU_DEP_1)
	v_mov_b32_e32 v4, v3
	scratch_store_b64 off, v[3:4], off offset:456
	s_waitcnt vmcnt(0)
	ds_store_b64 v5, v[1:2]
.LBB60_261:
	s_or_b32 exec_lo, exec_lo, s0
	s_waitcnt lgkmcnt(0)
	s_waitcnt_vscnt null, 0x0
	s_barrier
	buffer_gl0_inv
	s_clause 0x1
	scratch_load_b128 v[12:15], off, off offset:456
	scratch_load_b128 v[16:19], off, off offset:472
	v_mov_b32_e32 v1, 0
	ds_load_b128 v[139:142], v1 offset:960
	ds_load_b64 v[2:3], v1 offset:976
	s_mov_b32 s0, exec_lo
	s_waitcnt vmcnt(1) lgkmcnt(1)
	v_fma_f64 v[14:15], v[14:15], v[139:140], 0
	s_waitcnt vmcnt(0)
	s_delay_alu instid0(VALU_DEP_1) | instskip(SKIP_1) | instid1(VALU_DEP_1)
	v_fma_f64 v[14:15], v[16:17], v[141:142], v[14:15]
	s_waitcnt lgkmcnt(0)
	v_fma_f64 v[2:3], v[18:19], v[2:3], v[14:15]
	s_delay_alu instid0(VALU_DEP_1)
	v_add_f64 v[2:3], v[12:13], -v[2:3]
	scratch_store_b64 off, v[2:3], off offset:456
	v_cmpx_lt_u32_e32 56, v0
	s_cbranch_execz .LBB60_263
; %bb.262:
	scratch_load_b64 v[3:4], off, off offset:448
	v_mov_b32_e32 v2, v1
	scratch_store_b64 off, v[1:2], off offset:448
	s_waitcnt vmcnt(0)
	ds_store_b64 v5, v[3:4]
.LBB60_263:
	s_or_b32 exec_lo, exec_lo, s0
	s_waitcnt lgkmcnt(0)
	s_waitcnt_vscnt null, 0x0
	s_barrier
	buffer_gl0_inv
	s_clause 0x2
	scratch_load_b128 v[12:15], off, off offset:448
	scratch_load_b128 v[16:19], off, off offset:464
	scratch_load_b64 v[35:36], off, off offset:480
	ds_load_2addr_b64 v[139:142], v1 offset0:119 offset1:120
	ds_load_2addr_b64 v[1:4], v1 offset0:121 offset1:122
	s_mov_b32 s0, exec_lo
	s_waitcnt vmcnt(2) lgkmcnt(1)
	v_fma_f64 v[14:15], v[14:15], v[139:140], 0
	s_waitcnt vmcnt(1)
	s_delay_alu instid0(VALU_DEP_1) | instskip(SKIP_1) | instid1(VALU_DEP_1)
	v_fma_f64 v[14:15], v[16:17], v[141:142], v[14:15]
	s_waitcnt lgkmcnt(0)
	v_fma_f64 v[1:2], v[18:19], v[1:2], v[14:15]
	s_waitcnt vmcnt(0)
	s_delay_alu instid0(VALU_DEP_1) | instskip(NEXT) | instid1(VALU_DEP_1)
	v_fma_f64 v[1:2], v[35:36], v[3:4], v[1:2]
	v_add_f64 v[1:2], v[12:13], -v[1:2]
	scratch_store_b64 off, v[1:2], off offset:448
	v_cmpx_lt_u32_e32 55, v0
	s_cbranch_execz .LBB60_265
; %bb.264:
	scratch_load_b64 v[1:2], off, off offset:440
	v_mov_b32_e32 v3, 0
	s_delay_alu instid0(VALU_DEP_1)
	v_mov_b32_e32 v4, v3
	scratch_store_b64 off, v[3:4], off offset:440
	s_waitcnt vmcnt(0)
	ds_store_b64 v5, v[1:2]
.LBB60_265:
	s_or_b32 exec_lo, exec_lo, s0
	s_waitcnt lgkmcnt(0)
	s_waitcnt_vscnt null, 0x0
	s_barrier
	buffer_gl0_inv
	s_clause 0x2
	scratch_load_b128 v[12:15], off, off offset:440
	scratch_load_b128 v[16:19], off, off offset:456
	;; [unrolled: 1-line block ×3, first 2 shown]
	v_mov_b32_e32 v1, 0
	s_mov_b32 s0, exec_lo
	ds_load_b128 v[143:146], v1 offset:944
	s_waitcnt vmcnt(2) lgkmcnt(0)
	v_fma_f64 v[2:3], v[14:15], v[143:144], 0
	s_waitcnt vmcnt(1)
	s_delay_alu instid0(VALU_DEP_1)
	v_fma_f64 v[2:3], v[16:17], v[145:146], v[2:3]
	ds_load_b128 v[14:17], v1 offset:960
	s_waitcnt lgkmcnt(0)
	v_fma_f64 v[2:3], v[18:19], v[14:15], v[2:3]
	ds_load_b64 v[14:15], v1 offset:976
	s_waitcnt vmcnt(0)
	v_fma_f64 v[2:3], v[139:140], v[16:17], v[2:3]
	s_waitcnt lgkmcnt(0)
	s_delay_alu instid0(VALU_DEP_1) | instskip(NEXT) | instid1(VALU_DEP_1)
	v_fma_f64 v[2:3], v[141:142], v[14:15], v[2:3]
	v_add_f64 v[2:3], v[12:13], -v[2:3]
	scratch_store_b64 off, v[2:3], off offset:440
	v_cmpx_lt_u32_e32 54, v0
	s_cbranch_execz .LBB60_267
; %bb.266:
	scratch_load_b64 v[3:4], off, off offset:432
	v_mov_b32_e32 v2, v1
	scratch_store_b64 off, v[1:2], off offset:432
	s_waitcnt vmcnt(0)
	ds_store_b64 v5, v[3:4]
.LBB60_267:
	s_or_b32 exec_lo, exec_lo, s0
	s_waitcnt lgkmcnt(0)
	s_waitcnt_vscnt null, 0x0
	s_barrier
	buffer_gl0_inv
	s_clause 0x3
	scratch_load_b128 v[12:15], off, off offset:432
	scratch_load_b128 v[16:19], off, off offset:448
	;; [unrolled: 1-line block ×3, first 2 shown]
	scratch_load_b64 v[35:36], off, off offset:480
	ds_load_2addr_b64 v[143:146], v1 offset0:117 offset1:118
	s_mov_b32 s0, exec_lo
	s_waitcnt vmcnt(3) lgkmcnt(0)
	v_fma_f64 v[2:3], v[14:15], v[143:144], 0
	s_waitcnt vmcnt(2)
	s_delay_alu instid0(VALU_DEP_1) | instskip(SKIP_4) | instid1(VALU_DEP_1)
	v_fma_f64 v[2:3], v[16:17], v[145:146], v[2:3]
	ds_load_2addr_b64 v[14:17], v1 offset0:119 offset1:120
	s_waitcnt lgkmcnt(0)
	v_fma_f64 v[2:3], v[18:19], v[14:15], v[2:3]
	s_waitcnt vmcnt(1)
	v_fma_f64 v[14:15], v[139:140], v[16:17], v[2:3]
	ds_load_2addr_b64 v[1:4], v1 offset0:121 offset1:122
	s_waitcnt lgkmcnt(0)
	v_fma_f64 v[1:2], v[141:142], v[1:2], v[14:15]
	s_waitcnt vmcnt(0)
	s_delay_alu instid0(VALU_DEP_1) | instskip(NEXT) | instid1(VALU_DEP_1)
	v_fma_f64 v[1:2], v[35:36], v[3:4], v[1:2]
	v_add_f64 v[1:2], v[12:13], -v[1:2]
	scratch_store_b64 off, v[1:2], off offset:432
	v_cmpx_lt_u32_e32 53, v0
	s_cbranch_execz .LBB60_269
; %bb.268:
	scratch_load_b64 v[1:2], off, off offset:424
	v_mov_b32_e32 v3, 0
	s_delay_alu instid0(VALU_DEP_1)
	v_mov_b32_e32 v4, v3
	scratch_store_b64 off, v[3:4], off offset:424
	s_waitcnt vmcnt(0)
	ds_store_b64 v5, v[1:2]
.LBB60_269:
	s_or_b32 exec_lo, exec_lo, s0
	s_waitcnt lgkmcnt(0)
	s_waitcnt_vscnt null, 0x0
	s_barrier
	buffer_gl0_inv
	s_clause 0x3
	scratch_load_b128 v[12:15], off, off offset:424
	scratch_load_b128 v[16:19], off, off offset:440
	;; [unrolled: 1-line block ×4, first 2 shown]
	v_mov_b32_e32 v1, 0
	ds_load_b128 v[147:150], v1 offset:928
	ds_load_b128 v[151:154], v1 offset:944
	s_mov_b32 s0, exec_lo
	s_waitcnt vmcnt(3) lgkmcnt(1)
	v_fma_f64 v[2:3], v[14:15], v[147:148], 0
	s_waitcnt vmcnt(2)
	s_delay_alu instid0(VALU_DEP_1) | instskip(SKIP_1) | instid1(VALU_DEP_1)
	v_fma_f64 v[2:3], v[16:17], v[149:150], v[2:3]
	s_waitcnt lgkmcnt(0)
	v_fma_f64 v[2:3], v[18:19], v[151:152], v[2:3]
	ds_load_b128 v[14:17], v1 offset:960
	ds_load_b64 v[18:19], v1 offset:976
	s_waitcnt vmcnt(1)
	v_fma_f64 v[2:3], v[139:140], v[153:154], v[2:3]
	s_waitcnt lgkmcnt(1)
	s_delay_alu instid0(VALU_DEP_1) | instskip(SKIP_1) | instid1(VALU_DEP_1)
	v_fma_f64 v[2:3], v[141:142], v[14:15], v[2:3]
	s_waitcnt vmcnt(0)
	v_fma_f64 v[2:3], v[143:144], v[16:17], v[2:3]
	s_waitcnt lgkmcnt(0)
	s_delay_alu instid0(VALU_DEP_1) | instskip(NEXT) | instid1(VALU_DEP_1)
	v_fma_f64 v[2:3], v[145:146], v[18:19], v[2:3]
	v_add_f64 v[2:3], v[12:13], -v[2:3]
	scratch_store_b64 off, v[2:3], off offset:424
	v_cmpx_lt_u32_e32 52, v0
	s_cbranch_execz .LBB60_271
; %bb.270:
	scratch_load_b64 v[3:4], off, off offset:416
	v_mov_b32_e32 v2, v1
	scratch_store_b64 off, v[1:2], off offset:416
	s_waitcnt vmcnt(0)
	ds_store_b64 v5, v[3:4]
.LBB60_271:
	s_or_b32 exec_lo, exec_lo, s0
	s_waitcnt lgkmcnt(0)
	s_waitcnt_vscnt null, 0x0
	s_barrier
	buffer_gl0_inv
	s_clause 0x4
	scratch_load_b128 v[12:15], off, off offset:416
	scratch_load_b128 v[16:19], off, off offset:432
	;; [unrolled: 1-line block ×4, first 2 shown]
	scratch_load_b64 v[35:36], off, off offset:480
	ds_load_2addr_b64 v[147:150], v1 offset0:115 offset1:116
	ds_load_2addr_b64 v[151:154], v1 offset0:117 offset1:118
	s_mov_b32 s0, exec_lo
	s_waitcnt vmcnt(4) lgkmcnt(1)
	v_fma_f64 v[2:3], v[14:15], v[147:148], 0
	s_waitcnt vmcnt(3)
	s_delay_alu instid0(VALU_DEP_1) | instskip(SKIP_1) | instid1(VALU_DEP_1)
	v_fma_f64 v[2:3], v[16:17], v[149:150], v[2:3]
	s_waitcnt lgkmcnt(0)
	v_fma_f64 v[2:3], v[18:19], v[151:152], v[2:3]
	s_waitcnt vmcnt(2)
	s_delay_alu instid0(VALU_DEP_1)
	v_fma_f64 v[18:19], v[139:140], v[153:154], v[2:3]
	ds_load_2addr_b64 v[14:17], v1 offset0:119 offset1:120
	ds_load_2addr_b64 v[1:4], v1 offset0:121 offset1:122
	s_waitcnt lgkmcnt(1)
	v_fma_f64 v[14:15], v[141:142], v[14:15], v[18:19]
	s_waitcnt vmcnt(1)
	s_delay_alu instid0(VALU_DEP_1) | instskip(SKIP_1) | instid1(VALU_DEP_1)
	v_fma_f64 v[14:15], v[143:144], v[16:17], v[14:15]
	s_waitcnt lgkmcnt(0)
	v_fma_f64 v[1:2], v[145:146], v[1:2], v[14:15]
	s_waitcnt vmcnt(0)
	s_delay_alu instid0(VALU_DEP_1) | instskip(NEXT) | instid1(VALU_DEP_1)
	v_fma_f64 v[1:2], v[35:36], v[3:4], v[1:2]
	v_add_f64 v[1:2], v[12:13], -v[1:2]
	scratch_store_b64 off, v[1:2], off offset:416
	v_cmpx_lt_u32_e32 51, v0
	s_cbranch_execz .LBB60_273
; %bb.272:
	scratch_load_b64 v[1:2], off, off offset:408
	v_mov_b32_e32 v3, 0
	s_delay_alu instid0(VALU_DEP_1)
	v_mov_b32_e32 v4, v3
	scratch_store_b64 off, v[3:4], off offset:408
	s_waitcnt vmcnt(0)
	ds_store_b64 v5, v[1:2]
.LBB60_273:
	s_or_b32 exec_lo, exec_lo, s0
	s_waitcnt lgkmcnt(0)
	s_waitcnt_vscnt null, 0x0
	s_barrier
	buffer_gl0_inv
	s_clause 0x4
	scratch_load_b128 v[12:15], off, off offset:408
	scratch_load_b128 v[16:19], off, off offset:424
	;; [unrolled: 1-line block ×5, first 2 shown]
	v_mov_b32_e32 v1, 0
	ds_load_b128 v[151:154], v1 offset:912
	ds_load_b128 v[155:158], v1 offset:928
	s_mov_b32 s0, exec_lo
	s_waitcnt vmcnt(4) lgkmcnt(1)
	v_fma_f64 v[2:3], v[14:15], v[151:152], 0
	s_waitcnt vmcnt(3)
	s_delay_alu instid0(VALU_DEP_1)
	v_fma_f64 v[2:3], v[16:17], v[153:154], v[2:3]
	ds_load_b128 v[14:17], v1 offset:944
	ds_load_b128 v[151:154], v1 offset:960
	s_waitcnt lgkmcnt(2)
	v_fma_f64 v[2:3], v[18:19], v[155:156], v[2:3]
	s_waitcnt vmcnt(2)
	s_delay_alu instid0(VALU_DEP_1) | instskip(SKIP_1) | instid1(VALU_DEP_1)
	v_fma_f64 v[2:3], v[139:140], v[157:158], v[2:3]
	s_waitcnt lgkmcnt(1)
	v_fma_f64 v[2:3], v[141:142], v[14:15], v[2:3]
	ds_load_b64 v[14:15], v1 offset:976
	s_waitcnt vmcnt(1)
	v_fma_f64 v[2:3], v[143:144], v[16:17], v[2:3]
	s_waitcnt lgkmcnt(1)
	s_delay_alu instid0(VALU_DEP_1) | instskip(SKIP_1) | instid1(VALU_DEP_1)
	v_fma_f64 v[2:3], v[145:146], v[151:152], v[2:3]
	s_waitcnt vmcnt(0)
	v_fma_f64 v[2:3], v[147:148], v[153:154], v[2:3]
	s_waitcnt lgkmcnt(0)
	s_delay_alu instid0(VALU_DEP_1) | instskip(NEXT) | instid1(VALU_DEP_1)
	v_fma_f64 v[2:3], v[149:150], v[14:15], v[2:3]
	v_add_f64 v[2:3], v[12:13], -v[2:3]
	scratch_store_b64 off, v[2:3], off offset:408
	v_cmpx_lt_u32_e32 50, v0
	s_cbranch_execz .LBB60_275
; %bb.274:
	scratch_load_b64 v[3:4], off, off offset:400
	v_mov_b32_e32 v2, v1
	scratch_store_b64 off, v[1:2], off offset:400
	s_waitcnt vmcnt(0)
	ds_store_b64 v5, v[3:4]
.LBB60_275:
	s_or_b32 exec_lo, exec_lo, s0
	s_waitcnt lgkmcnt(0)
	s_waitcnt_vscnt null, 0x0
	s_barrier
	buffer_gl0_inv
	s_clause 0x4
	scratch_load_b128 v[12:15], off, off offset:400
	scratch_load_b128 v[16:19], off, off offset:416
	;; [unrolled: 1-line block ×5, first 2 shown]
	ds_load_2addr_b64 v[151:154], v1 offset0:113 offset1:114
	ds_load_2addr_b64 v[155:158], v1 offset0:115 offset1:116
	scratch_load_b64 v[35:36], off, off offset:480
	s_mov_b32 s0, exec_lo
	s_waitcnt vmcnt(5) lgkmcnt(1)
	v_fma_f64 v[2:3], v[14:15], v[151:152], 0
	s_waitcnt vmcnt(4)
	s_delay_alu instid0(VALU_DEP_1)
	v_fma_f64 v[2:3], v[16:17], v[153:154], v[2:3]
	ds_load_2addr_b64 v[14:17], v1 offset0:117 offset1:118
	ds_load_2addr_b64 v[151:154], v1 offset0:119 offset1:120
	s_waitcnt lgkmcnt(2)
	v_fma_f64 v[2:3], v[18:19], v[155:156], v[2:3]
	s_waitcnt vmcnt(3)
	s_delay_alu instid0(VALU_DEP_1) | instskip(SKIP_1) | instid1(VALU_DEP_1)
	v_fma_f64 v[2:3], v[139:140], v[157:158], v[2:3]
	s_waitcnt lgkmcnt(1)
	v_fma_f64 v[2:3], v[141:142], v[14:15], v[2:3]
	s_waitcnt vmcnt(2)
	s_delay_alu instid0(VALU_DEP_1) | instskip(SKIP_1) | instid1(VALU_DEP_1)
	v_fma_f64 v[2:3], v[143:144], v[16:17], v[2:3]
	s_waitcnt lgkmcnt(0)
	v_fma_f64 v[2:3], v[145:146], v[151:152], v[2:3]
	s_waitcnt vmcnt(1)
	s_delay_alu instid0(VALU_DEP_1) | instskip(SKIP_4) | instid1(VALU_DEP_1)
	v_fma_f64 v[14:15], v[147:148], v[153:154], v[2:3]
	ds_load_2addr_b64 v[1:4], v1 offset0:121 offset1:122
	s_waitcnt lgkmcnt(0)
	v_fma_f64 v[1:2], v[149:150], v[1:2], v[14:15]
	s_waitcnt vmcnt(0)
	v_fma_f64 v[1:2], v[35:36], v[3:4], v[1:2]
	s_delay_alu instid0(VALU_DEP_1)
	v_add_f64 v[1:2], v[12:13], -v[1:2]
	scratch_store_b64 off, v[1:2], off offset:400
	v_cmpx_lt_u32_e32 49, v0
	s_cbranch_execz .LBB60_277
; %bb.276:
	scratch_load_b64 v[1:2], off, off offset:392
	v_mov_b32_e32 v3, 0
	s_delay_alu instid0(VALU_DEP_1)
	v_mov_b32_e32 v4, v3
	scratch_store_b64 off, v[3:4], off offset:392
	s_waitcnt vmcnt(0)
	ds_store_b64 v5, v[1:2]
.LBB60_277:
	s_or_b32 exec_lo, exec_lo, s0
	s_waitcnt lgkmcnt(0)
	s_waitcnt_vscnt null, 0x0
	s_barrier
	buffer_gl0_inv
	s_clause 0x4
	scratch_load_b128 v[12:15], off, off offset:392
	scratch_load_b128 v[16:19], off, off offset:408
	;; [unrolled: 1-line block ×5, first 2 shown]
	v_mov_b32_e32 v1, 0
	ds_load_b128 v[151:154], v1 offset:896
	ds_load_b128 v[155:158], v1 offset:912
	scratch_load_b128 v[159:162], off, off offset:472
	s_mov_b32 s0, exec_lo
	s_waitcnt vmcnt(5) lgkmcnt(1)
	v_fma_f64 v[2:3], v[14:15], v[151:152], 0
	s_waitcnt vmcnt(4)
	s_delay_alu instid0(VALU_DEP_1)
	v_fma_f64 v[2:3], v[16:17], v[153:154], v[2:3]
	ds_load_b128 v[14:17], v1 offset:928
	ds_load_b128 v[151:154], v1 offset:944
	s_waitcnt lgkmcnt(2)
	v_fma_f64 v[2:3], v[18:19], v[155:156], v[2:3]
	s_waitcnt vmcnt(3)
	s_delay_alu instid0(VALU_DEP_1) | instskip(SKIP_1) | instid1(VALU_DEP_1)
	v_fma_f64 v[2:3], v[139:140], v[157:158], v[2:3]
	s_waitcnt lgkmcnt(1)
	v_fma_f64 v[2:3], v[141:142], v[14:15], v[2:3]
	s_waitcnt vmcnt(2)
	s_delay_alu instid0(VALU_DEP_1)
	v_fma_f64 v[2:3], v[143:144], v[16:17], v[2:3]
	ds_load_b128 v[14:17], v1 offset:960
	ds_load_b64 v[18:19], v1 offset:976
	s_waitcnt lgkmcnt(2)
	v_fma_f64 v[2:3], v[145:146], v[151:152], v[2:3]
	s_waitcnt vmcnt(1)
	s_delay_alu instid0(VALU_DEP_1) | instskip(SKIP_1) | instid1(VALU_DEP_1)
	v_fma_f64 v[2:3], v[147:148], v[153:154], v[2:3]
	s_waitcnt lgkmcnt(1)
	v_fma_f64 v[2:3], v[149:150], v[14:15], v[2:3]
	s_waitcnt vmcnt(0)
	s_delay_alu instid0(VALU_DEP_1) | instskip(SKIP_1) | instid1(VALU_DEP_1)
	v_fma_f64 v[2:3], v[159:160], v[16:17], v[2:3]
	s_waitcnt lgkmcnt(0)
	v_fma_f64 v[2:3], v[161:162], v[18:19], v[2:3]
	s_delay_alu instid0(VALU_DEP_1)
	v_add_f64 v[2:3], v[12:13], -v[2:3]
	scratch_store_b64 off, v[2:3], off offset:392
	v_cmpx_lt_u32_e32 48, v0
	s_cbranch_execz .LBB60_279
; %bb.278:
	scratch_load_b64 v[3:4], off, off offset:384
	v_mov_b32_e32 v2, v1
	scratch_store_b64 off, v[1:2], off offset:384
	s_waitcnt vmcnt(0)
	ds_store_b64 v5, v[3:4]
.LBB60_279:
	s_or_b32 exec_lo, exec_lo, s0
	s_waitcnt lgkmcnt(0)
	s_waitcnt_vscnt null, 0x0
	s_barrier
	buffer_gl0_inv
	s_clause 0x4
	scratch_load_b128 v[12:15], off, off offset:384
	scratch_load_b128 v[16:19], off, off offset:400
	;; [unrolled: 1-line block ×5, first 2 shown]
	ds_load_2addr_b64 v[151:154], v1 offset0:111 offset1:112
	ds_load_2addr_b64 v[155:158], v1 offset0:113 offset1:114
	scratch_load_b128 v[159:162], off, off offset:464
	s_mov_b32 s0, exec_lo
	s_waitcnt vmcnt(5) lgkmcnt(1)
	v_fma_f64 v[2:3], v[14:15], v[151:152], 0
	s_waitcnt vmcnt(4)
	s_delay_alu instid0(VALU_DEP_1) | instskip(SKIP_1) | instid1(VALU_DEP_1)
	v_fma_f64 v[2:3], v[16:17], v[153:154], v[2:3]
	s_waitcnt lgkmcnt(0)
	v_fma_f64 v[2:3], v[18:19], v[155:156], v[2:3]
	scratch_load_b64 v[18:19], off, off offset:480
	ds_load_2addr_b64 v[14:17], v1 offset0:115 offset1:116
	ds_load_2addr_b64 v[151:154], v1 offset0:117 offset1:118
	s_waitcnt vmcnt(4)
	v_fma_f64 v[2:3], v[139:140], v[157:158], v[2:3]
	s_waitcnt lgkmcnt(1)
	s_delay_alu instid0(VALU_DEP_1) | instskip(SKIP_1) | instid1(VALU_DEP_1)
	v_fma_f64 v[2:3], v[141:142], v[14:15], v[2:3]
	s_waitcnt vmcnt(3)
	v_fma_f64 v[2:3], v[143:144], v[16:17], v[2:3]
	s_waitcnt lgkmcnt(0)
	s_delay_alu instid0(VALU_DEP_1) | instskip(SKIP_1) | instid1(VALU_DEP_1)
	v_fma_f64 v[2:3], v[145:146], v[151:152], v[2:3]
	s_waitcnt vmcnt(2)
	v_fma_f64 v[35:36], v[147:148], v[153:154], v[2:3]
	ds_load_2addr_b64 v[14:17], v1 offset0:119 offset1:120
	ds_load_2addr_b64 v[1:4], v1 offset0:121 offset1:122
	s_waitcnt lgkmcnt(1)
	v_fma_f64 v[14:15], v[149:150], v[14:15], v[35:36]
	s_waitcnt vmcnt(1)
	s_delay_alu instid0(VALU_DEP_1) | instskip(SKIP_1) | instid1(VALU_DEP_1)
	v_fma_f64 v[14:15], v[159:160], v[16:17], v[14:15]
	s_waitcnt lgkmcnt(0)
	v_fma_f64 v[1:2], v[161:162], v[1:2], v[14:15]
	s_waitcnt vmcnt(0)
	s_delay_alu instid0(VALU_DEP_1) | instskip(NEXT) | instid1(VALU_DEP_1)
	v_fma_f64 v[1:2], v[18:19], v[3:4], v[1:2]
	v_add_f64 v[1:2], v[12:13], -v[1:2]
	scratch_store_b64 off, v[1:2], off offset:384
	v_cmpx_lt_u32_e32 47, v0
	s_cbranch_execz .LBB60_281
; %bb.280:
	scratch_load_b64 v[1:2], off, off offset:376
	v_mov_b32_e32 v3, 0
	s_delay_alu instid0(VALU_DEP_1)
	v_mov_b32_e32 v4, v3
	scratch_store_b64 off, v[3:4], off offset:376
	s_waitcnt vmcnt(0)
	ds_store_b64 v5, v[1:2]
.LBB60_281:
	s_or_b32 exec_lo, exec_lo, s0
	s_waitcnt lgkmcnt(0)
	s_waitcnt_vscnt null, 0x0
	s_barrier
	buffer_gl0_inv
	s_clause 0x4
	scratch_load_b128 v[12:15], off, off offset:376
	scratch_load_b128 v[16:19], off, off offset:392
	;; [unrolled: 1-line block ×5, first 2 shown]
	v_mov_b32_e32 v1, 0
	ds_load_b128 v[151:154], v1 offset:880
	ds_load_b128 v[155:158], v1 offset:896
	scratch_load_b128 v[159:162], off, off offset:456
	s_mov_b32 s0, exec_lo
	s_waitcnt vmcnt(5) lgkmcnt(1)
	v_fma_f64 v[2:3], v[14:15], v[151:152], 0
	s_waitcnt vmcnt(4)
	s_delay_alu instid0(VALU_DEP_1) | instskip(SKIP_4) | instid1(VALU_DEP_1)
	v_fma_f64 v[2:3], v[16:17], v[153:154], v[2:3]
	scratch_load_b128 v[14:17], off, off offset:472
	s_waitcnt lgkmcnt(0)
	v_fma_f64 v[2:3], v[18:19], v[155:156], v[2:3]
	s_waitcnt vmcnt(4)
	v_fma_f64 v[2:3], v[139:140], v[157:158], v[2:3]
	ds_load_b128 v[151:154], v1 offset:912
	ds_load_b128 v[155:158], v1 offset:928
	s_waitcnt lgkmcnt(1)
	v_fma_f64 v[2:3], v[141:142], v[151:152], v[2:3]
	s_waitcnt vmcnt(3)
	s_delay_alu instid0(VALU_DEP_1) | instskip(SKIP_1) | instid1(VALU_DEP_1)
	v_fma_f64 v[2:3], v[143:144], v[153:154], v[2:3]
	s_waitcnt lgkmcnt(0)
	v_fma_f64 v[2:3], v[145:146], v[155:156], v[2:3]
	ds_load_b128 v[139:142], v1 offset:944
	ds_load_b128 v[143:146], v1 offset:960
	s_waitcnt vmcnt(2)
	v_fma_f64 v[2:3], v[147:148], v[157:158], v[2:3]
	s_waitcnt lgkmcnt(1)
	s_delay_alu instid0(VALU_DEP_1) | instskip(SKIP_1) | instid1(VALU_DEP_1)
	v_fma_f64 v[2:3], v[149:150], v[139:140], v[2:3]
	s_waitcnt vmcnt(1)
	v_fma_f64 v[2:3], v[159:160], v[141:142], v[2:3]
	s_waitcnt lgkmcnt(0)
	s_delay_alu instid0(VALU_DEP_1) | instskip(SKIP_1) | instid1(VALU_DEP_1)
	v_fma_f64 v[2:3], v[161:162], v[143:144], v[2:3]
	s_waitcnt vmcnt(0)
	v_fma_f64 v[2:3], v[14:15], v[145:146], v[2:3]
	ds_load_b64 v[14:15], v1 offset:976
	s_waitcnt lgkmcnt(0)
	v_fma_f64 v[2:3], v[16:17], v[14:15], v[2:3]
	s_delay_alu instid0(VALU_DEP_1)
	v_add_f64 v[2:3], v[12:13], -v[2:3]
	scratch_store_b64 off, v[2:3], off offset:376
	v_cmpx_lt_u32_e32 46, v0
	s_cbranch_execz .LBB60_283
; %bb.282:
	scratch_load_b64 v[3:4], off, off offset:368
	v_mov_b32_e32 v2, v1
	scratch_store_b64 off, v[1:2], off offset:368
	s_waitcnt vmcnt(0)
	ds_store_b64 v5, v[3:4]
.LBB60_283:
	s_or_b32 exec_lo, exec_lo, s0
	s_waitcnt lgkmcnt(0)
	s_waitcnt_vscnt null, 0x0
	s_barrier
	buffer_gl0_inv
	s_clause 0x4
	scratch_load_b128 v[12:15], off, off offset:368
	scratch_load_b128 v[16:19], off, off offset:384
	;; [unrolled: 1-line block ×5, first 2 shown]
	ds_load_2addr_b64 v[151:154], v1 offset0:109 offset1:110
	ds_load_2addr_b64 v[155:158], v1 offset0:111 offset1:112
	scratch_load_b128 v[159:162], off, off offset:448
	s_mov_b32 s0, exec_lo
	s_waitcnt vmcnt(5) lgkmcnt(1)
	v_fma_f64 v[2:3], v[14:15], v[151:152], 0
	s_waitcnt vmcnt(4)
	s_delay_alu instid0(VALU_DEP_1) | instskip(SKIP_4) | instid1(VALU_DEP_1)
	v_fma_f64 v[2:3], v[16:17], v[153:154], v[2:3]
	scratch_load_b128 v[14:17], off, off offset:464
	s_waitcnt lgkmcnt(0)
	v_fma_f64 v[2:3], v[18:19], v[155:156], v[2:3]
	s_waitcnt vmcnt(4)
	v_fma_f64 v[2:3], v[139:140], v[157:158], v[2:3]
	ds_load_2addr_b64 v[151:154], v1 offset0:113 offset1:114
	ds_load_2addr_b64 v[155:158], v1 offset0:115 offset1:116
	scratch_load_b64 v[18:19], off, off offset:480
	s_waitcnt lgkmcnt(1)
	v_fma_f64 v[2:3], v[141:142], v[151:152], v[2:3]
	s_waitcnt vmcnt(4)
	s_delay_alu instid0(VALU_DEP_1) | instskip(SKIP_1) | instid1(VALU_DEP_1)
	v_fma_f64 v[2:3], v[143:144], v[153:154], v[2:3]
	s_waitcnt lgkmcnt(0)
	v_fma_f64 v[2:3], v[145:146], v[155:156], v[2:3]
	ds_load_2addr_b64 v[139:142], v1 offset0:117 offset1:118
	ds_load_2addr_b64 v[143:146], v1 offset0:119 offset1:120
	s_waitcnt vmcnt(3)
	v_fma_f64 v[2:3], v[147:148], v[157:158], v[2:3]
	s_waitcnt lgkmcnt(1)
	s_delay_alu instid0(VALU_DEP_1) | instskip(SKIP_1) | instid1(VALU_DEP_1)
	v_fma_f64 v[2:3], v[149:150], v[139:140], v[2:3]
	s_waitcnt vmcnt(2)
	v_fma_f64 v[2:3], v[159:160], v[141:142], v[2:3]
	s_waitcnt lgkmcnt(0)
	s_delay_alu instid0(VALU_DEP_1) | instskip(SKIP_1) | instid1(VALU_DEP_1)
	v_fma_f64 v[2:3], v[161:162], v[143:144], v[2:3]
	s_waitcnt vmcnt(1)
	v_fma_f64 v[14:15], v[14:15], v[145:146], v[2:3]
	ds_load_2addr_b64 v[1:4], v1 offset0:121 offset1:122
	s_waitcnt lgkmcnt(0)
	v_fma_f64 v[1:2], v[16:17], v[1:2], v[14:15]
	s_waitcnt vmcnt(0)
	s_delay_alu instid0(VALU_DEP_1) | instskip(NEXT) | instid1(VALU_DEP_1)
	v_fma_f64 v[1:2], v[18:19], v[3:4], v[1:2]
	v_add_f64 v[1:2], v[12:13], -v[1:2]
	scratch_store_b64 off, v[1:2], off offset:368
	v_cmpx_lt_u32_e32 45, v0
	s_cbranch_execz .LBB60_285
; %bb.284:
	scratch_load_b64 v[1:2], off, off offset:360
	v_mov_b32_e32 v3, 0
	s_delay_alu instid0(VALU_DEP_1)
	v_mov_b32_e32 v4, v3
	scratch_store_b64 off, v[3:4], off offset:360
	s_waitcnt vmcnt(0)
	ds_store_b64 v5, v[1:2]
.LBB60_285:
	s_or_b32 exec_lo, exec_lo, s0
	s_waitcnt lgkmcnt(0)
	s_waitcnt_vscnt null, 0x0
	s_barrier
	buffer_gl0_inv
	s_clause 0x4
	scratch_load_b128 v[12:15], off, off offset:360
	scratch_load_b128 v[16:19], off, off offset:376
	;; [unrolled: 1-line block ×5, first 2 shown]
	v_mov_b32_e32 v1, 0
	ds_load_b128 v[151:154], v1 offset:864
	ds_load_b128 v[155:158], v1 offset:880
	scratch_load_b128 v[159:162], off, off offset:440
	s_mov_b32 s0, exec_lo
	s_waitcnt vmcnt(5) lgkmcnt(1)
	v_fma_f64 v[2:3], v[14:15], v[151:152], 0
	s_waitcnt vmcnt(4)
	s_delay_alu instid0(VALU_DEP_1) | instskip(SKIP_4) | instid1(VALU_DEP_1)
	v_fma_f64 v[2:3], v[16:17], v[153:154], v[2:3]
	scratch_load_b128 v[14:17], off, off offset:456
	s_waitcnt lgkmcnt(0)
	v_fma_f64 v[2:3], v[18:19], v[155:156], v[2:3]
	s_waitcnt vmcnt(4)
	v_fma_f64 v[2:3], v[139:140], v[157:158], v[2:3]
	ds_load_b128 v[151:154], v1 offset:896
	ds_load_b128 v[155:158], v1 offset:912
	s_waitcnt lgkmcnt(1)
	v_fma_f64 v[2:3], v[141:142], v[151:152], v[2:3]
	scratch_load_b128 v[139:142], off, off offset:472
	s_waitcnt vmcnt(4)
	v_fma_f64 v[2:3], v[143:144], v[153:154], v[2:3]
	s_waitcnt lgkmcnt(0)
	s_delay_alu instid0(VALU_DEP_1)
	v_fma_f64 v[2:3], v[145:146], v[155:156], v[2:3]
	ds_load_b128 v[143:146], v1 offset:928
	ds_load_b128 v[151:154], v1 offset:944
	s_waitcnt vmcnt(3)
	v_fma_f64 v[2:3], v[147:148], v[157:158], v[2:3]
	s_waitcnt lgkmcnt(1)
	s_delay_alu instid0(VALU_DEP_1) | instskip(SKIP_1) | instid1(VALU_DEP_1)
	v_fma_f64 v[2:3], v[149:150], v[143:144], v[2:3]
	s_waitcnt vmcnt(2)
	v_fma_f64 v[2:3], v[159:160], v[145:146], v[2:3]
	s_waitcnt lgkmcnt(0)
	s_delay_alu instid0(VALU_DEP_1) | instskip(SKIP_1) | instid1(VALU_DEP_1)
	v_fma_f64 v[2:3], v[161:162], v[151:152], v[2:3]
	s_waitcnt vmcnt(1)
	v_fma_f64 v[2:3], v[14:15], v[153:154], v[2:3]
	ds_load_b128 v[143:146], v1 offset:960
	ds_load_b64 v[14:15], v1 offset:976
	s_waitcnt lgkmcnt(1)
	v_fma_f64 v[2:3], v[16:17], v[143:144], v[2:3]
	s_waitcnt vmcnt(0)
	s_delay_alu instid0(VALU_DEP_1) | instskip(SKIP_1) | instid1(VALU_DEP_1)
	v_fma_f64 v[2:3], v[139:140], v[145:146], v[2:3]
	s_waitcnt lgkmcnt(0)
	v_fma_f64 v[2:3], v[141:142], v[14:15], v[2:3]
	s_delay_alu instid0(VALU_DEP_1)
	v_add_f64 v[2:3], v[12:13], -v[2:3]
	scratch_store_b64 off, v[2:3], off offset:360
	v_cmpx_lt_u32_e32 44, v0
	s_cbranch_execz .LBB60_287
; %bb.286:
	scratch_load_b64 v[3:4], off, off offset:352
	v_mov_b32_e32 v2, v1
	scratch_store_b64 off, v[1:2], off offset:352
	s_waitcnt vmcnt(0)
	ds_store_b64 v5, v[3:4]
.LBB60_287:
	s_or_b32 exec_lo, exec_lo, s0
	s_waitcnt lgkmcnt(0)
	s_waitcnt_vscnt null, 0x0
	s_barrier
	buffer_gl0_inv
	s_clause 0x4
	scratch_load_b128 v[12:15], off, off offset:352
	scratch_load_b128 v[16:19], off, off offset:368
	;; [unrolled: 1-line block ×5, first 2 shown]
	ds_load_2addr_b64 v[151:154], v1 offset0:107 offset1:108
	ds_load_2addr_b64 v[155:158], v1 offset0:109 offset1:110
	scratch_load_b128 v[159:162], off, off offset:432
	s_mov_b32 s0, exec_lo
	s_waitcnt vmcnt(5) lgkmcnt(1)
	v_fma_f64 v[2:3], v[14:15], v[151:152], 0
	s_waitcnt vmcnt(4)
	s_delay_alu instid0(VALU_DEP_1) | instskip(SKIP_4) | instid1(VALU_DEP_1)
	v_fma_f64 v[2:3], v[16:17], v[153:154], v[2:3]
	scratch_load_b128 v[14:17], off, off offset:448
	s_waitcnt lgkmcnt(0)
	v_fma_f64 v[2:3], v[18:19], v[155:156], v[2:3]
	s_waitcnt vmcnt(4)
	v_fma_f64 v[2:3], v[139:140], v[157:158], v[2:3]
	ds_load_2addr_b64 v[151:154], v1 offset0:111 offset1:112
	ds_load_2addr_b64 v[155:158], v1 offset0:113 offset1:114
	scratch_load_b64 v[18:19], off, off offset:480
	s_waitcnt lgkmcnt(1)
	v_fma_f64 v[2:3], v[141:142], v[151:152], v[2:3]
	scratch_load_b128 v[139:142], off, off offset:464
	s_waitcnt vmcnt(5)
	v_fma_f64 v[2:3], v[143:144], v[153:154], v[2:3]
	s_waitcnt lgkmcnt(0)
	s_delay_alu instid0(VALU_DEP_1)
	v_fma_f64 v[2:3], v[145:146], v[155:156], v[2:3]
	ds_load_2addr_b64 v[143:146], v1 offset0:115 offset1:116
	ds_load_2addr_b64 v[151:154], v1 offset0:117 offset1:118
	s_waitcnt vmcnt(4)
	v_fma_f64 v[2:3], v[147:148], v[157:158], v[2:3]
	s_waitcnt lgkmcnt(1)
	s_delay_alu instid0(VALU_DEP_1) | instskip(SKIP_1) | instid1(VALU_DEP_1)
	v_fma_f64 v[2:3], v[149:150], v[143:144], v[2:3]
	s_waitcnt vmcnt(3)
	v_fma_f64 v[2:3], v[159:160], v[145:146], v[2:3]
	s_waitcnt lgkmcnt(0)
	s_delay_alu instid0(VALU_DEP_1) | instskip(SKIP_1) | instid1(VALU_DEP_1)
	v_fma_f64 v[2:3], v[161:162], v[151:152], v[2:3]
	s_waitcnt vmcnt(2)
	v_fma_f64 v[14:15], v[14:15], v[153:154], v[2:3]
	ds_load_2addr_b64 v[143:146], v1 offset0:119 offset1:120
	ds_load_2addr_b64 v[1:4], v1 offset0:121 offset1:122
	s_waitcnt lgkmcnt(1)
	v_fma_f64 v[14:15], v[16:17], v[143:144], v[14:15]
	s_waitcnt vmcnt(0)
	s_delay_alu instid0(VALU_DEP_1) | instskip(SKIP_1) | instid1(VALU_DEP_1)
	v_fma_f64 v[14:15], v[139:140], v[145:146], v[14:15]
	s_waitcnt lgkmcnt(0)
	v_fma_f64 v[1:2], v[141:142], v[1:2], v[14:15]
	s_delay_alu instid0(VALU_DEP_1) | instskip(NEXT) | instid1(VALU_DEP_1)
	v_fma_f64 v[1:2], v[18:19], v[3:4], v[1:2]
	v_add_f64 v[1:2], v[12:13], -v[1:2]
	scratch_store_b64 off, v[1:2], off offset:352
	v_cmpx_lt_u32_e32 43, v0
	s_cbranch_execz .LBB60_289
; %bb.288:
	scratch_load_b64 v[1:2], off, off offset:344
	v_mov_b32_e32 v3, 0
	s_delay_alu instid0(VALU_DEP_1)
	v_mov_b32_e32 v4, v3
	scratch_store_b64 off, v[3:4], off offset:344
	s_waitcnt vmcnt(0)
	ds_store_b64 v5, v[1:2]
.LBB60_289:
	s_or_b32 exec_lo, exec_lo, s0
	s_waitcnt lgkmcnt(0)
	s_waitcnt_vscnt null, 0x0
	s_barrier
	buffer_gl0_inv
	s_clause 0x4
	scratch_load_b128 v[12:15], off, off offset:344
	scratch_load_b128 v[16:19], off, off offset:360
	;; [unrolled: 1-line block ×5, first 2 shown]
	v_mov_b32_e32 v1, 0
	ds_load_b128 v[151:154], v1 offset:848
	ds_load_b128 v[155:158], v1 offset:864
	scratch_load_b128 v[159:162], off, off offset:424
	s_mov_b32 s0, exec_lo
	s_waitcnt vmcnt(5) lgkmcnt(1)
	v_fma_f64 v[2:3], v[14:15], v[151:152], 0
	s_waitcnt vmcnt(4)
	s_delay_alu instid0(VALU_DEP_1) | instskip(SKIP_4) | instid1(VALU_DEP_1)
	v_fma_f64 v[2:3], v[16:17], v[153:154], v[2:3]
	scratch_load_b128 v[14:17], off, off offset:440
	s_waitcnt lgkmcnt(0)
	v_fma_f64 v[2:3], v[18:19], v[155:156], v[2:3]
	s_waitcnt vmcnt(4)
	v_fma_f64 v[2:3], v[139:140], v[157:158], v[2:3]
	ds_load_b128 v[151:154], v1 offset:880
	ds_load_b128 v[155:158], v1 offset:896
	s_waitcnt lgkmcnt(1)
	v_fma_f64 v[2:3], v[141:142], v[151:152], v[2:3]
	scratch_load_b128 v[139:142], off, off offset:456
	s_waitcnt vmcnt(4)
	v_fma_f64 v[2:3], v[143:144], v[153:154], v[2:3]
	s_waitcnt lgkmcnt(0)
	s_delay_alu instid0(VALU_DEP_1)
	v_fma_f64 v[2:3], v[145:146], v[155:156], v[2:3]
	scratch_load_b128 v[143:146], off, off offset:472
	s_waitcnt vmcnt(4)
	v_fma_f64 v[2:3], v[147:148], v[157:158], v[2:3]
	ds_load_b128 v[151:154], v1 offset:912
	ds_load_b128 v[155:158], v1 offset:928
	s_waitcnt lgkmcnt(1)
	v_fma_f64 v[2:3], v[149:150], v[151:152], v[2:3]
	s_waitcnt vmcnt(3)
	s_delay_alu instid0(VALU_DEP_1)
	v_fma_f64 v[2:3], v[159:160], v[153:154], v[2:3]
	ds_load_b128 v[147:150], v1 offset:944
	ds_load_b128 v[151:154], v1 offset:960
	s_waitcnt lgkmcnt(2)
	v_fma_f64 v[2:3], v[161:162], v[155:156], v[2:3]
	s_waitcnt vmcnt(2)
	s_delay_alu instid0(VALU_DEP_1) | instskip(SKIP_4) | instid1(VALU_DEP_1)
	v_fma_f64 v[2:3], v[14:15], v[157:158], v[2:3]
	ds_load_b64 v[14:15], v1 offset:976
	s_waitcnt lgkmcnt(2)
	v_fma_f64 v[2:3], v[16:17], v[147:148], v[2:3]
	s_waitcnt vmcnt(1)
	v_fma_f64 v[2:3], v[139:140], v[149:150], v[2:3]
	s_waitcnt lgkmcnt(1)
	s_delay_alu instid0(VALU_DEP_1) | instskip(SKIP_1) | instid1(VALU_DEP_1)
	v_fma_f64 v[2:3], v[141:142], v[151:152], v[2:3]
	s_waitcnt vmcnt(0)
	v_fma_f64 v[2:3], v[143:144], v[153:154], v[2:3]
	s_waitcnt lgkmcnt(0)
	s_delay_alu instid0(VALU_DEP_1) | instskip(NEXT) | instid1(VALU_DEP_1)
	v_fma_f64 v[2:3], v[145:146], v[14:15], v[2:3]
	v_add_f64 v[2:3], v[12:13], -v[2:3]
	scratch_store_b64 off, v[2:3], off offset:344
	v_cmpx_lt_u32_e32 42, v0
	s_cbranch_execz .LBB60_291
; %bb.290:
	scratch_load_b64 v[3:4], off, off offset:336
	v_mov_b32_e32 v2, v1
	scratch_store_b64 off, v[1:2], off offset:336
	s_waitcnt vmcnt(0)
	ds_store_b64 v5, v[3:4]
.LBB60_291:
	s_or_b32 exec_lo, exec_lo, s0
	s_waitcnt lgkmcnt(0)
	s_waitcnt_vscnt null, 0x0
	s_barrier
	buffer_gl0_inv
	s_clause 0x4
	scratch_load_b128 v[12:15], off, off offset:336
	scratch_load_b128 v[16:19], off, off offset:352
	;; [unrolled: 1-line block ×5, first 2 shown]
	ds_load_2addr_b64 v[151:154], v1 offset0:105 offset1:106
	ds_load_2addr_b64 v[155:158], v1 offset0:107 offset1:108
	scratch_load_b128 v[159:162], off, off offset:416
	s_mov_b32 s0, exec_lo
	s_waitcnt vmcnt(5) lgkmcnt(1)
	v_fma_f64 v[2:3], v[14:15], v[151:152], 0
	s_waitcnt vmcnt(4)
	s_delay_alu instid0(VALU_DEP_1) | instskip(SKIP_4) | instid1(VALU_DEP_1)
	v_fma_f64 v[2:3], v[16:17], v[153:154], v[2:3]
	scratch_load_b128 v[14:17], off, off offset:432
	s_waitcnt lgkmcnt(0)
	v_fma_f64 v[2:3], v[18:19], v[155:156], v[2:3]
	s_waitcnt vmcnt(4)
	v_fma_f64 v[2:3], v[139:140], v[157:158], v[2:3]
	ds_load_2addr_b64 v[151:154], v1 offset0:109 offset1:110
	ds_load_2addr_b64 v[155:158], v1 offset0:111 offset1:112
	s_waitcnt lgkmcnt(1)
	v_fma_f64 v[2:3], v[141:142], v[151:152], v[2:3]
	scratch_load_b128 v[139:142], off, off offset:448
	s_waitcnt vmcnt(4)
	v_fma_f64 v[2:3], v[143:144], v[153:154], v[2:3]
	s_waitcnt lgkmcnt(0)
	s_delay_alu instid0(VALU_DEP_1)
	v_fma_f64 v[2:3], v[145:146], v[155:156], v[2:3]
	scratch_load_b128 v[143:146], off, off offset:464
	s_waitcnt vmcnt(4)
	v_fma_f64 v[2:3], v[147:148], v[157:158], v[2:3]
	ds_load_2addr_b64 v[151:154], v1 offset0:113 offset1:114
	ds_load_2addr_b64 v[155:158], v1 offset0:115 offset1:116
	scratch_load_b64 v[18:19], off, off offset:480
	s_waitcnt lgkmcnt(1)
	v_fma_f64 v[2:3], v[149:150], v[151:152], v[2:3]
	s_waitcnt vmcnt(4)
	s_delay_alu instid0(VALU_DEP_1)
	v_fma_f64 v[2:3], v[159:160], v[153:154], v[2:3]
	ds_load_2addr_b64 v[147:150], v1 offset0:117 offset1:118
	ds_load_2addr_b64 v[151:154], v1 offset0:119 offset1:120
	s_waitcnt lgkmcnt(2)
	v_fma_f64 v[2:3], v[161:162], v[155:156], v[2:3]
	s_waitcnt vmcnt(3)
	s_delay_alu instid0(VALU_DEP_1) | instskip(SKIP_1) | instid1(VALU_DEP_1)
	v_fma_f64 v[2:3], v[14:15], v[157:158], v[2:3]
	s_waitcnt lgkmcnt(1)
	v_fma_f64 v[2:3], v[16:17], v[147:148], v[2:3]
	s_waitcnt vmcnt(2)
	s_delay_alu instid0(VALU_DEP_1) | instskip(SKIP_1) | instid1(VALU_DEP_1)
	v_fma_f64 v[2:3], v[139:140], v[149:150], v[2:3]
	s_waitcnt lgkmcnt(0)
	v_fma_f64 v[2:3], v[141:142], v[151:152], v[2:3]
	s_waitcnt vmcnt(1)
	s_delay_alu instid0(VALU_DEP_1) | instskip(SKIP_4) | instid1(VALU_DEP_1)
	v_fma_f64 v[14:15], v[143:144], v[153:154], v[2:3]
	ds_load_2addr_b64 v[1:4], v1 offset0:121 offset1:122
	s_waitcnt lgkmcnt(0)
	v_fma_f64 v[1:2], v[145:146], v[1:2], v[14:15]
	s_waitcnt vmcnt(0)
	v_fma_f64 v[1:2], v[18:19], v[3:4], v[1:2]
	s_delay_alu instid0(VALU_DEP_1)
	v_add_f64 v[1:2], v[12:13], -v[1:2]
	scratch_store_b64 off, v[1:2], off offset:336
	v_cmpx_lt_u32_e32 41, v0
	s_cbranch_execz .LBB60_293
; %bb.292:
	scratch_load_b64 v[1:2], off, off offset:328
	v_mov_b32_e32 v3, 0
	s_delay_alu instid0(VALU_DEP_1)
	v_mov_b32_e32 v4, v3
	scratch_store_b64 off, v[3:4], off offset:328
	s_waitcnt vmcnt(0)
	ds_store_b64 v5, v[1:2]
.LBB60_293:
	s_or_b32 exec_lo, exec_lo, s0
	s_waitcnt lgkmcnt(0)
	s_waitcnt_vscnt null, 0x0
	s_barrier
	buffer_gl0_inv
	s_clause 0x4
	scratch_load_b128 v[12:15], off, off offset:328
	scratch_load_b128 v[16:19], off, off offset:344
	;; [unrolled: 1-line block ×5, first 2 shown]
	v_mov_b32_e32 v1, 0
	ds_load_b128 v[151:154], v1 offset:832
	ds_load_b128 v[155:158], v1 offset:848
	scratch_load_b128 v[159:162], off, off offset:408
	s_mov_b32 s0, exec_lo
	s_waitcnt vmcnt(5) lgkmcnt(1)
	v_fma_f64 v[2:3], v[14:15], v[151:152], 0
	s_waitcnt vmcnt(4)
	s_delay_alu instid0(VALU_DEP_1) | instskip(SKIP_4) | instid1(VALU_DEP_1)
	v_fma_f64 v[2:3], v[16:17], v[153:154], v[2:3]
	scratch_load_b128 v[14:17], off, off offset:424
	s_waitcnt lgkmcnt(0)
	v_fma_f64 v[2:3], v[18:19], v[155:156], v[2:3]
	s_waitcnt vmcnt(4)
	v_fma_f64 v[2:3], v[139:140], v[157:158], v[2:3]
	ds_load_b128 v[151:154], v1 offset:864
	ds_load_b128 v[155:158], v1 offset:880
	s_waitcnt lgkmcnt(1)
	v_fma_f64 v[2:3], v[141:142], v[151:152], v[2:3]
	scratch_load_b128 v[139:142], off, off offset:440
	s_waitcnt vmcnt(4)
	v_fma_f64 v[2:3], v[143:144], v[153:154], v[2:3]
	s_waitcnt lgkmcnt(0)
	s_delay_alu instid0(VALU_DEP_1)
	v_fma_f64 v[2:3], v[145:146], v[155:156], v[2:3]
	scratch_load_b128 v[143:146], off, off offset:456
	s_waitcnt vmcnt(4)
	v_fma_f64 v[2:3], v[147:148], v[157:158], v[2:3]
	ds_load_b128 v[151:154], v1 offset:896
	ds_load_b128 v[155:158], v1 offset:912
	s_waitcnt lgkmcnt(1)
	v_fma_f64 v[2:3], v[149:150], v[151:152], v[2:3]
	scratch_load_b128 v[147:150], off, off offset:472
	s_waitcnt vmcnt(4)
	v_fma_f64 v[2:3], v[159:160], v[153:154], v[2:3]
	s_waitcnt lgkmcnt(0)
	s_delay_alu instid0(VALU_DEP_1) | instskip(SKIP_1) | instid1(VALU_DEP_1)
	v_fma_f64 v[2:3], v[161:162], v[155:156], v[2:3]
	s_waitcnt vmcnt(3)
	v_fma_f64 v[2:3], v[14:15], v[157:158], v[2:3]
	ds_load_b128 v[151:154], v1 offset:928
	ds_load_b128 v[155:158], v1 offset:944
	s_waitcnt lgkmcnt(1)
	v_fma_f64 v[2:3], v[16:17], v[151:152], v[2:3]
	ds_load_b128 v[14:17], v1 offset:960
	ds_load_b64 v[18:19], v1 offset:976
	s_waitcnt vmcnt(2)
	v_fma_f64 v[2:3], v[139:140], v[153:154], v[2:3]
	s_waitcnt lgkmcnt(2)
	s_delay_alu instid0(VALU_DEP_1) | instskip(SKIP_1) | instid1(VALU_DEP_1)
	v_fma_f64 v[2:3], v[141:142], v[155:156], v[2:3]
	s_waitcnt vmcnt(1)
	v_fma_f64 v[2:3], v[143:144], v[157:158], v[2:3]
	s_waitcnt lgkmcnt(1)
	s_delay_alu instid0(VALU_DEP_1) | instskip(SKIP_1) | instid1(VALU_DEP_1)
	v_fma_f64 v[2:3], v[145:146], v[14:15], v[2:3]
	s_waitcnt vmcnt(0)
	v_fma_f64 v[2:3], v[147:148], v[16:17], v[2:3]
	s_waitcnt lgkmcnt(0)
	s_delay_alu instid0(VALU_DEP_1) | instskip(NEXT) | instid1(VALU_DEP_1)
	v_fma_f64 v[2:3], v[149:150], v[18:19], v[2:3]
	v_add_f64 v[2:3], v[12:13], -v[2:3]
	scratch_store_b64 off, v[2:3], off offset:328
	v_cmpx_lt_u32_e32 40, v0
	s_cbranch_execz .LBB60_295
; %bb.294:
	scratch_load_b64 v[3:4], off, off offset:320
	v_mov_b32_e32 v2, v1
	scratch_store_b64 off, v[1:2], off offset:320
	s_waitcnt vmcnt(0)
	ds_store_b64 v5, v[3:4]
.LBB60_295:
	s_or_b32 exec_lo, exec_lo, s0
	s_waitcnt lgkmcnt(0)
	s_waitcnt_vscnt null, 0x0
	s_barrier
	buffer_gl0_inv
	s_clause 0x4
	scratch_load_b128 v[12:15], off, off offset:320
	scratch_load_b128 v[16:19], off, off offset:336
	;; [unrolled: 1-line block ×5, first 2 shown]
	ds_load_2addr_b64 v[151:154], v1 offset0:103 offset1:104
	ds_load_2addr_b64 v[155:158], v1 offset0:105 offset1:106
	scratch_load_b128 v[159:162], off, off offset:400
	s_mov_b32 s0, exec_lo
	s_waitcnt vmcnt(5) lgkmcnt(1)
	v_fma_f64 v[2:3], v[14:15], v[151:152], 0
	s_waitcnt vmcnt(4)
	s_delay_alu instid0(VALU_DEP_1) | instskip(SKIP_4) | instid1(VALU_DEP_1)
	v_fma_f64 v[2:3], v[16:17], v[153:154], v[2:3]
	scratch_load_b128 v[14:17], off, off offset:416
	s_waitcnt lgkmcnt(0)
	v_fma_f64 v[2:3], v[18:19], v[155:156], v[2:3]
	s_waitcnt vmcnt(4)
	v_fma_f64 v[2:3], v[139:140], v[157:158], v[2:3]
	ds_load_2addr_b64 v[151:154], v1 offset0:107 offset1:108
	ds_load_2addr_b64 v[155:158], v1 offset0:109 offset1:110
	s_waitcnt lgkmcnt(1)
	v_fma_f64 v[2:3], v[141:142], v[151:152], v[2:3]
	scratch_load_b128 v[139:142], off, off offset:432
	s_waitcnt vmcnt(4)
	v_fma_f64 v[2:3], v[143:144], v[153:154], v[2:3]
	s_waitcnt lgkmcnt(0)
	s_delay_alu instid0(VALU_DEP_1)
	v_fma_f64 v[2:3], v[145:146], v[155:156], v[2:3]
	scratch_load_b128 v[143:146], off, off offset:448
	s_waitcnt vmcnt(4)
	v_fma_f64 v[2:3], v[147:148], v[157:158], v[2:3]
	ds_load_2addr_b64 v[151:154], v1 offset0:111 offset1:112
	ds_load_2addr_b64 v[155:158], v1 offset0:113 offset1:114
	scratch_load_b64 v[18:19], off, off offset:480
	s_waitcnt lgkmcnt(1)
	v_fma_f64 v[2:3], v[149:150], v[151:152], v[2:3]
	scratch_load_b128 v[147:150], off, off offset:464
	s_waitcnt vmcnt(5)
	v_fma_f64 v[2:3], v[159:160], v[153:154], v[2:3]
	s_waitcnt lgkmcnt(0)
	s_delay_alu instid0(VALU_DEP_1) | instskip(SKIP_1) | instid1(VALU_DEP_1)
	v_fma_f64 v[2:3], v[161:162], v[155:156], v[2:3]
	s_waitcnt vmcnt(4)
	v_fma_f64 v[2:3], v[14:15], v[157:158], v[2:3]
	ds_load_2addr_b64 v[151:154], v1 offset0:115 offset1:116
	ds_load_2addr_b64 v[155:158], v1 offset0:117 offset1:118
	s_waitcnt lgkmcnt(1)
	v_fma_f64 v[2:3], v[16:17], v[151:152], v[2:3]
	s_waitcnt vmcnt(3)
	s_delay_alu instid0(VALU_DEP_1) | instskip(SKIP_1) | instid1(VALU_DEP_1)
	v_fma_f64 v[2:3], v[139:140], v[153:154], v[2:3]
	s_waitcnt lgkmcnt(0)
	v_fma_f64 v[2:3], v[141:142], v[155:156], v[2:3]
	s_waitcnt vmcnt(2)
	s_delay_alu instid0(VALU_DEP_1)
	v_fma_f64 v[35:36], v[143:144], v[157:158], v[2:3]
	ds_load_2addr_b64 v[14:17], v1 offset0:119 offset1:120
	ds_load_2addr_b64 v[1:4], v1 offset0:121 offset1:122
	s_waitcnt lgkmcnt(1)
	v_fma_f64 v[14:15], v[145:146], v[14:15], v[35:36]
	s_waitcnt vmcnt(0)
	s_delay_alu instid0(VALU_DEP_1) | instskip(SKIP_1) | instid1(VALU_DEP_1)
	v_fma_f64 v[14:15], v[147:148], v[16:17], v[14:15]
	s_waitcnt lgkmcnt(0)
	v_fma_f64 v[1:2], v[149:150], v[1:2], v[14:15]
	s_delay_alu instid0(VALU_DEP_1) | instskip(NEXT) | instid1(VALU_DEP_1)
	v_fma_f64 v[1:2], v[18:19], v[3:4], v[1:2]
	v_add_f64 v[1:2], v[12:13], -v[1:2]
	scratch_store_b64 off, v[1:2], off offset:320
	v_cmpx_lt_u32_e32 39, v0
	s_cbranch_execz .LBB60_297
; %bb.296:
	scratch_load_b64 v[1:2], off, off offset:312
	v_mov_b32_e32 v3, 0
	s_delay_alu instid0(VALU_DEP_1)
	v_mov_b32_e32 v4, v3
	scratch_store_b64 off, v[3:4], off offset:312
	s_waitcnt vmcnt(0)
	ds_store_b64 v5, v[1:2]
.LBB60_297:
	s_or_b32 exec_lo, exec_lo, s0
	s_waitcnt lgkmcnt(0)
	s_waitcnt_vscnt null, 0x0
	s_barrier
	buffer_gl0_inv
	s_clause 0x4
	scratch_load_b128 v[12:15], off, off offset:312
	scratch_load_b128 v[16:19], off, off offset:328
	scratch_load_b128 v[139:142], off, off offset:344
	scratch_load_b128 v[143:146], off, off offset:360
	scratch_load_b128 v[147:150], off, off offset:376
	v_mov_b32_e32 v1, 0
	ds_load_b128 v[151:154], v1 offset:816
	ds_load_b128 v[155:158], v1 offset:832
	scratch_load_b128 v[159:162], off, off offset:392
	s_mov_b32 s0, exec_lo
	s_waitcnt vmcnt(5) lgkmcnt(1)
	v_fma_f64 v[2:3], v[14:15], v[151:152], 0
	s_waitcnt vmcnt(4)
	s_delay_alu instid0(VALU_DEP_1) | instskip(SKIP_4) | instid1(VALU_DEP_1)
	v_fma_f64 v[2:3], v[16:17], v[153:154], v[2:3]
	scratch_load_b128 v[14:17], off, off offset:408
	s_waitcnt lgkmcnt(0)
	v_fma_f64 v[2:3], v[18:19], v[155:156], v[2:3]
	s_waitcnt vmcnt(4)
	v_fma_f64 v[2:3], v[139:140], v[157:158], v[2:3]
	ds_load_b128 v[151:154], v1 offset:848
	ds_load_b128 v[155:158], v1 offset:864
	s_waitcnt lgkmcnt(1)
	v_fma_f64 v[2:3], v[141:142], v[151:152], v[2:3]
	scratch_load_b128 v[139:142], off, off offset:424
	s_waitcnt vmcnt(4)
	v_fma_f64 v[2:3], v[143:144], v[153:154], v[2:3]
	s_waitcnt lgkmcnt(0)
	s_delay_alu instid0(VALU_DEP_1)
	v_fma_f64 v[2:3], v[145:146], v[155:156], v[2:3]
	scratch_load_b128 v[143:146], off, off offset:440
	s_waitcnt vmcnt(4)
	v_fma_f64 v[2:3], v[147:148], v[157:158], v[2:3]
	ds_load_b128 v[151:154], v1 offset:880
	ds_load_b128 v[155:158], v1 offset:896
	s_waitcnt lgkmcnt(1)
	v_fma_f64 v[2:3], v[149:150], v[151:152], v[2:3]
	scratch_load_b128 v[147:150], off, off offset:456
	s_waitcnt vmcnt(4)
	v_fma_f64 v[2:3], v[159:160], v[153:154], v[2:3]
	scratch_load_b128 v[151:154], off, off offset:472
	s_waitcnt lgkmcnt(0)
	v_fma_f64 v[2:3], v[161:162], v[155:156], v[2:3]
	s_waitcnt vmcnt(4)
	s_delay_alu instid0(VALU_DEP_1)
	v_fma_f64 v[2:3], v[14:15], v[157:158], v[2:3]
	ds_load_b128 v[155:158], v1 offset:912
	ds_load_b128 v[159:162], v1 offset:928
	s_waitcnt lgkmcnt(1)
	v_fma_f64 v[2:3], v[16:17], v[155:156], v[2:3]
	s_waitcnt vmcnt(3)
	s_delay_alu instid0(VALU_DEP_1) | instskip(SKIP_1) | instid1(VALU_DEP_1)
	v_fma_f64 v[2:3], v[139:140], v[157:158], v[2:3]
	s_waitcnt lgkmcnt(0)
	v_fma_f64 v[2:3], v[141:142], v[159:160], v[2:3]
	ds_load_b128 v[14:17], v1 offset:944
	ds_load_b128 v[139:142], v1 offset:960
	s_waitcnt vmcnt(2)
	v_fma_f64 v[2:3], v[143:144], v[161:162], v[2:3]
	s_waitcnt lgkmcnt(1)
	s_delay_alu instid0(VALU_DEP_1) | instskip(SKIP_4) | instid1(VALU_DEP_1)
	v_fma_f64 v[2:3], v[145:146], v[14:15], v[2:3]
	ds_load_b64 v[14:15], v1 offset:976
	s_waitcnt vmcnt(1)
	v_fma_f64 v[2:3], v[147:148], v[16:17], v[2:3]
	s_waitcnt lgkmcnt(1)
	v_fma_f64 v[2:3], v[149:150], v[139:140], v[2:3]
	s_waitcnt vmcnt(0)
	s_delay_alu instid0(VALU_DEP_1) | instskip(SKIP_1) | instid1(VALU_DEP_1)
	v_fma_f64 v[2:3], v[151:152], v[141:142], v[2:3]
	s_waitcnt lgkmcnt(0)
	v_fma_f64 v[2:3], v[153:154], v[14:15], v[2:3]
	s_delay_alu instid0(VALU_DEP_1)
	v_add_f64 v[2:3], v[12:13], -v[2:3]
	scratch_store_b64 off, v[2:3], off offset:312
	v_cmpx_lt_u32_e32 38, v0
	s_cbranch_execz .LBB60_299
; %bb.298:
	scratch_load_b64 v[3:4], off, off offset:304
	v_mov_b32_e32 v2, v1
	scratch_store_b64 off, v[1:2], off offset:304
	s_waitcnt vmcnt(0)
	ds_store_b64 v5, v[3:4]
.LBB60_299:
	s_or_b32 exec_lo, exec_lo, s0
	s_waitcnt lgkmcnt(0)
	s_waitcnt_vscnt null, 0x0
	s_barrier
	buffer_gl0_inv
	s_clause 0x4
	scratch_load_b128 v[12:15], off, off offset:304
	scratch_load_b128 v[16:19], off, off offset:320
	scratch_load_b128 v[139:142], off, off offset:336
	scratch_load_b128 v[143:146], off, off offset:352
	scratch_load_b128 v[147:150], off, off offset:368
	ds_load_2addr_b64 v[151:154], v1 offset0:101 offset1:102
	ds_load_2addr_b64 v[155:158], v1 offset0:103 offset1:104
	scratch_load_b128 v[159:162], off, off offset:384
	s_mov_b32 s0, exec_lo
	s_waitcnt vmcnt(5) lgkmcnt(1)
	v_fma_f64 v[2:3], v[14:15], v[151:152], 0
	s_waitcnt vmcnt(4)
	s_delay_alu instid0(VALU_DEP_1) | instskip(SKIP_4) | instid1(VALU_DEP_1)
	v_fma_f64 v[2:3], v[16:17], v[153:154], v[2:3]
	scratch_load_b128 v[14:17], off, off offset:400
	s_waitcnt lgkmcnt(0)
	v_fma_f64 v[2:3], v[18:19], v[155:156], v[2:3]
	s_waitcnt vmcnt(4)
	v_fma_f64 v[2:3], v[139:140], v[157:158], v[2:3]
	ds_load_2addr_b64 v[151:154], v1 offset0:105 offset1:106
	ds_load_2addr_b64 v[155:158], v1 offset0:107 offset1:108
	s_waitcnt lgkmcnt(1)
	v_fma_f64 v[2:3], v[141:142], v[151:152], v[2:3]
	scratch_load_b128 v[139:142], off, off offset:416
	s_waitcnt vmcnt(4)
	v_fma_f64 v[2:3], v[143:144], v[153:154], v[2:3]
	s_waitcnt lgkmcnt(0)
	s_delay_alu instid0(VALU_DEP_1)
	v_fma_f64 v[2:3], v[145:146], v[155:156], v[2:3]
	scratch_load_b128 v[143:146], off, off offset:432
	s_waitcnt vmcnt(4)
	v_fma_f64 v[2:3], v[147:148], v[157:158], v[2:3]
	ds_load_2addr_b64 v[151:154], v1 offset0:109 offset1:110
	ds_load_2addr_b64 v[155:158], v1 offset0:111 offset1:112
	s_waitcnt lgkmcnt(1)
	v_fma_f64 v[2:3], v[149:150], v[151:152], v[2:3]
	scratch_load_b128 v[147:150], off, off offset:448
	s_waitcnt vmcnt(4)
	v_fma_f64 v[2:3], v[159:160], v[153:154], v[2:3]
	scratch_load_b128 v[151:154], off, off offset:464
	s_waitcnt lgkmcnt(0)
	v_fma_f64 v[2:3], v[161:162], v[155:156], v[2:3]
	s_waitcnt vmcnt(4)
	s_delay_alu instid0(VALU_DEP_1)
	v_fma_f64 v[2:3], v[14:15], v[157:158], v[2:3]
	ds_load_2addr_b64 v[155:158], v1 offset0:113 offset1:114
	ds_load_2addr_b64 v[159:162], v1 offset0:115 offset1:116
	scratch_load_b64 v[18:19], off, off offset:480
	s_waitcnt lgkmcnt(1)
	v_fma_f64 v[2:3], v[16:17], v[155:156], v[2:3]
	s_waitcnt vmcnt(4)
	s_delay_alu instid0(VALU_DEP_1) | instskip(SKIP_1) | instid1(VALU_DEP_1)
	v_fma_f64 v[2:3], v[139:140], v[157:158], v[2:3]
	s_waitcnt lgkmcnt(0)
	v_fma_f64 v[2:3], v[141:142], v[159:160], v[2:3]
	ds_load_2addr_b64 v[14:17], v1 offset0:117 offset1:118
	ds_load_2addr_b64 v[139:142], v1 offset0:119 offset1:120
	s_waitcnt vmcnt(3)
	v_fma_f64 v[2:3], v[143:144], v[161:162], v[2:3]
	s_waitcnt lgkmcnt(1)
	s_delay_alu instid0(VALU_DEP_1) | instskip(SKIP_1) | instid1(VALU_DEP_1)
	v_fma_f64 v[2:3], v[145:146], v[14:15], v[2:3]
	s_waitcnt vmcnt(2)
	v_fma_f64 v[2:3], v[147:148], v[16:17], v[2:3]
	s_waitcnt lgkmcnt(0)
	s_delay_alu instid0(VALU_DEP_1) | instskip(SKIP_1) | instid1(VALU_DEP_1)
	v_fma_f64 v[2:3], v[149:150], v[139:140], v[2:3]
	s_waitcnt vmcnt(1)
	v_fma_f64 v[14:15], v[151:152], v[141:142], v[2:3]
	ds_load_2addr_b64 v[1:4], v1 offset0:121 offset1:122
	s_waitcnt lgkmcnt(0)
	v_fma_f64 v[1:2], v[153:154], v[1:2], v[14:15]
	s_waitcnt vmcnt(0)
	s_delay_alu instid0(VALU_DEP_1) | instskip(NEXT) | instid1(VALU_DEP_1)
	v_fma_f64 v[1:2], v[18:19], v[3:4], v[1:2]
	v_add_f64 v[1:2], v[12:13], -v[1:2]
	scratch_store_b64 off, v[1:2], off offset:304
	v_cmpx_lt_u32_e32 37, v0
	s_cbranch_execz .LBB60_301
; %bb.300:
	scratch_load_b64 v[1:2], off, off offset:296
	v_mov_b32_e32 v3, 0
	s_delay_alu instid0(VALU_DEP_1)
	v_mov_b32_e32 v4, v3
	scratch_store_b64 off, v[3:4], off offset:296
	s_waitcnt vmcnt(0)
	ds_store_b64 v5, v[1:2]
.LBB60_301:
	s_or_b32 exec_lo, exec_lo, s0
	s_waitcnt lgkmcnt(0)
	s_waitcnt_vscnt null, 0x0
	s_barrier
	buffer_gl0_inv
	s_clause 0x4
	scratch_load_b128 v[12:15], off, off offset:296
	scratch_load_b128 v[16:19], off, off offset:312
	;; [unrolled: 1-line block ×5, first 2 shown]
	v_mov_b32_e32 v1, 0
	ds_load_b128 v[151:154], v1 offset:800
	ds_load_b128 v[155:158], v1 offset:816
	scratch_load_b128 v[159:162], off, off offset:376
	s_mov_b32 s0, exec_lo
	s_waitcnt vmcnt(5) lgkmcnt(1)
	v_fma_f64 v[2:3], v[14:15], v[151:152], 0
	s_waitcnt vmcnt(4)
	s_delay_alu instid0(VALU_DEP_1) | instskip(SKIP_4) | instid1(VALU_DEP_1)
	v_fma_f64 v[2:3], v[16:17], v[153:154], v[2:3]
	scratch_load_b128 v[14:17], off, off offset:392
	s_waitcnt lgkmcnt(0)
	v_fma_f64 v[2:3], v[18:19], v[155:156], v[2:3]
	s_waitcnt vmcnt(4)
	v_fma_f64 v[2:3], v[139:140], v[157:158], v[2:3]
	ds_load_b128 v[151:154], v1 offset:832
	ds_load_b128 v[155:158], v1 offset:848
	s_waitcnt lgkmcnt(1)
	v_fma_f64 v[2:3], v[141:142], v[151:152], v[2:3]
	scratch_load_b128 v[139:142], off, off offset:408
	s_waitcnt vmcnt(4)
	v_fma_f64 v[2:3], v[143:144], v[153:154], v[2:3]
	s_waitcnt lgkmcnt(0)
	s_delay_alu instid0(VALU_DEP_1)
	v_fma_f64 v[2:3], v[145:146], v[155:156], v[2:3]
	scratch_load_b128 v[143:146], off, off offset:424
	s_waitcnt vmcnt(4)
	v_fma_f64 v[2:3], v[147:148], v[157:158], v[2:3]
	ds_load_b128 v[151:154], v1 offset:864
	ds_load_b128 v[155:158], v1 offset:880
	s_waitcnt lgkmcnt(1)
	v_fma_f64 v[2:3], v[149:150], v[151:152], v[2:3]
	scratch_load_b128 v[147:150], off, off offset:440
	s_waitcnt vmcnt(4)
	v_fma_f64 v[2:3], v[159:160], v[153:154], v[2:3]
	scratch_load_b128 v[151:154], off, off offset:456
	s_waitcnt lgkmcnt(0)
	v_fma_f64 v[2:3], v[161:162], v[155:156], v[2:3]
	s_waitcnt vmcnt(4)
	s_delay_alu instid0(VALU_DEP_1)
	v_fma_f64 v[2:3], v[14:15], v[157:158], v[2:3]
	ds_load_b128 v[155:158], v1 offset:896
	ds_load_b128 v[159:162], v1 offset:912
	s_waitcnt lgkmcnt(1)
	v_fma_f64 v[2:3], v[16:17], v[155:156], v[2:3]
	scratch_load_b128 v[14:17], off, off offset:472
	s_waitcnt vmcnt(4)
	v_fma_f64 v[2:3], v[139:140], v[157:158], v[2:3]
	s_waitcnt lgkmcnt(0)
	s_delay_alu instid0(VALU_DEP_1)
	v_fma_f64 v[2:3], v[141:142], v[159:160], v[2:3]
	ds_load_b128 v[139:142], v1 offset:928
	ds_load_b128 v[155:158], v1 offset:944
	s_waitcnt vmcnt(3)
	v_fma_f64 v[2:3], v[143:144], v[161:162], v[2:3]
	s_waitcnt lgkmcnt(1)
	s_delay_alu instid0(VALU_DEP_1) | instskip(SKIP_1) | instid1(VALU_DEP_1)
	v_fma_f64 v[2:3], v[145:146], v[139:140], v[2:3]
	s_waitcnt vmcnt(2)
	v_fma_f64 v[2:3], v[147:148], v[141:142], v[2:3]
	ds_load_b128 v[139:142], v1 offset:960
	ds_load_b64 v[18:19], v1 offset:976
	s_waitcnt lgkmcnt(2)
	v_fma_f64 v[2:3], v[149:150], v[155:156], v[2:3]
	s_waitcnt vmcnt(1)
	s_delay_alu instid0(VALU_DEP_1) | instskip(SKIP_1) | instid1(VALU_DEP_1)
	v_fma_f64 v[2:3], v[151:152], v[157:158], v[2:3]
	s_waitcnt lgkmcnt(1)
	v_fma_f64 v[2:3], v[153:154], v[139:140], v[2:3]
	s_waitcnt vmcnt(0)
	s_delay_alu instid0(VALU_DEP_1) | instskip(SKIP_1) | instid1(VALU_DEP_1)
	v_fma_f64 v[2:3], v[14:15], v[141:142], v[2:3]
	s_waitcnt lgkmcnt(0)
	v_fma_f64 v[2:3], v[16:17], v[18:19], v[2:3]
	s_delay_alu instid0(VALU_DEP_1)
	v_add_f64 v[2:3], v[12:13], -v[2:3]
	scratch_store_b64 off, v[2:3], off offset:296
	v_cmpx_lt_u32_e32 36, v0
	s_cbranch_execz .LBB60_303
; %bb.302:
	scratch_load_b64 v[3:4], off, off offset:288
	v_mov_b32_e32 v2, v1
	scratch_store_b64 off, v[1:2], off offset:288
	s_waitcnt vmcnt(0)
	ds_store_b64 v5, v[3:4]
.LBB60_303:
	s_or_b32 exec_lo, exec_lo, s0
	s_waitcnt lgkmcnt(0)
	s_waitcnt_vscnt null, 0x0
	s_barrier
	buffer_gl0_inv
	s_clause 0x4
	scratch_load_b128 v[12:15], off, off offset:288
	scratch_load_b128 v[16:19], off, off offset:304
	;; [unrolled: 1-line block ×5, first 2 shown]
	ds_load_2addr_b64 v[151:154], v1 offset0:99 offset1:100
	ds_load_2addr_b64 v[155:158], v1 offset0:101 offset1:102
	scratch_load_b128 v[159:162], off, off offset:368
	s_mov_b32 s0, exec_lo
	s_waitcnt vmcnt(5) lgkmcnt(1)
	v_fma_f64 v[2:3], v[14:15], v[151:152], 0
	s_waitcnt vmcnt(4)
	s_delay_alu instid0(VALU_DEP_1) | instskip(SKIP_4) | instid1(VALU_DEP_1)
	v_fma_f64 v[2:3], v[16:17], v[153:154], v[2:3]
	scratch_load_b128 v[14:17], off, off offset:384
	s_waitcnt lgkmcnt(0)
	v_fma_f64 v[2:3], v[18:19], v[155:156], v[2:3]
	s_waitcnt vmcnt(4)
	v_fma_f64 v[2:3], v[139:140], v[157:158], v[2:3]
	ds_load_2addr_b64 v[151:154], v1 offset0:103 offset1:104
	ds_load_2addr_b64 v[155:158], v1 offset0:105 offset1:106
	s_waitcnt lgkmcnt(1)
	v_fma_f64 v[2:3], v[141:142], v[151:152], v[2:3]
	scratch_load_b128 v[139:142], off, off offset:400
	s_waitcnt vmcnt(4)
	v_fma_f64 v[2:3], v[143:144], v[153:154], v[2:3]
	s_waitcnt lgkmcnt(0)
	s_delay_alu instid0(VALU_DEP_1)
	v_fma_f64 v[2:3], v[145:146], v[155:156], v[2:3]
	scratch_load_b128 v[143:146], off, off offset:416
	s_waitcnt vmcnt(4)
	v_fma_f64 v[2:3], v[147:148], v[157:158], v[2:3]
	ds_load_2addr_b64 v[151:154], v1 offset0:107 offset1:108
	ds_load_2addr_b64 v[155:158], v1 offset0:109 offset1:110
	s_waitcnt lgkmcnt(1)
	v_fma_f64 v[2:3], v[149:150], v[151:152], v[2:3]
	scratch_load_b128 v[147:150], off, off offset:432
	s_waitcnt vmcnt(4)
	v_fma_f64 v[2:3], v[159:160], v[153:154], v[2:3]
	scratch_load_b128 v[151:154], off, off offset:448
	s_waitcnt lgkmcnt(0)
	v_fma_f64 v[2:3], v[161:162], v[155:156], v[2:3]
	s_waitcnt vmcnt(4)
	s_delay_alu instid0(VALU_DEP_1)
	v_fma_f64 v[2:3], v[14:15], v[157:158], v[2:3]
	ds_load_2addr_b64 v[155:158], v1 offset0:111 offset1:112
	ds_load_2addr_b64 v[159:162], v1 offset0:113 offset1:114
	scratch_load_b64 v[18:19], off, off offset:480
	s_waitcnt lgkmcnt(1)
	v_fma_f64 v[2:3], v[16:17], v[155:156], v[2:3]
	scratch_load_b128 v[14:17], off, off offset:464
	s_waitcnt vmcnt(5)
	v_fma_f64 v[2:3], v[139:140], v[157:158], v[2:3]
	s_waitcnt lgkmcnt(0)
	s_delay_alu instid0(VALU_DEP_1)
	v_fma_f64 v[2:3], v[141:142], v[159:160], v[2:3]
	ds_load_2addr_b64 v[139:142], v1 offset0:115 offset1:116
	ds_load_2addr_b64 v[155:158], v1 offset0:117 offset1:118
	s_waitcnt vmcnt(4)
	v_fma_f64 v[2:3], v[143:144], v[161:162], v[2:3]
	s_waitcnt lgkmcnt(1)
	s_delay_alu instid0(VALU_DEP_1) | instskip(SKIP_1) | instid1(VALU_DEP_1)
	v_fma_f64 v[2:3], v[145:146], v[139:140], v[2:3]
	s_waitcnt vmcnt(3)
	v_fma_f64 v[2:3], v[147:148], v[141:142], v[2:3]
	s_waitcnt lgkmcnt(0)
	s_delay_alu instid0(VALU_DEP_1) | instskip(SKIP_1) | instid1(VALU_DEP_1)
	v_fma_f64 v[2:3], v[149:150], v[155:156], v[2:3]
	s_waitcnt vmcnt(2)
	v_fma_f64 v[35:36], v[151:152], v[157:158], v[2:3]
	ds_load_2addr_b64 v[139:142], v1 offset0:119 offset1:120
	ds_load_2addr_b64 v[1:4], v1 offset0:121 offset1:122
	s_waitcnt lgkmcnt(1)
	v_fma_f64 v[35:36], v[153:154], v[139:140], v[35:36]
	s_waitcnt vmcnt(0)
	s_delay_alu instid0(VALU_DEP_1) | instskip(SKIP_1) | instid1(VALU_DEP_1)
	v_fma_f64 v[14:15], v[14:15], v[141:142], v[35:36]
	s_waitcnt lgkmcnt(0)
	v_fma_f64 v[1:2], v[16:17], v[1:2], v[14:15]
	s_delay_alu instid0(VALU_DEP_1) | instskip(NEXT) | instid1(VALU_DEP_1)
	v_fma_f64 v[1:2], v[18:19], v[3:4], v[1:2]
	v_add_f64 v[1:2], v[12:13], -v[1:2]
	scratch_store_b64 off, v[1:2], off offset:288
	v_cmpx_lt_u32_e32 35, v0
	s_cbranch_execz .LBB60_305
; %bb.304:
	scratch_load_b64 v[1:2], off, off offset:280
	v_mov_b32_e32 v3, 0
	s_delay_alu instid0(VALU_DEP_1)
	v_mov_b32_e32 v4, v3
	scratch_store_b64 off, v[3:4], off offset:280
	s_waitcnt vmcnt(0)
	ds_store_b64 v5, v[1:2]
.LBB60_305:
	s_or_b32 exec_lo, exec_lo, s0
	s_waitcnt lgkmcnt(0)
	s_waitcnt_vscnt null, 0x0
	s_barrier
	buffer_gl0_inv
	s_clause 0x4
	scratch_load_b128 v[12:15], off, off offset:280
	scratch_load_b128 v[16:19], off, off offset:296
	;; [unrolled: 1-line block ×5, first 2 shown]
	v_mov_b32_e32 v1, 0
	ds_load_b128 v[151:154], v1 offset:784
	ds_load_b128 v[155:158], v1 offset:800
	scratch_load_b128 v[159:162], off, off offset:360
	s_mov_b32 s0, exec_lo
	s_waitcnt vmcnt(5) lgkmcnt(1)
	v_fma_f64 v[2:3], v[14:15], v[151:152], 0
	s_waitcnt vmcnt(4)
	s_delay_alu instid0(VALU_DEP_1) | instskip(SKIP_4) | instid1(VALU_DEP_1)
	v_fma_f64 v[2:3], v[16:17], v[153:154], v[2:3]
	scratch_load_b128 v[14:17], off, off offset:376
	s_waitcnt lgkmcnt(0)
	v_fma_f64 v[2:3], v[18:19], v[155:156], v[2:3]
	s_waitcnt vmcnt(4)
	v_fma_f64 v[2:3], v[139:140], v[157:158], v[2:3]
	ds_load_b128 v[151:154], v1 offset:816
	ds_load_b128 v[155:158], v1 offset:832
	s_waitcnt lgkmcnt(1)
	v_fma_f64 v[2:3], v[141:142], v[151:152], v[2:3]
	scratch_load_b128 v[139:142], off, off offset:392
	s_waitcnt vmcnt(4)
	v_fma_f64 v[2:3], v[143:144], v[153:154], v[2:3]
	s_waitcnt lgkmcnt(0)
	s_delay_alu instid0(VALU_DEP_1)
	v_fma_f64 v[2:3], v[145:146], v[155:156], v[2:3]
	scratch_load_b128 v[143:146], off, off offset:408
	s_waitcnt vmcnt(4)
	v_fma_f64 v[2:3], v[147:148], v[157:158], v[2:3]
	ds_load_b128 v[151:154], v1 offset:848
	ds_load_b128 v[155:158], v1 offset:864
	s_waitcnt lgkmcnt(1)
	v_fma_f64 v[2:3], v[149:150], v[151:152], v[2:3]
	scratch_load_b128 v[147:150], off, off offset:424
	s_waitcnt vmcnt(4)
	v_fma_f64 v[2:3], v[159:160], v[153:154], v[2:3]
	scratch_load_b128 v[151:154], off, off offset:440
	s_waitcnt lgkmcnt(0)
	v_fma_f64 v[2:3], v[161:162], v[155:156], v[2:3]
	s_waitcnt vmcnt(4)
	s_delay_alu instid0(VALU_DEP_1)
	v_fma_f64 v[2:3], v[14:15], v[157:158], v[2:3]
	ds_load_b128 v[155:158], v1 offset:880
	ds_load_b128 v[159:162], v1 offset:896
	s_waitcnt lgkmcnt(1)
	v_fma_f64 v[2:3], v[16:17], v[155:156], v[2:3]
	scratch_load_b128 v[14:17], off, off offset:456
	s_waitcnt vmcnt(4)
	v_fma_f64 v[2:3], v[139:140], v[157:158], v[2:3]
	s_waitcnt lgkmcnt(0)
	s_delay_alu instid0(VALU_DEP_1)
	v_fma_f64 v[2:3], v[141:142], v[159:160], v[2:3]
	scratch_load_b128 v[139:142], off, off offset:472
	s_waitcnt vmcnt(4)
	v_fma_f64 v[2:3], v[143:144], v[161:162], v[2:3]
	ds_load_b128 v[155:158], v1 offset:912
	ds_load_b128 v[159:162], v1 offset:928
	s_waitcnt lgkmcnt(1)
	v_fma_f64 v[2:3], v[145:146], v[155:156], v[2:3]
	s_waitcnt vmcnt(3)
	s_delay_alu instid0(VALU_DEP_1) | instskip(SKIP_1) | instid1(VALU_DEP_1)
	v_fma_f64 v[2:3], v[147:148], v[157:158], v[2:3]
	s_waitcnt lgkmcnt(0)
	v_fma_f64 v[2:3], v[149:150], v[159:160], v[2:3]
	ds_load_b128 v[143:146], v1 offset:944
	ds_load_b128 v[147:150], v1 offset:960
	s_waitcnt vmcnt(2)
	v_fma_f64 v[2:3], v[151:152], v[161:162], v[2:3]
	s_waitcnt lgkmcnt(1)
	s_delay_alu instid0(VALU_DEP_1) | instskip(SKIP_1) | instid1(VALU_DEP_1)
	v_fma_f64 v[2:3], v[153:154], v[143:144], v[2:3]
	s_waitcnt vmcnt(1)
	v_fma_f64 v[2:3], v[14:15], v[145:146], v[2:3]
	ds_load_b64 v[14:15], v1 offset:976
	s_waitcnt lgkmcnt(1)
	v_fma_f64 v[2:3], v[16:17], v[147:148], v[2:3]
	s_waitcnt vmcnt(0)
	s_delay_alu instid0(VALU_DEP_1) | instskip(SKIP_1) | instid1(VALU_DEP_1)
	v_fma_f64 v[2:3], v[139:140], v[149:150], v[2:3]
	s_waitcnt lgkmcnt(0)
	v_fma_f64 v[2:3], v[141:142], v[14:15], v[2:3]
	s_delay_alu instid0(VALU_DEP_1)
	v_add_f64 v[2:3], v[12:13], -v[2:3]
	scratch_store_b64 off, v[2:3], off offset:280
	v_cmpx_lt_u32_e32 34, v0
	s_cbranch_execz .LBB60_307
; %bb.306:
	scratch_load_b64 v[3:4], off, off offset:272
	v_mov_b32_e32 v2, v1
	scratch_store_b64 off, v[1:2], off offset:272
	s_waitcnt vmcnt(0)
	ds_store_b64 v5, v[3:4]
.LBB60_307:
	s_or_b32 exec_lo, exec_lo, s0
	s_waitcnt lgkmcnt(0)
	s_waitcnt_vscnt null, 0x0
	s_barrier
	buffer_gl0_inv
	s_clause 0x4
	scratch_load_b128 v[12:15], off, off offset:272
	scratch_load_b128 v[16:19], off, off offset:288
	;; [unrolled: 1-line block ×5, first 2 shown]
	ds_load_2addr_b64 v[151:154], v1 offset0:97 offset1:98
	ds_load_2addr_b64 v[155:158], v1 offset0:99 offset1:100
	scratch_load_b128 v[159:162], off, off offset:352
	s_mov_b32 s0, exec_lo
	s_waitcnt vmcnt(5) lgkmcnt(1)
	v_fma_f64 v[2:3], v[14:15], v[151:152], 0
	s_waitcnt vmcnt(4)
	s_delay_alu instid0(VALU_DEP_1) | instskip(SKIP_4) | instid1(VALU_DEP_1)
	v_fma_f64 v[2:3], v[16:17], v[153:154], v[2:3]
	scratch_load_b128 v[14:17], off, off offset:368
	s_waitcnt lgkmcnt(0)
	v_fma_f64 v[2:3], v[18:19], v[155:156], v[2:3]
	s_waitcnt vmcnt(4)
	v_fma_f64 v[2:3], v[139:140], v[157:158], v[2:3]
	ds_load_2addr_b64 v[151:154], v1 offset0:101 offset1:102
	ds_load_2addr_b64 v[155:158], v1 offset0:103 offset1:104
	s_waitcnt lgkmcnt(1)
	v_fma_f64 v[2:3], v[141:142], v[151:152], v[2:3]
	scratch_load_b128 v[139:142], off, off offset:384
	s_waitcnt vmcnt(4)
	v_fma_f64 v[2:3], v[143:144], v[153:154], v[2:3]
	s_waitcnt lgkmcnt(0)
	s_delay_alu instid0(VALU_DEP_1)
	v_fma_f64 v[2:3], v[145:146], v[155:156], v[2:3]
	scratch_load_b128 v[143:146], off, off offset:400
	s_waitcnt vmcnt(4)
	v_fma_f64 v[2:3], v[147:148], v[157:158], v[2:3]
	ds_load_2addr_b64 v[151:154], v1 offset0:105 offset1:106
	ds_load_2addr_b64 v[155:158], v1 offset0:107 offset1:108
	s_waitcnt lgkmcnt(1)
	v_fma_f64 v[2:3], v[149:150], v[151:152], v[2:3]
	scratch_load_b128 v[147:150], off, off offset:416
	s_waitcnt vmcnt(4)
	v_fma_f64 v[2:3], v[159:160], v[153:154], v[2:3]
	scratch_load_b128 v[151:154], off, off offset:432
	s_waitcnt lgkmcnt(0)
	v_fma_f64 v[2:3], v[161:162], v[155:156], v[2:3]
	s_waitcnt vmcnt(4)
	s_delay_alu instid0(VALU_DEP_1)
	v_fma_f64 v[2:3], v[14:15], v[157:158], v[2:3]
	ds_load_2addr_b64 v[155:158], v1 offset0:109 offset1:110
	ds_load_2addr_b64 v[159:162], v1 offset0:111 offset1:112
	s_waitcnt lgkmcnt(1)
	v_fma_f64 v[2:3], v[16:17], v[155:156], v[2:3]
	scratch_load_b128 v[14:17], off, off offset:448
	s_waitcnt vmcnt(4)
	v_fma_f64 v[2:3], v[139:140], v[157:158], v[2:3]
	s_waitcnt lgkmcnt(0)
	s_delay_alu instid0(VALU_DEP_1)
	v_fma_f64 v[2:3], v[141:142], v[159:160], v[2:3]
	scratch_load_b128 v[139:142], off, off offset:464
	s_waitcnt vmcnt(4)
	v_fma_f64 v[2:3], v[143:144], v[161:162], v[2:3]
	ds_load_2addr_b64 v[155:158], v1 offset0:113 offset1:114
	ds_load_2addr_b64 v[159:162], v1 offset0:115 offset1:116
	scratch_load_b64 v[18:19], off, off offset:480
	s_waitcnt lgkmcnt(1)
	v_fma_f64 v[2:3], v[145:146], v[155:156], v[2:3]
	s_waitcnt vmcnt(4)
	s_delay_alu instid0(VALU_DEP_1) | instskip(SKIP_1) | instid1(VALU_DEP_1)
	v_fma_f64 v[2:3], v[147:148], v[157:158], v[2:3]
	s_waitcnt lgkmcnt(0)
	v_fma_f64 v[2:3], v[149:150], v[159:160], v[2:3]
	ds_load_2addr_b64 v[143:146], v1 offset0:117 offset1:118
	ds_load_2addr_b64 v[147:150], v1 offset0:119 offset1:120
	s_waitcnt vmcnt(3)
	v_fma_f64 v[2:3], v[151:152], v[161:162], v[2:3]
	s_waitcnt lgkmcnt(1)
	s_delay_alu instid0(VALU_DEP_1) | instskip(SKIP_1) | instid1(VALU_DEP_1)
	v_fma_f64 v[2:3], v[153:154], v[143:144], v[2:3]
	s_waitcnt vmcnt(2)
	v_fma_f64 v[2:3], v[14:15], v[145:146], v[2:3]
	s_waitcnt lgkmcnt(0)
	s_delay_alu instid0(VALU_DEP_1) | instskip(SKIP_1) | instid1(VALU_DEP_1)
	v_fma_f64 v[2:3], v[16:17], v[147:148], v[2:3]
	s_waitcnt vmcnt(1)
	v_fma_f64 v[14:15], v[139:140], v[149:150], v[2:3]
	ds_load_2addr_b64 v[1:4], v1 offset0:121 offset1:122
	s_waitcnt lgkmcnt(0)
	v_fma_f64 v[1:2], v[141:142], v[1:2], v[14:15]
	s_waitcnt vmcnt(0)
	s_delay_alu instid0(VALU_DEP_1) | instskip(NEXT) | instid1(VALU_DEP_1)
	v_fma_f64 v[1:2], v[18:19], v[3:4], v[1:2]
	v_add_f64 v[1:2], v[12:13], -v[1:2]
	scratch_store_b64 off, v[1:2], off offset:272
	v_cmpx_lt_u32_e32 33, v0
	s_cbranch_execz .LBB60_309
; %bb.308:
	scratch_load_b64 v[1:2], off, off offset:264
	v_mov_b32_e32 v3, 0
	s_delay_alu instid0(VALU_DEP_1)
	v_mov_b32_e32 v4, v3
	scratch_store_b64 off, v[3:4], off offset:264
	s_waitcnt vmcnt(0)
	ds_store_b64 v5, v[1:2]
.LBB60_309:
	s_or_b32 exec_lo, exec_lo, s0
	s_waitcnt lgkmcnt(0)
	s_waitcnt_vscnt null, 0x0
	s_barrier
	buffer_gl0_inv
	s_clause 0x4
	scratch_load_b128 v[12:15], off, off offset:264
	scratch_load_b128 v[16:19], off, off offset:280
	scratch_load_b128 v[139:142], off, off offset:296
	scratch_load_b128 v[143:146], off, off offset:312
	scratch_load_b128 v[147:150], off, off offset:328
	v_mov_b32_e32 v1, 0
	ds_load_b128 v[151:154], v1 offset:768
	ds_load_b128 v[155:158], v1 offset:784
	scratch_load_b128 v[159:162], off, off offset:344
	s_mov_b32 s0, exec_lo
	s_waitcnt vmcnt(5) lgkmcnt(1)
	v_fma_f64 v[2:3], v[14:15], v[151:152], 0
	s_waitcnt vmcnt(4)
	s_delay_alu instid0(VALU_DEP_1) | instskip(SKIP_4) | instid1(VALU_DEP_1)
	v_fma_f64 v[2:3], v[16:17], v[153:154], v[2:3]
	scratch_load_b128 v[14:17], off, off offset:360
	s_waitcnt lgkmcnt(0)
	v_fma_f64 v[2:3], v[18:19], v[155:156], v[2:3]
	s_waitcnt vmcnt(4)
	v_fma_f64 v[2:3], v[139:140], v[157:158], v[2:3]
	ds_load_b128 v[151:154], v1 offset:800
	ds_load_b128 v[155:158], v1 offset:816
	s_waitcnt lgkmcnt(1)
	v_fma_f64 v[2:3], v[141:142], v[151:152], v[2:3]
	scratch_load_b128 v[139:142], off, off offset:376
	s_waitcnt vmcnt(4)
	v_fma_f64 v[2:3], v[143:144], v[153:154], v[2:3]
	s_waitcnt lgkmcnt(0)
	s_delay_alu instid0(VALU_DEP_1)
	v_fma_f64 v[2:3], v[145:146], v[155:156], v[2:3]
	scratch_load_b128 v[143:146], off, off offset:392
	s_waitcnt vmcnt(4)
	v_fma_f64 v[2:3], v[147:148], v[157:158], v[2:3]
	ds_load_b128 v[151:154], v1 offset:832
	ds_load_b128 v[155:158], v1 offset:848
	s_waitcnt lgkmcnt(1)
	v_fma_f64 v[2:3], v[149:150], v[151:152], v[2:3]
	scratch_load_b128 v[147:150], off, off offset:408
	s_waitcnt vmcnt(4)
	v_fma_f64 v[2:3], v[159:160], v[153:154], v[2:3]
	scratch_load_b128 v[151:154], off, off offset:424
	s_waitcnt lgkmcnt(0)
	v_fma_f64 v[2:3], v[161:162], v[155:156], v[2:3]
	s_waitcnt vmcnt(4)
	s_delay_alu instid0(VALU_DEP_1)
	v_fma_f64 v[2:3], v[14:15], v[157:158], v[2:3]
	ds_load_b128 v[155:158], v1 offset:864
	ds_load_b128 v[159:162], v1 offset:880
	s_waitcnt lgkmcnt(1)
	v_fma_f64 v[2:3], v[16:17], v[155:156], v[2:3]
	scratch_load_b128 v[14:17], off, off offset:440
	s_waitcnt vmcnt(4)
	v_fma_f64 v[2:3], v[139:140], v[157:158], v[2:3]
	s_waitcnt lgkmcnt(0)
	s_delay_alu instid0(VALU_DEP_1)
	v_fma_f64 v[2:3], v[141:142], v[159:160], v[2:3]
	scratch_load_b128 v[139:142], off, off offset:456
	s_waitcnt vmcnt(4)
	v_fma_f64 v[2:3], v[143:144], v[161:162], v[2:3]
	ds_load_b128 v[155:158], v1 offset:896
	ds_load_b128 v[159:162], v1 offset:912
	s_waitcnt lgkmcnt(1)
	v_fma_f64 v[2:3], v[145:146], v[155:156], v[2:3]
	scratch_load_b128 v[143:146], off, off offset:472
	s_waitcnt vmcnt(4)
	v_fma_f64 v[2:3], v[147:148], v[157:158], v[2:3]
	s_waitcnt lgkmcnt(0)
	s_delay_alu instid0(VALU_DEP_1)
	v_fma_f64 v[2:3], v[149:150], v[159:160], v[2:3]
	ds_load_b128 v[147:150], v1 offset:928
	ds_load_b128 v[155:158], v1 offset:944
	s_waitcnt vmcnt(3)
	v_fma_f64 v[2:3], v[151:152], v[161:162], v[2:3]
	s_waitcnt lgkmcnt(1)
	s_delay_alu instid0(VALU_DEP_1) | instskip(SKIP_1) | instid1(VALU_DEP_1)
	v_fma_f64 v[2:3], v[153:154], v[147:148], v[2:3]
	s_waitcnt vmcnt(2)
	v_fma_f64 v[2:3], v[14:15], v[149:150], v[2:3]
	s_waitcnt lgkmcnt(0)
	s_delay_alu instid0(VALU_DEP_1)
	v_fma_f64 v[2:3], v[16:17], v[155:156], v[2:3]
	ds_load_b128 v[14:17], v1 offset:960
	ds_load_b64 v[18:19], v1 offset:976
	s_waitcnt vmcnt(1)
	v_fma_f64 v[2:3], v[139:140], v[157:158], v[2:3]
	s_waitcnt lgkmcnt(1)
	s_delay_alu instid0(VALU_DEP_1) | instskip(SKIP_1) | instid1(VALU_DEP_1)
	v_fma_f64 v[2:3], v[141:142], v[14:15], v[2:3]
	s_waitcnt vmcnt(0)
	v_fma_f64 v[2:3], v[143:144], v[16:17], v[2:3]
	s_waitcnt lgkmcnt(0)
	s_delay_alu instid0(VALU_DEP_1) | instskip(NEXT) | instid1(VALU_DEP_1)
	v_fma_f64 v[2:3], v[145:146], v[18:19], v[2:3]
	v_add_f64 v[2:3], v[12:13], -v[2:3]
	scratch_store_b64 off, v[2:3], off offset:264
	v_cmpx_lt_u32_e32 32, v0
	s_cbranch_execz .LBB60_311
; %bb.310:
	scratch_load_b64 v[3:4], off, off offset:256
	v_mov_b32_e32 v2, v1
	scratch_store_b64 off, v[1:2], off offset:256
	s_waitcnt vmcnt(0)
	ds_store_b64 v5, v[3:4]
.LBB60_311:
	s_or_b32 exec_lo, exec_lo, s0
	s_waitcnt lgkmcnt(0)
	s_waitcnt_vscnt null, 0x0
	s_barrier
	buffer_gl0_inv
	s_clause 0x4
	scratch_load_b128 v[12:15], off, off offset:256
	scratch_load_b128 v[16:19], off, off offset:272
	;; [unrolled: 1-line block ×5, first 2 shown]
	ds_load_2addr_b64 v[151:154], v1 offset0:95 offset1:96
	ds_load_2addr_b64 v[155:158], v1 offset0:97 offset1:98
	scratch_load_b128 v[159:162], off, off offset:336
	s_mov_b32 s0, exec_lo
	s_waitcnt vmcnt(5) lgkmcnt(1)
	v_fma_f64 v[2:3], v[14:15], v[151:152], 0
	s_waitcnt vmcnt(4)
	s_delay_alu instid0(VALU_DEP_1) | instskip(SKIP_4) | instid1(VALU_DEP_1)
	v_fma_f64 v[2:3], v[16:17], v[153:154], v[2:3]
	scratch_load_b128 v[14:17], off, off offset:352
	s_waitcnt lgkmcnt(0)
	v_fma_f64 v[2:3], v[18:19], v[155:156], v[2:3]
	s_waitcnt vmcnt(4)
	v_fma_f64 v[2:3], v[139:140], v[157:158], v[2:3]
	ds_load_2addr_b64 v[151:154], v1 offset0:99 offset1:100
	ds_load_2addr_b64 v[155:158], v1 offset0:101 offset1:102
	s_waitcnt lgkmcnt(1)
	v_fma_f64 v[2:3], v[141:142], v[151:152], v[2:3]
	scratch_load_b128 v[139:142], off, off offset:368
	s_waitcnt vmcnt(4)
	v_fma_f64 v[2:3], v[143:144], v[153:154], v[2:3]
	s_waitcnt lgkmcnt(0)
	s_delay_alu instid0(VALU_DEP_1)
	v_fma_f64 v[2:3], v[145:146], v[155:156], v[2:3]
	scratch_load_b128 v[143:146], off, off offset:384
	s_waitcnt vmcnt(4)
	v_fma_f64 v[2:3], v[147:148], v[157:158], v[2:3]
	ds_load_2addr_b64 v[151:154], v1 offset0:103 offset1:104
	ds_load_2addr_b64 v[155:158], v1 offset0:105 offset1:106
	s_waitcnt lgkmcnt(1)
	v_fma_f64 v[2:3], v[149:150], v[151:152], v[2:3]
	scratch_load_b128 v[147:150], off, off offset:400
	s_waitcnt vmcnt(4)
	v_fma_f64 v[2:3], v[159:160], v[153:154], v[2:3]
	scratch_load_b128 v[151:154], off, off offset:416
	s_waitcnt lgkmcnt(0)
	v_fma_f64 v[2:3], v[161:162], v[155:156], v[2:3]
	s_waitcnt vmcnt(4)
	s_delay_alu instid0(VALU_DEP_1)
	v_fma_f64 v[2:3], v[14:15], v[157:158], v[2:3]
	ds_load_2addr_b64 v[155:158], v1 offset0:107 offset1:108
	ds_load_2addr_b64 v[159:162], v1 offset0:109 offset1:110
	s_waitcnt lgkmcnt(1)
	v_fma_f64 v[2:3], v[16:17], v[155:156], v[2:3]
	scratch_load_b128 v[14:17], off, off offset:432
	s_waitcnt vmcnt(4)
	v_fma_f64 v[2:3], v[139:140], v[157:158], v[2:3]
	s_waitcnt lgkmcnt(0)
	s_delay_alu instid0(VALU_DEP_1)
	v_fma_f64 v[2:3], v[141:142], v[159:160], v[2:3]
	scratch_load_b128 v[139:142], off, off offset:448
	s_waitcnt vmcnt(4)
	v_fma_f64 v[2:3], v[143:144], v[161:162], v[2:3]
	ds_load_2addr_b64 v[155:158], v1 offset0:111 offset1:112
	ds_load_2addr_b64 v[159:162], v1 offset0:113 offset1:114
	scratch_load_b64 v[18:19], off, off offset:480
	s_waitcnt lgkmcnt(1)
	v_fma_f64 v[2:3], v[145:146], v[155:156], v[2:3]
	scratch_load_b128 v[143:146], off, off offset:464
	s_waitcnt vmcnt(5)
	v_fma_f64 v[2:3], v[147:148], v[157:158], v[2:3]
	s_waitcnt lgkmcnt(0)
	s_delay_alu instid0(VALU_DEP_1)
	v_fma_f64 v[2:3], v[149:150], v[159:160], v[2:3]
	ds_load_2addr_b64 v[147:150], v1 offset0:115 offset1:116
	ds_load_2addr_b64 v[155:158], v1 offset0:117 offset1:118
	s_waitcnt vmcnt(4)
	v_fma_f64 v[2:3], v[151:152], v[161:162], v[2:3]
	s_waitcnt lgkmcnt(1)
	s_delay_alu instid0(VALU_DEP_1) | instskip(SKIP_1) | instid1(VALU_DEP_1)
	v_fma_f64 v[2:3], v[153:154], v[147:148], v[2:3]
	s_waitcnt vmcnt(3)
	v_fma_f64 v[2:3], v[14:15], v[149:150], v[2:3]
	s_waitcnt lgkmcnt(0)
	s_delay_alu instid0(VALU_DEP_1) | instskip(SKIP_1) | instid1(VALU_DEP_1)
	v_fma_f64 v[2:3], v[16:17], v[155:156], v[2:3]
	s_waitcnt vmcnt(2)
	v_fma_f64 v[35:36], v[139:140], v[157:158], v[2:3]
	ds_load_2addr_b64 v[14:17], v1 offset0:119 offset1:120
	ds_load_2addr_b64 v[1:4], v1 offset0:121 offset1:122
	s_waitcnt lgkmcnt(1)
	v_fma_f64 v[14:15], v[141:142], v[14:15], v[35:36]
	s_waitcnt vmcnt(0)
	s_delay_alu instid0(VALU_DEP_1) | instskip(SKIP_1) | instid1(VALU_DEP_1)
	v_fma_f64 v[14:15], v[143:144], v[16:17], v[14:15]
	s_waitcnt lgkmcnt(0)
	v_fma_f64 v[1:2], v[145:146], v[1:2], v[14:15]
	s_delay_alu instid0(VALU_DEP_1) | instskip(NEXT) | instid1(VALU_DEP_1)
	v_fma_f64 v[1:2], v[18:19], v[3:4], v[1:2]
	v_add_f64 v[1:2], v[12:13], -v[1:2]
	scratch_store_b64 off, v[1:2], off offset:256
	v_cmpx_lt_u32_e32 31, v0
	s_cbranch_execz .LBB60_313
; %bb.312:
	scratch_load_b64 v[1:2], off, off offset:248
	v_mov_b32_e32 v3, 0
	s_delay_alu instid0(VALU_DEP_1)
	v_mov_b32_e32 v4, v3
	scratch_store_b64 off, v[3:4], off offset:248
	s_waitcnt vmcnt(0)
	ds_store_b64 v5, v[1:2]
.LBB60_313:
	s_or_b32 exec_lo, exec_lo, s0
	s_waitcnt lgkmcnt(0)
	s_waitcnt_vscnt null, 0x0
	s_barrier
	buffer_gl0_inv
	s_clause 0x4
	scratch_load_b128 v[12:15], off, off offset:248
	scratch_load_b128 v[16:19], off, off offset:264
	;; [unrolled: 1-line block ×5, first 2 shown]
	v_mov_b32_e32 v1, 0
	ds_load_b128 v[151:154], v1 offset:752
	ds_load_b128 v[155:158], v1 offset:768
	scratch_load_b128 v[159:162], off, off offset:328
	s_mov_b32 s0, exec_lo
	s_waitcnt vmcnt(5) lgkmcnt(1)
	v_fma_f64 v[2:3], v[14:15], v[151:152], 0
	s_waitcnt vmcnt(4)
	s_delay_alu instid0(VALU_DEP_1) | instskip(SKIP_4) | instid1(VALU_DEP_1)
	v_fma_f64 v[2:3], v[16:17], v[153:154], v[2:3]
	scratch_load_b128 v[14:17], off, off offset:344
	s_waitcnt lgkmcnt(0)
	v_fma_f64 v[2:3], v[18:19], v[155:156], v[2:3]
	s_waitcnt vmcnt(4)
	v_fma_f64 v[2:3], v[139:140], v[157:158], v[2:3]
	ds_load_b128 v[151:154], v1 offset:784
	ds_load_b128 v[155:158], v1 offset:800
	s_waitcnt lgkmcnt(1)
	v_fma_f64 v[2:3], v[141:142], v[151:152], v[2:3]
	scratch_load_b128 v[139:142], off, off offset:360
	s_waitcnt vmcnt(4)
	v_fma_f64 v[2:3], v[143:144], v[153:154], v[2:3]
	s_waitcnt lgkmcnt(0)
	s_delay_alu instid0(VALU_DEP_1)
	v_fma_f64 v[2:3], v[145:146], v[155:156], v[2:3]
	scratch_load_b128 v[143:146], off, off offset:376
	s_waitcnt vmcnt(4)
	v_fma_f64 v[2:3], v[147:148], v[157:158], v[2:3]
	ds_load_b128 v[151:154], v1 offset:816
	ds_load_b128 v[155:158], v1 offset:832
	s_waitcnt lgkmcnt(1)
	v_fma_f64 v[2:3], v[149:150], v[151:152], v[2:3]
	scratch_load_b128 v[147:150], off, off offset:392
	s_waitcnt vmcnt(4)
	v_fma_f64 v[2:3], v[159:160], v[153:154], v[2:3]
	scratch_load_b128 v[151:154], off, off offset:408
	s_waitcnt lgkmcnt(0)
	v_fma_f64 v[2:3], v[161:162], v[155:156], v[2:3]
	s_waitcnt vmcnt(4)
	s_delay_alu instid0(VALU_DEP_1)
	v_fma_f64 v[2:3], v[14:15], v[157:158], v[2:3]
	ds_load_b128 v[155:158], v1 offset:848
	ds_load_b128 v[159:162], v1 offset:864
	s_waitcnt lgkmcnt(1)
	v_fma_f64 v[2:3], v[16:17], v[155:156], v[2:3]
	scratch_load_b128 v[14:17], off, off offset:424
	s_waitcnt vmcnt(4)
	v_fma_f64 v[2:3], v[139:140], v[157:158], v[2:3]
	s_waitcnt lgkmcnt(0)
	s_delay_alu instid0(VALU_DEP_1)
	v_fma_f64 v[2:3], v[141:142], v[159:160], v[2:3]
	scratch_load_b128 v[139:142], off, off offset:440
	s_waitcnt vmcnt(4)
	v_fma_f64 v[2:3], v[143:144], v[161:162], v[2:3]
	ds_load_b128 v[155:158], v1 offset:880
	ds_load_b128 v[159:162], v1 offset:896
	s_waitcnt lgkmcnt(1)
	v_fma_f64 v[2:3], v[145:146], v[155:156], v[2:3]
	scratch_load_b128 v[143:146], off, off offset:456
	s_waitcnt vmcnt(4)
	v_fma_f64 v[2:3], v[147:148], v[157:158], v[2:3]
	s_waitcnt lgkmcnt(0)
	s_delay_alu instid0(VALU_DEP_1)
	v_fma_f64 v[2:3], v[149:150], v[159:160], v[2:3]
	scratch_load_b128 v[147:150], off, off offset:472
	s_waitcnt vmcnt(4)
	v_fma_f64 v[2:3], v[151:152], v[161:162], v[2:3]
	ds_load_b128 v[155:158], v1 offset:912
	ds_load_b128 v[159:162], v1 offset:928
	s_waitcnt lgkmcnt(1)
	v_fma_f64 v[2:3], v[153:154], v[155:156], v[2:3]
	s_waitcnt vmcnt(3)
	s_delay_alu instid0(VALU_DEP_1) | instskip(SKIP_1) | instid1(VALU_DEP_1)
	v_fma_f64 v[2:3], v[14:15], v[157:158], v[2:3]
	s_waitcnt lgkmcnt(0)
	v_fma_f64 v[2:3], v[16:17], v[159:160], v[2:3]
	ds_load_b128 v[14:17], v1 offset:944
	ds_load_b128 v[151:154], v1 offset:960
	s_waitcnt vmcnt(2)
	v_fma_f64 v[2:3], v[139:140], v[161:162], v[2:3]
	s_waitcnt lgkmcnt(1)
	s_delay_alu instid0(VALU_DEP_1) | instskip(SKIP_4) | instid1(VALU_DEP_1)
	v_fma_f64 v[2:3], v[141:142], v[14:15], v[2:3]
	ds_load_b64 v[14:15], v1 offset:976
	s_waitcnt vmcnt(1)
	v_fma_f64 v[2:3], v[143:144], v[16:17], v[2:3]
	s_waitcnt lgkmcnt(1)
	v_fma_f64 v[2:3], v[145:146], v[151:152], v[2:3]
	s_waitcnt vmcnt(0)
	s_delay_alu instid0(VALU_DEP_1) | instskip(SKIP_1) | instid1(VALU_DEP_1)
	v_fma_f64 v[2:3], v[147:148], v[153:154], v[2:3]
	s_waitcnt lgkmcnt(0)
	v_fma_f64 v[2:3], v[149:150], v[14:15], v[2:3]
	s_delay_alu instid0(VALU_DEP_1)
	v_add_f64 v[2:3], v[12:13], -v[2:3]
	scratch_store_b64 off, v[2:3], off offset:248
	v_cmpx_lt_u32_e32 30, v0
	s_cbranch_execz .LBB60_315
; %bb.314:
	scratch_load_b64 v[3:4], off, off offset:240
	v_mov_b32_e32 v2, v1
	scratch_store_b64 off, v[1:2], off offset:240
	s_waitcnt vmcnt(0)
	ds_store_b64 v5, v[3:4]
.LBB60_315:
	s_or_b32 exec_lo, exec_lo, s0
	s_waitcnt lgkmcnt(0)
	s_waitcnt_vscnt null, 0x0
	s_barrier
	buffer_gl0_inv
	s_clause 0x4
	scratch_load_b128 v[12:15], off, off offset:240
	scratch_load_b128 v[16:19], off, off offset:256
	;; [unrolled: 1-line block ×5, first 2 shown]
	ds_load_2addr_b64 v[151:154], v1 offset0:93 offset1:94
	ds_load_2addr_b64 v[155:158], v1 offset0:95 offset1:96
	scratch_load_b128 v[159:162], off, off offset:320
	s_mov_b32 s0, exec_lo
	s_waitcnt vmcnt(5) lgkmcnt(1)
	v_fma_f64 v[2:3], v[14:15], v[151:152], 0
	s_waitcnt vmcnt(4)
	s_delay_alu instid0(VALU_DEP_1) | instskip(SKIP_4) | instid1(VALU_DEP_1)
	v_fma_f64 v[2:3], v[16:17], v[153:154], v[2:3]
	scratch_load_b128 v[14:17], off, off offset:336
	s_waitcnt lgkmcnt(0)
	v_fma_f64 v[2:3], v[18:19], v[155:156], v[2:3]
	s_waitcnt vmcnt(4)
	v_fma_f64 v[2:3], v[139:140], v[157:158], v[2:3]
	ds_load_2addr_b64 v[151:154], v1 offset0:97 offset1:98
	ds_load_2addr_b64 v[155:158], v1 offset0:99 offset1:100
	s_waitcnt lgkmcnt(1)
	v_fma_f64 v[2:3], v[141:142], v[151:152], v[2:3]
	scratch_load_b128 v[139:142], off, off offset:352
	s_waitcnt vmcnt(4)
	v_fma_f64 v[2:3], v[143:144], v[153:154], v[2:3]
	s_waitcnt lgkmcnt(0)
	s_delay_alu instid0(VALU_DEP_1)
	v_fma_f64 v[2:3], v[145:146], v[155:156], v[2:3]
	scratch_load_b128 v[143:146], off, off offset:368
	s_waitcnt vmcnt(4)
	v_fma_f64 v[2:3], v[147:148], v[157:158], v[2:3]
	ds_load_2addr_b64 v[151:154], v1 offset0:101 offset1:102
	ds_load_2addr_b64 v[155:158], v1 offset0:103 offset1:104
	s_waitcnt lgkmcnt(1)
	v_fma_f64 v[2:3], v[149:150], v[151:152], v[2:3]
	scratch_load_b128 v[147:150], off, off offset:384
	s_waitcnt vmcnt(4)
	v_fma_f64 v[2:3], v[159:160], v[153:154], v[2:3]
	scratch_load_b128 v[151:154], off, off offset:400
	s_waitcnt lgkmcnt(0)
	v_fma_f64 v[2:3], v[161:162], v[155:156], v[2:3]
	s_waitcnt vmcnt(4)
	s_delay_alu instid0(VALU_DEP_1)
	v_fma_f64 v[2:3], v[14:15], v[157:158], v[2:3]
	ds_load_2addr_b64 v[155:158], v1 offset0:105 offset1:106
	ds_load_2addr_b64 v[159:162], v1 offset0:107 offset1:108
	s_waitcnt lgkmcnt(1)
	v_fma_f64 v[2:3], v[16:17], v[155:156], v[2:3]
	scratch_load_b128 v[14:17], off, off offset:416
	s_waitcnt vmcnt(4)
	v_fma_f64 v[2:3], v[139:140], v[157:158], v[2:3]
	s_waitcnt lgkmcnt(0)
	s_delay_alu instid0(VALU_DEP_1)
	v_fma_f64 v[2:3], v[141:142], v[159:160], v[2:3]
	scratch_load_b128 v[139:142], off, off offset:432
	s_waitcnt vmcnt(4)
	v_fma_f64 v[2:3], v[143:144], v[161:162], v[2:3]
	ds_load_2addr_b64 v[155:158], v1 offset0:109 offset1:110
	ds_load_2addr_b64 v[159:162], v1 offset0:111 offset1:112
	s_waitcnt lgkmcnt(1)
	v_fma_f64 v[2:3], v[145:146], v[155:156], v[2:3]
	scratch_load_b128 v[143:146], off, off offset:448
	s_waitcnt vmcnt(4)
	v_fma_f64 v[2:3], v[147:148], v[157:158], v[2:3]
	s_waitcnt lgkmcnt(0)
	s_delay_alu instid0(VALU_DEP_1)
	v_fma_f64 v[2:3], v[149:150], v[159:160], v[2:3]
	scratch_load_b128 v[147:150], off, off offset:464
	s_waitcnt vmcnt(4)
	v_fma_f64 v[2:3], v[151:152], v[161:162], v[2:3]
	ds_load_2addr_b64 v[155:158], v1 offset0:113 offset1:114
	ds_load_2addr_b64 v[159:162], v1 offset0:115 offset1:116
	scratch_load_b64 v[18:19], off, off offset:480
	s_waitcnt lgkmcnt(1)
	v_fma_f64 v[2:3], v[153:154], v[155:156], v[2:3]
	s_waitcnt vmcnt(4)
	s_delay_alu instid0(VALU_DEP_1) | instskip(SKIP_1) | instid1(VALU_DEP_1)
	v_fma_f64 v[2:3], v[14:15], v[157:158], v[2:3]
	s_waitcnt lgkmcnt(0)
	v_fma_f64 v[2:3], v[16:17], v[159:160], v[2:3]
	ds_load_2addr_b64 v[14:17], v1 offset0:117 offset1:118
	ds_load_2addr_b64 v[151:154], v1 offset0:119 offset1:120
	s_waitcnt vmcnt(3)
	v_fma_f64 v[2:3], v[139:140], v[161:162], v[2:3]
	s_waitcnt lgkmcnt(1)
	s_delay_alu instid0(VALU_DEP_1) | instskip(SKIP_1) | instid1(VALU_DEP_1)
	v_fma_f64 v[2:3], v[141:142], v[14:15], v[2:3]
	s_waitcnt vmcnt(2)
	v_fma_f64 v[2:3], v[143:144], v[16:17], v[2:3]
	s_waitcnt lgkmcnt(0)
	s_delay_alu instid0(VALU_DEP_1) | instskip(SKIP_1) | instid1(VALU_DEP_1)
	v_fma_f64 v[2:3], v[145:146], v[151:152], v[2:3]
	s_waitcnt vmcnt(1)
	v_fma_f64 v[14:15], v[147:148], v[153:154], v[2:3]
	ds_load_2addr_b64 v[1:4], v1 offset0:121 offset1:122
	s_waitcnt lgkmcnt(0)
	v_fma_f64 v[1:2], v[149:150], v[1:2], v[14:15]
	s_waitcnt vmcnt(0)
	s_delay_alu instid0(VALU_DEP_1) | instskip(NEXT) | instid1(VALU_DEP_1)
	v_fma_f64 v[1:2], v[18:19], v[3:4], v[1:2]
	v_add_f64 v[1:2], v[12:13], -v[1:2]
	scratch_store_b64 off, v[1:2], off offset:240
	v_cmpx_lt_u32_e32 29, v0
	s_cbranch_execz .LBB60_317
; %bb.316:
	scratch_load_b64 v[1:2], off, off offset:232
	v_mov_b32_e32 v3, 0
	s_delay_alu instid0(VALU_DEP_1)
	v_mov_b32_e32 v4, v3
	scratch_store_b64 off, v[3:4], off offset:232
	s_waitcnt vmcnt(0)
	ds_store_b64 v5, v[1:2]
.LBB60_317:
	s_or_b32 exec_lo, exec_lo, s0
	s_waitcnt lgkmcnt(0)
	s_waitcnt_vscnt null, 0x0
	s_barrier
	buffer_gl0_inv
	s_clause 0x4
	scratch_load_b128 v[12:15], off, off offset:232
	scratch_load_b128 v[16:19], off, off offset:248
	;; [unrolled: 1-line block ×5, first 2 shown]
	v_mov_b32_e32 v1, 0
	ds_load_b128 v[151:154], v1 offset:736
	ds_load_b128 v[155:158], v1 offset:752
	scratch_load_b128 v[159:162], off, off offset:312
	s_mov_b32 s0, exec_lo
	s_waitcnt vmcnt(5) lgkmcnt(1)
	v_fma_f64 v[2:3], v[14:15], v[151:152], 0
	s_waitcnt vmcnt(4)
	s_delay_alu instid0(VALU_DEP_1) | instskip(SKIP_4) | instid1(VALU_DEP_1)
	v_fma_f64 v[2:3], v[16:17], v[153:154], v[2:3]
	scratch_load_b128 v[14:17], off, off offset:328
	s_waitcnt lgkmcnt(0)
	v_fma_f64 v[2:3], v[18:19], v[155:156], v[2:3]
	s_waitcnt vmcnt(4)
	v_fma_f64 v[2:3], v[139:140], v[157:158], v[2:3]
	ds_load_b128 v[151:154], v1 offset:768
	ds_load_b128 v[155:158], v1 offset:784
	s_waitcnt lgkmcnt(1)
	v_fma_f64 v[2:3], v[141:142], v[151:152], v[2:3]
	scratch_load_b128 v[139:142], off, off offset:344
	s_waitcnt vmcnt(4)
	v_fma_f64 v[2:3], v[143:144], v[153:154], v[2:3]
	s_waitcnt lgkmcnt(0)
	s_delay_alu instid0(VALU_DEP_1)
	v_fma_f64 v[2:3], v[145:146], v[155:156], v[2:3]
	scratch_load_b128 v[143:146], off, off offset:360
	s_waitcnt vmcnt(4)
	v_fma_f64 v[2:3], v[147:148], v[157:158], v[2:3]
	ds_load_b128 v[151:154], v1 offset:800
	ds_load_b128 v[155:158], v1 offset:816
	s_waitcnt lgkmcnt(1)
	v_fma_f64 v[2:3], v[149:150], v[151:152], v[2:3]
	scratch_load_b128 v[147:150], off, off offset:376
	s_waitcnt vmcnt(4)
	v_fma_f64 v[2:3], v[159:160], v[153:154], v[2:3]
	scratch_load_b128 v[151:154], off, off offset:392
	s_waitcnt lgkmcnt(0)
	v_fma_f64 v[2:3], v[161:162], v[155:156], v[2:3]
	s_waitcnt vmcnt(4)
	s_delay_alu instid0(VALU_DEP_1)
	v_fma_f64 v[2:3], v[14:15], v[157:158], v[2:3]
	ds_load_b128 v[155:158], v1 offset:832
	ds_load_b128 v[159:162], v1 offset:848
	s_waitcnt lgkmcnt(1)
	v_fma_f64 v[2:3], v[16:17], v[155:156], v[2:3]
	scratch_load_b128 v[14:17], off, off offset:408
	s_waitcnt vmcnt(4)
	v_fma_f64 v[2:3], v[139:140], v[157:158], v[2:3]
	s_waitcnt lgkmcnt(0)
	s_delay_alu instid0(VALU_DEP_1)
	v_fma_f64 v[2:3], v[141:142], v[159:160], v[2:3]
	scratch_load_b128 v[139:142], off, off offset:424
	s_waitcnt vmcnt(4)
	v_fma_f64 v[2:3], v[143:144], v[161:162], v[2:3]
	ds_load_b128 v[155:158], v1 offset:864
	ds_load_b128 v[159:162], v1 offset:880
	s_waitcnt lgkmcnt(1)
	v_fma_f64 v[2:3], v[145:146], v[155:156], v[2:3]
	scratch_load_b128 v[143:146], off, off offset:440
	s_waitcnt vmcnt(4)
	v_fma_f64 v[2:3], v[147:148], v[157:158], v[2:3]
	s_waitcnt lgkmcnt(0)
	s_delay_alu instid0(VALU_DEP_1)
	v_fma_f64 v[2:3], v[149:150], v[159:160], v[2:3]
	scratch_load_b128 v[147:150], off, off offset:456
	s_waitcnt vmcnt(4)
	v_fma_f64 v[2:3], v[151:152], v[161:162], v[2:3]
	ds_load_b128 v[155:158], v1 offset:896
	ds_load_b128 v[159:162], v1 offset:912
	s_waitcnt lgkmcnt(1)
	v_fma_f64 v[2:3], v[153:154], v[155:156], v[2:3]
	scratch_load_b128 v[151:154], off, off offset:472
	s_waitcnt vmcnt(4)
	v_fma_f64 v[2:3], v[14:15], v[157:158], v[2:3]
	s_waitcnt lgkmcnt(0)
	s_delay_alu instid0(VALU_DEP_1)
	v_fma_f64 v[2:3], v[16:17], v[159:160], v[2:3]
	ds_load_b128 v[14:17], v1 offset:928
	ds_load_b128 v[155:158], v1 offset:944
	s_waitcnt vmcnt(3)
	v_fma_f64 v[2:3], v[139:140], v[161:162], v[2:3]
	s_waitcnt lgkmcnt(1)
	s_delay_alu instid0(VALU_DEP_1) | instskip(SKIP_1) | instid1(VALU_DEP_1)
	v_fma_f64 v[2:3], v[141:142], v[14:15], v[2:3]
	s_waitcnt vmcnt(2)
	v_fma_f64 v[2:3], v[143:144], v[16:17], v[2:3]
	ds_load_b128 v[14:17], v1 offset:960
	ds_load_b64 v[18:19], v1 offset:976
	s_waitcnt lgkmcnt(2)
	v_fma_f64 v[2:3], v[145:146], v[155:156], v[2:3]
	s_waitcnt vmcnt(1)
	s_delay_alu instid0(VALU_DEP_1) | instskip(SKIP_1) | instid1(VALU_DEP_1)
	v_fma_f64 v[2:3], v[147:148], v[157:158], v[2:3]
	s_waitcnt lgkmcnt(1)
	v_fma_f64 v[2:3], v[149:150], v[14:15], v[2:3]
	s_waitcnt vmcnt(0)
	s_delay_alu instid0(VALU_DEP_1) | instskip(SKIP_1) | instid1(VALU_DEP_1)
	v_fma_f64 v[2:3], v[151:152], v[16:17], v[2:3]
	s_waitcnt lgkmcnt(0)
	v_fma_f64 v[2:3], v[153:154], v[18:19], v[2:3]
	s_delay_alu instid0(VALU_DEP_1)
	v_add_f64 v[2:3], v[12:13], -v[2:3]
	scratch_store_b64 off, v[2:3], off offset:232
	v_cmpx_lt_u32_e32 28, v0
	s_cbranch_execz .LBB60_319
; %bb.318:
	scratch_load_b64 v[3:4], off, off offset:224
	v_mov_b32_e32 v2, v1
	scratch_store_b64 off, v[1:2], off offset:224
	s_waitcnt vmcnt(0)
	ds_store_b64 v5, v[3:4]
.LBB60_319:
	s_or_b32 exec_lo, exec_lo, s0
	s_waitcnt lgkmcnt(0)
	s_waitcnt_vscnt null, 0x0
	s_barrier
	buffer_gl0_inv
	s_clause 0x4
	scratch_load_b128 v[12:15], off, off offset:224
	scratch_load_b128 v[16:19], off, off offset:240
	;; [unrolled: 1-line block ×5, first 2 shown]
	ds_load_2addr_b64 v[151:154], v1 offset0:91 offset1:92
	ds_load_2addr_b64 v[155:158], v1 offset0:93 offset1:94
	scratch_load_b128 v[159:162], off, off offset:304
	s_mov_b32 s0, exec_lo
	s_waitcnt vmcnt(5) lgkmcnt(1)
	v_fma_f64 v[2:3], v[14:15], v[151:152], 0
	s_waitcnt vmcnt(4)
	s_delay_alu instid0(VALU_DEP_1) | instskip(SKIP_4) | instid1(VALU_DEP_1)
	v_fma_f64 v[2:3], v[16:17], v[153:154], v[2:3]
	scratch_load_b128 v[14:17], off, off offset:320
	s_waitcnt lgkmcnt(0)
	v_fma_f64 v[2:3], v[18:19], v[155:156], v[2:3]
	s_waitcnt vmcnt(4)
	v_fma_f64 v[2:3], v[139:140], v[157:158], v[2:3]
	ds_load_2addr_b64 v[151:154], v1 offset0:95 offset1:96
	ds_load_2addr_b64 v[155:158], v1 offset0:97 offset1:98
	s_waitcnt lgkmcnt(1)
	v_fma_f64 v[2:3], v[141:142], v[151:152], v[2:3]
	scratch_load_b128 v[139:142], off, off offset:336
	s_waitcnt vmcnt(4)
	v_fma_f64 v[2:3], v[143:144], v[153:154], v[2:3]
	s_waitcnt lgkmcnt(0)
	s_delay_alu instid0(VALU_DEP_1)
	v_fma_f64 v[2:3], v[145:146], v[155:156], v[2:3]
	scratch_load_b128 v[143:146], off, off offset:352
	s_waitcnt vmcnt(4)
	v_fma_f64 v[2:3], v[147:148], v[157:158], v[2:3]
	ds_load_2addr_b64 v[151:154], v1 offset0:99 offset1:100
	ds_load_2addr_b64 v[155:158], v1 offset0:101 offset1:102
	s_waitcnt lgkmcnt(1)
	v_fma_f64 v[2:3], v[149:150], v[151:152], v[2:3]
	scratch_load_b128 v[147:150], off, off offset:368
	s_waitcnt vmcnt(4)
	v_fma_f64 v[2:3], v[159:160], v[153:154], v[2:3]
	scratch_load_b128 v[151:154], off, off offset:384
	s_waitcnt lgkmcnt(0)
	v_fma_f64 v[2:3], v[161:162], v[155:156], v[2:3]
	s_waitcnt vmcnt(4)
	s_delay_alu instid0(VALU_DEP_1)
	v_fma_f64 v[2:3], v[14:15], v[157:158], v[2:3]
	ds_load_2addr_b64 v[155:158], v1 offset0:103 offset1:104
	ds_load_2addr_b64 v[159:162], v1 offset0:105 offset1:106
	s_waitcnt lgkmcnt(1)
	v_fma_f64 v[2:3], v[16:17], v[155:156], v[2:3]
	scratch_load_b128 v[14:17], off, off offset:400
	s_waitcnt vmcnt(4)
	v_fma_f64 v[2:3], v[139:140], v[157:158], v[2:3]
	s_waitcnt lgkmcnt(0)
	s_delay_alu instid0(VALU_DEP_1)
	v_fma_f64 v[2:3], v[141:142], v[159:160], v[2:3]
	scratch_load_b128 v[139:142], off, off offset:416
	s_waitcnt vmcnt(4)
	v_fma_f64 v[2:3], v[143:144], v[161:162], v[2:3]
	ds_load_2addr_b64 v[155:158], v1 offset0:107 offset1:108
	ds_load_2addr_b64 v[159:162], v1 offset0:109 offset1:110
	s_waitcnt lgkmcnt(1)
	v_fma_f64 v[2:3], v[145:146], v[155:156], v[2:3]
	scratch_load_b128 v[143:146], off, off offset:432
	s_waitcnt vmcnt(4)
	v_fma_f64 v[2:3], v[147:148], v[157:158], v[2:3]
	s_waitcnt lgkmcnt(0)
	s_delay_alu instid0(VALU_DEP_1)
	v_fma_f64 v[2:3], v[149:150], v[159:160], v[2:3]
	scratch_load_b128 v[147:150], off, off offset:448
	s_waitcnt vmcnt(4)
	v_fma_f64 v[2:3], v[151:152], v[161:162], v[2:3]
	ds_load_2addr_b64 v[155:158], v1 offset0:111 offset1:112
	ds_load_2addr_b64 v[159:162], v1 offset0:113 offset1:114
	scratch_load_b64 v[18:19], off, off offset:480
	s_waitcnt lgkmcnt(1)
	v_fma_f64 v[2:3], v[153:154], v[155:156], v[2:3]
	scratch_load_b128 v[151:154], off, off offset:464
	s_waitcnt vmcnt(5)
	v_fma_f64 v[2:3], v[14:15], v[157:158], v[2:3]
	s_waitcnt lgkmcnt(0)
	s_delay_alu instid0(VALU_DEP_1)
	v_fma_f64 v[2:3], v[16:17], v[159:160], v[2:3]
	ds_load_2addr_b64 v[14:17], v1 offset0:115 offset1:116
	ds_load_2addr_b64 v[155:158], v1 offset0:117 offset1:118
	s_waitcnt vmcnt(4)
	v_fma_f64 v[2:3], v[139:140], v[161:162], v[2:3]
	s_waitcnt lgkmcnt(1)
	s_delay_alu instid0(VALU_DEP_1) | instskip(SKIP_1) | instid1(VALU_DEP_1)
	v_fma_f64 v[2:3], v[141:142], v[14:15], v[2:3]
	s_waitcnt vmcnt(3)
	v_fma_f64 v[2:3], v[143:144], v[16:17], v[2:3]
	s_waitcnt lgkmcnt(0)
	s_delay_alu instid0(VALU_DEP_1) | instskip(SKIP_1) | instid1(VALU_DEP_1)
	v_fma_f64 v[2:3], v[145:146], v[155:156], v[2:3]
	s_waitcnt vmcnt(2)
	v_fma_f64 v[35:36], v[147:148], v[157:158], v[2:3]
	ds_load_2addr_b64 v[14:17], v1 offset0:119 offset1:120
	ds_load_2addr_b64 v[1:4], v1 offset0:121 offset1:122
	s_waitcnt lgkmcnt(1)
	v_fma_f64 v[14:15], v[149:150], v[14:15], v[35:36]
	s_waitcnt vmcnt(0)
	s_delay_alu instid0(VALU_DEP_1) | instskip(SKIP_1) | instid1(VALU_DEP_1)
	v_fma_f64 v[14:15], v[151:152], v[16:17], v[14:15]
	s_waitcnt lgkmcnt(0)
	v_fma_f64 v[1:2], v[153:154], v[1:2], v[14:15]
	s_delay_alu instid0(VALU_DEP_1) | instskip(NEXT) | instid1(VALU_DEP_1)
	v_fma_f64 v[1:2], v[18:19], v[3:4], v[1:2]
	v_add_f64 v[1:2], v[12:13], -v[1:2]
	scratch_store_b64 off, v[1:2], off offset:224
	v_cmpx_lt_u32_e32 27, v0
	s_cbranch_execz .LBB60_321
; %bb.320:
	scratch_load_b64 v[1:2], off, off offset:216
	v_mov_b32_e32 v3, 0
	s_delay_alu instid0(VALU_DEP_1)
	v_mov_b32_e32 v4, v3
	scratch_store_b64 off, v[3:4], off offset:216
	s_waitcnt vmcnt(0)
	ds_store_b64 v5, v[1:2]
.LBB60_321:
	s_or_b32 exec_lo, exec_lo, s0
	s_waitcnt lgkmcnt(0)
	s_waitcnt_vscnt null, 0x0
	s_barrier
	buffer_gl0_inv
	s_clause 0x4
	scratch_load_b128 v[12:15], off, off offset:216
	scratch_load_b128 v[16:19], off, off offset:232
	;; [unrolled: 1-line block ×5, first 2 shown]
	v_mov_b32_e32 v1, 0
	ds_load_b128 v[151:154], v1 offset:720
	ds_load_b128 v[155:158], v1 offset:736
	scratch_load_b128 v[159:162], off, off offset:296
	s_mov_b32 s0, exec_lo
	s_waitcnt vmcnt(5) lgkmcnt(1)
	v_fma_f64 v[2:3], v[14:15], v[151:152], 0
	s_waitcnt vmcnt(4)
	s_delay_alu instid0(VALU_DEP_1) | instskip(SKIP_4) | instid1(VALU_DEP_1)
	v_fma_f64 v[2:3], v[16:17], v[153:154], v[2:3]
	scratch_load_b128 v[14:17], off, off offset:312
	s_waitcnt lgkmcnt(0)
	v_fma_f64 v[2:3], v[18:19], v[155:156], v[2:3]
	s_waitcnt vmcnt(4)
	v_fma_f64 v[2:3], v[139:140], v[157:158], v[2:3]
	ds_load_b128 v[151:154], v1 offset:752
	ds_load_b128 v[155:158], v1 offset:768
	s_waitcnt lgkmcnt(1)
	v_fma_f64 v[2:3], v[141:142], v[151:152], v[2:3]
	scratch_load_b128 v[139:142], off, off offset:328
	s_waitcnt vmcnt(4)
	v_fma_f64 v[2:3], v[143:144], v[153:154], v[2:3]
	s_waitcnt lgkmcnt(0)
	s_delay_alu instid0(VALU_DEP_1)
	v_fma_f64 v[2:3], v[145:146], v[155:156], v[2:3]
	scratch_load_b128 v[143:146], off, off offset:344
	s_waitcnt vmcnt(4)
	v_fma_f64 v[2:3], v[147:148], v[157:158], v[2:3]
	ds_load_b128 v[151:154], v1 offset:784
	ds_load_b128 v[155:158], v1 offset:800
	s_waitcnt lgkmcnt(1)
	v_fma_f64 v[2:3], v[149:150], v[151:152], v[2:3]
	scratch_load_b128 v[147:150], off, off offset:360
	s_waitcnt vmcnt(4)
	v_fma_f64 v[2:3], v[159:160], v[153:154], v[2:3]
	scratch_load_b128 v[151:154], off, off offset:376
	s_waitcnt lgkmcnt(0)
	v_fma_f64 v[2:3], v[161:162], v[155:156], v[2:3]
	s_waitcnt vmcnt(4)
	s_delay_alu instid0(VALU_DEP_1)
	v_fma_f64 v[2:3], v[14:15], v[157:158], v[2:3]
	ds_load_b128 v[155:158], v1 offset:816
	ds_load_b128 v[159:162], v1 offset:832
	s_waitcnt lgkmcnt(1)
	v_fma_f64 v[2:3], v[16:17], v[155:156], v[2:3]
	scratch_load_b128 v[14:17], off, off offset:392
	s_waitcnt vmcnt(4)
	v_fma_f64 v[2:3], v[139:140], v[157:158], v[2:3]
	s_waitcnt lgkmcnt(0)
	s_delay_alu instid0(VALU_DEP_1)
	v_fma_f64 v[2:3], v[141:142], v[159:160], v[2:3]
	scratch_load_b128 v[139:142], off, off offset:408
	s_waitcnt vmcnt(4)
	v_fma_f64 v[2:3], v[143:144], v[161:162], v[2:3]
	ds_load_b128 v[155:158], v1 offset:848
	ds_load_b128 v[159:162], v1 offset:864
	s_waitcnt lgkmcnt(1)
	v_fma_f64 v[2:3], v[145:146], v[155:156], v[2:3]
	scratch_load_b128 v[143:146], off, off offset:424
	s_waitcnt vmcnt(4)
	v_fma_f64 v[2:3], v[147:148], v[157:158], v[2:3]
	s_waitcnt lgkmcnt(0)
	s_delay_alu instid0(VALU_DEP_1)
	v_fma_f64 v[2:3], v[149:150], v[159:160], v[2:3]
	scratch_load_b128 v[147:150], off, off offset:440
	s_waitcnt vmcnt(4)
	;; [unrolled: 13-line block ×3, first 2 shown]
	v_fma_f64 v[2:3], v[139:140], v[161:162], v[2:3]
	ds_load_b128 v[155:158], v1 offset:912
	ds_load_b128 v[159:162], v1 offset:928
	s_waitcnt lgkmcnt(1)
	v_fma_f64 v[2:3], v[141:142], v[155:156], v[2:3]
	s_waitcnt vmcnt(3)
	s_delay_alu instid0(VALU_DEP_1) | instskip(SKIP_1) | instid1(VALU_DEP_1)
	v_fma_f64 v[2:3], v[143:144], v[157:158], v[2:3]
	s_waitcnt lgkmcnt(0)
	v_fma_f64 v[2:3], v[145:146], v[159:160], v[2:3]
	ds_load_b128 v[139:142], v1 offset:944
	ds_load_b128 v[143:146], v1 offset:960
	s_waitcnt vmcnt(2)
	v_fma_f64 v[2:3], v[147:148], v[161:162], v[2:3]
	s_waitcnt lgkmcnt(1)
	s_delay_alu instid0(VALU_DEP_1) | instskip(SKIP_1) | instid1(VALU_DEP_1)
	v_fma_f64 v[2:3], v[149:150], v[139:140], v[2:3]
	s_waitcnt vmcnt(1)
	v_fma_f64 v[2:3], v[151:152], v[141:142], v[2:3]
	s_waitcnt lgkmcnt(0)
	s_delay_alu instid0(VALU_DEP_1) | instskip(SKIP_1) | instid1(VALU_DEP_1)
	v_fma_f64 v[2:3], v[153:154], v[143:144], v[2:3]
	s_waitcnt vmcnt(0)
	v_fma_f64 v[2:3], v[14:15], v[145:146], v[2:3]
	ds_load_b64 v[14:15], v1 offset:976
	s_waitcnt lgkmcnt(0)
	v_fma_f64 v[2:3], v[16:17], v[14:15], v[2:3]
	s_delay_alu instid0(VALU_DEP_1)
	v_add_f64 v[2:3], v[12:13], -v[2:3]
	scratch_store_b64 off, v[2:3], off offset:216
	v_cmpx_lt_u32_e32 26, v0
	s_cbranch_execz .LBB60_323
; %bb.322:
	scratch_load_b64 v[3:4], off, off offset:208
	v_mov_b32_e32 v2, v1
	scratch_store_b64 off, v[1:2], off offset:208
	s_waitcnt vmcnt(0)
	ds_store_b64 v5, v[3:4]
.LBB60_323:
	s_or_b32 exec_lo, exec_lo, s0
	s_waitcnt lgkmcnt(0)
	s_waitcnt_vscnt null, 0x0
	s_barrier
	buffer_gl0_inv
	s_clause 0x4
	scratch_load_b128 v[12:15], off, off offset:208
	scratch_load_b128 v[16:19], off, off offset:224
	;; [unrolled: 1-line block ×5, first 2 shown]
	ds_load_2addr_b64 v[151:154], v1 offset0:89 offset1:90
	ds_load_2addr_b64 v[155:158], v1 offset0:91 offset1:92
	scratch_load_b128 v[159:162], off, off offset:288
	s_mov_b32 s0, exec_lo
	s_waitcnt vmcnt(5) lgkmcnt(1)
	v_fma_f64 v[2:3], v[14:15], v[151:152], 0
	s_waitcnt vmcnt(4)
	s_delay_alu instid0(VALU_DEP_1) | instskip(SKIP_4) | instid1(VALU_DEP_1)
	v_fma_f64 v[2:3], v[16:17], v[153:154], v[2:3]
	scratch_load_b128 v[14:17], off, off offset:304
	s_waitcnt lgkmcnt(0)
	v_fma_f64 v[2:3], v[18:19], v[155:156], v[2:3]
	s_waitcnt vmcnt(4)
	v_fma_f64 v[2:3], v[139:140], v[157:158], v[2:3]
	ds_load_2addr_b64 v[151:154], v1 offset0:93 offset1:94
	ds_load_2addr_b64 v[155:158], v1 offset0:95 offset1:96
	s_waitcnt lgkmcnt(1)
	v_fma_f64 v[2:3], v[141:142], v[151:152], v[2:3]
	scratch_load_b128 v[139:142], off, off offset:320
	s_waitcnt vmcnt(4)
	v_fma_f64 v[2:3], v[143:144], v[153:154], v[2:3]
	s_waitcnt lgkmcnt(0)
	s_delay_alu instid0(VALU_DEP_1)
	v_fma_f64 v[2:3], v[145:146], v[155:156], v[2:3]
	scratch_load_b128 v[143:146], off, off offset:336
	s_waitcnt vmcnt(4)
	v_fma_f64 v[2:3], v[147:148], v[157:158], v[2:3]
	ds_load_2addr_b64 v[151:154], v1 offset0:97 offset1:98
	ds_load_2addr_b64 v[155:158], v1 offset0:99 offset1:100
	s_waitcnt lgkmcnt(1)
	v_fma_f64 v[2:3], v[149:150], v[151:152], v[2:3]
	scratch_load_b128 v[147:150], off, off offset:352
	s_waitcnt vmcnt(4)
	v_fma_f64 v[2:3], v[159:160], v[153:154], v[2:3]
	scratch_load_b128 v[151:154], off, off offset:368
	s_waitcnt lgkmcnt(0)
	v_fma_f64 v[2:3], v[161:162], v[155:156], v[2:3]
	s_waitcnt vmcnt(4)
	s_delay_alu instid0(VALU_DEP_1)
	v_fma_f64 v[2:3], v[14:15], v[157:158], v[2:3]
	ds_load_2addr_b64 v[155:158], v1 offset0:101 offset1:102
	ds_load_2addr_b64 v[159:162], v1 offset0:103 offset1:104
	s_waitcnt lgkmcnt(1)
	v_fma_f64 v[2:3], v[16:17], v[155:156], v[2:3]
	scratch_load_b128 v[14:17], off, off offset:384
	s_waitcnt vmcnt(4)
	v_fma_f64 v[2:3], v[139:140], v[157:158], v[2:3]
	s_waitcnt lgkmcnt(0)
	s_delay_alu instid0(VALU_DEP_1)
	v_fma_f64 v[2:3], v[141:142], v[159:160], v[2:3]
	scratch_load_b128 v[139:142], off, off offset:400
	s_waitcnt vmcnt(4)
	v_fma_f64 v[2:3], v[143:144], v[161:162], v[2:3]
	ds_load_2addr_b64 v[155:158], v1 offset0:105 offset1:106
	ds_load_2addr_b64 v[159:162], v1 offset0:107 offset1:108
	s_waitcnt lgkmcnt(1)
	v_fma_f64 v[2:3], v[145:146], v[155:156], v[2:3]
	scratch_load_b128 v[143:146], off, off offset:416
	s_waitcnt vmcnt(4)
	v_fma_f64 v[2:3], v[147:148], v[157:158], v[2:3]
	s_waitcnt lgkmcnt(0)
	s_delay_alu instid0(VALU_DEP_1)
	v_fma_f64 v[2:3], v[149:150], v[159:160], v[2:3]
	scratch_load_b128 v[147:150], off, off offset:432
	s_waitcnt vmcnt(4)
	;; [unrolled: 13-line block ×3, first 2 shown]
	v_fma_f64 v[2:3], v[139:140], v[161:162], v[2:3]
	ds_load_2addr_b64 v[155:158], v1 offset0:113 offset1:114
	ds_load_2addr_b64 v[159:162], v1 offset0:115 offset1:116
	scratch_load_b64 v[18:19], off, off offset:480
	s_waitcnt lgkmcnt(1)
	v_fma_f64 v[2:3], v[141:142], v[155:156], v[2:3]
	s_waitcnt vmcnt(4)
	s_delay_alu instid0(VALU_DEP_1) | instskip(SKIP_1) | instid1(VALU_DEP_1)
	v_fma_f64 v[2:3], v[143:144], v[157:158], v[2:3]
	s_waitcnt lgkmcnt(0)
	v_fma_f64 v[2:3], v[145:146], v[159:160], v[2:3]
	ds_load_2addr_b64 v[139:142], v1 offset0:117 offset1:118
	ds_load_2addr_b64 v[143:146], v1 offset0:119 offset1:120
	s_waitcnt vmcnt(3)
	v_fma_f64 v[2:3], v[147:148], v[161:162], v[2:3]
	s_waitcnt lgkmcnt(1)
	s_delay_alu instid0(VALU_DEP_1) | instskip(SKIP_1) | instid1(VALU_DEP_1)
	v_fma_f64 v[2:3], v[149:150], v[139:140], v[2:3]
	s_waitcnt vmcnt(2)
	v_fma_f64 v[2:3], v[151:152], v[141:142], v[2:3]
	s_waitcnt lgkmcnt(0)
	s_delay_alu instid0(VALU_DEP_1) | instskip(SKIP_1) | instid1(VALU_DEP_1)
	v_fma_f64 v[2:3], v[153:154], v[143:144], v[2:3]
	s_waitcnt vmcnt(1)
	v_fma_f64 v[14:15], v[14:15], v[145:146], v[2:3]
	ds_load_2addr_b64 v[1:4], v1 offset0:121 offset1:122
	s_waitcnt lgkmcnt(0)
	v_fma_f64 v[1:2], v[16:17], v[1:2], v[14:15]
	s_waitcnt vmcnt(0)
	s_delay_alu instid0(VALU_DEP_1) | instskip(NEXT) | instid1(VALU_DEP_1)
	v_fma_f64 v[1:2], v[18:19], v[3:4], v[1:2]
	v_add_f64 v[1:2], v[12:13], -v[1:2]
	scratch_store_b64 off, v[1:2], off offset:208
	v_cmpx_lt_u32_e32 25, v0
	s_cbranch_execz .LBB60_325
; %bb.324:
	scratch_load_b64 v[1:2], off, off offset:200
	v_mov_b32_e32 v3, 0
	s_delay_alu instid0(VALU_DEP_1)
	v_mov_b32_e32 v4, v3
	scratch_store_b64 off, v[3:4], off offset:200
	s_waitcnt vmcnt(0)
	ds_store_b64 v5, v[1:2]
.LBB60_325:
	s_or_b32 exec_lo, exec_lo, s0
	s_waitcnt lgkmcnt(0)
	s_waitcnt_vscnt null, 0x0
	s_barrier
	buffer_gl0_inv
	s_clause 0x4
	scratch_load_b128 v[12:15], off, off offset:200
	scratch_load_b128 v[16:19], off, off offset:216
	;; [unrolled: 1-line block ×5, first 2 shown]
	v_mov_b32_e32 v1, 0
	ds_load_b128 v[151:154], v1 offset:704
	ds_load_b128 v[155:158], v1 offset:720
	scratch_load_b128 v[159:162], off, off offset:280
	s_mov_b32 s0, exec_lo
	s_waitcnt vmcnt(5) lgkmcnt(1)
	v_fma_f64 v[2:3], v[14:15], v[151:152], 0
	s_waitcnt vmcnt(4)
	s_delay_alu instid0(VALU_DEP_1) | instskip(SKIP_4) | instid1(VALU_DEP_1)
	v_fma_f64 v[2:3], v[16:17], v[153:154], v[2:3]
	scratch_load_b128 v[14:17], off, off offset:296
	s_waitcnt lgkmcnt(0)
	v_fma_f64 v[2:3], v[18:19], v[155:156], v[2:3]
	s_waitcnt vmcnt(4)
	v_fma_f64 v[2:3], v[139:140], v[157:158], v[2:3]
	ds_load_b128 v[151:154], v1 offset:736
	ds_load_b128 v[155:158], v1 offset:752
	s_waitcnt lgkmcnt(1)
	v_fma_f64 v[2:3], v[141:142], v[151:152], v[2:3]
	scratch_load_b128 v[139:142], off, off offset:312
	s_waitcnt vmcnt(4)
	v_fma_f64 v[2:3], v[143:144], v[153:154], v[2:3]
	s_waitcnt lgkmcnt(0)
	s_delay_alu instid0(VALU_DEP_1)
	v_fma_f64 v[2:3], v[145:146], v[155:156], v[2:3]
	scratch_load_b128 v[143:146], off, off offset:328
	s_waitcnt vmcnt(4)
	v_fma_f64 v[2:3], v[147:148], v[157:158], v[2:3]
	ds_load_b128 v[151:154], v1 offset:768
	ds_load_b128 v[155:158], v1 offset:784
	s_waitcnt lgkmcnt(1)
	v_fma_f64 v[2:3], v[149:150], v[151:152], v[2:3]
	scratch_load_b128 v[147:150], off, off offset:344
	s_waitcnt vmcnt(4)
	v_fma_f64 v[2:3], v[159:160], v[153:154], v[2:3]
	scratch_load_b128 v[151:154], off, off offset:360
	s_waitcnt lgkmcnt(0)
	v_fma_f64 v[2:3], v[161:162], v[155:156], v[2:3]
	s_waitcnt vmcnt(4)
	s_delay_alu instid0(VALU_DEP_1)
	v_fma_f64 v[2:3], v[14:15], v[157:158], v[2:3]
	ds_load_b128 v[155:158], v1 offset:800
	ds_load_b128 v[159:162], v1 offset:816
	s_waitcnt lgkmcnt(1)
	v_fma_f64 v[2:3], v[16:17], v[155:156], v[2:3]
	scratch_load_b128 v[14:17], off, off offset:376
	s_waitcnt vmcnt(4)
	v_fma_f64 v[2:3], v[139:140], v[157:158], v[2:3]
	s_waitcnt lgkmcnt(0)
	s_delay_alu instid0(VALU_DEP_1)
	v_fma_f64 v[2:3], v[141:142], v[159:160], v[2:3]
	scratch_load_b128 v[139:142], off, off offset:392
	s_waitcnt vmcnt(4)
	v_fma_f64 v[2:3], v[143:144], v[161:162], v[2:3]
	ds_load_b128 v[155:158], v1 offset:832
	ds_load_b128 v[159:162], v1 offset:848
	s_waitcnt lgkmcnt(1)
	v_fma_f64 v[2:3], v[145:146], v[155:156], v[2:3]
	scratch_load_b128 v[143:146], off, off offset:408
	s_waitcnt vmcnt(4)
	v_fma_f64 v[2:3], v[147:148], v[157:158], v[2:3]
	s_waitcnt lgkmcnt(0)
	s_delay_alu instid0(VALU_DEP_1)
	v_fma_f64 v[2:3], v[149:150], v[159:160], v[2:3]
	scratch_load_b128 v[147:150], off, off offset:424
	s_waitcnt vmcnt(4)
	v_fma_f64 v[2:3], v[151:152], v[161:162], v[2:3]
	ds_load_b128 v[155:158], v1 offset:864
	ds_load_b128 v[159:162], v1 offset:880
	s_waitcnt lgkmcnt(1)
	v_fma_f64 v[2:3], v[153:154], v[155:156], v[2:3]
	scratch_load_b128 v[151:154], off, off offset:440
	s_waitcnt vmcnt(4)
	v_fma_f64 v[2:3], v[14:15], v[157:158], v[2:3]
	s_waitcnt lgkmcnt(0)
	s_delay_alu instid0(VALU_DEP_1)
	v_fma_f64 v[2:3], v[16:17], v[159:160], v[2:3]
	scratch_load_b128 v[14:17], off, off offset:456
	s_waitcnt vmcnt(4)
	v_fma_f64 v[2:3], v[139:140], v[161:162], v[2:3]
	ds_load_b128 v[155:158], v1 offset:896
	ds_load_b128 v[159:162], v1 offset:912
	s_waitcnt lgkmcnt(1)
	v_fma_f64 v[2:3], v[141:142], v[155:156], v[2:3]
	scratch_load_b128 v[139:142], off, off offset:472
	s_waitcnt vmcnt(4)
	v_fma_f64 v[2:3], v[143:144], v[157:158], v[2:3]
	s_waitcnt lgkmcnt(0)
	s_delay_alu instid0(VALU_DEP_1)
	v_fma_f64 v[2:3], v[145:146], v[159:160], v[2:3]
	ds_load_b128 v[143:146], v1 offset:928
	ds_load_b128 v[155:158], v1 offset:944
	s_waitcnt vmcnt(3)
	v_fma_f64 v[2:3], v[147:148], v[161:162], v[2:3]
	s_waitcnt lgkmcnt(1)
	s_delay_alu instid0(VALU_DEP_1) | instskip(SKIP_1) | instid1(VALU_DEP_1)
	v_fma_f64 v[2:3], v[149:150], v[143:144], v[2:3]
	s_waitcnt vmcnt(2)
	v_fma_f64 v[2:3], v[151:152], v[145:146], v[2:3]
	s_waitcnt lgkmcnt(0)
	s_delay_alu instid0(VALU_DEP_1) | instskip(SKIP_1) | instid1(VALU_DEP_1)
	v_fma_f64 v[2:3], v[153:154], v[155:156], v[2:3]
	s_waitcnt vmcnt(1)
	v_fma_f64 v[2:3], v[14:15], v[157:158], v[2:3]
	ds_load_b128 v[143:146], v1 offset:960
	ds_load_b64 v[14:15], v1 offset:976
	s_waitcnt lgkmcnt(1)
	v_fma_f64 v[2:3], v[16:17], v[143:144], v[2:3]
	s_waitcnt vmcnt(0)
	s_delay_alu instid0(VALU_DEP_1) | instskip(SKIP_1) | instid1(VALU_DEP_1)
	v_fma_f64 v[2:3], v[139:140], v[145:146], v[2:3]
	s_waitcnt lgkmcnt(0)
	v_fma_f64 v[2:3], v[141:142], v[14:15], v[2:3]
	s_delay_alu instid0(VALU_DEP_1)
	v_add_f64 v[2:3], v[12:13], -v[2:3]
	scratch_store_b64 off, v[2:3], off offset:200
	v_cmpx_lt_u32_e32 24, v0
	s_cbranch_execz .LBB60_327
; %bb.326:
	scratch_load_b64 v[3:4], off, off offset:192
	v_mov_b32_e32 v2, v1
	scratch_store_b64 off, v[1:2], off offset:192
	s_waitcnt vmcnt(0)
	ds_store_b64 v5, v[3:4]
.LBB60_327:
	s_or_b32 exec_lo, exec_lo, s0
	s_waitcnt lgkmcnt(0)
	s_waitcnt_vscnt null, 0x0
	s_barrier
	buffer_gl0_inv
	s_clause 0x4
	scratch_load_b128 v[12:15], off, off offset:192
	scratch_load_b128 v[16:19], off, off offset:208
	scratch_load_b128 v[139:142], off, off offset:224
	scratch_load_b128 v[143:146], off, off offset:240
	scratch_load_b128 v[147:150], off, off offset:256
	ds_load_2addr_b64 v[151:154], v1 offset0:87 offset1:88
	ds_load_2addr_b64 v[155:158], v1 offset0:89 offset1:90
	scratch_load_b128 v[159:162], off, off offset:272
	s_mov_b32 s0, exec_lo
	s_waitcnt vmcnt(5) lgkmcnt(1)
	v_fma_f64 v[2:3], v[14:15], v[151:152], 0
	s_waitcnt vmcnt(4)
	s_delay_alu instid0(VALU_DEP_1) | instskip(SKIP_4) | instid1(VALU_DEP_1)
	v_fma_f64 v[2:3], v[16:17], v[153:154], v[2:3]
	scratch_load_b128 v[14:17], off, off offset:288
	s_waitcnt lgkmcnt(0)
	v_fma_f64 v[2:3], v[18:19], v[155:156], v[2:3]
	s_waitcnt vmcnt(4)
	v_fma_f64 v[2:3], v[139:140], v[157:158], v[2:3]
	ds_load_2addr_b64 v[151:154], v1 offset0:91 offset1:92
	ds_load_2addr_b64 v[155:158], v1 offset0:93 offset1:94
	s_waitcnt lgkmcnt(1)
	v_fma_f64 v[2:3], v[141:142], v[151:152], v[2:3]
	scratch_load_b128 v[139:142], off, off offset:304
	s_waitcnt vmcnt(4)
	v_fma_f64 v[2:3], v[143:144], v[153:154], v[2:3]
	s_waitcnt lgkmcnt(0)
	s_delay_alu instid0(VALU_DEP_1)
	v_fma_f64 v[2:3], v[145:146], v[155:156], v[2:3]
	scratch_load_b128 v[143:146], off, off offset:320
	s_waitcnt vmcnt(4)
	v_fma_f64 v[2:3], v[147:148], v[157:158], v[2:3]
	ds_load_2addr_b64 v[151:154], v1 offset0:95 offset1:96
	ds_load_2addr_b64 v[155:158], v1 offset0:97 offset1:98
	s_waitcnt lgkmcnt(1)
	v_fma_f64 v[2:3], v[149:150], v[151:152], v[2:3]
	scratch_load_b128 v[147:150], off, off offset:336
	s_waitcnt vmcnt(4)
	v_fma_f64 v[2:3], v[159:160], v[153:154], v[2:3]
	scratch_load_b128 v[151:154], off, off offset:352
	s_waitcnt lgkmcnt(0)
	v_fma_f64 v[2:3], v[161:162], v[155:156], v[2:3]
	s_waitcnt vmcnt(4)
	s_delay_alu instid0(VALU_DEP_1)
	v_fma_f64 v[2:3], v[14:15], v[157:158], v[2:3]
	ds_load_2addr_b64 v[155:158], v1 offset0:99 offset1:100
	ds_load_2addr_b64 v[159:162], v1 offset0:101 offset1:102
	s_waitcnt lgkmcnt(1)
	v_fma_f64 v[2:3], v[16:17], v[155:156], v[2:3]
	scratch_load_b128 v[14:17], off, off offset:368
	s_waitcnt vmcnt(4)
	v_fma_f64 v[2:3], v[139:140], v[157:158], v[2:3]
	s_waitcnt lgkmcnt(0)
	s_delay_alu instid0(VALU_DEP_1)
	v_fma_f64 v[2:3], v[141:142], v[159:160], v[2:3]
	scratch_load_b128 v[139:142], off, off offset:384
	s_waitcnt vmcnt(4)
	v_fma_f64 v[2:3], v[143:144], v[161:162], v[2:3]
	ds_load_2addr_b64 v[155:158], v1 offset0:103 offset1:104
	ds_load_2addr_b64 v[159:162], v1 offset0:105 offset1:106
	s_waitcnt lgkmcnt(1)
	v_fma_f64 v[2:3], v[145:146], v[155:156], v[2:3]
	scratch_load_b128 v[143:146], off, off offset:400
	s_waitcnt vmcnt(4)
	v_fma_f64 v[2:3], v[147:148], v[157:158], v[2:3]
	s_waitcnt lgkmcnt(0)
	s_delay_alu instid0(VALU_DEP_1)
	v_fma_f64 v[2:3], v[149:150], v[159:160], v[2:3]
	scratch_load_b128 v[147:150], off, off offset:416
	s_waitcnt vmcnt(4)
	;; [unrolled: 13-line block ×3, first 2 shown]
	v_fma_f64 v[2:3], v[139:140], v[161:162], v[2:3]
	ds_load_2addr_b64 v[155:158], v1 offset0:111 offset1:112
	ds_load_2addr_b64 v[159:162], v1 offset0:113 offset1:114
	scratch_load_b64 v[18:19], off, off offset:480
	s_waitcnt lgkmcnt(1)
	v_fma_f64 v[2:3], v[141:142], v[155:156], v[2:3]
	scratch_load_b128 v[139:142], off, off offset:464
	s_waitcnt vmcnt(5)
	v_fma_f64 v[2:3], v[143:144], v[157:158], v[2:3]
	s_waitcnt lgkmcnt(0)
	s_delay_alu instid0(VALU_DEP_1)
	v_fma_f64 v[2:3], v[145:146], v[159:160], v[2:3]
	ds_load_2addr_b64 v[143:146], v1 offset0:115 offset1:116
	ds_load_2addr_b64 v[155:158], v1 offset0:117 offset1:118
	s_waitcnt vmcnt(4)
	v_fma_f64 v[2:3], v[147:148], v[161:162], v[2:3]
	s_waitcnt lgkmcnt(1)
	s_delay_alu instid0(VALU_DEP_1) | instskip(SKIP_1) | instid1(VALU_DEP_1)
	v_fma_f64 v[2:3], v[149:150], v[143:144], v[2:3]
	s_waitcnt vmcnt(3)
	v_fma_f64 v[2:3], v[151:152], v[145:146], v[2:3]
	s_waitcnt lgkmcnt(0)
	s_delay_alu instid0(VALU_DEP_1) | instskip(SKIP_1) | instid1(VALU_DEP_1)
	v_fma_f64 v[2:3], v[153:154], v[155:156], v[2:3]
	s_waitcnt vmcnt(2)
	v_fma_f64 v[14:15], v[14:15], v[157:158], v[2:3]
	ds_load_2addr_b64 v[143:146], v1 offset0:119 offset1:120
	ds_load_2addr_b64 v[1:4], v1 offset0:121 offset1:122
	s_waitcnt lgkmcnt(1)
	v_fma_f64 v[14:15], v[16:17], v[143:144], v[14:15]
	s_waitcnt vmcnt(0)
	s_delay_alu instid0(VALU_DEP_1) | instskip(SKIP_1) | instid1(VALU_DEP_1)
	v_fma_f64 v[14:15], v[139:140], v[145:146], v[14:15]
	s_waitcnt lgkmcnt(0)
	v_fma_f64 v[1:2], v[141:142], v[1:2], v[14:15]
	s_delay_alu instid0(VALU_DEP_1) | instskip(NEXT) | instid1(VALU_DEP_1)
	v_fma_f64 v[1:2], v[18:19], v[3:4], v[1:2]
	v_add_f64 v[1:2], v[12:13], -v[1:2]
	scratch_store_b64 off, v[1:2], off offset:192
	v_cmpx_lt_u32_e32 23, v0
	s_cbranch_execz .LBB60_329
; %bb.328:
	scratch_load_b64 v[1:2], off, off offset:184
	v_mov_b32_e32 v3, 0
	s_delay_alu instid0(VALU_DEP_1)
	v_mov_b32_e32 v4, v3
	scratch_store_b64 off, v[3:4], off offset:184
	s_waitcnt vmcnt(0)
	ds_store_b64 v5, v[1:2]
.LBB60_329:
	s_or_b32 exec_lo, exec_lo, s0
	s_waitcnt lgkmcnt(0)
	s_waitcnt_vscnt null, 0x0
	s_barrier
	buffer_gl0_inv
	s_clause 0x4
	scratch_load_b128 v[12:15], off, off offset:184
	scratch_load_b128 v[16:19], off, off offset:200
	;; [unrolled: 1-line block ×5, first 2 shown]
	v_mov_b32_e32 v1, 0
	ds_load_b128 v[151:154], v1 offset:688
	ds_load_b128 v[155:158], v1 offset:704
	scratch_load_b128 v[159:162], off, off offset:264
	s_mov_b32 s0, exec_lo
	s_waitcnt vmcnt(5) lgkmcnt(1)
	v_fma_f64 v[2:3], v[14:15], v[151:152], 0
	s_waitcnt vmcnt(4)
	s_delay_alu instid0(VALU_DEP_1) | instskip(SKIP_4) | instid1(VALU_DEP_1)
	v_fma_f64 v[2:3], v[16:17], v[153:154], v[2:3]
	scratch_load_b128 v[14:17], off, off offset:280
	s_waitcnt lgkmcnt(0)
	v_fma_f64 v[2:3], v[18:19], v[155:156], v[2:3]
	s_waitcnt vmcnt(4)
	v_fma_f64 v[2:3], v[139:140], v[157:158], v[2:3]
	ds_load_b128 v[151:154], v1 offset:720
	ds_load_b128 v[155:158], v1 offset:736
	s_waitcnt lgkmcnt(1)
	v_fma_f64 v[2:3], v[141:142], v[151:152], v[2:3]
	scratch_load_b128 v[139:142], off, off offset:296
	s_waitcnt vmcnt(4)
	v_fma_f64 v[2:3], v[143:144], v[153:154], v[2:3]
	s_waitcnt lgkmcnt(0)
	s_delay_alu instid0(VALU_DEP_1)
	v_fma_f64 v[2:3], v[145:146], v[155:156], v[2:3]
	scratch_load_b128 v[143:146], off, off offset:312
	s_waitcnt vmcnt(4)
	v_fma_f64 v[2:3], v[147:148], v[157:158], v[2:3]
	ds_load_b128 v[151:154], v1 offset:752
	ds_load_b128 v[155:158], v1 offset:768
	s_waitcnt lgkmcnt(1)
	v_fma_f64 v[2:3], v[149:150], v[151:152], v[2:3]
	scratch_load_b128 v[147:150], off, off offset:328
	s_waitcnt vmcnt(4)
	v_fma_f64 v[2:3], v[159:160], v[153:154], v[2:3]
	scratch_load_b128 v[151:154], off, off offset:344
	s_waitcnt lgkmcnt(0)
	v_fma_f64 v[2:3], v[161:162], v[155:156], v[2:3]
	s_waitcnt vmcnt(4)
	s_delay_alu instid0(VALU_DEP_1)
	v_fma_f64 v[2:3], v[14:15], v[157:158], v[2:3]
	ds_load_b128 v[155:158], v1 offset:784
	ds_load_b128 v[159:162], v1 offset:800
	s_waitcnt lgkmcnt(1)
	v_fma_f64 v[2:3], v[16:17], v[155:156], v[2:3]
	scratch_load_b128 v[14:17], off, off offset:360
	s_waitcnt vmcnt(4)
	v_fma_f64 v[2:3], v[139:140], v[157:158], v[2:3]
	s_waitcnt lgkmcnt(0)
	s_delay_alu instid0(VALU_DEP_1)
	v_fma_f64 v[2:3], v[141:142], v[159:160], v[2:3]
	scratch_load_b128 v[139:142], off, off offset:376
	s_waitcnt vmcnt(4)
	v_fma_f64 v[2:3], v[143:144], v[161:162], v[2:3]
	ds_load_b128 v[155:158], v1 offset:816
	ds_load_b128 v[159:162], v1 offset:832
	s_waitcnt lgkmcnt(1)
	v_fma_f64 v[2:3], v[145:146], v[155:156], v[2:3]
	scratch_load_b128 v[143:146], off, off offset:392
	s_waitcnt vmcnt(4)
	v_fma_f64 v[2:3], v[147:148], v[157:158], v[2:3]
	s_waitcnt lgkmcnt(0)
	s_delay_alu instid0(VALU_DEP_1)
	v_fma_f64 v[2:3], v[149:150], v[159:160], v[2:3]
	scratch_load_b128 v[147:150], off, off offset:408
	s_waitcnt vmcnt(4)
	;; [unrolled: 13-line block ×4, first 2 shown]
	v_fma_f64 v[2:3], v[147:148], v[161:162], v[2:3]
	ds_load_b128 v[155:158], v1 offset:912
	ds_load_b128 v[159:162], v1 offset:928
	s_waitcnt lgkmcnt(1)
	v_fma_f64 v[2:3], v[149:150], v[155:156], v[2:3]
	s_waitcnt vmcnt(3)
	s_delay_alu instid0(VALU_DEP_1) | instskip(SKIP_1) | instid1(VALU_DEP_1)
	v_fma_f64 v[2:3], v[151:152], v[157:158], v[2:3]
	s_waitcnt lgkmcnt(0)
	v_fma_f64 v[2:3], v[153:154], v[159:160], v[2:3]
	ds_load_b128 v[147:150], v1 offset:944
	ds_load_b128 v[151:154], v1 offset:960
	s_waitcnt vmcnt(2)
	v_fma_f64 v[2:3], v[14:15], v[161:162], v[2:3]
	ds_load_b64 v[14:15], v1 offset:976
	s_waitcnt lgkmcnt(2)
	v_fma_f64 v[2:3], v[16:17], v[147:148], v[2:3]
	s_waitcnt vmcnt(1)
	s_delay_alu instid0(VALU_DEP_1) | instskip(SKIP_1) | instid1(VALU_DEP_1)
	v_fma_f64 v[2:3], v[139:140], v[149:150], v[2:3]
	s_waitcnt lgkmcnt(1)
	v_fma_f64 v[2:3], v[141:142], v[151:152], v[2:3]
	s_waitcnt vmcnt(0)
	s_delay_alu instid0(VALU_DEP_1) | instskip(SKIP_1) | instid1(VALU_DEP_1)
	v_fma_f64 v[2:3], v[143:144], v[153:154], v[2:3]
	s_waitcnt lgkmcnt(0)
	v_fma_f64 v[2:3], v[145:146], v[14:15], v[2:3]
	s_delay_alu instid0(VALU_DEP_1)
	v_add_f64 v[2:3], v[12:13], -v[2:3]
	scratch_store_b64 off, v[2:3], off offset:184
	v_cmpx_lt_u32_e32 22, v0
	s_cbranch_execz .LBB60_331
; %bb.330:
	scratch_load_b64 v[3:4], off, off offset:176
	v_mov_b32_e32 v2, v1
	scratch_store_b64 off, v[1:2], off offset:176
	s_waitcnt vmcnt(0)
	ds_store_b64 v5, v[3:4]
.LBB60_331:
	s_or_b32 exec_lo, exec_lo, s0
	s_waitcnt lgkmcnt(0)
	s_waitcnt_vscnt null, 0x0
	s_barrier
	buffer_gl0_inv
	s_clause 0x4
	scratch_load_b128 v[12:15], off, off offset:176
	scratch_load_b128 v[16:19], off, off offset:192
	;; [unrolled: 1-line block ×5, first 2 shown]
	ds_load_2addr_b64 v[151:154], v1 offset0:85 offset1:86
	ds_load_2addr_b64 v[155:158], v1 offset0:87 offset1:88
	scratch_load_b128 v[159:162], off, off offset:256
	s_mov_b32 s0, exec_lo
	s_waitcnt vmcnt(5) lgkmcnt(1)
	v_fma_f64 v[2:3], v[14:15], v[151:152], 0
	s_waitcnt vmcnt(4)
	s_delay_alu instid0(VALU_DEP_1) | instskip(SKIP_4) | instid1(VALU_DEP_1)
	v_fma_f64 v[2:3], v[16:17], v[153:154], v[2:3]
	scratch_load_b128 v[14:17], off, off offset:272
	s_waitcnt lgkmcnt(0)
	v_fma_f64 v[2:3], v[18:19], v[155:156], v[2:3]
	s_waitcnt vmcnt(4)
	v_fma_f64 v[2:3], v[139:140], v[157:158], v[2:3]
	ds_load_2addr_b64 v[151:154], v1 offset0:89 offset1:90
	ds_load_2addr_b64 v[155:158], v1 offset0:91 offset1:92
	s_waitcnt lgkmcnt(1)
	v_fma_f64 v[2:3], v[141:142], v[151:152], v[2:3]
	scratch_load_b128 v[139:142], off, off offset:288
	s_waitcnt vmcnt(4)
	v_fma_f64 v[2:3], v[143:144], v[153:154], v[2:3]
	s_waitcnt lgkmcnt(0)
	s_delay_alu instid0(VALU_DEP_1)
	v_fma_f64 v[2:3], v[145:146], v[155:156], v[2:3]
	scratch_load_b128 v[143:146], off, off offset:304
	s_waitcnt vmcnt(4)
	v_fma_f64 v[2:3], v[147:148], v[157:158], v[2:3]
	ds_load_2addr_b64 v[151:154], v1 offset0:93 offset1:94
	ds_load_2addr_b64 v[155:158], v1 offset0:95 offset1:96
	s_waitcnt lgkmcnt(1)
	v_fma_f64 v[2:3], v[149:150], v[151:152], v[2:3]
	scratch_load_b128 v[147:150], off, off offset:320
	s_waitcnt vmcnt(4)
	v_fma_f64 v[2:3], v[159:160], v[153:154], v[2:3]
	scratch_load_b128 v[151:154], off, off offset:336
	s_waitcnt lgkmcnt(0)
	v_fma_f64 v[2:3], v[161:162], v[155:156], v[2:3]
	s_waitcnt vmcnt(4)
	s_delay_alu instid0(VALU_DEP_1)
	v_fma_f64 v[2:3], v[14:15], v[157:158], v[2:3]
	ds_load_2addr_b64 v[155:158], v1 offset0:97 offset1:98
	ds_load_2addr_b64 v[159:162], v1 offset0:99 offset1:100
	s_waitcnt lgkmcnt(1)
	v_fma_f64 v[2:3], v[16:17], v[155:156], v[2:3]
	scratch_load_b128 v[14:17], off, off offset:352
	s_waitcnt vmcnt(4)
	v_fma_f64 v[2:3], v[139:140], v[157:158], v[2:3]
	s_waitcnt lgkmcnt(0)
	s_delay_alu instid0(VALU_DEP_1)
	v_fma_f64 v[2:3], v[141:142], v[159:160], v[2:3]
	scratch_load_b128 v[139:142], off, off offset:368
	s_waitcnt vmcnt(4)
	v_fma_f64 v[2:3], v[143:144], v[161:162], v[2:3]
	ds_load_2addr_b64 v[155:158], v1 offset0:101 offset1:102
	ds_load_2addr_b64 v[159:162], v1 offset0:103 offset1:104
	s_waitcnt lgkmcnt(1)
	v_fma_f64 v[2:3], v[145:146], v[155:156], v[2:3]
	scratch_load_b128 v[143:146], off, off offset:384
	s_waitcnt vmcnt(4)
	v_fma_f64 v[2:3], v[147:148], v[157:158], v[2:3]
	s_waitcnt lgkmcnt(0)
	s_delay_alu instid0(VALU_DEP_1)
	v_fma_f64 v[2:3], v[149:150], v[159:160], v[2:3]
	scratch_load_b128 v[147:150], off, off offset:400
	s_waitcnt vmcnt(4)
	v_fma_f64 v[2:3], v[151:152], v[161:162], v[2:3]
	ds_load_2addr_b64 v[155:158], v1 offset0:105 offset1:106
	ds_load_2addr_b64 v[159:162], v1 offset0:107 offset1:108
	s_waitcnt lgkmcnt(1)
	v_fma_f64 v[2:3], v[153:154], v[155:156], v[2:3]
	scratch_load_b128 v[151:154], off, off offset:416
	s_waitcnt vmcnt(4)
	v_fma_f64 v[2:3], v[14:15], v[157:158], v[2:3]
	s_waitcnt lgkmcnt(0)
	s_delay_alu instid0(VALU_DEP_1)
	v_fma_f64 v[2:3], v[16:17], v[159:160], v[2:3]
	scratch_load_b128 v[14:17], off, off offset:432
	s_waitcnt vmcnt(4)
	v_fma_f64 v[2:3], v[139:140], v[161:162], v[2:3]
	ds_load_2addr_b64 v[155:158], v1 offset0:109 offset1:110
	ds_load_2addr_b64 v[159:162], v1 offset0:111 offset1:112
	s_waitcnt lgkmcnt(1)
	v_fma_f64 v[2:3], v[141:142], v[155:156], v[2:3]
	scratch_load_b128 v[139:142], off, off offset:448
	s_waitcnt vmcnt(4)
	v_fma_f64 v[2:3], v[143:144], v[157:158], v[2:3]
	s_waitcnt lgkmcnt(0)
	s_delay_alu instid0(VALU_DEP_1)
	v_fma_f64 v[2:3], v[145:146], v[159:160], v[2:3]
	scratch_load_b128 v[143:146], off, off offset:464
	s_waitcnt vmcnt(4)
	v_fma_f64 v[2:3], v[147:148], v[161:162], v[2:3]
	ds_load_2addr_b64 v[155:158], v1 offset0:113 offset1:114
	ds_load_2addr_b64 v[159:162], v1 offset0:115 offset1:116
	scratch_load_b64 v[18:19], off, off offset:480
	s_waitcnt lgkmcnt(1)
	v_fma_f64 v[2:3], v[149:150], v[155:156], v[2:3]
	s_waitcnt vmcnt(4)
	s_delay_alu instid0(VALU_DEP_1) | instskip(SKIP_1) | instid1(VALU_DEP_1)
	v_fma_f64 v[2:3], v[151:152], v[157:158], v[2:3]
	s_waitcnt lgkmcnt(0)
	v_fma_f64 v[2:3], v[153:154], v[159:160], v[2:3]
	ds_load_2addr_b64 v[147:150], v1 offset0:117 offset1:118
	ds_load_2addr_b64 v[151:154], v1 offset0:119 offset1:120
	s_waitcnt vmcnt(3)
	v_fma_f64 v[2:3], v[14:15], v[161:162], v[2:3]
	s_waitcnt lgkmcnt(1)
	s_delay_alu instid0(VALU_DEP_1) | instskip(SKIP_1) | instid1(VALU_DEP_1)
	v_fma_f64 v[2:3], v[16:17], v[147:148], v[2:3]
	s_waitcnt vmcnt(2)
	v_fma_f64 v[2:3], v[139:140], v[149:150], v[2:3]
	s_waitcnt lgkmcnt(0)
	s_delay_alu instid0(VALU_DEP_1) | instskip(SKIP_1) | instid1(VALU_DEP_1)
	v_fma_f64 v[2:3], v[141:142], v[151:152], v[2:3]
	s_waitcnt vmcnt(1)
	v_fma_f64 v[14:15], v[143:144], v[153:154], v[2:3]
	ds_load_2addr_b64 v[1:4], v1 offset0:121 offset1:122
	s_waitcnt lgkmcnt(0)
	v_fma_f64 v[1:2], v[145:146], v[1:2], v[14:15]
	s_waitcnt vmcnt(0)
	s_delay_alu instid0(VALU_DEP_1) | instskip(NEXT) | instid1(VALU_DEP_1)
	v_fma_f64 v[1:2], v[18:19], v[3:4], v[1:2]
	v_add_f64 v[1:2], v[12:13], -v[1:2]
	scratch_store_b64 off, v[1:2], off offset:176
	v_cmpx_lt_u32_e32 21, v0
	s_cbranch_execz .LBB60_333
; %bb.332:
	scratch_load_b64 v[1:2], off, off offset:168
	v_mov_b32_e32 v3, 0
	s_delay_alu instid0(VALU_DEP_1)
	v_mov_b32_e32 v4, v3
	scratch_store_b64 off, v[3:4], off offset:168
	s_waitcnt vmcnt(0)
	ds_store_b64 v5, v[1:2]
.LBB60_333:
	s_or_b32 exec_lo, exec_lo, s0
	s_waitcnt lgkmcnt(0)
	s_waitcnt_vscnt null, 0x0
	s_barrier
	buffer_gl0_inv
	s_clause 0x4
	scratch_load_b128 v[12:15], off, off offset:168
	scratch_load_b128 v[16:19], off, off offset:184
	;; [unrolled: 1-line block ×5, first 2 shown]
	v_mov_b32_e32 v1, 0
	ds_load_b128 v[151:154], v1 offset:672
	ds_load_b128 v[155:158], v1 offset:688
	scratch_load_b128 v[159:162], off, off offset:248
	s_mov_b32 s0, exec_lo
	s_waitcnt vmcnt(5) lgkmcnt(1)
	v_fma_f64 v[2:3], v[14:15], v[151:152], 0
	s_waitcnt vmcnt(4)
	s_delay_alu instid0(VALU_DEP_1) | instskip(SKIP_4) | instid1(VALU_DEP_1)
	v_fma_f64 v[2:3], v[16:17], v[153:154], v[2:3]
	scratch_load_b128 v[14:17], off, off offset:264
	s_waitcnt lgkmcnt(0)
	v_fma_f64 v[2:3], v[18:19], v[155:156], v[2:3]
	s_waitcnt vmcnt(4)
	v_fma_f64 v[2:3], v[139:140], v[157:158], v[2:3]
	ds_load_b128 v[151:154], v1 offset:704
	ds_load_b128 v[155:158], v1 offset:720
	s_waitcnt lgkmcnt(1)
	v_fma_f64 v[2:3], v[141:142], v[151:152], v[2:3]
	scratch_load_b128 v[139:142], off, off offset:280
	s_waitcnt vmcnt(4)
	v_fma_f64 v[2:3], v[143:144], v[153:154], v[2:3]
	s_waitcnt lgkmcnt(0)
	s_delay_alu instid0(VALU_DEP_1)
	v_fma_f64 v[2:3], v[145:146], v[155:156], v[2:3]
	scratch_load_b128 v[143:146], off, off offset:296
	s_waitcnt vmcnt(4)
	v_fma_f64 v[2:3], v[147:148], v[157:158], v[2:3]
	ds_load_b128 v[151:154], v1 offset:736
	ds_load_b128 v[155:158], v1 offset:752
	s_waitcnt lgkmcnt(1)
	v_fma_f64 v[2:3], v[149:150], v[151:152], v[2:3]
	scratch_load_b128 v[147:150], off, off offset:312
	s_waitcnt vmcnt(4)
	v_fma_f64 v[2:3], v[159:160], v[153:154], v[2:3]
	scratch_load_b128 v[151:154], off, off offset:328
	s_waitcnt lgkmcnt(0)
	v_fma_f64 v[2:3], v[161:162], v[155:156], v[2:3]
	s_waitcnt vmcnt(4)
	s_delay_alu instid0(VALU_DEP_1)
	v_fma_f64 v[2:3], v[14:15], v[157:158], v[2:3]
	ds_load_b128 v[155:158], v1 offset:768
	ds_load_b128 v[159:162], v1 offset:784
	s_waitcnt lgkmcnt(1)
	v_fma_f64 v[2:3], v[16:17], v[155:156], v[2:3]
	scratch_load_b128 v[14:17], off, off offset:344
	s_waitcnt vmcnt(4)
	v_fma_f64 v[2:3], v[139:140], v[157:158], v[2:3]
	s_waitcnt lgkmcnt(0)
	s_delay_alu instid0(VALU_DEP_1)
	v_fma_f64 v[2:3], v[141:142], v[159:160], v[2:3]
	scratch_load_b128 v[139:142], off, off offset:360
	s_waitcnt vmcnt(4)
	v_fma_f64 v[2:3], v[143:144], v[161:162], v[2:3]
	ds_load_b128 v[155:158], v1 offset:800
	ds_load_b128 v[159:162], v1 offset:816
	s_waitcnt lgkmcnt(1)
	v_fma_f64 v[2:3], v[145:146], v[155:156], v[2:3]
	scratch_load_b128 v[143:146], off, off offset:376
	s_waitcnt vmcnt(4)
	v_fma_f64 v[2:3], v[147:148], v[157:158], v[2:3]
	s_waitcnt lgkmcnt(0)
	s_delay_alu instid0(VALU_DEP_1)
	v_fma_f64 v[2:3], v[149:150], v[159:160], v[2:3]
	scratch_load_b128 v[147:150], off, off offset:392
	s_waitcnt vmcnt(4)
	;; [unrolled: 13-line block ×4, first 2 shown]
	v_fma_f64 v[2:3], v[147:148], v[161:162], v[2:3]
	ds_load_b128 v[155:158], v1 offset:896
	ds_load_b128 v[159:162], v1 offset:912
	s_waitcnt lgkmcnt(1)
	v_fma_f64 v[2:3], v[149:150], v[155:156], v[2:3]
	scratch_load_b128 v[147:150], off, off offset:472
	s_waitcnt vmcnt(4)
	v_fma_f64 v[2:3], v[151:152], v[157:158], v[2:3]
	s_waitcnt lgkmcnt(0)
	s_delay_alu instid0(VALU_DEP_1)
	v_fma_f64 v[2:3], v[153:154], v[159:160], v[2:3]
	ds_load_b128 v[151:154], v1 offset:928
	ds_load_b128 v[155:158], v1 offset:944
	s_waitcnt vmcnt(3)
	v_fma_f64 v[2:3], v[14:15], v[161:162], v[2:3]
	s_waitcnt lgkmcnt(1)
	s_delay_alu instid0(VALU_DEP_1)
	v_fma_f64 v[2:3], v[16:17], v[151:152], v[2:3]
	ds_load_b128 v[14:17], v1 offset:960
	ds_load_b64 v[18:19], v1 offset:976
	s_waitcnt vmcnt(2)
	v_fma_f64 v[2:3], v[139:140], v[153:154], v[2:3]
	s_waitcnt lgkmcnt(2)
	s_delay_alu instid0(VALU_DEP_1) | instskip(SKIP_1) | instid1(VALU_DEP_1)
	v_fma_f64 v[2:3], v[141:142], v[155:156], v[2:3]
	s_waitcnt vmcnt(1)
	v_fma_f64 v[2:3], v[143:144], v[157:158], v[2:3]
	s_waitcnt lgkmcnt(1)
	s_delay_alu instid0(VALU_DEP_1) | instskip(SKIP_1) | instid1(VALU_DEP_1)
	v_fma_f64 v[2:3], v[145:146], v[14:15], v[2:3]
	s_waitcnt vmcnt(0)
	v_fma_f64 v[2:3], v[147:148], v[16:17], v[2:3]
	s_waitcnt lgkmcnt(0)
	s_delay_alu instid0(VALU_DEP_1) | instskip(NEXT) | instid1(VALU_DEP_1)
	v_fma_f64 v[2:3], v[149:150], v[18:19], v[2:3]
	v_add_f64 v[2:3], v[12:13], -v[2:3]
	scratch_store_b64 off, v[2:3], off offset:168
	v_cmpx_lt_u32_e32 20, v0
	s_cbranch_execz .LBB60_335
; %bb.334:
	scratch_load_b64 v[3:4], off, off offset:160
	v_mov_b32_e32 v2, v1
	scratch_store_b64 off, v[1:2], off offset:160
	s_waitcnt vmcnt(0)
	ds_store_b64 v5, v[3:4]
.LBB60_335:
	s_or_b32 exec_lo, exec_lo, s0
	s_waitcnt lgkmcnt(0)
	s_waitcnt_vscnt null, 0x0
	s_barrier
	buffer_gl0_inv
	s_clause 0x4
	scratch_load_b128 v[12:15], off, off offset:160
	scratch_load_b128 v[16:19], off, off offset:176
	;; [unrolled: 1-line block ×5, first 2 shown]
	ds_load_2addr_b64 v[151:154], v1 offset0:83 offset1:84
	ds_load_2addr_b64 v[155:158], v1 offset0:85 offset1:86
	scratch_load_b128 v[159:162], off, off offset:240
	s_mov_b32 s0, exec_lo
	s_waitcnt vmcnt(5) lgkmcnt(1)
	v_fma_f64 v[2:3], v[14:15], v[151:152], 0
	s_waitcnt vmcnt(4)
	s_delay_alu instid0(VALU_DEP_1) | instskip(SKIP_4) | instid1(VALU_DEP_1)
	v_fma_f64 v[2:3], v[16:17], v[153:154], v[2:3]
	scratch_load_b128 v[14:17], off, off offset:256
	s_waitcnt lgkmcnt(0)
	v_fma_f64 v[2:3], v[18:19], v[155:156], v[2:3]
	s_waitcnt vmcnt(4)
	v_fma_f64 v[2:3], v[139:140], v[157:158], v[2:3]
	ds_load_2addr_b64 v[151:154], v1 offset0:87 offset1:88
	ds_load_2addr_b64 v[155:158], v1 offset0:89 offset1:90
	s_waitcnt lgkmcnt(1)
	v_fma_f64 v[2:3], v[141:142], v[151:152], v[2:3]
	scratch_load_b128 v[139:142], off, off offset:272
	s_waitcnt vmcnt(4)
	v_fma_f64 v[2:3], v[143:144], v[153:154], v[2:3]
	s_waitcnt lgkmcnt(0)
	s_delay_alu instid0(VALU_DEP_1)
	v_fma_f64 v[2:3], v[145:146], v[155:156], v[2:3]
	scratch_load_b128 v[143:146], off, off offset:288
	s_waitcnt vmcnt(4)
	v_fma_f64 v[2:3], v[147:148], v[157:158], v[2:3]
	ds_load_2addr_b64 v[151:154], v1 offset0:91 offset1:92
	ds_load_2addr_b64 v[155:158], v1 offset0:93 offset1:94
	s_waitcnt lgkmcnt(1)
	v_fma_f64 v[2:3], v[149:150], v[151:152], v[2:3]
	scratch_load_b128 v[147:150], off, off offset:304
	s_waitcnt vmcnt(4)
	v_fma_f64 v[2:3], v[159:160], v[153:154], v[2:3]
	scratch_load_b128 v[151:154], off, off offset:320
	s_waitcnt lgkmcnt(0)
	v_fma_f64 v[2:3], v[161:162], v[155:156], v[2:3]
	s_waitcnt vmcnt(4)
	s_delay_alu instid0(VALU_DEP_1)
	v_fma_f64 v[2:3], v[14:15], v[157:158], v[2:3]
	ds_load_2addr_b64 v[155:158], v1 offset0:95 offset1:96
	ds_load_2addr_b64 v[159:162], v1 offset0:97 offset1:98
	s_waitcnt lgkmcnt(1)
	v_fma_f64 v[2:3], v[16:17], v[155:156], v[2:3]
	scratch_load_b128 v[14:17], off, off offset:336
	s_waitcnt vmcnt(4)
	v_fma_f64 v[2:3], v[139:140], v[157:158], v[2:3]
	s_waitcnt lgkmcnt(0)
	s_delay_alu instid0(VALU_DEP_1)
	v_fma_f64 v[2:3], v[141:142], v[159:160], v[2:3]
	scratch_load_b128 v[139:142], off, off offset:352
	s_waitcnt vmcnt(4)
	v_fma_f64 v[2:3], v[143:144], v[161:162], v[2:3]
	ds_load_2addr_b64 v[155:158], v1 offset0:99 offset1:100
	ds_load_2addr_b64 v[159:162], v1 offset0:101 offset1:102
	s_waitcnt lgkmcnt(1)
	v_fma_f64 v[2:3], v[145:146], v[155:156], v[2:3]
	scratch_load_b128 v[143:146], off, off offset:368
	s_waitcnt vmcnt(4)
	v_fma_f64 v[2:3], v[147:148], v[157:158], v[2:3]
	s_waitcnt lgkmcnt(0)
	s_delay_alu instid0(VALU_DEP_1)
	v_fma_f64 v[2:3], v[149:150], v[159:160], v[2:3]
	scratch_load_b128 v[147:150], off, off offset:384
	s_waitcnt vmcnt(4)
	;; [unrolled: 13-line block ×4, first 2 shown]
	v_fma_f64 v[2:3], v[147:148], v[161:162], v[2:3]
	ds_load_2addr_b64 v[155:158], v1 offset0:111 offset1:112
	ds_load_2addr_b64 v[159:162], v1 offset0:113 offset1:114
	scratch_load_b64 v[18:19], off, off offset:480
	s_waitcnt lgkmcnt(1)
	v_fma_f64 v[2:3], v[149:150], v[155:156], v[2:3]
	scratch_load_b128 v[147:150], off, off offset:464
	s_waitcnt vmcnt(5)
	v_fma_f64 v[2:3], v[151:152], v[157:158], v[2:3]
	s_waitcnt lgkmcnt(0)
	s_delay_alu instid0(VALU_DEP_1)
	v_fma_f64 v[2:3], v[153:154], v[159:160], v[2:3]
	ds_load_2addr_b64 v[151:154], v1 offset0:115 offset1:116
	ds_load_2addr_b64 v[155:158], v1 offset0:117 offset1:118
	s_waitcnt vmcnt(4)
	v_fma_f64 v[2:3], v[14:15], v[161:162], v[2:3]
	s_waitcnt lgkmcnt(1)
	s_delay_alu instid0(VALU_DEP_1) | instskip(SKIP_1) | instid1(VALU_DEP_1)
	v_fma_f64 v[2:3], v[16:17], v[151:152], v[2:3]
	s_waitcnt vmcnt(3)
	v_fma_f64 v[2:3], v[139:140], v[153:154], v[2:3]
	s_waitcnt lgkmcnt(0)
	s_delay_alu instid0(VALU_DEP_1) | instskip(SKIP_1) | instid1(VALU_DEP_1)
	v_fma_f64 v[2:3], v[141:142], v[155:156], v[2:3]
	s_waitcnt vmcnt(2)
	v_fma_f64 v[35:36], v[143:144], v[157:158], v[2:3]
	ds_load_2addr_b64 v[14:17], v1 offset0:119 offset1:120
	ds_load_2addr_b64 v[1:4], v1 offset0:121 offset1:122
	s_waitcnt lgkmcnt(1)
	v_fma_f64 v[14:15], v[145:146], v[14:15], v[35:36]
	s_waitcnt vmcnt(0)
	s_delay_alu instid0(VALU_DEP_1) | instskip(SKIP_1) | instid1(VALU_DEP_1)
	v_fma_f64 v[14:15], v[147:148], v[16:17], v[14:15]
	s_waitcnt lgkmcnt(0)
	v_fma_f64 v[1:2], v[149:150], v[1:2], v[14:15]
	s_delay_alu instid0(VALU_DEP_1) | instskip(NEXT) | instid1(VALU_DEP_1)
	v_fma_f64 v[1:2], v[18:19], v[3:4], v[1:2]
	v_add_f64 v[1:2], v[12:13], -v[1:2]
	scratch_store_b64 off, v[1:2], off offset:160
	v_cmpx_lt_u32_e32 19, v0
	s_cbranch_execz .LBB60_337
; %bb.336:
	scratch_load_b64 v[1:2], off, off offset:152
	v_mov_b32_e32 v3, 0
	s_delay_alu instid0(VALU_DEP_1)
	v_mov_b32_e32 v4, v3
	scratch_store_b64 off, v[3:4], off offset:152
	s_waitcnt vmcnt(0)
	ds_store_b64 v5, v[1:2]
.LBB60_337:
	s_or_b32 exec_lo, exec_lo, s0
	s_waitcnt lgkmcnt(0)
	s_waitcnt_vscnt null, 0x0
	s_barrier
	buffer_gl0_inv
	s_clause 0x4
	scratch_load_b128 v[12:15], off, off offset:152
	scratch_load_b128 v[16:19], off, off offset:168
	;; [unrolled: 1-line block ×5, first 2 shown]
	v_mov_b32_e32 v1, 0
	ds_load_b128 v[151:154], v1 offset:656
	ds_load_b128 v[155:158], v1 offset:672
	scratch_load_b128 v[159:162], off, off offset:232
	s_mov_b32 s0, exec_lo
	s_waitcnt vmcnt(5) lgkmcnt(1)
	v_fma_f64 v[2:3], v[14:15], v[151:152], 0
	s_waitcnt vmcnt(4)
	s_delay_alu instid0(VALU_DEP_1) | instskip(SKIP_4) | instid1(VALU_DEP_1)
	v_fma_f64 v[2:3], v[16:17], v[153:154], v[2:3]
	scratch_load_b128 v[14:17], off, off offset:248
	s_waitcnt lgkmcnt(0)
	v_fma_f64 v[2:3], v[18:19], v[155:156], v[2:3]
	s_waitcnt vmcnt(4)
	v_fma_f64 v[2:3], v[139:140], v[157:158], v[2:3]
	ds_load_b128 v[151:154], v1 offset:688
	ds_load_b128 v[155:158], v1 offset:704
	s_waitcnt lgkmcnt(1)
	v_fma_f64 v[2:3], v[141:142], v[151:152], v[2:3]
	scratch_load_b128 v[139:142], off, off offset:264
	s_waitcnt vmcnt(4)
	v_fma_f64 v[2:3], v[143:144], v[153:154], v[2:3]
	s_waitcnt lgkmcnt(0)
	s_delay_alu instid0(VALU_DEP_1)
	v_fma_f64 v[2:3], v[145:146], v[155:156], v[2:3]
	scratch_load_b128 v[143:146], off, off offset:280
	s_waitcnt vmcnt(4)
	v_fma_f64 v[2:3], v[147:148], v[157:158], v[2:3]
	ds_load_b128 v[151:154], v1 offset:720
	ds_load_b128 v[155:158], v1 offset:736
	s_waitcnt lgkmcnt(1)
	v_fma_f64 v[2:3], v[149:150], v[151:152], v[2:3]
	scratch_load_b128 v[147:150], off, off offset:296
	s_waitcnt vmcnt(4)
	v_fma_f64 v[2:3], v[159:160], v[153:154], v[2:3]
	scratch_load_b128 v[151:154], off, off offset:312
	s_waitcnt lgkmcnt(0)
	v_fma_f64 v[2:3], v[161:162], v[155:156], v[2:3]
	s_waitcnt vmcnt(4)
	s_delay_alu instid0(VALU_DEP_1)
	v_fma_f64 v[2:3], v[14:15], v[157:158], v[2:3]
	ds_load_b128 v[155:158], v1 offset:752
	ds_load_b128 v[159:162], v1 offset:768
	s_waitcnt lgkmcnt(1)
	v_fma_f64 v[2:3], v[16:17], v[155:156], v[2:3]
	scratch_load_b128 v[14:17], off, off offset:328
	s_waitcnt vmcnt(4)
	v_fma_f64 v[2:3], v[139:140], v[157:158], v[2:3]
	s_waitcnt lgkmcnt(0)
	s_delay_alu instid0(VALU_DEP_1)
	v_fma_f64 v[2:3], v[141:142], v[159:160], v[2:3]
	scratch_load_b128 v[139:142], off, off offset:344
	s_waitcnt vmcnt(4)
	v_fma_f64 v[2:3], v[143:144], v[161:162], v[2:3]
	ds_load_b128 v[155:158], v1 offset:784
	ds_load_b128 v[159:162], v1 offset:800
	s_waitcnt lgkmcnt(1)
	v_fma_f64 v[2:3], v[145:146], v[155:156], v[2:3]
	scratch_load_b128 v[143:146], off, off offset:360
	s_waitcnt vmcnt(4)
	v_fma_f64 v[2:3], v[147:148], v[157:158], v[2:3]
	s_waitcnt lgkmcnt(0)
	s_delay_alu instid0(VALU_DEP_1)
	v_fma_f64 v[2:3], v[149:150], v[159:160], v[2:3]
	scratch_load_b128 v[147:150], off, off offset:376
	s_waitcnt vmcnt(4)
	;; [unrolled: 13-line block ×5, first 2 shown]
	v_fma_f64 v[2:3], v[14:15], v[161:162], v[2:3]
	ds_load_b128 v[155:158], v1 offset:912
	ds_load_b128 v[159:162], v1 offset:928
	s_waitcnt lgkmcnt(1)
	v_fma_f64 v[2:3], v[16:17], v[155:156], v[2:3]
	s_waitcnt vmcnt(3)
	s_delay_alu instid0(VALU_DEP_1) | instskip(SKIP_1) | instid1(VALU_DEP_1)
	v_fma_f64 v[2:3], v[139:140], v[157:158], v[2:3]
	s_waitcnt lgkmcnt(0)
	v_fma_f64 v[2:3], v[141:142], v[159:160], v[2:3]
	ds_load_b128 v[14:17], v1 offset:944
	ds_load_b128 v[139:142], v1 offset:960
	s_waitcnt vmcnt(2)
	v_fma_f64 v[2:3], v[143:144], v[161:162], v[2:3]
	s_waitcnt lgkmcnt(1)
	s_delay_alu instid0(VALU_DEP_1) | instskip(SKIP_4) | instid1(VALU_DEP_1)
	v_fma_f64 v[2:3], v[145:146], v[14:15], v[2:3]
	ds_load_b64 v[14:15], v1 offset:976
	s_waitcnt vmcnt(1)
	v_fma_f64 v[2:3], v[147:148], v[16:17], v[2:3]
	s_waitcnt lgkmcnt(1)
	v_fma_f64 v[2:3], v[149:150], v[139:140], v[2:3]
	s_waitcnt vmcnt(0)
	s_delay_alu instid0(VALU_DEP_1) | instskip(SKIP_1) | instid1(VALU_DEP_1)
	v_fma_f64 v[2:3], v[151:152], v[141:142], v[2:3]
	s_waitcnt lgkmcnt(0)
	v_fma_f64 v[2:3], v[153:154], v[14:15], v[2:3]
	s_delay_alu instid0(VALU_DEP_1)
	v_add_f64 v[2:3], v[12:13], -v[2:3]
	scratch_store_b64 off, v[2:3], off offset:152
	v_cmpx_lt_u32_e32 18, v0
	s_cbranch_execz .LBB60_339
; %bb.338:
	scratch_load_b64 v[3:4], off, off offset:144
	v_mov_b32_e32 v2, v1
	scratch_store_b64 off, v[1:2], off offset:144
	s_waitcnt vmcnt(0)
	ds_store_b64 v5, v[3:4]
.LBB60_339:
	s_or_b32 exec_lo, exec_lo, s0
	s_waitcnt lgkmcnt(0)
	s_waitcnt_vscnt null, 0x0
	s_barrier
	buffer_gl0_inv
	s_clause 0x4
	scratch_load_b128 v[12:15], off, off offset:144
	scratch_load_b128 v[16:19], off, off offset:160
	;; [unrolled: 1-line block ×5, first 2 shown]
	ds_load_2addr_b64 v[151:154], v1 offset0:81 offset1:82
	ds_load_2addr_b64 v[155:158], v1 offset0:83 offset1:84
	scratch_load_b128 v[159:162], off, off offset:224
	s_mov_b32 s0, exec_lo
	s_waitcnt vmcnt(5) lgkmcnt(1)
	v_fma_f64 v[2:3], v[14:15], v[151:152], 0
	s_waitcnt vmcnt(4)
	s_delay_alu instid0(VALU_DEP_1) | instskip(SKIP_4) | instid1(VALU_DEP_1)
	v_fma_f64 v[2:3], v[16:17], v[153:154], v[2:3]
	scratch_load_b128 v[14:17], off, off offset:240
	s_waitcnt lgkmcnt(0)
	v_fma_f64 v[2:3], v[18:19], v[155:156], v[2:3]
	s_waitcnt vmcnt(4)
	v_fma_f64 v[2:3], v[139:140], v[157:158], v[2:3]
	ds_load_2addr_b64 v[151:154], v1 offset0:85 offset1:86
	ds_load_2addr_b64 v[155:158], v1 offset0:87 offset1:88
	s_waitcnt lgkmcnt(1)
	v_fma_f64 v[2:3], v[141:142], v[151:152], v[2:3]
	scratch_load_b128 v[139:142], off, off offset:256
	s_waitcnt vmcnt(4)
	v_fma_f64 v[2:3], v[143:144], v[153:154], v[2:3]
	s_waitcnt lgkmcnt(0)
	s_delay_alu instid0(VALU_DEP_1)
	v_fma_f64 v[2:3], v[145:146], v[155:156], v[2:3]
	scratch_load_b128 v[143:146], off, off offset:272
	s_waitcnt vmcnt(4)
	v_fma_f64 v[2:3], v[147:148], v[157:158], v[2:3]
	ds_load_2addr_b64 v[151:154], v1 offset0:89 offset1:90
	ds_load_2addr_b64 v[155:158], v1 offset0:91 offset1:92
	s_waitcnt lgkmcnt(1)
	v_fma_f64 v[2:3], v[149:150], v[151:152], v[2:3]
	scratch_load_b128 v[147:150], off, off offset:288
	s_waitcnt vmcnt(4)
	v_fma_f64 v[2:3], v[159:160], v[153:154], v[2:3]
	scratch_load_b128 v[151:154], off, off offset:304
	s_waitcnt lgkmcnt(0)
	v_fma_f64 v[2:3], v[161:162], v[155:156], v[2:3]
	s_waitcnt vmcnt(4)
	s_delay_alu instid0(VALU_DEP_1)
	v_fma_f64 v[2:3], v[14:15], v[157:158], v[2:3]
	ds_load_2addr_b64 v[155:158], v1 offset0:93 offset1:94
	ds_load_2addr_b64 v[159:162], v1 offset0:95 offset1:96
	s_waitcnt lgkmcnt(1)
	v_fma_f64 v[2:3], v[16:17], v[155:156], v[2:3]
	scratch_load_b128 v[14:17], off, off offset:320
	s_waitcnt vmcnt(4)
	v_fma_f64 v[2:3], v[139:140], v[157:158], v[2:3]
	s_waitcnt lgkmcnt(0)
	s_delay_alu instid0(VALU_DEP_1)
	v_fma_f64 v[2:3], v[141:142], v[159:160], v[2:3]
	scratch_load_b128 v[139:142], off, off offset:336
	s_waitcnt vmcnt(4)
	v_fma_f64 v[2:3], v[143:144], v[161:162], v[2:3]
	ds_load_2addr_b64 v[155:158], v1 offset0:97 offset1:98
	ds_load_2addr_b64 v[159:162], v1 offset0:99 offset1:100
	s_waitcnt lgkmcnt(1)
	v_fma_f64 v[2:3], v[145:146], v[155:156], v[2:3]
	scratch_load_b128 v[143:146], off, off offset:352
	s_waitcnt vmcnt(4)
	v_fma_f64 v[2:3], v[147:148], v[157:158], v[2:3]
	s_waitcnt lgkmcnt(0)
	s_delay_alu instid0(VALU_DEP_1)
	v_fma_f64 v[2:3], v[149:150], v[159:160], v[2:3]
	scratch_load_b128 v[147:150], off, off offset:368
	s_waitcnt vmcnt(4)
	v_fma_f64 v[2:3], v[151:152], v[161:162], v[2:3]
	ds_load_2addr_b64 v[155:158], v1 offset0:101 offset1:102
	ds_load_2addr_b64 v[159:162], v1 offset0:103 offset1:104
	s_waitcnt lgkmcnt(1)
	v_fma_f64 v[2:3], v[153:154], v[155:156], v[2:3]
	scratch_load_b128 v[151:154], off, off offset:384
	s_waitcnt vmcnt(4)
	v_fma_f64 v[2:3], v[14:15], v[157:158], v[2:3]
	s_waitcnt lgkmcnt(0)
	s_delay_alu instid0(VALU_DEP_1)
	v_fma_f64 v[2:3], v[16:17], v[159:160], v[2:3]
	scratch_load_b128 v[14:17], off, off offset:400
	s_waitcnt vmcnt(4)
	v_fma_f64 v[2:3], v[139:140], v[161:162], v[2:3]
	ds_load_2addr_b64 v[155:158], v1 offset0:105 offset1:106
	ds_load_2addr_b64 v[159:162], v1 offset0:107 offset1:108
	s_waitcnt lgkmcnt(1)
	v_fma_f64 v[2:3], v[141:142], v[155:156], v[2:3]
	scratch_load_b128 v[139:142], off, off offset:416
	s_waitcnt vmcnt(4)
	v_fma_f64 v[2:3], v[143:144], v[157:158], v[2:3]
	s_waitcnt lgkmcnt(0)
	s_delay_alu instid0(VALU_DEP_1)
	v_fma_f64 v[2:3], v[145:146], v[159:160], v[2:3]
	scratch_load_b128 v[143:146], off, off offset:432
	s_waitcnt vmcnt(4)
	v_fma_f64 v[2:3], v[147:148], v[161:162], v[2:3]
	ds_load_2addr_b64 v[155:158], v1 offset0:109 offset1:110
	ds_load_2addr_b64 v[159:162], v1 offset0:111 offset1:112
	s_waitcnt lgkmcnt(1)
	v_fma_f64 v[2:3], v[149:150], v[155:156], v[2:3]
	scratch_load_b128 v[147:150], off, off offset:448
	s_waitcnt vmcnt(4)
	v_fma_f64 v[2:3], v[151:152], v[157:158], v[2:3]
	s_waitcnt lgkmcnt(0)
	s_delay_alu instid0(VALU_DEP_1)
	v_fma_f64 v[2:3], v[153:154], v[159:160], v[2:3]
	scratch_load_b128 v[151:154], off, off offset:464
	s_waitcnt vmcnt(4)
	v_fma_f64 v[2:3], v[14:15], v[161:162], v[2:3]
	ds_load_2addr_b64 v[155:158], v1 offset0:113 offset1:114
	ds_load_2addr_b64 v[159:162], v1 offset0:115 offset1:116
	scratch_load_b64 v[18:19], off, off offset:480
	s_waitcnt lgkmcnt(1)
	v_fma_f64 v[2:3], v[16:17], v[155:156], v[2:3]
	s_waitcnt vmcnt(4)
	s_delay_alu instid0(VALU_DEP_1) | instskip(SKIP_1) | instid1(VALU_DEP_1)
	v_fma_f64 v[2:3], v[139:140], v[157:158], v[2:3]
	s_waitcnt lgkmcnt(0)
	v_fma_f64 v[2:3], v[141:142], v[159:160], v[2:3]
	ds_load_2addr_b64 v[14:17], v1 offset0:117 offset1:118
	ds_load_2addr_b64 v[139:142], v1 offset0:119 offset1:120
	s_waitcnt vmcnt(3)
	v_fma_f64 v[2:3], v[143:144], v[161:162], v[2:3]
	s_waitcnt lgkmcnt(1)
	s_delay_alu instid0(VALU_DEP_1) | instskip(SKIP_1) | instid1(VALU_DEP_1)
	v_fma_f64 v[2:3], v[145:146], v[14:15], v[2:3]
	s_waitcnt vmcnt(2)
	v_fma_f64 v[2:3], v[147:148], v[16:17], v[2:3]
	s_waitcnt lgkmcnt(0)
	s_delay_alu instid0(VALU_DEP_1) | instskip(SKIP_1) | instid1(VALU_DEP_1)
	v_fma_f64 v[2:3], v[149:150], v[139:140], v[2:3]
	s_waitcnt vmcnt(1)
	v_fma_f64 v[14:15], v[151:152], v[141:142], v[2:3]
	ds_load_2addr_b64 v[1:4], v1 offset0:121 offset1:122
	s_waitcnt lgkmcnt(0)
	v_fma_f64 v[1:2], v[153:154], v[1:2], v[14:15]
	s_waitcnt vmcnt(0)
	s_delay_alu instid0(VALU_DEP_1) | instskip(NEXT) | instid1(VALU_DEP_1)
	v_fma_f64 v[1:2], v[18:19], v[3:4], v[1:2]
	v_add_f64 v[1:2], v[12:13], -v[1:2]
	scratch_store_b64 off, v[1:2], off offset:144
	v_cmpx_lt_u32_e32 17, v0
	s_cbranch_execz .LBB60_341
; %bb.340:
	scratch_load_b64 v[1:2], off, off offset:136
	v_mov_b32_e32 v3, 0
	s_delay_alu instid0(VALU_DEP_1)
	v_mov_b32_e32 v4, v3
	scratch_store_b64 off, v[3:4], off offset:136
	s_waitcnt vmcnt(0)
	ds_store_b64 v5, v[1:2]
.LBB60_341:
	s_or_b32 exec_lo, exec_lo, s0
	s_waitcnt lgkmcnt(0)
	s_waitcnt_vscnt null, 0x0
	s_barrier
	buffer_gl0_inv
	s_clause 0x4
	scratch_load_b128 v[12:15], off, off offset:136
	scratch_load_b128 v[16:19], off, off offset:152
	;; [unrolled: 1-line block ×5, first 2 shown]
	v_mov_b32_e32 v1, 0
	ds_load_b128 v[151:154], v1 offset:640
	ds_load_b128 v[155:158], v1 offset:656
	scratch_load_b128 v[159:162], off, off offset:216
	s_mov_b32 s0, exec_lo
	s_waitcnt vmcnt(5) lgkmcnt(1)
	v_fma_f64 v[2:3], v[14:15], v[151:152], 0
	s_waitcnt vmcnt(4)
	s_delay_alu instid0(VALU_DEP_1) | instskip(SKIP_4) | instid1(VALU_DEP_1)
	v_fma_f64 v[2:3], v[16:17], v[153:154], v[2:3]
	scratch_load_b128 v[14:17], off, off offset:232
	s_waitcnt lgkmcnt(0)
	v_fma_f64 v[2:3], v[18:19], v[155:156], v[2:3]
	s_waitcnt vmcnt(4)
	v_fma_f64 v[2:3], v[139:140], v[157:158], v[2:3]
	ds_load_b128 v[151:154], v1 offset:672
	ds_load_b128 v[155:158], v1 offset:688
	s_waitcnt lgkmcnt(1)
	v_fma_f64 v[2:3], v[141:142], v[151:152], v[2:3]
	scratch_load_b128 v[139:142], off, off offset:248
	s_waitcnt vmcnt(4)
	v_fma_f64 v[2:3], v[143:144], v[153:154], v[2:3]
	s_waitcnt lgkmcnt(0)
	s_delay_alu instid0(VALU_DEP_1)
	v_fma_f64 v[2:3], v[145:146], v[155:156], v[2:3]
	scratch_load_b128 v[143:146], off, off offset:264
	s_waitcnt vmcnt(4)
	v_fma_f64 v[2:3], v[147:148], v[157:158], v[2:3]
	ds_load_b128 v[151:154], v1 offset:704
	ds_load_b128 v[155:158], v1 offset:720
	s_waitcnt lgkmcnt(1)
	v_fma_f64 v[2:3], v[149:150], v[151:152], v[2:3]
	scratch_load_b128 v[147:150], off, off offset:280
	s_waitcnt vmcnt(4)
	v_fma_f64 v[2:3], v[159:160], v[153:154], v[2:3]
	scratch_load_b128 v[151:154], off, off offset:296
	s_waitcnt lgkmcnt(0)
	v_fma_f64 v[2:3], v[161:162], v[155:156], v[2:3]
	s_waitcnt vmcnt(4)
	s_delay_alu instid0(VALU_DEP_1)
	v_fma_f64 v[2:3], v[14:15], v[157:158], v[2:3]
	ds_load_b128 v[155:158], v1 offset:736
	ds_load_b128 v[159:162], v1 offset:752
	s_waitcnt lgkmcnt(1)
	v_fma_f64 v[2:3], v[16:17], v[155:156], v[2:3]
	scratch_load_b128 v[14:17], off, off offset:312
	s_waitcnt vmcnt(4)
	v_fma_f64 v[2:3], v[139:140], v[157:158], v[2:3]
	s_waitcnt lgkmcnt(0)
	s_delay_alu instid0(VALU_DEP_1)
	v_fma_f64 v[2:3], v[141:142], v[159:160], v[2:3]
	scratch_load_b128 v[139:142], off, off offset:328
	s_waitcnt vmcnt(4)
	v_fma_f64 v[2:3], v[143:144], v[161:162], v[2:3]
	ds_load_b128 v[155:158], v1 offset:768
	ds_load_b128 v[159:162], v1 offset:784
	s_waitcnt lgkmcnt(1)
	v_fma_f64 v[2:3], v[145:146], v[155:156], v[2:3]
	scratch_load_b128 v[143:146], off, off offset:344
	s_waitcnt vmcnt(4)
	v_fma_f64 v[2:3], v[147:148], v[157:158], v[2:3]
	s_waitcnt lgkmcnt(0)
	s_delay_alu instid0(VALU_DEP_1)
	v_fma_f64 v[2:3], v[149:150], v[159:160], v[2:3]
	scratch_load_b128 v[147:150], off, off offset:360
	s_waitcnt vmcnt(4)
	v_fma_f64 v[2:3], v[151:152], v[161:162], v[2:3]
	ds_load_b128 v[155:158], v1 offset:800
	ds_load_b128 v[159:162], v1 offset:816
	s_waitcnt lgkmcnt(1)
	v_fma_f64 v[2:3], v[153:154], v[155:156], v[2:3]
	scratch_load_b128 v[151:154], off, off offset:376
	s_waitcnt vmcnt(4)
	v_fma_f64 v[2:3], v[14:15], v[157:158], v[2:3]
	s_waitcnt lgkmcnt(0)
	s_delay_alu instid0(VALU_DEP_1)
	v_fma_f64 v[2:3], v[16:17], v[159:160], v[2:3]
	scratch_load_b128 v[14:17], off, off offset:392
	s_waitcnt vmcnt(4)
	v_fma_f64 v[2:3], v[139:140], v[161:162], v[2:3]
	ds_load_b128 v[155:158], v1 offset:832
	ds_load_b128 v[159:162], v1 offset:848
	s_waitcnt lgkmcnt(1)
	v_fma_f64 v[2:3], v[141:142], v[155:156], v[2:3]
	scratch_load_b128 v[139:142], off, off offset:408
	s_waitcnt vmcnt(4)
	v_fma_f64 v[2:3], v[143:144], v[157:158], v[2:3]
	s_waitcnt lgkmcnt(0)
	s_delay_alu instid0(VALU_DEP_1)
	v_fma_f64 v[2:3], v[145:146], v[159:160], v[2:3]
	scratch_load_b128 v[143:146], off, off offset:424
	s_waitcnt vmcnt(4)
	v_fma_f64 v[2:3], v[147:148], v[161:162], v[2:3]
	ds_load_b128 v[155:158], v1 offset:864
	ds_load_b128 v[159:162], v1 offset:880
	s_waitcnt lgkmcnt(1)
	v_fma_f64 v[2:3], v[149:150], v[155:156], v[2:3]
	scratch_load_b128 v[147:150], off, off offset:440
	s_waitcnt vmcnt(4)
	v_fma_f64 v[2:3], v[151:152], v[157:158], v[2:3]
	s_waitcnt lgkmcnt(0)
	s_delay_alu instid0(VALU_DEP_1)
	v_fma_f64 v[2:3], v[153:154], v[159:160], v[2:3]
	scratch_load_b128 v[151:154], off, off offset:456
	s_waitcnt vmcnt(4)
	v_fma_f64 v[2:3], v[14:15], v[161:162], v[2:3]
	ds_load_b128 v[155:158], v1 offset:896
	ds_load_b128 v[159:162], v1 offset:912
	s_waitcnt lgkmcnt(1)
	v_fma_f64 v[2:3], v[16:17], v[155:156], v[2:3]
	scratch_load_b128 v[14:17], off, off offset:472
	s_waitcnt vmcnt(4)
	v_fma_f64 v[2:3], v[139:140], v[157:158], v[2:3]
	s_waitcnt lgkmcnt(0)
	s_delay_alu instid0(VALU_DEP_1)
	v_fma_f64 v[2:3], v[141:142], v[159:160], v[2:3]
	ds_load_b128 v[139:142], v1 offset:928
	ds_load_b128 v[155:158], v1 offset:944
	s_waitcnt vmcnt(3)
	v_fma_f64 v[2:3], v[143:144], v[161:162], v[2:3]
	s_waitcnt lgkmcnt(1)
	s_delay_alu instid0(VALU_DEP_1) | instskip(SKIP_1) | instid1(VALU_DEP_1)
	v_fma_f64 v[2:3], v[145:146], v[139:140], v[2:3]
	s_waitcnt vmcnt(2)
	v_fma_f64 v[2:3], v[147:148], v[141:142], v[2:3]
	ds_load_b128 v[139:142], v1 offset:960
	ds_load_b64 v[18:19], v1 offset:976
	s_waitcnt lgkmcnt(2)
	v_fma_f64 v[2:3], v[149:150], v[155:156], v[2:3]
	s_waitcnt vmcnt(1)
	s_delay_alu instid0(VALU_DEP_1) | instskip(SKIP_1) | instid1(VALU_DEP_1)
	v_fma_f64 v[2:3], v[151:152], v[157:158], v[2:3]
	s_waitcnt lgkmcnt(1)
	v_fma_f64 v[2:3], v[153:154], v[139:140], v[2:3]
	s_waitcnt vmcnt(0)
	s_delay_alu instid0(VALU_DEP_1) | instskip(SKIP_1) | instid1(VALU_DEP_1)
	v_fma_f64 v[2:3], v[14:15], v[141:142], v[2:3]
	s_waitcnt lgkmcnt(0)
	v_fma_f64 v[2:3], v[16:17], v[18:19], v[2:3]
	s_delay_alu instid0(VALU_DEP_1)
	v_add_f64 v[2:3], v[12:13], -v[2:3]
	scratch_store_b64 off, v[2:3], off offset:136
	v_cmpx_lt_u32_e32 16, v0
	s_cbranch_execz .LBB60_343
; %bb.342:
	scratch_load_b64 v[3:4], off, off offset:128
	v_mov_b32_e32 v2, v1
	scratch_store_b64 off, v[1:2], off offset:128
	s_waitcnt vmcnt(0)
	ds_store_b64 v5, v[3:4]
.LBB60_343:
	s_or_b32 exec_lo, exec_lo, s0
	s_waitcnt lgkmcnt(0)
	s_waitcnt_vscnt null, 0x0
	s_barrier
	buffer_gl0_inv
	s_clause 0x4
	scratch_load_b128 v[12:15], off, off offset:128
	scratch_load_b128 v[16:19], off, off offset:144
	;; [unrolled: 1-line block ×5, first 2 shown]
	ds_load_2addr_b64 v[151:154], v1 offset0:79 offset1:80
	ds_load_2addr_b64 v[155:158], v1 offset0:81 offset1:82
	scratch_load_b128 v[159:162], off, off offset:208
	s_mov_b32 s0, exec_lo
	s_waitcnt vmcnt(5) lgkmcnt(1)
	v_fma_f64 v[2:3], v[14:15], v[151:152], 0
	s_waitcnt vmcnt(4)
	s_delay_alu instid0(VALU_DEP_1) | instskip(SKIP_4) | instid1(VALU_DEP_1)
	v_fma_f64 v[2:3], v[16:17], v[153:154], v[2:3]
	scratch_load_b128 v[14:17], off, off offset:224
	s_waitcnt lgkmcnt(0)
	v_fma_f64 v[2:3], v[18:19], v[155:156], v[2:3]
	s_waitcnt vmcnt(4)
	v_fma_f64 v[2:3], v[139:140], v[157:158], v[2:3]
	ds_load_2addr_b64 v[151:154], v1 offset0:83 offset1:84
	ds_load_2addr_b64 v[155:158], v1 offset0:85 offset1:86
	s_waitcnt lgkmcnt(1)
	v_fma_f64 v[2:3], v[141:142], v[151:152], v[2:3]
	scratch_load_b128 v[139:142], off, off offset:240
	s_waitcnt vmcnt(4)
	v_fma_f64 v[2:3], v[143:144], v[153:154], v[2:3]
	s_waitcnt lgkmcnt(0)
	s_delay_alu instid0(VALU_DEP_1)
	v_fma_f64 v[2:3], v[145:146], v[155:156], v[2:3]
	scratch_load_b128 v[143:146], off, off offset:256
	s_waitcnt vmcnt(4)
	v_fma_f64 v[2:3], v[147:148], v[157:158], v[2:3]
	ds_load_2addr_b64 v[151:154], v1 offset0:87 offset1:88
	ds_load_2addr_b64 v[155:158], v1 offset0:89 offset1:90
	s_waitcnt lgkmcnt(1)
	v_fma_f64 v[2:3], v[149:150], v[151:152], v[2:3]
	scratch_load_b128 v[147:150], off, off offset:272
	s_waitcnt vmcnt(4)
	v_fma_f64 v[2:3], v[159:160], v[153:154], v[2:3]
	scratch_load_b128 v[151:154], off, off offset:288
	s_waitcnt lgkmcnt(0)
	v_fma_f64 v[2:3], v[161:162], v[155:156], v[2:3]
	s_waitcnt vmcnt(4)
	s_delay_alu instid0(VALU_DEP_1)
	v_fma_f64 v[2:3], v[14:15], v[157:158], v[2:3]
	ds_load_2addr_b64 v[155:158], v1 offset0:91 offset1:92
	ds_load_2addr_b64 v[159:162], v1 offset0:93 offset1:94
	s_waitcnt lgkmcnt(1)
	v_fma_f64 v[2:3], v[16:17], v[155:156], v[2:3]
	scratch_load_b128 v[14:17], off, off offset:304
	s_waitcnt vmcnt(4)
	v_fma_f64 v[2:3], v[139:140], v[157:158], v[2:3]
	s_waitcnt lgkmcnt(0)
	s_delay_alu instid0(VALU_DEP_1)
	v_fma_f64 v[2:3], v[141:142], v[159:160], v[2:3]
	scratch_load_b128 v[139:142], off, off offset:320
	s_waitcnt vmcnt(4)
	v_fma_f64 v[2:3], v[143:144], v[161:162], v[2:3]
	ds_load_2addr_b64 v[155:158], v1 offset0:95 offset1:96
	ds_load_2addr_b64 v[159:162], v1 offset0:97 offset1:98
	s_waitcnt lgkmcnt(1)
	v_fma_f64 v[2:3], v[145:146], v[155:156], v[2:3]
	scratch_load_b128 v[143:146], off, off offset:336
	s_waitcnt vmcnt(4)
	v_fma_f64 v[2:3], v[147:148], v[157:158], v[2:3]
	s_waitcnt lgkmcnt(0)
	s_delay_alu instid0(VALU_DEP_1)
	v_fma_f64 v[2:3], v[149:150], v[159:160], v[2:3]
	scratch_load_b128 v[147:150], off, off offset:352
	s_waitcnt vmcnt(4)
	;; [unrolled: 13-line block ×5, first 2 shown]
	v_fma_f64 v[2:3], v[14:15], v[161:162], v[2:3]
	ds_load_2addr_b64 v[155:158], v1 offset0:111 offset1:112
	ds_load_2addr_b64 v[159:162], v1 offset0:113 offset1:114
	scratch_load_b64 v[18:19], off, off offset:480
	s_waitcnt lgkmcnt(1)
	v_fma_f64 v[2:3], v[16:17], v[155:156], v[2:3]
	scratch_load_b128 v[14:17], off, off offset:464
	s_waitcnt vmcnt(5)
	v_fma_f64 v[2:3], v[139:140], v[157:158], v[2:3]
	s_waitcnt lgkmcnt(0)
	s_delay_alu instid0(VALU_DEP_1)
	v_fma_f64 v[2:3], v[141:142], v[159:160], v[2:3]
	ds_load_2addr_b64 v[139:142], v1 offset0:115 offset1:116
	ds_load_2addr_b64 v[155:158], v1 offset0:117 offset1:118
	s_waitcnt vmcnt(4)
	v_fma_f64 v[2:3], v[143:144], v[161:162], v[2:3]
	s_waitcnt lgkmcnt(1)
	s_delay_alu instid0(VALU_DEP_1) | instskip(SKIP_1) | instid1(VALU_DEP_1)
	v_fma_f64 v[2:3], v[145:146], v[139:140], v[2:3]
	s_waitcnt vmcnt(3)
	v_fma_f64 v[2:3], v[147:148], v[141:142], v[2:3]
	s_waitcnt lgkmcnt(0)
	s_delay_alu instid0(VALU_DEP_1) | instskip(SKIP_1) | instid1(VALU_DEP_1)
	v_fma_f64 v[2:3], v[149:150], v[155:156], v[2:3]
	s_waitcnt vmcnt(2)
	v_fma_f64 v[35:36], v[151:152], v[157:158], v[2:3]
	ds_load_2addr_b64 v[139:142], v1 offset0:119 offset1:120
	ds_load_2addr_b64 v[1:4], v1 offset0:121 offset1:122
	s_waitcnt lgkmcnt(1)
	v_fma_f64 v[35:36], v[153:154], v[139:140], v[35:36]
	s_waitcnt vmcnt(0)
	s_delay_alu instid0(VALU_DEP_1) | instskip(SKIP_1) | instid1(VALU_DEP_1)
	v_fma_f64 v[14:15], v[14:15], v[141:142], v[35:36]
	s_waitcnt lgkmcnt(0)
	v_fma_f64 v[1:2], v[16:17], v[1:2], v[14:15]
	s_delay_alu instid0(VALU_DEP_1) | instskip(NEXT) | instid1(VALU_DEP_1)
	v_fma_f64 v[1:2], v[18:19], v[3:4], v[1:2]
	v_add_f64 v[1:2], v[12:13], -v[1:2]
	scratch_store_b64 off, v[1:2], off offset:128
	v_cmpx_lt_u32_e32 15, v0
	s_cbranch_execz .LBB60_345
; %bb.344:
	scratch_load_b64 v[1:2], off, off offset:120
	v_mov_b32_e32 v3, 0
	s_delay_alu instid0(VALU_DEP_1)
	v_mov_b32_e32 v4, v3
	scratch_store_b64 off, v[3:4], off offset:120
	s_waitcnt vmcnt(0)
	ds_store_b64 v5, v[1:2]
.LBB60_345:
	s_or_b32 exec_lo, exec_lo, s0
	s_waitcnt lgkmcnt(0)
	s_waitcnt_vscnt null, 0x0
	s_barrier
	buffer_gl0_inv
	s_clause 0x4
	scratch_load_b128 v[1:4], off, off offset:120
	scratch_load_b128 v[13:16], off, off offset:136
	;; [unrolled: 1-line block ×5, first 2 shown]
	v_mov_b32_e32 v12, 0
	ds_load_b128 v[147:150], v12 offset:624
	ds_load_b128 v[151:154], v12 offset:640
	scratch_load_b128 v[155:158], off, off offset:200
	s_mov_b32 s0, exec_lo
	s_waitcnt vmcnt(5) lgkmcnt(1)
	v_fma_f64 v[3:4], v[3:4], v[147:148], 0
	s_waitcnt vmcnt(4)
	s_delay_alu instid0(VALU_DEP_1) | instskip(SKIP_1) | instid1(VALU_DEP_1)
	v_fma_f64 v[3:4], v[13:14], v[149:150], v[3:4]
	s_waitcnt lgkmcnt(0)
	v_fma_f64 v[3:4], v[15:16], v[151:152], v[3:4]
	scratch_load_b128 v[13:16], off, off offset:216
	s_waitcnt vmcnt(4)
	v_fma_f64 v[3:4], v[17:18], v[153:154], v[3:4]
	ds_load_b128 v[147:150], v12 offset:656
	ds_load_b128 v[151:154], v12 offset:672
	s_waitcnt lgkmcnt(1)
	v_fma_f64 v[3:4], v[19:20], v[147:148], v[3:4]
	scratch_load_b128 v[17:20], off, off offset:232
	s_waitcnt vmcnt(4)
	v_fma_f64 v[3:4], v[139:140], v[149:150], v[3:4]
	s_waitcnt lgkmcnt(0)
	s_delay_alu instid0(VALU_DEP_1)
	v_fma_f64 v[3:4], v[141:142], v[151:152], v[3:4]
	scratch_load_b128 v[139:142], off, off offset:248
	s_waitcnt vmcnt(4)
	v_fma_f64 v[3:4], v[143:144], v[153:154], v[3:4]
	ds_load_b128 v[147:150], v12 offset:688
	ds_load_b128 v[151:154], v12 offset:704
	s_waitcnt lgkmcnt(1)
	v_fma_f64 v[3:4], v[145:146], v[147:148], v[3:4]
	scratch_load_b128 v[143:146], off, off offset:264
	s_waitcnt vmcnt(4)
	v_fma_f64 v[3:4], v[155:156], v[149:150], v[3:4]
	scratch_load_b128 v[147:150], off, off offset:280
	s_waitcnt lgkmcnt(0)
	v_fma_f64 v[3:4], v[157:158], v[151:152], v[3:4]
	s_waitcnt vmcnt(4)
	s_delay_alu instid0(VALU_DEP_1)
	v_fma_f64 v[3:4], v[13:14], v[153:154], v[3:4]
	ds_load_b128 v[151:154], v12 offset:720
	ds_load_b128 v[155:158], v12 offset:736
	s_waitcnt lgkmcnt(1)
	v_fma_f64 v[3:4], v[15:16], v[151:152], v[3:4]
	scratch_load_b128 v[13:16], off, off offset:296
	s_waitcnt vmcnt(4)
	v_fma_f64 v[3:4], v[17:18], v[153:154], v[3:4]
	s_waitcnt lgkmcnt(0)
	s_delay_alu instid0(VALU_DEP_1)
	v_fma_f64 v[3:4], v[19:20], v[155:156], v[3:4]
	scratch_load_b128 v[17:20], off, off offset:312
	s_waitcnt vmcnt(4)
	v_fma_f64 v[3:4], v[139:140], v[157:158], v[3:4]
	ds_load_b128 v[151:154], v12 offset:752
	ds_load_b128 v[155:158], v12 offset:768
	s_waitcnt lgkmcnt(1)
	v_fma_f64 v[3:4], v[141:142], v[151:152], v[3:4]
	scratch_load_b128 v[139:142], off, off offset:328
	s_waitcnt vmcnt(4)
	v_fma_f64 v[3:4], v[143:144], v[153:154], v[3:4]
	s_waitcnt lgkmcnt(0)
	s_delay_alu instid0(VALU_DEP_1)
	v_fma_f64 v[3:4], v[145:146], v[155:156], v[3:4]
	scratch_load_b128 v[143:146], off, off offset:344
	s_waitcnt vmcnt(4)
	;; [unrolled: 13-line block ×6, first 2 shown]
	v_fma_f64 v[3:4], v[139:140], v[157:158], v[3:4]
	ds_load_b128 v[151:154], v12 offset:912
	ds_load_b128 v[155:158], v12 offset:928
	s_waitcnt lgkmcnt(1)
	v_fma_f64 v[3:4], v[141:142], v[151:152], v[3:4]
	s_waitcnt vmcnt(3)
	s_delay_alu instid0(VALU_DEP_1) | instskip(SKIP_1) | instid1(VALU_DEP_1)
	v_fma_f64 v[3:4], v[143:144], v[153:154], v[3:4]
	s_waitcnt lgkmcnt(0)
	v_fma_f64 v[3:4], v[145:146], v[155:156], v[3:4]
	ds_load_b128 v[139:142], v12 offset:944
	ds_load_b128 v[143:146], v12 offset:960
	s_waitcnt vmcnt(2)
	v_fma_f64 v[3:4], v[147:148], v[157:158], v[3:4]
	s_waitcnt lgkmcnt(1)
	s_delay_alu instid0(VALU_DEP_1) | instskip(SKIP_1) | instid1(VALU_DEP_1)
	v_fma_f64 v[3:4], v[149:150], v[139:140], v[3:4]
	s_waitcnt vmcnt(1)
	v_fma_f64 v[3:4], v[13:14], v[141:142], v[3:4]
	ds_load_b64 v[13:14], v12 offset:976
	s_waitcnt lgkmcnt(1)
	v_fma_f64 v[3:4], v[15:16], v[143:144], v[3:4]
	s_waitcnt vmcnt(0)
	s_delay_alu instid0(VALU_DEP_1) | instskip(SKIP_1) | instid1(VALU_DEP_1)
	v_fma_f64 v[3:4], v[17:18], v[145:146], v[3:4]
	s_waitcnt lgkmcnt(0)
	v_fma_f64 v[3:4], v[19:20], v[13:14], v[3:4]
	s_delay_alu instid0(VALU_DEP_1)
	v_add_f64 v[1:2], v[1:2], -v[3:4]
	scratch_store_b64 off, v[1:2], off offset:120
	v_cmpx_lt_u32_e32 14, v0
	s_cbranch_execz .LBB60_347
; %bb.346:
	scratch_load_b64 v[1:2], off, off offset:112
	v_mov_b32_e32 v13, v12
	scratch_store_b64 off, v[12:13], off offset:112
	s_waitcnt vmcnt(0)
	ds_store_b64 v5, v[1:2]
.LBB60_347:
	s_or_b32 exec_lo, exec_lo, s0
	s_waitcnt lgkmcnt(0)
	s_waitcnt_vscnt null, 0x0
	s_barrier
	buffer_gl0_inv
	s_clause 0x4
	scratch_load_b128 v[1:4], off, off offset:112
	scratch_load_b128 v[13:16], off, off offset:128
	;; [unrolled: 1-line block ×5, first 2 shown]
	ds_load_2addr_b64 v[147:150], v12 offset0:77 offset1:78
	ds_load_2addr_b64 v[151:154], v12 offset0:79 offset1:80
	scratch_load_b128 v[155:158], off, off offset:192
	s_mov_b32 s0, exec_lo
	s_waitcnt vmcnt(5) lgkmcnt(1)
	v_fma_f64 v[3:4], v[3:4], v[147:148], 0
	s_waitcnt vmcnt(4)
	s_delay_alu instid0(VALU_DEP_1) | instskip(SKIP_1) | instid1(VALU_DEP_1)
	v_fma_f64 v[3:4], v[13:14], v[149:150], v[3:4]
	s_waitcnt lgkmcnt(0)
	v_fma_f64 v[3:4], v[15:16], v[151:152], v[3:4]
	scratch_load_b128 v[13:16], off, off offset:208
	s_waitcnt vmcnt(4)
	v_fma_f64 v[3:4], v[17:18], v[153:154], v[3:4]
	ds_load_2addr_b64 v[147:150], v12 offset0:81 offset1:82
	ds_load_2addr_b64 v[151:154], v12 offset0:83 offset1:84
	s_waitcnt lgkmcnt(1)
	v_fma_f64 v[3:4], v[19:20], v[147:148], v[3:4]
	scratch_load_b128 v[17:20], off, off offset:224
	s_waitcnt vmcnt(4)
	v_fma_f64 v[3:4], v[139:140], v[149:150], v[3:4]
	s_waitcnt lgkmcnt(0)
	s_delay_alu instid0(VALU_DEP_1)
	v_fma_f64 v[3:4], v[141:142], v[151:152], v[3:4]
	scratch_load_b128 v[139:142], off, off offset:240
	s_waitcnt vmcnt(4)
	v_fma_f64 v[3:4], v[143:144], v[153:154], v[3:4]
	ds_load_2addr_b64 v[147:150], v12 offset0:85 offset1:86
	ds_load_2addr_b64 v[151:154], v12 offset0:87 offset1:88
	s_waitcnt lgkmcnt(1)
	v_fma_f64 v[3:4], v[145:146], v[147:148], v[3:4]
	scratch_load_b128 v[143:146], off, off offset:256
	s_waitcnt vmcnt(4)
	v_fma_f64 v[3:4], v[155:156], v[149:150], v[3:4]
	scratch_load_b128 v[147:150], off, off offset:272
	s_waitcnt lgkmcnt(0)
	v_fma_f64 v[3:4], v[157:158], v[151:152], v[3:4]
	s_waitcnt vmcnt(4)
	s_delay_alu instid0(VALU_DEP_1)
	v_fma_f64 v[3:4], v[13:14], v[153:154], v[3:4]
	ds_load_2addr_b64 v[151:154], v12 offset0:89 offset1:90
	ds_load_2addr_b64 v[155:158], v12 offset0:91 offset1:92
	s_waitcnt lgkmcnt(1)
	v_fma_f64 v[3:4], v[15:16], v[151:152], v[3:4]
	scratch_load_b128 v[13:16], off, off offset:288
	s_waitcnt vmcnt(4)
	v_fma_f64 v[3:4], v[17:18], v[153:154], v[3:4]
	s_waitcnt lgkmcnt(0)
	s_delay_alu instid0(VALU_DEP_1)
	v_fma_f64 v[3:4], v[19:20], v[155:156], v[3:4]
	scratch_load_b128 v[17:20], off, off offset:304
	s_waitcnt vmcnt(4)
	v_fma_f64 v[3:4], v[139:140], v[157:158], v[3:4]
	ds_load_2addr_b64 v[151:154], v12 offset0:93 offset1:94
	ds_load_2addr_b64 v[155:158], v12 offset0:95 offset1:96
	s_waitcnt lgkmcnt(1)
	v_fma_f64 v[3:4], v[141:142], v[151:152], v[3:4]
	scratch_load_b128 v[139:142], off, off offset:320
	s_waitcnt vmcnt(4)
	v_fma_f64 v[3:4], v[143:144], v[153:154], v[3:4]
	s_waitcnt lgkmcnt(0)
	s_delay_alu instid0(VALU_DEP_1)
	v_fma_f64 v[3:4], v[145:146], v[155:156], v[3:4]
	scratch_load_b128 v[143:146], off, off offset:336
	s_waitcnt vmcnt(4)
	;; [unrolled: 13-line block ×6, first 2 shown]
	v_fma_f64 v[3:4], v[139:140], v[157:158], v[3:4]
	ds_load_2addr_b64 v[151:154], v12 offset0:113 offset1:114
	ds_load_2addr_b64 v[155:158], v12 offset0:115 offset1:116
	scratch_load_b64 v[35:36], off, off offset:480
	s_waitcnt lgkmcnt(1)
	v_fma_f64 v[3:4], v[141:142], v[151:152], v[3:4]
	s_waitcnt vmcnt(4)
	s_delay_alu instid0(VALU_DEP_1) | instskip(SKIP_1) | instid1(VALU_DEP_1)
	v_fma_f64 v[3:4], v[143:144], v[153:154], v[3:4]
	s_waitcnt lgkmcnt(0)
	v_fma_f64 v[3:4], v[145:146], v[155:156], v[3:4]
	ds_load_2addr_b64 v[139:142], v12 offset0:117 offset1:118
	ds_load_2addr_b64 v[143:146], v12 offset0:119 offset1:120
	s_waitcnt vmcnt(3)
	v_fma_f64 v[3:4], v[147:148], v[157:158], v[3:4]
	s_waitcnt lgkmcnt(1)
	s_delay_alu instid0(VALU_DEP_1) | instskip(SKIP_1) | instid1(VALU_DEP_1)
	v_fma_f64 v[3:4], v[149:150], v[139:140], v[3:4]
	s_waitcnt vmcnt(2)
	v_fma_f64 v[3:4], v[13:14], v[141:142], v[3:4]
	s_waitcnt lgkmcnt(0)
	s_delay_alu instid0(VALU_DEP_1) | instskip(SKIP_4) | instid1(VALU_DEP_1)
	v_fma_f64 v[3:4], v[15:16], v[143:144], v[3:4]
	ds_load_2addr_b64 v[12:15], v12 offset0:121 offset1:122
	s_waitcnt vmcnt(1)
	v_fma_f64 v[3:4], v[17:18], v[145:146], v[3:4]
	s_waitcnt lgkmcnt(0)
	v_fma_f64 v[3:4], v[19:20], v[12:13], v[3:4]
	s_waitcnt vmcnt(0)
	s_delay_alu instid0(VALU_DEP_1) | instskip(NEXT) | instid1(VALU_DEP_1)
	v_fma_f64 v[3:4], v[35:36], v[14:15], v[3:4]
	v_add_f64 v[1:2], v[1:2], -v[3:4]
	scratch_store_b64 off, v[1:2], off offset:112
	v_cmpx_lt_u32_e32 13, v0
	s_cbranch_execz .LBB60_349
; %bb.348:
	scratch_load_b64 v[1:2], off, off offset:104
	v_mov_b32_e32 v3, 0
	s_delay_alu instid0(VALU_DEP_1)
	v_mov_b32_e32 v4, v3
	scratch_store_b64 off, v[3:4], off offset:104
	s_waitcnt vmcnt(0)
	ds_store_b64 v5, v[1:2]
.LBB60_349:
	s_or_b32 exec_lo, exec_lo, s0
	s_waitcnt lgkmcnt(0)
	s_waitcnt_vscnt null, 0x0
	s_barrier
	buffer_gl0_inv
	s_clause 0x4
	scratch_load_b128 v[1:4], off, off offset:104
	scratch_load_b128 v[13:16], off, off offset:120
	;; [unrolled: 1-line block ×5, first 2 shown]
	v_mov_b32_e32 v12, 0
	ds_load_b128 v[147:150], v12 offset:608
	ds_load_b128 v[151:154], v12 offset:624
	scratch_load_b128 v[155:158], off, off offset:184
	s_mov_b32 s0, exec_lo
	s_waitcnt vmcnt(5) lgkmcnt(1)
	v_fma_f64 v[3:4], v[3:4], v[147:148], 0
	s_waitcnt vmcnt(4)
	s_delay_alu instid0(VALU_DEP_1) | instskip(SKIP_1) | instid1(VALU_DEP_1)
	v_fma_f64 v[3:4], v[13:14], v[149:150], v[3:4]
	s_waitcnt lgkmcnt(0)
	v_fma_f64 v[3:4], v[15:16], v[151:152], v[3:4]
	scratch_load_b128 v[13:16], off, off offset:200
	s_waitcnt vmcnt(4)
	v_fma_f64 v[3:4], v[17:18], v[153:154], v[3:4]
	ds_load_b128 v[147:150], v12 offset:640
	ds_load_b128 v[151:154], v12 offset:656
	s_waitcnt lgkmcnt(1)
	v_fma_f64 v[3:4], v[19:20], v[147:148], v[3:4]
	scratch_load_b128 v[17:20], off, off offset:216
	s_waitcnt vmcnt(4)
	v_fma_f64 v[3:4], v[139:140], v[149:150], v[3:4]
	s_waitcnt lgkmcnt(0)
	s_delay_alu instid0(VALU_DEP_1)
	v_fma_f64 v[3:4], v[141:142], v[151:152], v[3:4]
	scratch_load_b128 v[139:142], off, off offset:232
	s_waitcnt vmcnt(4)
	v_fma_f64 v[3:4], v[143:144], v[153:154], v[3:4]
	ds_load_b128 v[147:150], v12 offset:672
	ds_load_b128 v[151:154], v12 offset:688
	s_waitcnt lgkmcnt(1)
	v_fma_f64 v[3:4], v[145:146], v[147:148], v[3:4]
	scratch_load_b128 v[143:146], off, off offset:248
	s_waitcnt vmcnt(4)
	v_fma_f64 v[3:4], v[155:156], v[149:150], v[3:4]
	scratch_load_b128 v[147:150], off, off offset:264
	s_waitcnt lgkmcnt(0)
	v_fma_f64 v[3:4], v[157:158], v[151:152], v[3:4]
	s_waitcnt vmcnt(4)
	s_delay_alu instid0(VALU_DEP_1)
	v_fma_f64 v[3:4], v[13:14], v[153:154], v[3:4]
	ds_load_b128 v[151:154], v12 offset:704
	ds_load_b128 v[155:158], v12 offset:720
	s_waitcnt lgkmcnt(1)
	v_fma_f64 v[3:4], v[15:16], v[151:152], v[3:4]
	scratch_load_b128 v[13:16], off, off offset:280
	s_waitcnt vmcnt(4)
	v_fma_f64 v[3:4], v[17:18], v[153:154], v[3:4]
	s_waitcnt lgkmcnt(0)
	s_delay_alu instid0(VALU_DEP_1)
	v_fma_f64 v[3:4], v[19:20], v[155:156], v[3:4]
	scratch_load_b128 v[17:20], off, off offset:296
	s_waitcnt vmcnt(4)
	v_fma_f64 v[3:4], v[139:140], v[157:158], v[3:4]
	ds_load_b128 v[151:154], v12 offset:736
	ds_load_b128 v[155:158], v12 offset:752
	s_waitcnt lgkmcnt(1)
	v_fma_f64 v[3:4], v[141:142], v[151:152], v[3:4]
	scratch_load_b128 v[139:142], off, off offset:312
	s_waitcnt vmcnt(4)
	v_fma_f64 v[3:4], v[143:144], v[153:154], v[3:4]
	s_waitcnt lgkmcnt(0)
	s_delay_alu instid0(VALU_DEP_1)
	v_fma_f64 v[3:4], v[145:146], v[155:156], v[3:4]
	scratch_load_b128 v[143:146], off, off offset:328
	s_waitcnt vmcnt(4)
	;; [unrolled: 13-line block ×6, first 2 shown]
	v_fma_f64 v[3:4], v[139:140], v[157:158], v[3:4]
	ds_load_b128 v[151:154], v12 offset:896
	ds_load_b128 v[155:158], v12 offset:912
	s_waitcnt lgkmcnt(1)
	v_fma_f64 v[3:4], v[141:142], v[151:152], v[3:4]
	scratch_load_b128 v[139:142], off, off offset:472
	s_waitcnt vmcnt(4)
	v_fma_f64 v[3:4], v[143:144], v[153:154], v[3:4]
	s_waitcnt lgkmcnt(0)
	s_delay_alu instid0(VALU_DEP_1)
	v_fma_f64 v[3:4], v[145:146], v[155:156], v[3:4]
	ds_load_b128 v[143:146], v12 offset:928
	ds_load_b128 v[151:154], v12 offset:944
	s_waitcnt vmcnt(3)
	v_fma_f64 v[3:4], v[147:148], v[157:158], v[3:4]
	s_waitcnt lgkmcnt(1)
	s_delay_alu instid0(VALU_DEP_1) | instskip(SKIP_1) | instid1(VALU_DEP_1)
	v_fma_f64 v[3:4], v[149:150], v[143:144], v[3:4]
	s_waitcnt vmcnt(2)
	v_fma_f64 v[3:4], v[13:14], v[145:146], v[3:4]
	s_waitcnt lgkmcnt(0)
	s_delay_alu instid0(VALU_DEP_1) | instskip(SKIP_1) | instid1(VALU_DEP_1)
	v_fma_f64 v[3:4], v[15:16], v[151:152], v[3:4]
	s_waitcnt vmcnt(1)
	v_fma_f64 v[3:4], v[17:18], v[153:154], v[3:4]
	ds_load_b128 v[13:16], v12 offset:960
	ds_load_b64 v[17:18], v12 offset:976
	s_waitcnt lgkmcnt(1)
	v_fma_f64 v[3:4], v[19:20], v[13:14], v[3:4]
	s_waitcnt vmcnt(0)
	s_delay_alu instid0(VALU_DEP_1) | instskip(SKIP_1) | instid1(VALU_DEP_1)
	v_fma_f64 v[3:4], v[139:140], v[15:16], v[3:4]
	s_waitcnt lgkmcnt(0)
	v_fma_f64 v[3:4], v[141:142], v[17:18], v[3:4]
	s_delay_alu instid0(VALU_DEP_1)
	v_add_f64 v[1:2], v[1:2], -v[3:4]
	scratch_store_b64 off, v[1:2], off offset:104
	v_cmpx_lt_u32_e32 12, v0
	s_cbranch_execz .LBB60_351
; %bb.350:
	scratch_load_b64 v[1:2], off, off offset:96
	v_mov_b32_e32 v13, v12
	scratch_store_b64 off, v[12:13], off offset:96
	s_waitcnt vmcnt(0)
	ds_store_b64 v5, v[1:2]
.LBB60_351:
	s_or_b32 exec_lo, exec_lo, s0
	s_waitcnt lgkmcnt(0)
	s_waitcnt_vscnt null, 0x0
	s_barrier
	buffer_gl0_inv
	s_clause 0x4
	scratch_load_b128 v[1:4], off, off offset:96
	scratch_load_b128 v[13:16], off, off offset:112
	;; [unrolled: 1-line block ×5, first 2 shown]
	ds_load_2addr_b64 v[147:150], v12 offset0:75 offset1:76
	ds_load_2addr_b64 v[151:154], v12 offset0:77 offset1:78
	scratch_load_b128 v[155:158], off, off offset:176
	s_mov_b32 s0, exec_lo
	s_waitcnt vmcnt(5) lgkmcnt(1)
	v_fma_f64 v[3:4], v[3:4], v[147:148], 0
	s_waitcnt vmcnt(4)
	s_delay_alu instid0(VALU_DEP_1) | instskip(SKIP_1) | instid1(VALU_DEP_1)
	v_fma_f64 v[3:4], v[13:14], v[149:150], v[3:4]
	s_waitcnt lgkmcnt(0)
	v_fma_f64 v[3:4], v[15:16], v[151:152], v[3:4]
	scratch_load_b128 v[13:16], off, off offset:192
	s_waitcnt vmcnt(4)
	v_fma_f64 v[3:4], v[17:18], v[153:154], v[3:4]
	ds_load_2addr_b64 v[147:150], v12 offset0:79 offset1:80
	ds_load_2addr_b64 v[151:154], v12 offset0:81 offset1:82
	s_waitcnt lgkmcnt(1)
	v_fma_f64 v[3:4], v[19:20], v[147:148], v[3:4]
	scratch_load_b128 v[17:20], off, off offset:208
	s_waitcnt vmcnt(4)
	v_fma_f64 v[3:4], v[139:140], v[149:150], v[3:4]
	s_waitcnt lgkmcnt(0)
	s_delay_alu instid0(VALU_DEP_1)
	v_fma_f64 v[3:4], v[141:142], v[151:152], v[3:4]
	scratch_load_b128 v[139:142], off, off offset:224
	s_waitcnt vmcnt(4)
	v_fma_f64 v[3:4], v[143:144], v[153:154], v[3:4]
	ds_load_2addr_b64 v[147:150], v12 offset0:83 offset1:84
	ds_load_2addr_b64 v[151:154], v12 offset0:85 offset1:86
	s_waitcnt lgkmcnt(1)
	v_fma_f64 v[3:4], v[145:146], v[147:148], v[3:4]
	scratch_load_b128 v[143:146], off, off offset:240
	s_waitcnt vmcnt(4)
	v_fma_f64 v[3:4], v[155:156], v[149:150], v[3:4]
	scratch_load_b128 v[147:150], off, off offset:256
	s_waitcnt lgkmcnt(0)
	v_fma_f64 v[3:4], v[157:158], v[151:152], v[3:4]
	s_waitcnt vmcnt(4)
	s_delay_alu instid0(VALU_DEP_1)
	v_fma_f64 v[3:4], v[13:14], v[153:154], v[3:4]
	ds_load_2addr_b64 v[151:154], v12 offset0:87 offset1:88
	ds_load_2addr_b64 v[155:158], v12 offset0:89 offset1:90
	s_waitcnt lgkmcnt(1)
	v_fma_f64 v[3:4], v[15:16], v[151:152], v[3:4]
	scratch_load_b128 v[13:16], off, off offset:272
	s_waitcnt vmcnt(4)
	v_fma_f64 v[3:4], v[17:18], v[153:154], v[3:4]
	s_waitcnt lgkmcnt(0)
	s_delay_alu instid0(VALU_DEP_1)
	v_fma_f64 v[3:4], v[19:20], v[155:156], v[3:4]
	scratch_load_b128 v[17:20], off, off offset:288
	s_waitcnt vmcnt(4)
	v_fma_f64 v[3:4], v[139:140], v[157:158], v[3:4]
	ds_load_2addr_b64 v[151:154], v12 offset0:91 offset1:92
	ds_load_2addr_b64 v[155:158], v12 offset0:93 offset1:94
	s_waitcnt lgkmcnt(1)
	v_fma_f64 v[3:4], v[141:142], v[151:152], v[3:4]
	scratch_load_b128 v[139:142], off, off offset:304
	s_waitcnt vmcnt(4)
	v_fma_f64 v[3:4], v[143:144], v[153:154], v[3:4]
	s_waitcnt lgkmcnt(0)
	s_delay_alu instid0(VALU_DEP_1)
	v_fma_f64 v[3:4], v[145:146], v[155:156], v[3:4]
	scratch_load_b128 v[143:146], off, off offset:320
	s_waitcnt vmcnt(4)
	;; [unrolled: 13-line block ×6, first 2 shown]
	v_fma_f64 v[3:4], v[139:140], v[157:158], v[3:4]
	ds_load_2addr_b64 v[151:154], v12 offset0:111 offset1:112
	ds_load_2addr_b64 v[155:158], v12 offset0:113 offset1:114
	scratch_load_b64 v[35:36], off, off offset:480
	s_waitcnt lgkmcnt(1)
	v_fma_f64 v[3:4], v[141:142], v[151:152], v[3:4]
	scratch_load_b128 v[139:142], off, off offset:464
	s_waitcnt vmcnt(5)
	v_fma_f64 v[3:4], v[143:144], v[153:154], v[3:4]
	s_waitcnt lgkmcnt(0)
	s_delay_alu instid0(VALU_DEP_1)
	v_fma_f64 v[3:4], v[145:146], v[155:156], v[3:4]
	ds_load_2addr_b64 v[143:146], v12 offset0:115 offset1:116
	ds_load_2addr_b64 v[151:154], v12 offset0:117 offset1:118
	s_waitcnt vmcnt(4)
	v_fma_f64 v[3:4], v[147:148], v[157:158], v[3:4]
	s_waitcnt lgkmcnt(1)
	s_delay_alu instid0(VALU_DEP_1) | instskip(SKIP_1) | instid1(VALU_DEP_1)
	v_fma_f64 v[3:4], v[149:150], v[143:144], v[3:4]
	s_waitcnt vmcnt(3)
	v_fma_f64 v[3:4], v[13:14], v[145:146], v[3:4]
	s_waitcnt lgkmcnt(0)
	s_delay_alu instid0(VALU_DEP_1)
	v_fma_f64 v[3:4], v[15:16], v[151:152], v[3:4]
	ds_load_2addr_b64 v[13:16], v12 offset0:119 offset1:120
	ds_load_2addr_b64 v[143:146], v12 offset0:121 offset1:122
	s_waitcnt vmcnt(2)
	v_fma_f64 v[3:4], v[17:18], v[153:154], v[3:4]
	s_waitcnt lgkmcnt(1)
	s_delay_alu instid0(VALU_DEP_1) | instskip(SKIP_1) | instid1(VALU_DEP_1)
	v_fma_f64 v[3:4], v[19:20], v[13:14], v[3:4]
	s_waitcnt vmcnt(0)
	v_fma_f64 v[3:4], v[139:140], v[15:16], v[3:4]
	s_waitcnt lgkmcnt(0)
	s_delay_alu instid0(VALU_DEP_1) | instskip(NEXT) | instid1(VALU_DEP_1)
	v_fma_f64 v[3:4], v[141:142], v[143:144], v[3:4]
	v_fma_f64 v[3:4], v[35:36], v[145:146], v[3:4]
	s_delay_alu instid0(VALU_DEP_1)
	v_add_f64 v[1:2], v[1:2], -v[3:4]
	scratch_store_b64 off, v[1:2], off offset:96
	v_cmpx_lt_u32_e32 11, v0
	s_cbranch_execz .LBB60_353
; %bb.352:
	scratch_load_b64 v[1:2], off, off offset:88
	v_mov_b32_e32 v3, 0
	s_delay_alu instid0(VALU_DEP_1)
	v_mov_b32_e32 v4, v3
	scratch_store_b64 off, v[3:4], off offset:88
	s_waitcnt vmcnt(0)
	ds_store_b64 v5, v[1:2]
.LBB60_353:
	s_or_b32 exec_lo, exec_lo, s0
	s_waitcnt lgkmcnt(0)
	s_waitcnt_vscnt null, 0x0
	s_barrier
	buffer_gl0_inv
	s_clause 0x4
	scratch_load_b128 v[1:4], off, off offset:88
	scratch_load_b128 v[13:16], off, off offset:104
	;; [unrolled: 1-line block ×5, first 2 shown]
	v_mov_b32_e32 v12, 0
	ds_load_b128 v[147:150], v12 offset:592
	ds_load_b128 v[151:154], v12 offset:608
	scratch_load_b128 v[155:158], off, off offset:168
	s_mov_b32 s0, exec_lo
	s_waitcnt vmcnt(5) lgkmcnt(1)
	v_fma_f64 v[3:4], v[3:4], v[147:148], 0
	s_waitcnt vmcnt(4)
	s_delay_alu instid0(VALU_DEP_1) | instskip(SKIP_1) | instid1(VALU_DEP_1)
	v_fma_f64 v[3:4], v[13:14], v[149:150], v[3:4]
	s_waitcnt lgkmcnt(0)
	v_fma_f64 v[3:4], v[15:16], v[151:152], v[3:4]
	scratch_load_b128 v[13:16], off, off offset:184
	s_waitcnt vmcnt(4)
	v_fma_f64 v[3:4], v[17:18], v[153:154], v[3:4]
	ds_load_b128 v[147:150], v12 offset:624
	ds_load_b128 v[151:154], v12 offset:640
	s_waitcnt lgkmcnt(1)
	v_fma_f64 v[3:4], v[19:20], v[147:148], v[3:4]
	scratch_load_b128 v[17:20], off, off offset:200
	s_waitcnt vmcnt(4)
	v_fma_f64 v[3:4], v[139:140], v[149:150], v[3:4]
	s_waitcnt lgkmcnt(0)
	s_delay_alu instid0(VALU_DEP_1)
	v_fma_f64 v[3:4], v[141:142], v[151:152], v[3:4]
	scratch_load_b128 v[139:142], off, off offset:216
	s_waitcnt vmcnt(4)
	v_fma_f64 v[3:4], v[143:144], v[153:154], v[3:4]
	ds_load_b128 v[147:150], v12 offset:656
	ds_load_b128 v[151:154], v12 offset:672
	s_waitcnt lgkmcnt(1)
	v_fma_f64 v[3:4], v[145:146], v[147:148], v[3:4]
	scratch_load_b128 v[143:146], off, off offset:232
	s_waitcnt vmcnt(4)
	v_fma_f64 v[3:4], v[155:156], v[149:150], v[3:4]
	scratch_load_b128 v[147:150], off, off offset:248
	s_waitcnt lgkmcnt(0)
	v_fma_f64 v[3:4], v[157:158], v[151:152], v[3:4]
	s_waitcnt vmcnt(4)
	s_delay_alu instid0(VALU_DEP_1)
	v_fma_f64 v[3:4], v[13:14], v[153:154], v[3:4]
	ds_load_b128 v[151:154], v12 offset:688
	ds_load_b128 v[155:158], v12 offset:704
	s_waitcnt lgkmcnt(1)
	v_fma_f64 v[3:4], v[15:16], v[151:152], v[3:4]
	scratch_load_b128 v[13:16], off, off offset:264
	s_waitcnt vmcnt(4)
	v_fma_f64 v[3:4], v[17:18], v[153:154], v[3:4]
	s_waitcnt lgkmcnt(0)
	s_delay_alu instid0(VALU_DEP_1)
	v_fma_f64 v[3:4], v[19:20], v[155:156], v[3:4]
	scratch_load_b128 v[17:20], off, off offset:280
	s_waitcnt vmcnt(4)
	v_fma_f64 v[3:4], v[139:140], v[157:158], v[3:4]
	ds_load_b128 v[151:154], v12 offset:720
	ds_load_b128 v[155:158], v12 offset:736
	s_waitcnt lgkmcnt(1)
	v_fma_f64 v[3:4], v[141:142], v[151:152], v[3:4]
	scratch_load_b128 v[139:142], off, off offset:296
	s_waitcnt vmcnt(4)
	v_fma_f64 v[3:4], v[143:144], v[153:154], v[3:4]
	s_waitcnt lgkmcnt(0)
	s_delay_alu instid0(VALU_DEP_1)
	v_fma_f64 v[3:4], v[145:146], v[155:156], v[3:4]
	scratch_load_b128 v[143:146], off, off offset:312
	s_waitcnt vmcnt(4)
	;; [unrolled: 13-line block ×7, first 2 shown]
	v_fma_f64 v[3:4], v[147:148], v[157:158], v[3:4]
	ds_load_b128 v[151:154], v12 offset:912
	ds_load_b128 v[155:158], v12 offset:928
	s_waitcnt lgkmcnt(1)
	v_fma_f64 v[3:4], v[149:150], v[151:152], v[3:4]
	s_waitcnt vmcnt(3)
	s_delay_alu instid0(VALU_DEP_1) | instskip(SKIP_1) | instid1(VALU_DEP_1)
	v_fma_f64 v[3:4], v[13:14], v[153:154], v[3:4]
	s_waitcnt lgkmcnt(0)
	v_fma_f64 v[3:4], v[15:16], v[155:156], v[3:4]
	ds_load_b128 v[13:16], v12 offset:944
	ds_load_b128 v[147:150], v12 offset:960
	s_waitcnt vmcnt(2)
	v_fma_f64 v[3:4], v[17:18], v[157:158], v[3:4]
	s_waitcnt lgkmcnt(1)
	s_delay_alu instid0(VALU_DEP_1) | instskip(SKIP_4) | instid1(VALU_DEP_1)
	v_fma_f64 v[3:4], v[19:20], v[13:14], v[3:4]
	ds_load_b64 v[13:14], v12 offset:976
	s_waitcnt vmcnt(1)
	v_fma_f64 v[3:4], v[139:140], v[15:16], v[3:4]
	s_waitcnt lgkmcnt(1)
	v_fma_f64 v[3:4], v[141:142], v[147:148], v[3:4]
	s_waitcnt vmcnt(0)
	s_delay_alu instid0(VALU_DEP_1) | instskip(SKIP_1) | instid1(VALU_DEP_1)
	v_fma_f64 v[3:4], v[143:144], v[149:150], v[3:4]
	s_waitcnt lgkmcnt(0)
	v_fma_f64 v[3:4], v[145:146], v[13:14], v[3:4]
	s_delay_alu instid0(VALU_DEP_1)
	v_add_f64 v[1:2], v[1:2], -v[3:4]
	scratch_store_b64 off, v[1:2], off offset:88
	v_cmpx_lt_u32_e32 10, v0
	s_cbranch_execz .LBB60_355
; %bb.354:
	scratch_load_b64 v[1:2], off, off offset:80
	v_mov_b32_e32 v13, v12
	scratch_store_b64 off, v[12:13], off offset:80
	s_waitcnt vmcnt(0)
	ds_store_b64 v5, v[1:2]
.LBB60_355:
	s_or_b32 exec_lo, exec_lo, s0
	s_waitcnt lgkmcnt(0)
	s_waitcnt_vscnt null, 0x0
	s_barrier
	buffer_gl0_inv
	s_clause 0x4
	scratch_load_b128 v[1:4], off, off offset:80
	scratch_load_b128 v[13:16], off, off offset:96
	;; [unrolled: 1-line block ×5, first 2 shown]
	ds_load_2addr_b64 v[147:150], v12 offset0:73 offset1:74
	ds_load_2addr_b64 v[151:154], v12 offset0:75 offset1:76
	scratch_load_b128 v[155:158], off, off offset:160
	s_mov_b32 s0, exec_lo
	s_waitcnt vmcnt(5) lgkmcnt(1)
	v_fma_f64 v[3:4], v[3:4], v[147:148], 0
	s_waitcnt vmcnt(4)
	s_delay_alu instid0(VALU_DEP_1) | instskip(SKIP_1) | instid1(VALU_DEP_1)
	v_fma_f64 v[3:4], v[13:14], v[149:150], v[3:4]
	s_waitcnt lgkmcnt(0)
	v_fma_f64 v[3:4], v[15:16], v[151:152], v[3:4]
	scratch_load_b128 v[13:16], off, off offset:176
	s_waitcnt vmcnt(4)
	v_fma_f64 v[3:4], v[17:18], v[153:154], v[3:4]
	ds_load_2addr_b64 v[147:150], v12 offset0:77 offset1:78
	ds_load_2addr_b64 v[151:154], v12 offset0:79 offset1:80
	s_waitcnt lgkmcnt(1)
	v_fma_f64 v[3:4], v[19:20], v[147:148], v[3:4]
	scratch_load_b128 v[17:20], off, off offset:192
	s_waitcnt vmcnt(4)
	v_fma_f64 v[3:4], v[139:140], v[149:150], v[3:4]
	s_waitcnt lgkmcnt(0)
	s_delay_alu instid0(VALU_DEP_1)
	v_fma_f64 v[3:4], v[141:142], v[151:152], v[3:4]
	scratch_load_b128 v[139:142], off, off offset:208
	s_waitcnt vmcnt(4)
	v_fma_f64 v[3:4], v[143:144], v[153:154], v[3:4]
	ds_load_2addr_b64 v[147:150], v12 offset0:81 offset1:82
	ds_load_2addr_b64 v[151:154], v12 offset0:83 offset1:84
	s_waitcnt lgkmcnt(1)
	v_fma_f64 v[3:4], v[145:146], v[147:148], v[3:4]
	scratch_load_b128 v[143:146], off, off offset:224
	s_waitcnt vmcnt(4)
	v_fma_f64 v[3:4], v[155:156], v[149:150], v[3:4]
	scratch_load_b128 v[147:150], off, off offset:240
	s_waitcnt lgkmcnt(0)
	v_fma_f64 v[3:4], v[157:158], v[151:152], v[3:4]
	s_waitcnt vmcnt(4)
	s_delay_alu instid0(VALU_DEP_1)
	v_fma_f64 v[3:4], v[13:14], v[153:154], v[3:4]
	ds_load_2addr_b64 v[151:154], v12 offset0:85 offset1:86
	ds_load_2addr_b64 v[155:158], v12 offset0:87 offset1:88
	s_waitcnt lgkmcnt(1)
	v_fma_f64 v[3:4], v[15:16], v[151:152], v[3:4]
	scratch_load_b128 v[13:16], off, off offset:256
	s_waitcnt vmcnt(4)
	v_fma_f64 v[3:4], v[17:18], v[153:154], v[3:4]
	s_waitcnt lgkmcnt(0)
	s_delay_alu instid0(VALU_DEP_1)
	v_fma_f64 v[3:4], v[19:20], v[155:156], v[3:4]
	scratch_load_b128 v[17:20], off, off offset:272
	s_waitcnt vmcnt(4)
	v_fma_f64 v[3:4], v[139:140], v[157:158], v[3:4]
	ds_load_2addr_b64 v[151:154], v12 offset0:89 offset1:90
	ds_load_2addr_b64 v[155:158], v12 offset0:91 offset1:92
	s_waitcnt lgkmcnt(1)
	v_fma_f64 v[3:4], v[141:142], v[151:152], v[3:4]
	scratch_load_b128 v[139:142], off, off offset:288
	s_waitcnt vmcnt(4)
	v_fma_f64 v[3:4], v[143:144], v[153:154], v[3:4]
	s_waitcnt lgkmcnt(0)
	s_delay_alu instid0(VALU_DEP_1)
	v_fma_f64 v[3:4], v[145:146], v[155:156], v[3:4]
	scratch_load_b128 v[143:146], off, off offset:304
	s_waitcnt vmcnt(4)
	;; [unrolled: 13-line block ×7, first 2 shown]
	v_fma_f64 v[3:4], v[147:148], v[157:158], v[3:4]
	ds_load_2addr_b64 v[151:154], v12 offset0:113 offset1:114
	ds_load_2addr_b64 v[155:158], v12 offset0:115 offset1:116
	scratch_load_b64 v[35:36], off, off offset:480
	s_waitcnt lgkmcnt(1)
	v_fma_f64 v[3:4], v[149:150], v[151:152], v[3:4]
	s_waitcnt vmcnt(4)
	s_delay_alu instid0(VALU_DEP_1) | instskip(SKIP_1) | instid1(VALU_DEP_1)
	v_fma_f64 v[3:4], v[13:14], v[153:154], v[3:4]
	s_waitcnt lgkmcnt(0)
	v_fma_f64 v[3:4], v[15:16], v[155:156], v[3:4]
	ds_load_2addr_b64 v[13:16], v12 offset0:117 offset1:118
	ds_load_2addr_b64 v[147:150], v12 offset0:119 offset1:120
	s_waitcnt vmcnt(3)
	v_fma_f64 v[3:4], v[17:18], v[157:158], v[3:4]
	s_waitcnt lgkmcnt(1)
	s_delay_alu instid0(VALU_DEP_1) | instskip(SKIP_1) | instid1(VALU_DEP_1)
	v_fma_f64 v[3:4], v[19:20], v[13:14], v[3:4]
	s_waitcnt vmcnt(2)
	v_fma_f64 v[3:4], v[139:140], v[15:16], v[3:4]
	ds_load_2addr_b64 v[12:15], v12 offset0:121 offset1:122
	s_waitcnt lgkmcnt(1)
	v_fma_f64 v[3:4], v[141:142], v[147:148], v[3:4]
	s_waitcnt vmcnt(1)
	s_delay_alu instid0(VALU_DEP_1) | instskip(SKIP_1) | instid1(VALU_DEP_1)
	v_fma_f64 v[3:4], v[143:144], v[149:150], v[3:4]
	s_waitcnt lgkmcnt(0)
	v_fma_f64 v[3:4], v[145:146], v[12:13], v[3:4]
	s_waitcnt vmcnt(0)
	s_delay_alu instid0(VALU_DEP_1) | instskip(NEXT) | instid1(VALU_DEP_1)
	v_fma_f64 v[3:4], v[35:36], v[14:15], v[3:4]
	v_add_f64 v[1:2], v[1:2], -v[3:4]
	scratch_store_b64 off, v[1:2], off offset:80
	v_cmpx_lt_u32_e32 9, v0
	s_cbranch_execz .LBB60_357
; %bb.356:
	scratch_load_b64 v[1:2], off, off offset:72
	v_mov_b32_e32 v3, 0
	s_delay_alu instid0(VALU_DEP_1)
	v_mov_b32_e32 v4, v3
	scratch_store_b64 off, v[3:4], off offset:72
	s_waitcnt vmcnt(0)
	ds_store_b64 v5, v[1:2]
.LBB60_357:
	s_or_b32 exec_lo, exec_lo, s0
	s_waitcnt lgkmcnt(0)
	s_waitcnt_vscnt null, 0x0
	s_barrier
	buffer_gl0_inv
	s_clause 0x4
	scratch_load_b128 v[1:4], off, off offset:72
	scratch_load_b128 v[13:16], off, off offset:88
	;; [unrolled: 1-line block ×5, first 2 shown]
	v_mov_b32_e32 v12, 0
	ds_load_b128 v[147:150], v12 offset:576
	ds_load_b128 v[151:154], v12 offset:592
	scratch_load_b128 v[155:158], off, off offset:152
	s_mov_b32 s0, exec_lo
	s_waitcnt vmcnt(5) lgkmcnt(1)
	v_fma_f64 v[3:4], v[3:4], v[147:148], 0
	s_waitcnt vmcnt(4)
	s_delay_alu instid0(VALU_DEP_1) | instskip(SKIP_1) | instid1(VALU_DEP_1)
	v_fma_f64 v[3:4], v[13:14], v[149:150], v[3:4]
	s_waitcnt lgkmcnt(0)
	v_fma_f64 v[3:4], v[15:16], v[151:152], v[3:4]
	scratch_load_b128 v[13:16], off, off offset:168
	s_waitcnt vmcnt(4)
	v_fma_f64 v[3:4], v[17:18], v[153:154], v[3:4]
	ds_load_b128 v[147:150], v12 offset:608
	ds_load_b128 v[151:154], v12 offset:624
	s_waitcnt lgkmcnt(1)
	v_fma_f64 v[3:4], v[19:20], v[147:148], v[3:4]
	scratch_load_b128 v[17:20], off, off offset:184
	s_waitcnt vmcnt(4)
	v_fma_f64 v[3:4], v[139:140], v[149:150], v[3:4]
	s_waitcnt lgkmcnt(0)
	s_delay_alu instid0(VALU_DEP_1)
	v_fma_f64 v[3:4], v[141:142], v[151:152], v[3:4]
	scratch_load_b128 v[139:142], off, off offset:200
	s_waitcnt vmcnt(4)
	v_fma_f64 v[3:4], v[143:144], v[153:154], v[3:4]
	ds_load_b128 v[147:150], v12 offset:640
	ds_load_b128 v[151:154], v12 offset:656
	s_waitcnt lgkmcnt(1)
	v_fma_f64 v[3:4], v[145:146], v[147:148], v[3:4]
	scratch_load_b128 v[143:146], off, off offset:216
	s_waitcnt vmcnt(4)
	v_fma_f64 v[3:4], v[155:156], v[149:150], v[3:4]
	scratch_load_b128 v[147:150], off, off offset:232
	s_waitcnt lgkmcnt(0)
	v_fma_f64 v[3:4], v[157:158], v[151:152], v[3:4]
	s_waitcnt vmcnt(4)
	s_delay_alu instid0(VALU_DEP_1)
	v_fma_f64 v[3:4], v[13:14], v[153:154], v[3:4]
	ds_load_b128 v[151:154], v12 offset:672
	ds_load_b128 v[155:158], v12 offset:688
	s_waitcnt lgkmcnt(1)
	v_fma_f64 v[3:4], v[15:16], v[151:152], v[3:4]
	scratch_load_b128 v[13:16], off, off offset:248
	s_waitcnt vmcnt(4)
	v_fma_f64 v[3:4], v[17:18], v[153:154], v[3:4]
	s_waitcnt lgkmcnt(0)
	s_delay_alu instid0(VALU_DEP_1)
	v_fma_f64 v[3:4], v[19:20], v[155:156], v[3:4]
	scratch_load_b128 v[17:20], off, off offset:264
	s_waitcnt vmcnt(4)
	v_fma_f64 v[3:4], v[139:140], v[157:158], v[3:4]
	ds_load_b128 v[151:154], v12 offset:704
	ds_load_b128 v[155:158], v12 offset:720
	s_waitcnt lgkmcnt(1)
	v_fma_f64 v[3:4], v[141:142], v[151:152], v[3:4]
	scratch_load_b128 v[139:142], off, off offset:280
	s_waitcnt vmcnt(4)
	v_fma_f64 v[3:4], v[143:144], v[153:154], v[3:4]
	s_waitcnt lgkmcnt(0)
	s_delay_alu instid0(VALU_DEP_1)
	v_fma_f64 v[3:4], v[145:146], v[155:156], v[3:4]
	scratch_load_b128 v[143:146], off, off offset:296
	s_waitcnt vmcnt(4)
	v_fma_f64 v[3:4], v[147:148], v[157:158], v[3:4]
	ds_load_b128 v[151:154], v12 offset:736
	ds_load_b128 v[155:158], v12 offset:752
	s_waitcnt lgkmcnt(1)
	v_fma_f64 v[3:4], v[149:150], v[151:152], v[3:4]
	scratch_load_b128 v[147:150], off, off offset:312
	s_waitcnt vmcnt(4)
	v_fma_f64 v[3:4], v[13:14], v[153:154], v[3:4]
	s_waitcnt lgkmcnt(0)
	s_delay_alu instid0(VALU_DEP_1)
	v_fma_f64 v[3:4], v[15:16], v[155:156], v[3:4]
	scratch_load_b128 v[13:16], off, off offset:328
	s_waitcnt vmcnt(4)
	v_fma_f64 v[3:4], v[17:18], v[157:158], v[3:4]
	ds_load_b128 v[151:154], v12 offset:768
	ds_load_b128 v[155:158], v12 offset:784
	s_waitcnt lgkmcnt(1)
	v_fma_f64 v[3:4], v[19:20], v[151:152], v[3:4]
	scratch_load_b128 v[17:20], off, off offset:344
	s_waitcnt vmcnt(4)
	v_fma_f64 v[3:4], v[139:140], v[153:154], v[3:4]
	s_waitcnt lgkmcnt(0)
	s_delay_alu instid0(VALU_DEP_1)
	v_fma_f64 v[3:4], v[141:142], v[155:156], v[3:4]
	scratch_load_b128 v[139:142], off, off offset:360
	s_waitcnt vmcnt(4)
	v_fma_f64 v[3:4], v[143:144], v[157:158], v[3:4]
	ds_load_b128 v[151:154], v12 offset:800
	ds_load_b128 v[155:158], v12 offset:816
	s_waitcnt lgkmcnt(1)
	v_fma_f64 v[3:4], v[145:146], v[151:152], v[3:4]
	scratch_load_b128 v[143:146], off, off offset:376
	s_waitcnt vmcnt(4)
	v_fma_f64 v[3:4], v[147:148], v[153:154], v[3:4]
	s_waitcnt lgkmcnt(0)
	s_delay_alu instid0(VALU_DEP_1)
	v_fma_f64 v[3:4], v[149:150], v[155:156], v[3:4]
	scratch_load_b128 v[147:150], off, off offset:392
	s_waitcnt vmcnt(4)
	v_fma_f64 v[3:4], v[13:14], v[157:158], v[3:4]
	ds_load_b128 v[151:154], v12 offset:832
	ds_load_b128 v[155:158], v12 offset:848
	s_waitcnt lgkmcnt(1)
	v_fma_f64 v[3:4], v[15:16], v[151:152], v[3:4]
	scratch_load_b128 v[13:16], off, off offset:408
	s_waitcnt vmcnt(4)
	v_fma_f64 v[3:4], v[17:18], v[153:154], v[3:4]
	s_waitcnt lgkmcnt(0)
	s_delay_alu instid0(VALU_DEP_1)
	v_fma_f64 v[3:4], v[19:20], v[155:156], v[3:4]
	scratch_load_b128 v[17:20], off, off offset:424
	s_waitcnt vmcnt(4)
	v_fma_f64 v[3:4], v[139:140], v[157:158], v[3:4]
	ds_load_b128 v[151:154], v12 offset:864
	ds_load_b128 v[155:158], v12 offset:880
	s_waitcnt lgkmcnt(1)
	v_fma_f64 v[3:4], v[141:142], v[151:152], v[3:4]
	scratch_load_b128 v[139:142], off, off offset:440
	s_waitcnt vmcnt(4)
	v_fma_f64 v[3:4], v[143:144], v[153:154], v[3:4]
	s_waitcnt lgkmcnt(0)
	s_delay_alu instid0(VALU_DEP_1)
	v_fma_f64 v[3:4], v[145:146], v[155:156], v[3:4]
	scratch_load_b128 v[143:146], off, off offset:456
	s_waitcnt vmcnt(4)
	v_fma_f64 v[3:4], v[147:148], v[157:158], v[3:4]
	ds_load_b128 v[151:154], v12 offset:896
	ds_load_b128 v[155:158], v12 offset:912
	s_waitcnt lgkmcnt(1)
	v_fma_f64 v[3:4], v[149:150], v[151:152], v[3:4]
	scratch_load_b128 v[147:150], off, off offset:472
	s_waitcnt vmcnt(4)
	v_fma_f64 v[3:4], v[13:14], v[153:154], v[3:4]
	s_waitcnt lgkmcnt(0)
	s_delay_alu instid0(VALU_DEP_1)
	v_fma_f64 v[3:4], v[15:16], v[155:156], v[3:4]
	ds_load_b128 v[13:16], v12 offset:928
	ds_load_b128 v[151:154], v12 offset:944
	s_waitcnt vmcnt(3)
	v_fma_f64 v[3:4], v[17:18], v[157:158], v[3:4]
	s_waitcnt lgkmcnt(1)
	s_delay_alu instid0(VALU_DEP_1) | instskip(SKIP_1) | instid1(VALU_DEP_1)
	v_fma_f64 v[3:4], v[19:20], v[13:14], v[3:4]
	s_waitcnt vmcnt(2)
	v_fma_f64 v[3:4], v[139:140], v[15:16], v[3:4]
	ds_load_b128 v[13:16], v12 offset:960
	ds_load_b64 v[17:18], v12 offset:976
	s_waitcnt lgkmcnt(2)
	v_fma_f64 v[3:4], v[141:142], v[151:152], v[3:4]
	s_waitcnt vmcnt(1)
	s_delay_alu instid0(VALU_DEP_1) | instskip(SKIP_1) | instid1(VALU_DEP_1)
	v_fma_f64 v[3:4], v[143:144], v[153:154], v[3:4]
	s_waitcnt lgkmcnt(1)
	v_fma_f64 v[3:4], v[145:146], v[13:14], v[3:4]
	s_waitcnt vmcnt(0)
	s_delay_alu instid0(VALU_DEP_1) | instskip(SKIP_1) | instid1(VALU_DEP_1)
	v_fma_f64 v[3:4], v[147:148], v[15:16], v[3:4]
	s_waitcnt lgkmcnt(0)
	v_fma_f64 v[3:4], v[149:150], v[17:18], v[3:4]
	s_delay_alu instid0(VALU_DEP_1)
	v_add_f64 v[1:2], v[1:2], -v[3:4]
	scratch_store_b64 off, v[1:2], off offset:72
	v_cmpx_lt_u32_e32 8, v0
	s_cbranch_execz .LBB60_359
; %bb.358:
	scratch_load_b64 v[1:2], off, off offset:64
	v_mov_b32_e32 v13, v12
	scratch_store_b64 off, v[12:13], off offset:64
	s_waitcnt vmcnt(0)
	ds_store_b64 v5, v[1:2]
.LBB60_359:
	s_or_b32 exec_lo, exec_lo, s0
	s_waitcnt lgkmcnt(0)
	s_waitcnt_vscnt null, 0x0
	s_barrier
	buffer_gl0_inv
	s_clause 0x4
	scratch_load_b128 v[1:4], off, off offset:64
	scratch_load_b128 v[13:16], off, off offset:80
	;; [unrolled: 1-line block ×5, first 2 shown]
	ds_load_2addr_b64 v[147:150], v12 offset0:71 offset1:72
	ds_load_2addr_b64 v[151:154], v12 offset0:73 offset1:74
	scratch_load_b128 v[155:158], off, off offset:144
	s_mov_b32 s0, exec_lo
	s_waitcnt vmcnt(5) lgkmcnt(1)
	v_fma_f64 v[3:4], v[3:4], v[147:148], 0
	s_waitcnt vmcnt(4)
	s_delay_alu instid0(VALU_DEP_1) | instskip(SKIP_1) | instid1(VALU_DEP_1)
	v_fma_f64 v[3:4], v[13:14], v[149:150], v[3:4]
	s_waitcnt lgkmcnt(0)
	v_fma_f64 v[3:4], v[15:16], v[151:152], v[3:4]
	scratch_load_b128 v[13:16], off, off offset:160
	s_waitcnt vmcnt(4)
	v_fma_f64 v[3:4], v[17:18], v[153:154], v[3:4]
	ds_load_2addr_b64 v[147:150], v12 offset0:75 offset1:76
	ds_load_2addr_b64 v[151:154], v12 offset0:77 offset1:78
	s_waitcnt lgkmcnt(1)
	v_fma_f64 v[3:4], v[19:20], v[147:148], v[3:4]
	scratch_load_b128 v[17:20], off, off offset:176
	s_waitcnt vmcnt(4)
	v_fma_f64 v[3:4], v[139:140], v[149:150], v[3:4]
	s_waitcnt lgkmcnt(0)
	s_delay_alu instid0(VALU_DEP_1)
	v_fma_f64 v[3:4], v[141:142], v[151:152], v[3:4]
	scratch_load_b128 v[139:142], off, off offset:192
	s_waitcnt vmcnt(4)
	v_fma_f64 v[3:4], v[143:144], v[153:154], v[3:4]
	ds_load_2addr_b64 v[147:150], v12 offset0:79 offset1:80
	ds_load_2addr_b64 v[151:154], v12 offset0:81 offset1:82
	s_waitcnt lgkmcnt(1)
	v_fma_f64 v[3:4], v[145:146], v[147:148], v[3:4]
	scratch_load_b128 v[143:146], off, off offset:208
	s_waitcnt vmcnt(4)
	v_fma_f64 v[3:4], v[155:156], v[149:150], v[3:4]
	scratch_load_b128 v[147:150], off, off offset:224
	s_waitcnt lgkmcnt(0)
	v_fma_f64 v[3:4], v[157:158], v[151:152], v[3:4]
	s_waitcnt vmcnt(4)
	s_delay_alu instid0(VALU_DEP_1)
	v_fma_f64 v[3:4], v[13:14], v[153:154], v[3:4]
	ds_load_2addr_b64 v[151:154], v12 offset0:83 offset1:84
	ds_load_2addr_b64 v[155:158], v12 offset0:85 offset1:86
	s_waitcnt lgkmcnt(1)
	v_fma_f64 v[3:4], v[15:16], v[151:152], v[3:4]
	scratch_load_b128 v[13:16], off, off offset:240
	s_waitcnt vmcnt(4)
	v_fma_f64 v[3:4], v[17:18], v[153:154], v[3:4]
	s_waitcnt lgkmcnt(0)
	s_delay_alu instid0(VALU_DEP_1)
	v_fma_f64 v[3:4], v[19:20], v[155:156], v[3:4]
	scratch_load_b128 v[17:20], off, off offset:256
	s_waitcnt vmcnt(4)
	v_fma_f64 v[3:4], v[139:140], v[157:158], v[3:4]
	ds_load_2addr_b64 v[151:154], v12 offset0:87 offset1:88
	ds_load_2addr_b64 v[155:158], v12 offset0:89 offset1:90
	s_waitcnt lgkmcnt(1)
	v_fma_f64 v[3:4], v[141:142], v[151:152], v[3:4]
	scratch_load_b128 v[139:142], off, off offset:272
	s_waitcnt vmcnt(4)
	v_fma_f64 v[3:4], v[143:144], v[153:154], v[3:4]
	s_waitcnt lgkmcnt(0)
	s_delay_alu instid0(VALU_DEP_1)
	v_fma_f64 v[3:4], v[145:146], v[155:156], v[3:4]
	scratch_load_b128 v[143:146], off, off offset:288
	s_waitcnt vmcnt(4)
	;; [unrolled: 13-line block ×7, first 2 shown]
	v_fma_f64 v[3:4], v[147:148], v[157:158], v[3:4]
	ds_load_2addr_b64 v[151:154], v12 offset0:111 offset1:112
	ds_load_2addr_b64 v[155:158], v12 offset0:113 offset1:114
	scratch_load_b64 v[35:36], off, off offset:480
	s_waitcnt lgkmcnt(1)
	v_fma_f64 v[3:4], v[149:150], v[151:152], v[3:4]
	scratch_load_b128 v[147:150], off, off offset:464
	s_waitcnt vmcnt(5)
	v_fma_f64 v[3:4], v[13:14], v[153:154], v[3:4]
	s_waitcnt lgkmcnt(0)
	s_delay_alu instid0(VALU_DEP_1)
	v_fma_f64 v[3:4], v[15:16], v[155:156], v[3:4]
	ds_load_2addr_b64 v[13:16], v12 offset0:115 offset1:116
	ds_load_2addr_b64 v[151:154], v12 offset0:117 offset1:118
	s_waitcnt vmcnt(4)
	v_fma_f64 v[3:4], v[17:18], v[157:158], v[3:4]
	s_waitcnt lgkmcnt(1)
	s_delay_alu instid0(VALU_DEP_1) | instskip(SKIP_1) | instid1(VALU_DEP_1)
	v_fma_f64 v[3:4], v[19:20], v[13:14], v[3:4]
	s_waitcnt vmcnt(3)
	v_fma_f64 v[3:4], v[139:140], v[15:16], v[3:4]
	ds_load_2addr_b64 v[13:16], v12 offset0:119 offset1:120
	ds_load_2addr_b64 v[17:20], v12 offset0:121 offset1:122
	s_waitcnt lgkmcnt(2)
	v_fma_f64 v[3:4], v[141:142], v[151:152], v[3:4]
	s_waitcnt vmcnt(2)
	s_delay_alu instid0(VALU_DEP_1) | instskip(SKIP_1) | instid1(VALU_DEP_1)
	v_fma_f64 v[3:4], v[143:144], v[153:154], v[3:4]
	s_waitcnt lgkmcnt(1)
	v_fma_f64 v[3:4], v[145:146], v[13:14], v[3:4]
	s_waitcnt vmcnt(0)
	s_delay_alu instid0(VALU_DEP_1) | instskip(SKIP_1) | instid1(VALU_DEP_1)
	v_fma_f64 v[3:4], v[147:148], v[15:16], v[3:4]
	s_waitcnt lgkmcnt(0)
	v_fma_f64 v[3:4], v[149:150], v[17:18], v[3:4]
	s_delay_alu instid0(VALU_DEP_1) | instskip(NEXT) | instid1(VALU_DEP_1)
	v_fma_f64 v[3:4], v[35:36], v[19:20], v[3:4]
	v_add_f64 v[1:2], v[1:2], -v[3:4]
	scratch_store_b64 off, v[1:2], off offset:64
	v_cmpx_lt_u32_e32 7, v0
	s_cbranch_execz .LBB60_361
; %bb.360:
	scratch_load_b64 v[1:2], off, off offset:56
	v_mov_b32_e32 v3, 0
	s_delay_alu instid0(VALU_DEP_1)
	v_mov_b32_e32 v4, v3
	scratch_store_b64 off, v[3:4], off offset:56
	s_waitcnt vmcnt(0)
	ds_store_b64 v5, v[1:2]
.LBB60_361:
	s_or_b32 exec_lo, exec_lo, s0
	s_waitcnt lgkmcnt(0)
	s_waitcnt_vscnt null, 0x0
	s_barrier
	buffer_gl0_inv
	s_clause 0x4
	scratch_load_b128 v[1:4], off, off offset:56
	scratch_load_b128 v[13:16], off, off offset:72
	;; [unrolled: 1-line block ×5, first 2 shown]
	v_mov_b32_e32 v12, 0
	ds_load_b128 v[147:150], v12 offset:560
	ds_load_b128 v[151:154], v12 offset:576
	scratch_load_b128 v[155:158], off, off offset:136
	s_mov_b32 s0, exec_lo
	s_waitcnt vmcnt(5) lgkmcnt(1)
	v_fma_f64 v[3:4], v[3:4], v[147:148], 0
	s_waitcnt vmcnt(4)
	s_delay_alu instid0(VALU_DEP_1) | instskip(SKIP_1) | instid1(VALU_DEP_1)
	v_fma_f64 v[3:4], v[13:14], v[149:150], v[3:4]
	s_waitcnt lgkmcnt(0)
	v_fma_f64 v[3:4], v[15:16], v[151:152], v[3:4]
	scratch_load_b128 v[13:16], off, off offset:152
	s_waitcnt vmcnt(4)
	v_fma_f64 v[3:4], v[17:18], v[153:154], v[3:4]
	ds_load_b128 v[147:150], v12 offset:592
	ds_load_b128 v[151:154], v12 offset:608
	s_waitcnt lgkmcnt(1)
	v_fma_f64 v[3:4], v[19:20], v[147:148], v[3:4]
	scratch_load_b128 v[17:20], off, off offset:168
	s_waitcnt vmcnt(4)
	v_fma_f64 v[3:4], v[139:140], v[149:150], v[3:4]
	s_waitcnt lgkmcnt(0)
	s_delay_alu instid0(VALU_DEP_1)
	v_fma_f64 v[3:4], v[141:142], v[151:152], v[3:4]
	scratch_load_b128 v[139:142], off, off offset:184
	s_waitcnt vmcnt(4)
	v_fma_f64 v[3:4], v[143:144], v[153:154], v[3:4]
	ds_load_b128 v[147:150], v12 offset:624
	ds_load_b128 v[151:154], v12 offset:640
	s_waitcnt lgkmcnt(1)
	v_fma_f64 v[3:4], v[145:146], v[147:148], v[3:4]
	scratch_load_b128 v[143:146], off, off offset:200
	s_waitcnt vmcnt(4)
	v_fma_f64 v[3:4], v[155:156], v[149:150], v[3:4]
	scratch_load_b128 v[147:150], off, off offset:216
	s_waitcnt lgkmcnt(0)
	v_fma_f64 v[3:4], v[157:158], v[151:152], v[3:4]
	s_waitcnt vmcnt(4)
	s_delay_alu instid0(VALU_DEP_1)
	v_fma_f64 v[3:4], v[13:14], v[153:154], v[3:4]
	ds_load_b128 v[151:154], v12 offset:656
	ds_load_b128 v[155:158], v12 offset:672
	s_waitcnt lgkmcnt(1)
	v_fma_f64 v[3:4], v[15:16], v[151:152], v[3:4]
	scratch_load_b128 v[13:16], off, off offset:232
	s_waitcnt vmcnt(4)
	v_fma_f64 v[3:4], v[17:18], v[153:154], v[3:4]
	s_waitcnt lgkmcnt(0)
	s_delay_alu instid0(VALU_DEP_1)
	v_fma_f64 v[3:4], v[19:20], v[155:156], v[3:4]
	scratch_load_b128 v[17:20], off, off offset:248
	s_waitcnt vmcnt(4)
	v_fma_f64 v[3:4], v[139:140], v[157:158], v[3:4]
	ds_load_b128 v[151:154], v12 offset:688
	ds_load_b128 v[155:158], v12 offset:704
	s_waitcnt lgkmcnt(1)
	v_fma_f64 v[3:4], v[141:142], v[151:152], v[3:4]
	scratch_load_b128 v[139:142], off, off offset:264
	s_waitcnt vmcnt(4)
	v_fma_f64 v[3:4], v[143:144], v[153:154], v[3:4]
	s_waitcnt lgkmcnt(0)
	s_delay_alu instid0(VALU_DEP_1)
	v_fma_f64 v[3:4], v[145:146], v[155:156], v[3:4]
	scratch_load_b128 v[143:146], off, off offset:280
	s_waitcnt vmcnt(4)
	v_fma_f64 v[3:4], v[147:148], v[157:158], v[3:4]
	ds_load_b128 v[151:154], v12 offset:720
	ds_load_b128 v[155:158], v12 offset:736
	s_waitcnt lgkmcnt(1)
	v_fma_f64 v[3:4], v[149:150], v[151:152], v[3:4]
	scratch_load_b128 v[147:150], off, off offset:296
	s_waitcnt vmcnt(4)
	v_fma_f64 v[3:4], v[13:14], v[153:154], v[3:4]
	s_waitcnt lgkmcnt(0)
	s_delay_alu instid0(VALU_DEP_1)
	v_fma_f64 v[3:4], v[15:16], v[155:156], v[3:4]
	scratch_load_b128 v[13:16], off, off offset:312
	s_waitcnt vmcnt(4)
	v_fma_f64 v[3:4], v[17:18], v[157:158], v[3:4]
	ds_load_b128 v[151:154], v12 offset:752
	ds_load_b128 v[155:158], v12 offset:768
	s_waitcnt lgkmcnt(1)
	v_fma_f64 v[3:4], v[19:20], v[151:152], v[3:4]
	scratch_load_b128 v[17:20], off, off offset:328
	s_waitcnt vmcnt(4)
	v_fma_f64 v[3:4], v[139:140], v[153:154], v[3:4]
	s_waitcnt lgkmcnt(0)
	s_delay_alu instid0(VALU_DEP_1)
	v_fma_f64 v[3:4], v[141:142], v[155:156], v[3:4]
	scratch_load_b128 v[139:142], off, off offset:344
	s_waitcnt vmcnt(4)
	v_fma_f64 v[3:4], v[143:144], v[157:158], v[3:4]
	ds_load_b128 v[151:154], v12 offset:784
	ds_load_b128 v[155:158], v12 offset:800
	s_waitcnt lgkmcnt(1)
	v_fma_f64 v[3:4], v[145:146], v[151:152], v[3:4]
	scratch_load_b128 v[143:146], off, off offset:360
	s_waitcnt vmcnt(4)
	v_fma_f64 v[3:4], v[147:148], v[153:154], v[3:4]
	s_waitcnt lgkmcnt(0)
	s_delay_alu instid0(VALU_DEP_1)
	v_fma_f64 v[3:4], v[149:150], v[155:156], v[3:4]
	scratch_load_b128 v[147:150], off, off offset:376
	s_waitcnt vmcnt(4)
	v_fma_f64 v[3:4], v[13:14], v[157:158], v[3:4]
	ds_load_b128 v[151:154], v12 offset:816
	ds_load_b128 v[155:158], v12 offset:832
	s_waitcnt lgkmcnt(1)
	v_fma_f64 v[3:4], v[15:16], v[151:152], v[3:4]
	scratch_load_b128 v[13:16], off, off offset:392
	s_waitcnt vmcnt(4)
	v_fma_f64 v[3:4], v[17:18], v[153:154], v[3:4]
	s_waitcnt lgkmcnt(0)
	s_delay_alu instid0(VALU_DEP_1)
	v_fma_f64 v[3:4], v[19:20], v[155:156], v[3:4]
	scratch_load_b128 v[17:20], off, off offset:408
	s_waitcnt vmcnt(4)
	v_fma_f64 v[3:4], v[139:140], v[157:158], v[3:4]
	ds_load_b128 v[151:154], v12 offset:848
	ds_load_b128 v[155:158], v12 offset:864
	s_waitcnt lgkmcnt(1)
	v_fma_f64 v[3:4], v[141:142], v[151:152], v[3:4]
	scratch_load_b128 v[139:142], off, off offset:424
	s_waitcnt vmcnt(4)
	v_fma_f64 v[3:4], v[143:144], v[153:154], v[3:4]
	s_waitcnt lgkmcnt(0)
	s_delay_alu instid0(VALU_DEP_1)
	v_fma_f64 v[3:4], v[145:146], v[155:156], v[3:4]
	scratch_load_b128 v[143:146], off, off offset:440
	s_waitcnt vmcnt(4)
	v_fma_f64 v[3:4], v[147:148], v[157:158], v[3:4]
	ds_load_b128 v[151:154], v12 offset:880
	ds_load_b128 v[155:158], v12 offset:896
	s_waitcnt lgkmcnt(1)
	v_fma_f64 v[3:4], v[149:150], v[151:152], v[3:4]
	scratch_load_b128 v[147:150], off, off offset:456
	s_waitcnt vmcnt(4)
	v_fma_f64 v[3:4], v[13:14], v[153:154], v[3:4]
	s_waitcnt lgkmcnt(0)
	s_delay_alu instid0(VALU_DEP_1)
	v_fma_f64 v[3:4], v[15:16], v[155:156], v[3:4]
	scratch_load_b128 v[13:16], off, off offset:472
	s_waitcnt vmcnt(4)
	v_fma_f64 v[3:4], v[17:18], v[157:158], v[3:4]
	ds_load_b128 v[151:154], v12 offset:912
	ds_load_b128 v[155:158], v12 offset:928
	s_waitcnt lgkmcnt(1)
	v_fma_f64 v[3:4], v[19:20], v[151:152], v[3:4]
	s_waitcnt vmcnt(3)
	s_delay_alu instid0(VALU_DEP_1) | instskip(SKIP_1) | instid1(VALU_DEP_1)
	v_fma_f64 v[3:4], v[139:140], v[153:154], v[3:4]
	s_waitcnt lgkmcnt(0)
	v_fma_f64 v[3:4], v[141:142], v[155:156], v[3:4]
	ds_load_b128 v[17:20], v12 offset:944
	ds_load_b128 v[139:142], v12 offset:960
	s_waitcnt vmcnt(2)
	v_fma_f64 v[3:4], v[143:144], v[157:158], v[3:4]
	s_waitcnt lgkmcnt(1)
	s_delay_alu instid0(VALU_DEP_1) | instskip(SKIP_1) | instid1(VALU_DEP_1)
	v_fma_f64 v[3:4], v[145:146], v[17:18], v[3:4]
	s_waitcnt vmcnt(1)
	v_fma_f64 v[3:4], v[147:148], v[19:20], v[3:4]
	s_waitcnt lgkmcnt(0)
	s_delay_alu instid0(VALU_DEP_1) | instskip(SKIP_1) | instid1(VALU_DEP_1)
	v_fma_f64 v[3:4], v[149:150], v[139:140], v[3:4]
	s_waitcnt vmcnt(0)
	v_fma_f64 v[3:4], v[13:14], v[141:142], v[3:4]
	ds_load_b64 v[13:14], v12 offset:976
	s_waitcnt lgkmcnt(0)
	v_fma_f64 v[3:4], v[15:16], v[13:14], v[3:4]
	s_delay_alu instid0(VALU_DEP_1)
	v_add_f64 v[1:2], v[1:2], -v[3:4]
	scratch_store_b64 off, v[1:2], off offset:56
	v_cmpx_lt_u32_e32 6, v0
	s_cbranch_execz .LBB60_363
; %bb.362:
	scratch_load_b64 v[1:2], off, off offset:48
	v_mov_b32_e32 v13, v12
	scratch_store_b64 off, v[12:13], off offset:48
	s_waitcnt vmcnt(0)
	ds_store_b64 v5, v[1:2]
.LBB60_363:
	s_or_b32 exec_lo, exec_lo, s0
	s_waitcnt lgkmcnt(0)
	s_waitcnt_vscnt null, 0x0
	s_barrier
	buffer_gl0_inv
	s_clause 0x4
	scratch_load_b128 v[1:4], off, off offset:48
	scratch_load_b128 v[13:16], off, off offset:64
	;; [unrolled: 1-line block ×5, first 2 shown]
	ds_load_2addr_b64 v[147:150], v12 offset0:69 offset1:70
	ds_load_2addr_b64 v[151:154], v12 offset0:71 offset1:72
	scratch_load_b128 v[155:158], off, off offset:128
	s_mov_b32 s0, exec_lo
	s_waitcnt vmcnt(5) lgkmcnt(1)
	v_fma_f64 v[3:4], v[3:4], v[147:148], 0
	s_waitcnt vmcnt(4)
	s_delay_alu instid0(VALU_DEP_1) | instskip(SKIP_1) | instid1(VALU_DEP_1)
	v_fma_f64 v[3:4], v[13:14], v[149:150], v[3:4]
	s_waitcnt lgkmcnt(0)
	v_fma_f64 v[3:4], v[15:16], v[151:152], v[3:4]
	scratch_load_b128 v[13:16], off, off offset:144
	s_waitcnt vmcnt(4)
	v_fma_f64 v[3:4], v[17:18], v[153:154], v[3:4]
	ds_load_2addr_b64 v[147:150], v12 offset0:73 offset1:74
	ds_load_2addr_b64 v[151:154], v12 offset0:75 offset1:76
	s_waitcnt lgkmcnt(1)
	v_fma_f64 v[3:4], v[19:20], v[147:148], v[3:4]
	scratch_load_b128 v[17:20], off, off offset:160
	s_waitcnt vmcnt(4)
	v_fma_f64 v[3:4], v[139:140], v[149:150], v[3:4]
	s_waitcnt lgkmcnt(0)
	s_delay_alu instid0(VALU_DEP_1)
	v_fma_f64 v[3:4], v[141:142], v[151:152], v[3:4]
	scratch_load_b128 v[139:142], off, off offset:176
	s_waitcnt vmcnt(4)
	v_fma_f64 v[3:4], v[143:144], v[153:154], v[3:4]
	ds_load_2addr_b64 v[147:150], v12 offset0:77 offset1:78
	ds_load_2addr_b64 v[151:154], v12 offset0:79 offset1:80
	s_waitcnt lgkmcnt(1)
	v_fma_f64 v[3:4], v[145:146], v[147:148], v[3:4]
	scratch_load_b128 v[143:146], off, off offset:192
	s_waitcnt vmcnt(4)
	v_fma_f64 v[3:4], v[155:156], v[149:150], v[3:4]
	scratch_load_b128 v[147:150], off, off offset:208
	s_waitcnt lgkmcnt(0)
	v_fma_f64 v[3:4], v[157:158], v[151:152], v[3:4]
	s_waitcnt vmcnt(4)
	s_delay_alu instid0(VALU_DEP_1)
	v_fma_f64 v[3:4], v[13:14], v[153:154], v[3:4]
	ds_load_2addr_b64 v[151:154], v12 offset0:81 offset1:82
	ds_load_2addr_b64 v[155:158], v12 offset0:83 offset1:84
	s_waitcnt lgkmcnt(1)
	v_fma_f64 v[3:4], v[15:16], v[151:152], v[3:4]
	scratch_load_b128 v[13:16], off, off offset:224
	s_waitcnt vmcnt(4)
	v_fma_f64 v[3:4], v[17:18], v[153:154], v[3:4]
	s_waitcnt lgkmcnt(0)
	s_delay_alu instid0(VALU_DEP_1)
	v_fma_f64 v[3:4], v[19:20], v[155:156], v[3:4]
	scratch_load_b128 v[17:20], off, off offset:240
	s_waitcnt vmcnt(4)
	v_fma_f64 v[3:4], v[139:140], v[157:158], v[3:4]
	ds_load_2addr_b64 v[151:154], v12 offset0:85 offset1:86
	ds_load_2addr_b64 v[155:158], v12 offset0:87 offset1:88
	s_waitcnt lgkmcnt(1)
	v_fma_f64 v[3:4], v[141:142], v[151:152], v[3:4]
	scratch_load_b128 v[139:142], off, off offset:256
	s_waitcnt vmcnt(4)
	v_fma_f64 v[3:4], v[143:144], v[153:154], v[3:4]
	s_waitcnt lgkmcnt(0)
	s_delay_alu instid0(VALU_DEP_1)
	v_fma_f64 v[3:4], v[145:146], v[155:156], v[3:4]
	scratch_load_b128 v[143:146], off, off offset:272
	s_waitcnt vmcnt(4)
	;; [unrolled: 13-line block ×8, first 2 shown]
	v_fma_f64 v[3:4], v[17:18], v[157:158], v[3:4]
	ds_load_2addr_b64 v[151:154], v12 offset0:113 offset1:114
	ds_load_2addr_b64 v[155:158], v12 offset0:115 offset1:116
	scratch_load_b64 v[35:36], off, off offset:480
	s_waitcnt lgkmcnt(1)
	v_fma_f64 v[3:4], v[19:20], v[151:152], v[3:4]
	s_waitcnt vmcnt(4)
	s_delay_alu instid0(VALU_DEP_1) | instskip(SKIP_1) | instid1(VALU_DEP_1)
	v_fma_f64 v[3:4], v[139:140], v[153:154], v[3:4]
	s_waitcnt lgkmcnt(0)
	v_fma_f64 v[3:4], v[141:142], v[155:156], v[3:4]
	ds_load_2addr_b64 v[17:20], v12 offset0:117 offset1:118
	ds_load_2addr_b64 v[139:142], v12 offset0:119 offset1:120
	s_waitcnt vmcnt(3)
	v_fma_f64 v[3:4], v[143:144], v[157:158], v[3:4]
	s_waitcnt lgkmcnt(1)
	s_delay_alu instid0(VALU_DEP_1) | instskip(SKIP_1) | instid1(VALU_DEP_1)
	v_fma_f64 v[3:4], v[145:146], v[17:18], v[3:4]
	s_waitcnt vmcnt(2)
	v_fma_f64 v[3:4], v[147:148], v[19:20], v[3:4]
	ds_load_2addr_b64 v[17:20], v12 offset0:121 offset1:122
	s_waitcnt lgkmcnt(1)
	v_fma_f64 v[3:4], v[149:150], v[139:140], v[3:4]
	s_waitcnt vmcnt(1)
	s_delay_alu instid0(VALU_DEP_1) | instskip(SKIP_1) | instid1(VALU_DEP_1)
	v_fma_f64 v[3:4], v[13:14], v[141:142], v[3:4]
	s_waitcnt lgkmcnt(0)
	v_fma_f64 v[3:4], v[15:16], v[17:18], v[3:4]
	s_waitcnt vmcnt(0)
	s_delay_alu instid0(VALU_DEP_1) | instskip(NEXT) | instid1(VALU_DEP_1)
	v_fma_f64 v[3:4], v[35:36], v[19:20], v[3:4]
	v_add_f64 v[1:2], v[1:2], -v[3:4]
	scratch_store_b64 off, v[1:2], off offset:48
	v_cmpx_lt_u32_e32 5, v0
	s_cbranch_execz .LBB60_365
; %bb.364:
	scratch_load_b64 v[1:2], off, off offset:40
	v_mov_b32_e32 v3, 0
	s_delay_alu instid0(VALU_DEP_1)
	v_mov_b32_e32 v4, v3
	scratch_store_b64 off, v[3:4], off offset:40
	s_waitcnt vmcnt(0)
	ds_store_b64 v5, v[1:2]
.LBB60_365:
	s_or_b32 exec_lo, exec_lo, s0
	s_waitcnt lgkmcnt(0)
	s_waitcnt_vscnt null, 0x0
	s_barrier
	buffer_gl0_inv
	s_clause 0x4
	scratch_load_b128 v[1:4], off, off offset:40
	scratch_load_b128 v[13:16], off, off offset:56
	;; [unrolled: 1-line block ×5, first 2 shown]
	v_mov_b32_e32 v12, 0
	ds_load_b128 v[147:150], v12 offset:544
	ds_load_b128 v[151:154], v12 offset:560
	scratch_load_b128 v[155:158], off, off offset:120
	s_mov_b32 s0, exec_lo
	s_waitcnt vmcnt(5) lgkmcnt(1)
	v_fma_f64 v[3:4], v[3:4], v[147:148], 0
	s_waitcnt vmcnt(4)
	s_delay_alu instid0(VALU_DEP_1) | instskip(SKIP_1) | instid1(VALU_DEP_1)
	v_fma_f64 v[3:4], v[13:14], v[149:150], v[3:4]
	s_waitcnt lgkmcnt(0)
	v_fma_f64 v[3:4], v[15:16], v[151:152], v[3:4]
	scratch_load_b128 v[13:16], off, off offset:136
	s_waitcnt vmcnt(4)
	v_fma_f64 v[3:4], v[17:18], v[153:154], v[3:4]
	ds_load_b128 v[147:150], v12 offset:576
	ds_load_b128 v[151:154], v12 offset:592
	s_waitcnt lgkmcnt(1)
	v_fma_f64 v[3:4], v[19:20], v[147:148], v[3:4]
	scratch_load_b128 v[17:20], off, off offset:152
	s_waitcnt vmcnt(4)
	v_fma_f64 v[3:4], v[139:140], v[149:150], v[3:4]
	s_waitcnt lgkmcnt(0)
	s_delay_alu instid0(VALU_DEP_1)
	v_fma_f64 v[3:4], v[141:142], v[151:152], v[3:4]
	scratch_load_b128 v[139:142], off, off offset:168
	s_waitcnt vmcnt(4)
	v_fma_f64 v[3:4], v[143:144], v[153:154], v[3:4]
	ds_load_b128 v[147:150], v12 offset:608
	ds_load_b128 v[151:154], v12 offset:624
	s_waitcnt lgkmcnt(1)
	v_fma_f64 v[3:4], v[145:146], v[147:148], v[3:4]
	scratch_load_b128 v[143:146], off, off offset:184
	s_waitcnt vmcnt(4)
	v_fma_f64 v[3:4], v[155:156], v[149:150], v[3:4]
	scratch_load_b128 v[147:150], off, off offset:200
	s_waitcnt lgkmcnt(0)
	v_fma_f64 v[3:4], v[157:158], v[151:152], v[3:4]
	s_waitcnt vmcnt(4)
	s_delay_alu instid0(VALU_DEP_1)
	v_fma_f64 v[3:4], v[13:14], v[153:154], v[3:4]
	ds_load_b128 v[151:154], v12 offset:640
	ds_load_b128 v[155:158], v12 offset:656
	s_waitcnt lgkmcnt(1)
	v_fma_f64 v[3:4], v[15:16], v[151:152], v[3:4]
	scratch_load_b128 v[13:16], off, off offset:216
	s_waitcnt vmcnt(4)
	v_fma_f64 v[3:4], v[17:18], v[153:154], v[3:4]
	s_waitcnt lgkmcnt(0)
	s_delay_alu instid0(VALU_DEP_1)
	v_fma_f64 v[3:4], v[19:20], v[155:156], v[3:4]
	scratch_load_b128 v[17:20], off, off offset:232
	s_waitcnt vmcnt(4)
	v_fma_f64 v[3:4], v[139:140], v[157:158], v[3:4]
	ds_load_b128 v[151:154], v12 offset:672
	ds_load_b128 v[155:158], v12 offset:688
	s_waitcnt lgkmcnt(1)
	v_fma_f64 v[3:4], v[141:142], v[151:152], v[3:4]
	scratch_load_b128 v[139:142], off, off offset:248
	s_waitcnt vmcnt(4)
	v_fma_f64 v[3:4], v[143:144], v[153:154], v[3:4]
	s_waitcnt lgkmcnt(0)
	s_delay_alu instid0(VALU_DEP_1)
	v_fma_f64 v[3:4], v[145:146], v[155:156], v[3:4]
	scratch_load_b128 v[143:146], off, off offset:264
	s_waitcnt vmcnt(4)
	;; [unrolled: 13-line block ×8, first 2 shown]
	v_fma_f64 v[3:4], v[17:18], v[157:158], v[3:4]
	ds_load_b128 v[151:154], v12 offset:896
	ds_load_b128 v[155:158], v12 offset:912
	s_waitcnt lgkmcnt(1)
	v_fma_f64 v[3:4], v[19:20], v[151:152], v[3:4]
	scratch_load_b128 v[17:20], off, off offset:472
	s_waitcnt vmcnt(4)
	v_fma_f64 v[3:4], v[139:140], v[153:154], v[3:4]
	s_waitcnt lgkmcnt(0)
	s_delay_alu instid0(VALU_DEP_1)
	v_fma_f64 v[3:4], v[141:142], v[155:156], v[3:4]
	ds_load_b128 v[139:142], v12 offset:928
	ds_load_b128 v[151:154], v12 offset:944
	s_waitcnt vmcnt(3)
	v_fma_f64 v[3:4], v[143:144], v[157:158], v[3:4]
	s_waitcnt lgkmcnt(1)
	s_delay_alu instid0(VALU_DEP_1) | instskip(SKIP_1) | instid1(VALU_DEP_1)
	v_fma_f64 v[3:4], v[145:146], v[139:140], v[3:4]
	s_waitcnt vmcnt(2)
	v_fma_f64 v[3:4], v[147:148], v[141:142], v[3:4]
	s_waitcnt lgkmcnt(0)
	s_delay_alu instid0(VALU_DEP_1) | instskip(SKIP_1) | instid1(VALU_DEP_1)
	v_fma_f64 v[3:4], v[149:150], v[151:152], v[3:4]
	s_waitcnt vmcnt(1)
	v_fma_f64 v[3:4], v[13:14], v[153:154], v[3:4]
	ds_load_b128 v[139:142], v12 offset:960
	ds_load_b64 v[13:14], v12 offset:976
	s_waitcnt lgkmcnt(1)
	v_fma_f64 v[3:4], v[15:16], v[139:140], v[3:4]
	s_waitcnt vmcnt(0)
	s_delay_alu instid0(VALU_DEP_1) | instskip(SKIP_1) | instid1(VALU_DEP_1)
	v_fma_f64 v[3:4], v[17:18], v[141:142], v[3:4]
	s_waitcnt lgkmcnt(0)
	v_fma_f64 v[3:4], v[19:20], v[13:14], v[3:4]
	s_delay_alu instid0(VALU_DEP_1)
	v_add_f64 v[1:2], v[1:2], -v[3:4]
	scratch_store_b64 off, v[1:2], off offset:40
	v_cmpx_lt_u32_e32 4, v0
	s_cbranch_execz .LBB60_367
; %bb.366:
	scratch_load_b64 v[1:2], off, off offset:32
	v_mov_b32_e32 v13, v12
	scratch_store_b64 off, v[12:13], off offset:32
	s_waitcnt vmcnt(0)
	ds_store_b64 v5, v[1:2]
.LBB60_367:
	s_or_b32 exec_lo, exec_lo, s0
	s_waitcnt lgkmcnt(0)
	s_waitcnt_vscnt null, 0x0
	s_barrier
	buffer_gl0_inv
	s_clause 0x4
	scratch_load_b128 v[1:4], off, off offset:32
	scratch_load_b128 v[13:16], off, off offset:48
	;; [unrolled: 1-line block ×5, first 2 shown]
	ds_load_2addr_b64 v[147:150], v12 offset0:67 offset1:68
	ds_load_2addr_b64 v[151:154], v12 offset0:69 offset1:70
	scratch_load_b128 v[155:158], off, off offset:112
	s_mov_b32 s0, exec_lo
	s_waitcnt vmcnt(5) lgkmcnt(1)
	v_fma_f64 v[3:4], v[3:4], v[147:148], 0
	s_waitcnt vmcnt(4)
	s_delay_alu instid0(VALU_DEP_1) | instskip(SKIP_1) | instid1(VALU_DEP_1)
	v_fma_f64 v[3:4], v[13:14], v[149:150], v[3:4]
	s_waitcnt lgkmcnt(0)
	v_fma_f64 v[3:4], v[15:16], v[151:152], v[3:4]
	scratch_load_b128 v[13:16], off, off offset:128
	s_waitcnt vmcnt(4)
	v_fma_f64 v[3:4], v[17:18], v[153:154], v[3:4]
	ds_load_2addr_b64 v[147:150], v12 offset0:71 offset1:72
	ds_load_2addr_b64 v[151:154], v12 offset0:73 offset1:74
	s_waitcnt lgkmcnt(1)
	v_fma_f64 v[3:4], v[19:20], v[147:148], v[3:4]
	scratch_load_b128 v[17:20], off, off offset:144
	s_waitcnt vmcnt(4)
	v_fma_f64 v[3:4], v[139:140], v[149:150], v[3:4]
	s_waitcnt lgkmcnt(0)
	s_delay_alu instid0(VALU_DEP_1)
	v_fma_f64 v[3:4], v[141:142], v[151:152], v[3:4]
	scratch_load_b128 v[139:142], off, off offset:160
	s_waitcnt vmcnt(4)
	v_fma_f64 v[3:4], v[143:144], v[153:154], v[3:4]
	ds_load_2addr_b64 v[147:150], v12 offset0:75 offset1:76
	ds_load_2addr_b64 v[151:154], v12 offset0:77 offset1:78
	s_waitcnt lgkmcnt(1)
	v_fma_f64 v[3:4], v[145:146], v[147:148], v[3:4]
	scratch_load_b128 v[143:146], off, off offset:176
	s_waitcnt vmcnt(4)
	v_fma_f64 v[3:4], v[155:156], v[149:150], v[3:4]
	scratch_load_b128 v[147:150], off, off offset:192
	s_waitcnt lgkmcnt(0)
	v_fma_f64 v[3:4], v[157:158], v[151:152], v[3:4]
	s_waitcnt vmcnt(4)
	s_delay_alu instid0(VALU_DEP_1)
	v_fma_f64 v[3:4], v[13:14], v[153:154], v[3:4]
	ds_load_2addr_b64 v[151:154], v12 offset0:79 offset1:80
	ds_load_2addr_b64 v[155:158], v12 offset0:81 offset1:82
	s_waitcnt lgkmcnt(1)
	v_fma_f64 v[3:4], v[15:16], v[151:152], v[3:4]
	scratch_load_b128 v[13:16], off, off offset:208
	s_waitcnt vmcnt(4)
	v_fma_f64 v[3:4], v[17:18], v[153:154], v[3:4]
	s_waitcnt lgkmcnt(0)
	s_delay_alu instid0(VALU_DEP_1)
	v_fma_f64 v[3:4], v[19:20], v[155:156], v[3:4]
	scratch_load_b128 v[17:20], off, off offset:224
	s_waitcnt vmcnt(4)
	v_fma_f64 v[3:4], v[139:140], v[157:158], v[3:4]
	ds_load_2addr_b64 v[151:154], v12 offset0:83 offset1:84
	ds_load_2addr_b64 v[155:158], v12 offset0:85 offset1:86
	s_waitcnt lgkmcnt(1)
	v_fma_f64 v[3:4], v[141:142], v[151:152], v[3:4]
	scratch_load_b128 v[139:142], off, off offset:240
	s_waitcnt vmcnt(4)
	v_fma_f64 v[3:4], v[143:144], v[153:154], v[3:4]
	s_waitcnt lgkmcnt(0)
	s_delay_alu instid0(VALU_DEP_1)
	v_fma_f64 v[3:4], v[145:146], v[155:156], v[3:4]
	scratch_load_b128 v[143:146], off, off offset:256
	s_waitcnt vmcnt(4)
	;; [unrolled: 13-line block ×8, first 2 shown]
	v_fma_f64 v[3:4], v[17:18], v[157:158], v[3:4]
	ds_load_2addr_b64 v[151:154], v12 offset0:111 offset1:112
	ds_load_2addr_b64 v[155:158], v12 offset0:113 offset1:114
	scratch_load_b64 v[35:36], off, off offset:480
	s_waitcnt lgkmcnt(1)
	v_fma_f64 v[3:4], v[19:20], v[151:152], v[3:4]
	scratch_load_b128 v[17:20], off, off offset:464
	s_waitcnt vmcnt(5)
	v_fma_f64 v[3:4], v[139:140], v[153:154], v[3:4]
	s_waitcnt lgkmcnt(0)
	s_delay_alu instid0(VALU_DEP_1)
	v_fma_f64 v[3:4], v[141:142], v[155:156], v[3:4]
	ds_load_2addr_b64 v[139:142], v12 offset0:115 offset1:116
	ds_load_2addr_b64 v[151:154], v12 offset0:117 offset1:118
	s_waitcnt vmcnt(4)
	v_fma_f64 v[3:4], v[143:144], v[157:158], v[3:4]
	s_waitcnt lgkmcnt(1)
	s_delay_alu instid0(VALU_DEP_1) | instskip(SKIP_1) | instid1(VALU_DEP_1)
	v_fma_f64 v[3:4], v[145:146], v[139:140], v[3:4]
	s_waitcnt vmcnt(3)
	v_fma_f64 v[3:4], v[147:148], v[141:142], v[3:4]
	ds_load_2addr_b64 v[139:142], v12 offset0:119 offset1:120
	ds_load_2addr_b64 v[143:146], v12 offset0:121 offset1:122
	s_waitcnt lgkmcnt(2)
	v_fma_f64 v[3:4], v[149:150], v[151:152], v[3:4]
	s_waitcnt vmcnt(2)
	s_delay_alu instid0(VALU_DEP_1) | instskip(SKIP_1) | instid1(VALU_DEP_1)
	v_fma_f64 v[3:4], v[13:14], v[153:154], v[3:4]
	s_waitcnt lgkmcnt(1)
	v_fma_f64 v[3:4], v[15:16], v[139:140], v[3:4]
	s_waitcnt vmcnt(0)
	s_delay_alu instid0(VALU_DEP_1) | instskip(SKIP_1) | instid1(VALU_DEP_1)
	v_fma_f64 v[3:4], v[17:18], v[141:142], v[3:4]
	s_waitcnt lgkmcnt(0)
	v_fma_f64 v[3:4], v[19:20], v[143:144], v[3:4]
	s_delay_alu instid0(VALU_DEP_1) | instskip(NEXT) | instid1(VALU_DEP_1)
	v_fma_f64 v[3:4], v[35:36], v[145:146], v[3:4]
	v_add_f64 v[1:2], v[1:2], -v[3:4]
	scratch_store_b64 off, v[1:2], off offset:32
	v_cmpx_lt_u32_e32 3, v0
	s_cbranch_execz .LBB60_369
; %bb.368:
	scratch_load_b64 v[1:2], off, off offset:24
	v_mov_b32_e32 v3, 0
	s_delay_alu instid0(VALU_DEP_1)
	v_mov_b32_e32 v4, v3
	scratch_store_b64 off, v[3:4], off offset:24
	s_waitcnt vmcnt(0)
	ds_store_b64 v5, v[1:2]
.LBB60_369:
	s_or_b32 exec_lo, exec_lo, s0
	s_waitcnt lgkmcnt(0)
	s_waitcnt_vscnt null, 0x0
	s_barrier
	buffer_gl0_inv
	s_clause 0x4
	scratch_load_b128 v[1:4], off, off offset:24
	scratch_load_b128 v[13:16], off, off offset:40
	;; [unrolled: 1-line block ×5, first 2 shown]
	v_mov_b32_e32 v12, 0
	ds_load_b128 v[147:150], v12 offset:528
	ds_load_b128 v[151:154], v12 offset:544
	scratch_load_b128 v[155:158], off, off offset:104
	s_mov_b32 s0, exec_lo
	s_waitcnt vmcnt(5) lgkmcnt(1)
	v_fma_f64 v[3:4], v[3:4], v[147:148], 0
	s_waitcnt vmcnt(4)
	s_delay_alu instid0(VALU_DEP_1) | instskip(SKIP_1) | instid1(VALU_DEP_1)
	v_fma_f64 v[3:4], v[13:14], v[149:150], v[3:4]
	s_waitcnt lgkmcnt(0)
	v_fma_f64 v[3:4], v[15:16], v[151:152], v[3:4]
	scratch_load_b128 v[13:16], off, off offset:120
	s_waitcnt vmcnt(4)
	v_fma_f64 v[3:4], v[17:18], v[153:154], v[3:4]
	ds_load_b128 v[147:150], v12 offset:560
	ds_load_b128 v[151:154], v12 offset:576
	s_waitcnt lgkmcnt(1)
	v_fma_f64 v[3:4], v[19:20], v[147:148], v[3:4]
	scratch_load_b128 v[17:20], off, off offset:136
	s_waitcnt vmcnt(4)
	v_fma_f64 v[3:4], v[139:140], v[149:150], v[3:4]
	s_waitcnt lgkmcnt(0)
	s_delay_alu instid0(VALU_DEP_1)
	v_fma_f64 v[3:4], v[141:142], v[151:152], v[3:4]
	scratch_load_b128 v[139:142], off, off offset:152
	s_waitcnt vmcnt(4)
	v_fma_f64 v[3:4], v[143:144], v[153:154], v[3:4]
	ds_load_b128 v[147:150], v12 offset:592
	ds_load_b128 v[151:154], v12 offset:608
	s_waitcnt lgkmcnt(1)
	v_fma_f64 v[3:4], v[145:146], v[147:148], v[3:4]
	scratch_load_b128 v[143:146], off, off offset:168
	s_waitcnt vmcnt(4)
	v_fma_f64 v[3:4], v[155:156], v[149:150], v[3:4]
	scratch_load_b128 v[147:150], off, off offset:184
	s_waitcnt lgkmcnt(0)
	v_fma_f64 v[3:4], v[157:158], v[151:152], v[3:4]
	s_waitcnt vmcnt(4)
	s_delay_alu instid0(VALU_DEP_1)
	v_fma_f64 v[3:4], v[13:14], v[153:154], v[3:4]
	ds_load_b128 v[151:154], v12 offset:624
	ds_load_b128 v[155:158], v12 offset:640
	s_waitcnt lgkmcnt(1)
	v_fma_f64 v[3:4], v[15:16], v[151:152], v[3:4]
	scratch_load_b128 v[13:16], off, off offset:200
	s_waitcnt vmcnt(4)
	v_fma_f64 v[3:4], v[17:18], v[153:154], v[3:4]
	s_waitcnt lgkmcnt(0)
	s_delay_alu instid0(VALU_DEP_1)
	v_fma_f64 v[3:4], v[19:20], v[155:156], v[3:4]
	scratch_load_b128 v[17:20], off, off offset:216
	s_waitcnt vmcnt(4)
	v_fma_f64 v[3:4], v[139:140], v[157:158], v[3:4]
	ds_load_b128 v[151:154], v12 offset:656
	ds_load_b128 v[155:158], v12 offset:672
	s_waitcnt lgkmcnt(1)
	v_fma_f64 v[3:4], v[141:142], v[151:152], v[3:4]
	scratch_load_b128 v[139:142], off, off offset:232
	s_waitcnt vmcnt(4)
	v_fma_f64 v[3:4], v[143:144], v[153:154], v[3:4]
	s_waitcnt lgkmcnt(0)
	s_delay_alu instid0(VALU_DEP_1)
	v_fma_f64 v[3:4], v[145:146], v[155:156], v[3:4]
	scratch_load_b128 v[143:146], off, off offset:248
	s_waitcnt vmcnt(4)
	;; [unrolled: 13-line block ×9, first 2 shown]
	v_fma_f64 v[3:4], v[143:144], v[157:158], v[3:4]
	ds_load_b128 v[151:154], v12 offset:912
	ds_load_b128 v[155:158], v12 offset:928
	s_waitcnt lgkmcnt(1)
	v_fma_f64 v[3:4], v[145:146], v[151:152], v[3:4]
	s_waitcnt vmcnt(3)
	s_delay_alu instid0(VALU_DEP_1) | instskip(SKIP_1) | instid1(VALU_DEP_1)
	v_fma_f64 v[3:4], v[147:148], v[153:154], v[3:4]
	s_waitcnt lgkmcnt(0)
	v_fma_f64 v[3:4], v[149:150], v[155:156], v[3:4]
	ds_load_b128 v[143:146], v12 offset:944
	ds_load_b128 v[147:150], v12 offset:960
	s_waitcnt vmcnt(2)
	v_fma_f64 v[3:4], v[13:14], v[157:158], v[3:4]
	ds_load_b64 v[13:14], v12 offset:976
	s_waitcnt lgkmcnt(2)
	v_fma_f64 v[3:4], v[15:16], v[143:144], v[3:4]
	s_waitcnt vmcnt(1)
	s_delay_alu instid0(VALU_DEP_1) | instskip(SKIP_1) | instid1(VALU_DEP_1)
	v_fma_f64 v[3:4], v[17:18], v[145:146], v[3:4]
	s_waitcnt lgkmcnt(1)
	v_fma_f64 v[3:4], v[19:20], v[147:148], v[3:4]
	s_waitcnt vmcnt(0)
	s_delay_alu instid0(VALU_DEP_1) | instskip(SKIP_1) | instid1(VALU_DEP_1)
	v_fma_f64 v[3:4], v[139:140], v[149:150], v[3:4]
	s_waitcnt lgkmcnt(0)
	v_fma_f64 v[3:4], v[141:142], v[13:14], v[3:4]
	s_delay_alu instid0(VALU_DEP_1)
	v_add_f64 v[1:2], v[1:2], -v[3:4]
	scratch_store_b64 off, v[1:2], off offset:24
	v_cmpx_lt_u32_e32 2, v0
	s_cbranch_execz .LBB60_371
; %bb.370:
	scratch_load_b64 v[1:2], off, off offset:16
	v_mov_b32_e32 v13, v12
	scratch_store_b64 off, v[12:13], off offset:16
	s_waitcnt vmcnt(0)
	ds_store_b64 v5, v[1:2]
.LBB60_371:
	s_or_b32 exec_lo, exec_lo, s0
	s_waitcnt lgkmcnt(0)
	s_waitcnt_vscnt null, 0x0
	s_barrier
	buffer_gl0_inv
	s_clause 0x4
	scratch_load_b128 v[1:4], off, off offset:16
	scratch_load_b128 v[13:16], off, off offset:32
	;; [unrolled: 1-line block ×5, first 2 shown]
	ds_load_2addr_b64 v[147:150], v12 offset0:65 offset1:66
	ds_load_2addr_b64 v[151:154], v12 offset0:67 offset1:68
	scratch_load_b128 v[155:158], off, off offset:96
	s_mov_b32 s0, exec_lo
	s_waitcnt vmcnt(5) lgkmcnt(1)
	v_fma_f64 v[3:4], v[3:4], v[147:148], 0
	s_waitcnt vmcnt(4)
	s_delay_alu instid0(VALU_DEP_1) | instskip(SKIP_1) | instid1(VALU_DEP_1)
	v_fma_f64 v[3:4], v[13:14], v[149:150], v[3:4]
	s_waitcnt lgkmcnt(0)
	v_fma_f64 v[3:4], v[15:16], v[151:152], v[3:4]
	scratch_load_b128 v[13:16], off, off offset:112
	s_waitcnt vmcnt(4)
	v_fma_f64 v[3:4], v[17:18], v[153:154], v[3:4]
	ds_load_2addr_b64 v[147:150], v12 offset0:69 offset1:70
	ds_load_2addr_b64 v[151:154], v12 offset0:71 offset1:72
	s_waitcnt lgkmcnt(1)
	v_fma_f64 v[3:4], v[19:20], v[147:148], v[3:4]
	scratch_load_b128 v[17:20], off, off offset:128
	s_waitcnt vmcnt(4)
	v_fma_f64 v[3:4], v[139:140], v[149:150], v[3:4]
	s_waitcnt lgkmcnt(0)
	s_delay_alu instid0(VALU_DEP_1)
	v_fma_f64 v[3:4], v[141:142], v[151:152], v[3:4]
	scratch_load_b128 v[139:142], off, off offset:144
	s_waitcnt vmcnt(4)
	v_fma_f64 v[3:4], v[143:144], v[153:154], v[3:4]
	ds_load_2addr_b64 v[147:150], v12 offset0:73 offset1:74
	ds_load_2addr_b64 v[151:154], v12 offset0:75 offset1:76
	s_waitcnt lgkmcnt(1)
	v_fma_f64 v[3:4], v[145:146], v[147:148], v[3:4]
	scratch_load_b128 v[143:146], off, off offset:160
	s_waitcnt vmcnt(4)
	v_fma_f64 v[3:4], v[155:156], v[149:150], v[3:4]
	scratch_load_b128 v[147:150], off, off offset:176
	s_waitcnt lgkmcnt(0)
	v_fma_f64 v[3:4], v[157:158], v[151:152], v[3:4]
	s_waitcnt vmcnt(4)
	s_delay_alu instid0(VALU_DEP_1)
	v_fma_f64 v[3:4], v[13:14], v[153:154], v[3:4]
	ds_load_2addr_b64 v[151:154], v12 offset0:77 offset1:78
	ds_load_2addr_b64 v[155:158], v12 offset0:79 offset1:80
	s_waitcnt lgkmcnt(1)
	v_fma_f64 v[3:4], v[15:16], v[151:152], v[3:4]
	scratch_load_b128 v[13:16], off, off offset:192
	s_waitcnt vmcnt(4)
	v_fma_f64 v[3:4], v[17:18], v[153:154], v[3:4]
	s_waitcnt lgkmcnt(0)
	s_delay_alu instid0(VALU_DEP_1)
	v_fma_f64 v[3:4], v[19:20], v[155:156], v[3:4]
	scratch_load_b128 v[17:20], off, off offset:208
	s_waitcnt vmcnt(4)
	v_fma_f64 v[3:4], v[139:140], v[157:158], v[3:4]
	ds_load_2addr_b64 v[151:154], v12 offset0:81 offset1:82
	ds_load_2addr_b64 v[155:158], v12 offset0:83 offset1:84
	s_waitcnt lgkmcnt(1)
	v_fma_f64 v[3:4], v[141:142], v[151:152], v[3:4]
	scratch_load_b128 v[139:142], off, off offset:224
	s_waitcnt vmcnt(4)
	v_fma_f64 v[3:4], v[143:144], v[153:154], v[3:4]
	s_waitcnt lgkmcnt(0)
	s_delay_alu instid0(VALU_DEP_1)
	v_fma_f64 v[3:4], v[145:146], v[155:156], v[3:4]
	scratch_load_b128 v[143:146], off, off offset:240
	s_waitcnt vmcnt(4)
	;; [unrolled: 13-line block ×9, first 2 shown]
	v_fma_f64 v[3:4], v[143:144], v[157:158], v[3:4]
	ds_load_2addr_b64 v[151:154], v12 offset0:113 offset1:114
	ds_load_2addr_b64 v[155:158], v12 offset0:115 offset1:116
	scratch_load_b64 v[35:36], off, off offset:480
	s_waitcnt lgkmcnt(1)
	v_fma_f64 v[3:4], v[145:146], v[151:152], v[3:4]
	s_waitcnt vmcnt(4)
	s_delay_alu instid0(VALU_DEP_1) | instskip(SKIP_1) | instid1(VALU_DEP_1)
	v_fma_f64 v[3:4], v[147:148], v[153:154], v[3:4]
	s_waitcnt lgkmcnt(0)
	v_fma_f64 v[3:4], v[149:150], v[155:156], v[3:4]
	ds_load_2addr_b64 v[143:146], v12 offset0:117 offset1:118
	ds_load_2addr_b64 v[147:150], v12 offset0:119 offset1:120
	s_waitcnt vmcnt(3)
	v_fma_f64 v[3:4], v[13:14], v[157:158], v[3:4]
	s_waitcnt lgkmcnt(1)
	s_delay_alu instid0(VALU_DEP_1) | instskip(SKIP_4) | instid1(VALU_DEP_1)
	v_fma_f64 v[3:4], v[15:16], v[143:144], v[3:4]
	ds_load_2addr_b64 v[12:15], v12 offset0:121 offset1:122
	s_waitcnt vmcnt(2)
	v_fma_f64 v[3:4], v[17:18], v[145:146], v[3:4]
	s_waitcnt lgkmcnt(1)
	v_fma_f64 v[3:4], v[19:20], v[147:148], v[3:4]
	s_waitcnt vmcnt(1)
	s_delay_alu instid0(VALU_DEP_1) | instskip(SKIP_1) | instid1(VALU_DEP_1)
	v_fma_f64 v[3:4], v[139:140], v[149:150], v[3:4]
	s_waitcnt lgkmcnt(0)
	v_fma_f64 v[3:4], v[141:142], v[12:13], v[3:4]
	s_waitcnt vmcnt(0)
	s_delay_alu instid0(VALU_DEP_1) | instskip(NEXT) | instid1(VALU_DEP_1)
	v_fma_f64 v[3:4], v[35:36], v[14:15], v[3:4]
	v_add_f64 v[1:2], v[1:2], -v[3:4]
	scratch_store_b64 off, v[1:2], off offset:16
	v_cmpx_lt_u32_e32 1, v0
	s_cbranch_execz .LBB60_373
; %bb.372:
	scratch_load_b64 v[1:2], off, off offset:8
	v_mov_b32_e32 v3, 0
	s_delay_alu instid0(VALU_DEP_1)
	v_mov_b32_e32 v4, v3
	scratch_store_b64 off, v[3:4], off offset:8
	s_waitcnt vmcnt(0)
	ds_store_b64 v5, v[1:2]
.LBB60_373:
	s_or_b32 exec_lo, exec_lo, s0
	s_waitcnt lgkmcnt(0)
	s_waitcnt_vscnt null, 0x0
	s_barrier
	buffer_gl0_inv
	s_clause 0x4
	scratch_load_b128 v[1:4], off, off offset:8
	scratch_load_b128 v[13:16], off, off offset:24
	scratch_load_b128 v[17:20], off, off offset:40
	scratch_load_b128 v[139:142], off, off offset:56
	scratch_load_b128 v[143:146], off, off offset:72
	v_mov_b32_e32 v12, 0
	ds_load_b128 v[147:150], v12 offset:512
	ds_load_b128 v[151:154], v12 offset:528
	scratch_load_b128 v[155:158], off, off offset:88
	s_mov_b32 s0, exec_lo
	s_waitcnt vmcnt(5) lgkmcnt(1)
	v_fma_f64 v[3:4], v[3:4], v[147:148], 0
	s_waitcnt vmcnt(4)
	s_delay_alu instid0(VALU_DEP_1) | instskip(SKIP_1) | instid1(VALU_DEP_1)
	v_fma_f64 v[3:4], v[13:14], v[149:150], v[3:4]
	s_waitcnt lgkmcnt(0)
	v_fma_f64 v[3:4], v[15:16], v[151:152], v[3:4]
	scratch_load_b128 v[13:16], off, off offset:104
	s_waitcnt vmcnt(4)
	v_fma_f64 v[3:4], v[17:18], v[153:154], v[3:4]
	ds_load_b128 v[147:150], v12 offset:544
	ds_load_b128 v[151:154], v12 offset:560
	s_waitcnt lgkmcnt(1)
	v_fma_f64 v[3:4], v[19:20], v[147:148], v[3:4]
	scratch_load_b128 v[17:20], off, off offset:120
	s_waitcnt vmcnt(4)
	v_fma_f64 v[3:4], v[139:140], v[149:150], v[3:4]
	s_waitcnt lgkmcnt(0)
	s_delay_alu instid0(VALU_DEP_1)
	v_fma_f64 v[3:4], v[141:142], v[151:152], v[3:4]
	scratch_load_b128 v[139:142], off, off offset:136
	s_waitcnt vmcnt(4)
	v_fma_f64 v[3:4], v[143:144], v[153:154], v[3:4]
	ds_load_b128 v[147:150], v12 offset:576
	ds_load_b128 v[151:154], v12 offset:592
	s_waitcnt lgkmcnt(1)
	v_fma_f64 v[3:4], v[145:146], v[147:148], v[3:4]
	scratch_load_b128 v[143:146], off, off offset:152
	s_waitcnt vmcnt(4)
	v_fma_f64 v[3:4], v[155:156], v[149:150], v[3:4]
	scratch_load_b128 v[147:150], off, off offset:168
	s_waitcnt lgkmcnt(0)
	v_fma_f64 v[3:4], v[157:158], v[151:152], v[3:4]
	s_waitcnt vmcnt(4)
	s_delay_alu instid0(VALU_DEP_1)
	v_fma_f64 v[3:4], v[13:14], v[153:154], v[3:4]
	ds_load_b128 v[151:154], v12 offset:608
	ds_load_b128 v[155:158], v12 offset:624
	s_waitcnt lgkmcnt(1)
	v_fma_f64 v[3:4], v[15:16], v[151:152], v[3:4]
	scratch_load_b128 v[13:16], off, off offset:184
	s_waitcnt vmcnt(4)
	v_fma_f64 v[3:4], v[17:18], v[153:154], v[3:4]
	s_waitcnt lgkmcnt(0)
	s_delay_alu instid0(VALU_DEP_1)
	v_fma_f64 v[3:4], v[19:20], v[155:156], v[3:4]
	scratch_load_b128 v[17:20], off, off offset:200
	s_waitcnt vmcnt(4)
	v_fma_f64 v[3:4], v[139:140], v[157:158], v[3:4]
	ds_load_b128 v[151:154], v12 offset:640
	ds_load_b128 v[155:158], v12 offset:656
	s_waitcnt lgkmcnt(1)
	v_fma_f64 v[3:4], v[141:142], v[151:152], v[3:4]
	scratch_load_b128 v[139:142], off, off offset:216
	s_waitcnt vmcnt(4)
	v_fma_f64 v[3:4], v[143:144], v[153:154], v[3:4]
	s_waitcnt lgkmcnt(0)
	s_delay_alu instid0(VALU_DEP_1)
	v_fma_f64 v[3:4], v[145:146], v[155:156], v[3:4]
	scratch_load_b128 v[143:146], off, off offset:232
	s_waitcnt vmcnt(4)
	;; [unrolled: 13-line block ×9, first 2 shown]
	v_fma_f64 v[3:4], v[143:144], v[157:158], v[3:4]
	ds_load_b128 v[151:154], v12 offset:896
	ds_load_b128 v[155:158], v12 offset:912
	s_waitcnt lgkmcnt(1)
	v_fma_f64 v[3:4], v[145:146], v[151:152], v[3:4]
	scratch_load_b128 v[143:146], off, off offset:472
	s_waitcnt vmcnt(4)
	v_fma_f64 v[3:4], v[147:148], v[153:154], v[3:4]
	s_waitcnt lgkmcnt(0)
	s_delay_alu instid0(VALU_DEP_1)
	v_fma_f64 v[3:4], v[149:150], v[155:156], v[3:4]
	ds_load_b128 v[147:150], v12 offset:928
	ds_load_b128 v[151:154], v12 offset:944
	s_waitcnt vmcnt(3)
	v_fma_f64 v[3:4], v[13:14], v[157:158], v[3:4]
	s_waitcnt lgkmcnt(1)
	s_delay_alu instid0(VALU_DEP_1) | instskip(SKIP_1) | instid1(VALU_DEP_1)
	v_fma_f64 v[3:4], v[15:16], v[147:148], v[3:4]
	s_waitcnt vmcnt(2)
	v_fma_f64 v[3:4], v[17:18], v[149:150], v[3:4]
	ds_load_b128 v[13:16], v12 offset:960
	ds_load_b64 v[17:18], v12 offset:976
	s_waitcnt lgkmcnt(2)
	v_fma_f64 v[3:4], v[19:20], v[151:152], v[3:4]
	s_waitcnt vmcnt(1)
	s_delay_alu instid0(VALU_DEP_1) | instskip(SKIP_1) | instid1(VALU_DEP_1)
	v_fma_f64 v[3:4], v[139:140], v[153:154], v[3:4]
	s_waitcnt lgkmcnt(1)
	v_fma_f64 v[3:4], v[141:142], v[13:14], v[3:4]
	s_waitcnt vmcnt(0)
	s_delay_alu instid0(VALU_DEP_1) | instskip(SKIP_1) | instid1(VALU_DEP_1)
	v_fma_f64 v[3:4], v[143:144], v[15:16], v[3:4]
	s_waitcnt lgkmcnt(0)
	v_fma_f64 v[3:4], v[145:146], v[17:18], v[3:4]
	s_delay_alu instid0(VALU_DEP_1)
	v_add_f64 v[1:2], v[1:2], -v[3:4]
	scratch_store_b64 off, v[1:2], off offset:8
	v_cmpx_ne_u32_e32 0, v0
	s_cbranch_execz .LBB60_375
; %bb.374:
	scratch_load_b64 v[0:1], off, off
	v_mov_b32_e32 v13, v12
	scratch_store_b64 off, v[12:13], off
	s_waitcnt vmcnt(0)
	ds_store_b64 v5, v[0:1]
.LBB60_375:
	s_or_b32 exec_lo, exec_lo, s0
	s_waitcnt lgkmcnt(0)
	s_waitcnt_vscnt null, 0x0
	s_barrier
	buffer_gl0_inv
	s_clause 0x4
	scratch_load_b128 v[0:3], off, off
	scratch_load_b128 v[13:16], off, off offset:16
	scratch_load_b128 v[17:20], off, off offset:32
	;; [unrolled: 1-line block ×4, first 2 shown]
	ds_load_2addr_b64 v[147:150], v12 offset0:63 offset1:64
	ds_load_2addr_b64 v[151:154], v12 offset0:65 offset1:66
	s_and_b32 vcc_lo, exec_lo, s16
	s_waitcnt vmcnt(4) lgkmcnt(1)
	v_fma_f64 v[35:36], v[2:3], v[147:148], 0
	scratch_load_b128 v[2:5], off, off offset:80
	s_waitcnt vmcnt(4)
	v_fma_f64 v[13:14], v[13:14], v[149:150], v[35:36]
	s_waitcnt lgkmcnt(0)
	s_delay_alu instid0(VALU_DEP_1)
	v_fma_f64 v[35:36], v[15:16], v[151:152], v[13:14]
	scratch_load_b128 v[13:16], off, off offset:96
	s_waitcnt vmcnt(4)
	v_fma_f64 v[17:18], v[17:18], v[153:154], v[35:36]
	ds_load_2addr_b64 v[147:150], v12 offset0:67 offset1:68
	ds_load_2addr_b64 v[151:154], v12 offset0:69 offset1:70
	s_waitcnt lgkmcnt(1)
	v_fma_f64 v[35:36], v[19:20], v[147:148], v[17:18]
	scratch_load_b128 v[17:20], off, off offset:112
	s_waitcnt vmcnt(4)
	v_fma_f64 v[35:36], v[139:140], v[149:150], v[35:36]
	s_waitcnt lgkmcnt(0)
	s_delay_alu instid0(VALU_DEP_1)
	v_fma_f64 v[35:36], v[141:142], v[151:152], v[35:36]
	scratch_load_b128 v[139:142], off, off offset:128
	s_waitcnt vmcnt(4)
	v_fma_f64 v[35:36], v[143:144], v[153:154], v[35:36]
	ds_load_2addr_b64 v[147:150], v12 offset0:71 offset1:72
	ds_load_2addr_b64 v[151:154], v12 offset0:73 offset1:74
	s_waitcnt lgkmcnt(1)
	;; [unrolled: 13-line block ×9, first 2 shown]
	v_fma_f64 v[35:36], v[141:142], v[147:148], v[35:36]
	scratch_load_b128 v[139:142], off, off offset:368
	s_waitcnt vmcnt(4)
	v_fma_f64 v[35:36], v[143:144], v[149:150], v[35:36]
	s_waitcnt lgkmcnt(0)
	s_delay_alu instid0(VALU_DEP_1)
	v_fma_f64 v[35:36], v[145:146], v[151:152], v[35:36]
	scratch_load_b128 v[143:146], off, off offset:384
	s_waitcnt vmcnt(4)
	v_fma_f64 v[2:3], v[2:3], v[153:154], v[35:36]
	ds_load_2addr_b64 v[147:150], v12 offset0:103 offset1:104
	ds_load_2addr_b64 v[151:154], v12 offset0:105 offset1:106
	scratch_load_b128 v[155:158], off, off offset:400
	s_waitcnt lgkmcnt(1)
	v_fma_f64 v[2:3], v[4:5], v[147:148], v[2:3]
	s_waitcnt vmcnt(4)
	s_delay_alu instid0(VALU_DEP_1) | instskip(SKIP_1) | instid1(VALU_DEP_1)
	v_fma_f64 v[2:3], v[13:14], v[149:150], v[2:3]
	s_waitcnt lgkmcnt(0)
	v_fma_f64 v[2:3], v[15:16], v[151:152], v[2:3]
	scratch_load_b128 v[13:16], off, off offset:416
	s_waitcnt vmcnt(4)
	v_fma_f64 v[17:18], v[17:18], v[153:154], v[2:3]
	ds_load_2addr_b64 v[2:5], v12 offset0:107 offset1:108
	ds_load_2addr_b64 v[147:150], v12 offset0:109 offset1:110
	s_waitcnt lgkmcnt(1)
	v_fma_f64 v[2:3], v[19:20], v[2:3], v[17:18]
	scratch_load_b128 v[17:20], off, off offset:432
	s_waitcnt vmcnt(4)
	v_fma_f64 v[2:3], v[139:140], v[4:5], v[2:3]
	s_waitcnt lgkmcnt(0)
	s_delay_alu instid0(VALU_DEP_1)
	v_fma_f64 v[2:3], v[141:142], v[147:148], v[2:3]
	scratch_load_b128 v[139:142], off, off offset:448
	s_waitcnt vmcnt(4)
	v_fma_f64 v[2:3], v[143:144], v[149:150], v[2:3]
	ds_load_2addr_b64 v[147:150], v12 offset0:111 offset1:112
	ds_load_2addr_b64 v[151:154], v12 offset0:113 offset1:114
	s_waitcnt lgkmcnt(1)
	v_fma_f64 v[35:36], v[145:146], v[147:148], v[2:3]
	scratch_load_b128 v[2:5], off, off offset:464
	s_waitcnt vmcnt(4)
	v_fma_f64 v[35:36], v[155:156], v[149:150], v[35:36]
	s_waitcnt lgkmcnt(0)
	s_delay_alu instid0(VALU_DEP_1)
	v_fma_f64 v[35:36], v[157:158], v[151:152], v[35:36]
	scratch_load_b64 v[151:152], off, off offset:480
	ds_load_2addr_b64 v[143:146], v12 offset0:115 offset1:116
	ds_load_2addr_b64 v[147:150], v12 offset0:117 offset1:118
	s_waitcnt vmcnt(4)
	v_fma_f64 v[13:14], v[13:14], v[153:154], v[35:36]
	s_waitcnt lgkmcnt(1)
	s_delay_alu instid0(VALU_DEP_1) | instskip(SKIP_1) | instid1(VALU_DEP_1)
	v_fma_f64 v[13:14], v[15:16], v[143:144], v[13:14]
	s_waitcnt vmcnt(3)
	v_fma_f64 v[13:14], v[17:18], v[145:146], v[13:14]
	s_waitcnt lgkmcnt(0)
	s_delay_alu instid0(VALU_DEP_1) | instskip(SKIP_1) | instid1(VALU_DEP_1)
	v_fma_f64 v[13:14], v[19:20], v[147:148], v[13:14]
	s_waitcnt vmcnt(2)
	v_fma_f64 v[35:36], v[139:140], v[149:150], v[13:14]
	ds_load_2addr_b64 v[13:16], v12 offset0:119 offset1:120
	ds_load_2addr_b64 v[17:20], v12 offset0:121 offset1:122
	s_waitcnt lgkmcnt(1)
	v_fma_f64 v[12:13], v[141:142], v[13:14], v[35:36]
	s_waitcnt vmcnt(1)
	s_delay_alu instid0(VALU_DEP_1) | instskip(SKIP_1) | instid1(VALU_DEP_1)
	v_fma_f64 v[2:3], v[2:3], v[15:16], v[12:13]
	s_waitcnt lgkmcnt(0)
	v_fma_f64 v[2:3], v[4:5], v[17:18], v[2:3]
	s_waitcnt vmcnt(0)
	s_delay_alu instid0(VALU_DEP_1) | instskip(NEXT) | instid1(VALU_DEP_1)
	v_fma_f64 v[2:3], v[151:152], v[19:20], v[2:3]
	v_add_f64 v[0:1], v[0:1], -v[2:3]
	scratch_store_b64 off, v[0:1], off
	s_cbranch_vccz .LBB60_497
; %bb.376:
	v_dual_mov_b32 v0, s12 :: v_dual_mov_b32 v1, s13
	s_mov_b32 s0, exec_lo
	flat_load_b32 v0, v[0:1] offset:236
	s_waitcnt vmcnt(0) lgkmcnt(0)
	v_cmpx_ne_u32_e32 60, v0
	s_cbranch_execz .LBB60_378
; %bb.377:
	v_lshl_add_u32 v2, v0, 3, 0
	scratch_load_b64 v[0:1], v2, off offset:-8
	s_waitcnt vmcnt(0)
	scratch_store_b64 off, v[0:1], off offset:472
	scratch_store_b64 v2, v[4:5], off offset:-8
.LBB60_378:
	s_or_b32 exec_lo, exec_lo, s0
	v_dual_mov_b32 v0, s12 :: v_dual_mov_b32 v1, s13
	s_mov_b32 s0, exec_lo
	flat_load_b32 v0, v[0:1] offset:232
	s_waitcnt vmcnt(0) lgkmcnt(0)
	v_cmpx_ne_u32_e32 59, v0
	s_cbranch_execz .LBB60_380
; %bb.379:
	v_lshl_add_u32 v4, v0, 3, 0
	scratch_load_b64 v[0:1], v4, off offset:-8
	scratch_load_b64 v[2:3], off, off offset:464
	s_waitcnt vmcnt(1)
	scratch_store_b64 off, v[0:1], off offset:464
	s_waitcnt vmcnt(0)
	scratch_store_b64 v4, v[2:3], off offset:-8
.LBB60_380:
	s_or_b32 exec_lo, exec_lo, s0
	v_dual_mov_b32 v0, s12 :: v_dual_mov_b32 v1, s13
	s_mov_b32 s0, exec_lo
	flat_load_b32 v0, v[0:1] offset:228
	s_waitcnt vmcnt(0) lgkmcnt(0)
	v_cmpx_ne_u32_e32 58, v0
	s_cbranch_execz .LBB60_382
; %bb.381:
	v_lshl_add_u32 v4, v0, 3, 0
	scratch_load_b64 v[0:1], v4, off offset:-8
	scratch_load_b64 v[2:3], off, off offset:456
	s_waitcnt vmcnt(1)
	scratch_store_b64 off, v[0:1], off offset:456
	s_waitcnt vmcnt(0)
	scratch_store_b64 v4, v[2:3], off offset:-8
.LBB60_382:
	;; [unrolled: 16-line block ×58, first 2 shown]
	s_or_b32 exec_lo, exec_lo, s0
	v_dual_mov_b32 v0, s12 :: v_dual_mov_b32 v1, s13
	s_mov_b32 s0, exec_lo
	flat_load_b32 v2, v[0:1]
	scratch_load_b64 v[0:1], off, off
	s_waitcnt vmcnt(1) lgkmcnt(0)
	v_cmpx_ne_u32_e32 1, v2
	s_cbranch_execz .LBB60_496
; %bb.495:
	v_lshl_add_u32 v4, v2, 3, 0
	scratch_load_b64 v[2:3], v4, off offset:-8
	s_waitcnt vmcnt(0)
	scratch_store_b64 off, v[2:3], off
	scratch_store_b64 v4, v[0:1], off offset:-8
	scratch_load_b64 v[0:1], off, off
.LBB60_496:
	s_or_b32 exec_lo, exec_lo, s0
.LBB60_497:
	s_clause 0x9
	scratch_load_b128 v[2:5], off, off offset:8
	scratch_load_b128 v[12:15], off, off offset:24
	;; [unrolled: 1-line block ×10, first 2 shown]
	s_waitcnt vmcnt(10)
	global_store_b64 v[37:38], v[0:1], off
	s_waitcnt vmcnt(9)
	global_store_b64 v[39:40], v[2:3], off
	s_clause 0x1
	scratch_load_b128 v[0:3], off, off offset:168
	scratch_load_b128 v[35:38], off, off offset:184
	global_store_b64 v[41:42], v[4:5], off
	scratch_load_b128 v[39:42], off, off offset:200
	s_waitcnt vmcnt(11)
	s_clause 0x1
	global_store_b64 v[43:44], v[12:13], off
	global_store_b64 v[45:46], v[14:15], off
	s_clause 0x1
	scratch_load_b128 v[12:15], off, off offset:216
	scratch_load_b128 v[43:46], off, off offset:232
	s_waitcnt vmcnt(12)
	s_clause 0x1
	global_store_b64 v[47:48], v[16:17], off
	global_store_b64 v[49:50], v[18:19], off
	s_clause 0x1
	scratch_load_b128 v[16:19], off, off offset:248
	scratch_load_b128 v[47:50], off, off offset:264
	s_waitcnt vmcnt(13)
	s_clause 0x1
	global_store_b64 v[51:52], v[139:140], off
	global_store_b64 v[53:54], v[141:142], off
	s_clause 0x1
	scratch_load_b128 v[51:54], off, off offset:280
	scratch_load_b128 v[139:142], off, off offset:296
	s_waitcnt vmcnt(14)
	s_clause 0x1
	global_store_b64 v[55:56], v[143:144], off
	global_store_b64 v[57:58], v[145:146], off
	s_clause 0x1
	scratch_load_b128 v[55:58], off, off offset:312
	scratch_load_b128 v[143:146], off, off offset:328
	s_waitcnt vmcnt(15)
	s_clause 0x1
	global_store_b64 v[59:60], v[147:148], off
	global_store_b64 v[61:62], v[149:150], off
	s_clause 0x1
	scratch_load_b128 v[59:62], off, off offset:344
	scratch_load_b128 v[147:150], off, off offset:360
	s_waitcnt vmcnt(16)
	s_clause 0x1
	global_store_b64 v[63:64], v[151:152], off
	global_store_b64 v[65:66], v[153:154], off
	s_clause 0x1
	scratch_load_b128 v[63:66], off, off offset:376
	scratch_load_b128 v[151:154], off, off offset:392
	s_waitcnt vmcnt(17)
	s_clause 0x1
	global_store_b64 v[67:68], v[155:156], off
	global_store_b64 v[85:86], v[157:158], off
	scratch_load_b128 v[155:158], off, off offset:408
	s_waitcnt vmcnt(17)
	global_store_b64 v[83:84], v[159:160], off
	scratch_load_b128 v[83:86], off, off offset:424
	global_store_b64 v[79:80], v[161:162], off
	s_clause 0x1
	scratch_load_b128 v[159:162], off, off offset:440
	scratch_load_b128 v[167:170], off, off offset:456
	s_waitcnt vmcnt(19)
	s_clause 0x1
	global_store_b64 v[73:74], v[163:164], off
	global_store_b64 v[71:72], v[165:166], off
	scratch_load_b128 v[71:74], off, off offset:472
	s_waitcnt vmcnt(19)
	s_clause 0x1
	global_store_b64 v[69:70], v[0:1], off
	global_store_b64 v[75:76], v[2:3], off
	s_waitcnt vmcnt(18)
	s_clause 0x1
	global_store_b64 v[77:78], v[35:36], off
	global_store_b64 v[81:82], v[37:38], off
	;; [unrolled: 4-line block ×20, first 2 shown]
	s_endpgm
	.section	.rodata,"a",@progbits
	.p2align	6, 0x0
	.amdhsa_kernel _ZN9rocsolver6v33100L18getri_kernel_smallILi61EdPdEEvT1_iilPiilS4_bb
		.amdhsa_group_segment_fixed_size 984
		.amdhsa_private_segment_fixed_size 496
		.amdhsa_kernarg_size 60
		.amdhsa_user_sgpr_count 15
		.amdhsa_user_sgpr_dispatch_ptr 0
		.amdhsa_user_sgpr_queue_ptr 0
		.amdhsa_user_sgpr_kernarg_segment_ptr 1
		.amdhsa_user_sgpr_dispatch_id 0
		.amdhsa_user_sgpr_private_segment_size 0
		.amdhsa_wavefront_size32 1
		.amdhsa_uses_dynamic_stack 0
		.amdhsa_enable_private_segment 1
		.amdhsa_system_sgpr_workgroup_id_x 1
		.amdhsa_system_sgpr_workgroup_id_y 0
		.amdhsa_system_sgpr_workgroup_id_z 0
		.amdhsa_system_sgpr_workgroup_info 0
		.amdhsa_system_vgpr_workitem_id 0
		.amdhsa_next_free_vgpr 172
		.amdhsa_next_free_sgpr 18
		.amdhsa_reserve_vcc 1
		.amdhsa_float_round_mode_32 0
		.amdhsa_float_round_mode_16_64 0
		.amdhsa_float_denorm_mode_32 3
		.amdhsa_float_denorm_mode_16_64 3
		.amdhsa_dx10_clamp 1
		.amdhsa_ieee_mode 1
		.amdhsa_fp16_overflow 0
		.amdhsa_workgroup_processor_mode 1
		.amdhsa_memory_ordered 1
		.amdhsa_forward_progress 0
		.amdhsa_shared_vgpr_count 0
		.amdhsa_exception_fp_ieee_invalid_op 0
		.amdhsa_exception_fp_denorm_src 0
		.amdhsa_exception_fp_ieee_div_zero 0
		.amdhsa_exception_fp_ieee_overflow 0
		.amdhsa_exception_fp_ieee_underflow 0
		.amdhsa_exception_fp_ieee_inexact 0
		.amdhsa_exception_int_div_zero 0
	.end_amdhsa_kernel
	.section	.text._ZN9rocsolver6v33100L18getri_kernel_smallILi61EdPdEEvT1_iilPiilS4_bb,"axG",@progbits,_ZN9rocsolver6v33100L18getri_kernel_smallILi61EdPdEEvT1_iilPiilS4_bb,comdat
.Lfunc_end60:
	.size	_ZN9rocsolver6v33100L18getri_kernel_smallILi61EdPdEEvT1_iilPiilS4_bb, .Lfunc_end60-_ZN9rocsolver6v33100L18getri_kernel_smallILi61EdPdEEvT1_iilPiilS4_bb
                                        ; -- End function
	.section	.AMDGPU.csdata,"",@progbits
; Kernel info:
; codeLenInByte = 65860
; NumSgprs: 20
; NumVgprs: 172
; ScratchSize: 496
; MemoryBound: 0
; FloatMode: 240
; IeeeMode: 1
; LDSByteSize: 984 bytes/workgroup (compile time only)
; SGPRBlocks: 2
; VGPRBlocks: 21
; NumSGPRsForWavesPerEU: 20
; NumVGPRsForWavesPerEU: 172
; Occupancy: 8
; WaveLimiterHint : 1
; COMPUTE_PGM_RSRC2:SCRATCH_EN: 1
; COMPUTE_PGM_RSRC2:USER_SGPR: 15
; COMPUTE_PGM_RSRC2:TRAP_HANDLER: 0
; COMPUTE_PGM_RSRC2:TGID_X_EN: 1
; COMPUTE_PGM_RSRC2:TGID_Y_EN: 0
; COMPUTE_PGM_RSRC2:TGID_Z_EN: 0
; COMPUTE_PGM_RSRC2:TIDIG_COMP_CNT: 0
	.section	.text._ZN9rocsolver6v33100L18getri_kernel_smallILi62EdPdEEvT1_iilPiilS4_bb,"axG",@progbits,_ZN9rocsolver6v33100L18getri_kernel_smallILi62EdPdEEvT1_iilPiilS4_bb,comdat
	.globl	_ZN9rocsolver6v33100L18getri_kernel_smallILi62EdPdEEvT1_iilPiilS4_bb ; -- Begin function _ZN9rocsolver6v33100L18getri_kernel_smallILi62EdPdEEvT1_iilPiilS4_bb
	.p2align	8
	.type	_ZN9rocsolver6v33100L18getri_kernel_smallILi62EdPdEEvT1_iilPiilS4_bb,@function
_ZN9rocsolver6v33100L18getri_kernel_smallILi62EdPdEEvT1_iilPiilS4_bb: ; @_ZN9rocsolver6v33100L18getri_kernel_smallILi62EdPdEEvT1_iilPiilS4_bb
; %bb.0:
	s_mov_b32 s2, exec_lo
	v_cmpx_gt_u32_e32 62, v0
	s_cbranch_execz .LBB61_258
; %bb.1:
	s_clause 0x2
	s_load_b32 s17, s[0:1], 0x38
	s_load_b128 s[8:11], s[0:1], 0x10
	s_load_b128 s[4:7], s[0:1], 0x28
	s_mov_b32 s14, s15
                                        ; implicit-def: $sgpr12_sgpr13
	s_waitcnt lgkmcnt(0)
	s_bitcmp1_b32 s17, 8
	s_cselect_b32 s16, -1, 0
	s_bfe_u32 s2, s17, 0x10008
	s_ashr_i32 s15, s15, 31
	s_cmp_eq_u32 s2, 0
	s_cbranch_scc1 .LBB61_3
; %bb.2:
	s_load_b32 s2, s[0:1], 0x20
	s_mul_i32 s3, s14, s5
	s_mul_hi_u32 s5, s14, s4
	s_mul_i32 s12, s15, s4
	s_add_i32 s3, s5, s3
	s_mul_i32 s4, s14, s4
	s_add_i32 s5, s3, s12
	s_delay_alu instid0(SALU_CYCLE_1)
	s_lshl_b64 s[4:5], s[4:5], 2
	s_waitcnt lgkmcnt(0)
	s_ashr_i32 s3, s2, 31
	s_add_u32 s4, s10, s4
	s_addc_u32 s5, s11, s5
	s_lshl_b64 s[2:3], s[2:3], 2
	s_delay_alu instid0(SALU_CYCLE_1)
	s_add_u32 s12, s4, s2
	s_addc_u32 s13, s5, s3
.LBB61_3:
	s_load_b128 s[0:3], s[0:1], 0x0
	s_mul_i32 s4, s14, s9
	s_mul_hi_u32 s5, s14, s8
	s_mul_i32 s9, s15, s8
	s_add_i32 s5, s5, s4
	s_mul_i32 s4, s14, s8
	s_add_i32 s5, s5, s9
	v_lshlrev_b32_e32 v3, 3, v0
	s_lshl_b64 s[4:5], s[4:5], 3
	s_waitcnt lgkmcnt(0)
	v_add3_u32 v1, s3, s3, v0
	s_ashr_i32 s9, s2, 31
	s_mov_b32 s8, s2
	s_add_u32 s2, s0, s4
	s_addc_u32 s4, s1, s5
	v_add_nc_u32_e32 v4, s3, v1
	s_lshl_b64 s[0:1], s[8:9], 3
	v_ashrrev_i32_e32 v2, 31, v1
	s_add_u32 s0, s2, s0
	s_addc_u32 s1, s4, s1
	v_add_nc_u32_e32 v6, s3, v4
	v_add_co_u32 v38, s2, s0, v3
	s_mov_b32 s10, s3
	s_ashr_i32 s11, s3, 31
	s_delay_alu instid0(VALU_DEP_2) | instskip(SKIP_3) | instid1(VALU_DEP_4)
	v_add_nc_u32_e32 v8, s3, v6
	v_add_co_ci_u32_e64 v39, null, s1, 0, s2
	v_ashrrev_i32_e32 v5, 31, v4
	v_lshlrev_b64 v[1:2], 3, v[1:2]
	v_add_nc_u32_e32 v10, s3, v8
	s_lshl_b64 s[4:5], s[10:11], 3
	v_ashrrev_i32_e32 v7, 31, v6
	v_add_co_u32 v34, vcc_lo, v38, s4
	s_delay_alu instid0(VALU_DEP_3) | instskip(SKIP_3) | instid1(VALU_DEP_4)
	v_add_nc_u32_e32 v12, s3, v10
	v_add_co_ci_u32_e32 v35, vcc_lo, s5, v39, vcc_lo
	v_lshlrev_b64 v[4:5], 3, v[4:5]
	v_add_co_u32 v26, vcc_lo, s0, v1
	v_add_nc_u32_e32 v14, s3, v12
	v_add_co_ci_u32_e32 v27, vcc_lo, s1, v2, vcc_lo
	v_lshlrev_b64 v[1:2], 3, v[6:7]
	v_ashrrev_i32_e32 v9, 31, v8
	v_add_co_u32 v28, vcc_lo, s0, v4
	v_ashrrev_i32_e32 v11, 31, v10
	s_clause 0x1
	global_load_b64 v[30:31], v3, s[0:1]
	global_load_b64 v[32:33], v[34:35], off
	v_add_nc_u32_e32 v6, s3, v14
	v_add_co_ci_u32_e32 v29, vcc_lo, s1, v5, vcc_lo
	v_lshlrev_b64 v[4:5], 3, v[8:9]
	v_add_co_u32 v22, vcc_lo, s0, v1
	v_add_co_ci_u32_e32 v23, vcc_lo, s1, v2, vcc_lo
	v_lshlrev_b64 v[1:2], 3, v[10:11]
	v_ashrrev_i32_e32 v13, 31, v12
	v_add_nc_u32_e32 v16, s3, v6
	v_add_co_u32 v18, vcc_lo, s0, v4
	v_ashrrev_i32_e32 v15, 31, v14
	v_add_co_ci_u32_e32 v19, vcc_lo, s1, v5, vcc_lo
	v_lshlrev_b64 v[8:9], 3, v[12:13]
	v_add_co_u32 v24, vcc_lo, s0, v1
	v_ashrrev_i32_e32 v7, 31, v6
	v_add_nc_u32_e32 v10, s3, v16
	v_add_co_ci_u32_e32 v25, vcc_lo, s1, v2, vcc_lo
	v_lshlrev_b64 v[1:2], 3, v[14:15]
	v_ashrrev_i32_e32 v17, 31, v16
	v_add_co_u32 v20, vcc_lo, s0, v8
	v_lshlrev_b64 v[5:6], 3, v[6:7]
	v_ashrrev_i32_e32 v11, 31, v10
	v_add_co_ci_u32_e32 v21, vcc_lo, s1, v9, vcc_lo
	s_clause 0x2
	global_load_b64 v[60:61], v[26:27], off
	global_load_b64 v[62:63], v[28:29], off
	;; [unrolled: 1-line block ×3, first 2 shown]
	v_add_co_u32 v12, vcc_lo, s0, v1
	v_lshlrev_b64 v[16:17], 3, v[16:17]
	global_load_b64 v[66:67], v[18:19], off
	v_add_co_ci_u32_e32 v13, vcc_lo, s1, v2, vcc_lo
	v_add_nc_u32_e32 v4, s3, v10
	v_add_co_u32 v8, vcc_lo, s0, v5
	v_lshlrev_b64 v[10:11], 3, v[10:11]
	v_add_co_ci_u32_e32 v9, vcc_lo, s1, v6, vcc_lo
	v_add_co_u32 v16, vcc_lo, s0, v16
	v_add_co_ci_u32_e32 v17, vcc_lo, s1, v17, vcc_lo
	s_delay_alu instid0(VALU_DEP_4)
	v_add_co_u32 v10, vcc_lo, s0, v10
	v_add_co_ci_u32_e32 v11, vcc_lo, s1, v11, vcc_lo
	s_clause 0x5
	global_load_b64 v[68:69], v[24:25], off
	global_load_b64 v[70:71], v[20:21], off
	;; [unrolled: 1-line block ×6, first 2 shown]
	v_add_nc_u32_e32 v36, s3, v4
	v_ashrrev_i32_e32 v5, 31, v4
	s_bitcmp0_b32 s17, 0
	s_delay_alu instid0(VALU_DEP_2) | instskip(NEXT) | instid1(VALU_DEP_2)
	v_add_nc_u32_e32 v14, s3, v36
	v_lshlrev_b64 v[4:5], 3, v[4:5]
	v_ashrrev_i32_e32 v37, 31, v36
	s_delay_alu instid0(VALU_DEP_3) | instskip(SKIP_1) | instid1(VALU_DEP_4)
	v_add_nc_u32_e32 v40, s3, v14
	v_ashrrev_i32_e32 v15, 31, v14
	v_add_co_u32 v58, vcc_lo, s0, v4
	s_delay_alu instid0(VALU_DEP_4) | instskip(NEXT) | instid1(VALU_DEP_4)
	v_lshlrev_b64 v[36:37], 3, v[36:37]
	v_add_nc_u32_e32 v1, s3, v40
	v_ashrrev_i32_e32 v41, 31, v40
	v_add_co_ci_u32_e32 v59, vcc_lo, s1, v5, vcc_lo
	v_lshlrev_b64 v[14:15], 3, v[14:15]
	s_delay_alu instid0(VALU_DEP_4) | instskip(SKIP_2) | instid1(VALU_DEP_3)
	v_add_nc_u32_e32 v6, s3, v1
	v_add_co_u32 v56, vcc_lo, s0, v36
	v_add_co_ci_u32_e32 v57, vcc_lo, s1, v37, vcc_lo
	v_add_nc_u32_e32 v44, s3, v6
	v_lshlrev_b64 v[36:37], 3, v[40:41]
	v_ashrrev_i32_e32 v2, 31, v1
	v_ashrrev_i32_e32 v7, 31, v6
	v_add_co_u32 v50, vcc_lo, s0, v14
	v_add_nc_u32_e32 v46, s3, v44
	s_delay_alu instid0(VALU_DEP_4) | instskip(SKIP_2) | instid1(VALU_DEP_4)
	v_lshlrev_b64 v[1:2], 3, v[1:2]
	v_add_co_ci_u32_e32 v51, vcc_lo, s1, v15, vcc_lo
	v_add_co_u32 v54, vcc_lo, s0, v36
	v_add_nc_u32_e32 v48, s3, v46
	v_lshlrev_b64 v[14:15], 3, v[6:7]
	v_ashrrev_i32_e32 v45, 31, v44
	v_add_co_ci_u32_e32 v55, vcc_lo, s1, v37, vcc_lo
	s_delay_alu instid0(VALU_DEP_4) | instskip(SKIP_2) | instid1(VALU_DEP_3)
	v_add_nc_u32_e32 v52, s3, v48
	v_add_co_u32 v42, vcc_lo, s0, v1
	v_add_co_ci_u32_e32 v43, vcc_lo, s1, v2, vcc_lo
	v_add_nc_u32_e32 v100, s3, v52
	v_lshlrev_b64 v[1:2], 3, v[44:45]
	v_ashrrev_i32_e32 v47, 31, v46
	v_ashrrev_i32_e32 v49, 31, v48
	;; [unrolled: 1-line block ×3, first 2 shown]
	v_add_nc_u32_e32 v102, s3, v100
	v_ashrrev_i32_e32 v101, 31, v100
	s_clause 0x1
	global_load_b64 v[80:81], v[58:59], off
	global_load_b64 v[82:83], v[56:57], off
	v_add_nc_u32_e32 v104, s3, v102
	v_ashrrev_i32_e32 v103, 31, v102
	s_delay_alu instid0(VALU_DEP_2) | instskip(SKIP_1) | instid1(VALU_DEP_3)
	v_add_nc_u32_e32 v106, s3, v104
	v_ashrrev_i32_e32 v105, 31, v104
	v_lshlrev_b64 v[44:45], 3, v[102:103]
	s_delay_alu instid0(VALU_DEP_3) | instskip(SKIP_1) | instid1(VALU_DEP_2)
	v_add_nc_u32_e32 v108, s3, v106
	v_ashrrev_i32_e32 v107, 31, v106
	v_add_nc_u32_e32 v110, s3, v108
	v_ashrrev_i32_e32 v109, 31, v108
	s_delay_alu instid0(VALU_DEP_2) | instskip(SKIP_1) | instid1(VALU_DEP_2)
	v_add_nc_u32_e32 v112, s3, v110
	v_ashrrev_i32_e32 v111, 31, v110
	v_add_nc_u32_e32 v114, s3, v112
	v_ashrrev_i32_e32 v113, 31, v112
	s_delay_alu instid0(VALU_DEP_2) | instskip(SKIP_1) | instid1(VALU_DEP_2)
	;; [unrolled: 5-line block ×17, first 2 shown]
	v_add_nc_u32_e32 v176, s3, v4
	v_ashrrev_i32_e32 v5, 31, v4
	v_add_nc_u32_e32 v40, s3, v176
	v_ashrrev_i32_e32 v177, 31, v176
	s_delay_alu instid0(VALU_DEP_2) | instskip(NEXT) | instid1(VALU_DEP_1)
	v_ashrrev_i32_e32 v41, 31, v40
	v_lshlrev_b64 v[6:7], 3, v[40:41]
	s_delay_alu instid0(VALU_DEP_1) | instskip(NEXT) | instid1(VALU_DEP_2)
	v_add_co_u32 v6, vcc_lo, s0, v6
	v_add_co_ci_u32_e32 v7, vcc_lo, s1, v7, vcc_lo
	v_add_co_u32 v36, vcc_lo, s0, v14
	v_add_co_ci_u32_e32 v37, vcc_lo, s1, v15, vcc_lo
	global_load_b64 v[132:133], v[6:7], off
	v_lshlrev_b64 v[14:15], 3, v[46:47]
	v_add_co_u32 v46, vcc_lo, s0, v1
	v_add_co_ci_u32_e32 v47, vcc_lo, s1, v2, vcc_lo
	v_lshlrev_b64 v[1:2], 3, v[48:49]
	s_delay_alu instid0(VALU_DEP_4)
	v_add_co_u32 v40, vcc_lo, s0, v14
	v_add_co_ci_u32_e32 v41, vcc_lo, s1, v15, vcc_lo
	v_lshlrev_b64 v[14:15], 3, v[52:53]
	s_waitcnt vmcnt(13)
	scratch_store_b128 off, v[30:33], off
	v_add_co_u32 v30, vcc_lo, s0, v1
	s_clause 0x3
	global_load_b64 v[84:85], v[50:51], off
	global_load_b64 v[86:87], v[54:55], off
	;; [unrolled: 1-line block ×4, first 2 shown]
	v_add_co_ci_u32_e32 v31, vcc_lo, s1, v2, vcc_lo
	v_lshlrev_b64 v[1:2], 3, v[100:101]
	v_add_co_u32 v14, vcc_lo, s0, v14
	v_add_co_ci_u32_e32 v15, vcc_lo, s1, v15, vcc_lo
	v_lshlrev_b64 v[52:53], 3, v[106:107]
	s_delay_alu instid0(VALU_DEP_4)
	v_add_co_u32 v32, vcc_lo, s0, v1
	v_add_co_ci_u32_e32 v33, vcc_lo, s1, v2, vcc_lo
	v_lshlrev_b64 v[1:2], 3, v[104:105]
	v_add_co_u32 v44, vcc_lo, s0, v44
	v_add_co_ci_u32_e32 v45, vcc_lo, s1, v45, vcc_lo
	s_waitcnt vmcnt(15)
	scratch_store_b128 off, v[60:63], off offset:16
	s_waitcnt vmcnt(13)
	scratch_store_b128 off, v[64:67], off offset:32
	v_add_co_u32 v48, vcc_lo, s0, v1
	s_clause 0x3
	global_load_b64 v[92:93], v[46:47], off
	global_load_b64 v[94:95], v[40:41], off
	;; [unrolled: 1-line block ×4, first 2 shown]
	v_add_co_ci_u32_e32 v49, vcc_lo, s1, v2, vcc_lo
	v_lshlrev_b64 v[1:2], 3, v[108:109]
	v_add_co_u32 v52, vcc_lo, s0, v52
	v_lshlrev_b64 v[62:63], 3, v[110:111]
	v_add_co_ci_u32_e32 v53, vcc_lo, s1, v53, vcc_lo
	s_delay_alu instid0(VALU_DEP_4) | instskip(SKIP_1) | instid1(VALU_DEP_4)
	v_add_co_u32 v60, vcc_lo, s0, v1
	v_add_co_ci_u32_e32 v61, vcc_lo, s1, v2, vcc_lo
	v_add_co_u32 v62, vcc_lo, s0, v62
	v_add_co_ci_u32_e32 v63, vcc_lo, s1, v63, vcc_lo
	s_waitcnt vmcnt(15)
	scratch_store_b128 off, v[68:71], off offset:48
	s_waitcnt vmcnt(13)
	scratch_store_b128 off, v[72:75], off offset:64
	s_clause 0x3
	global_load_b64 v[100:101], v[32:33], off
	global_load_b64 v[102:103], v[44:45], off
	;; [unrolled: 1-line block ×4, first 2 shown]
	s_waitcnt vmcnt(15)
	scratch_store_b128 off, v[76:79], off offset:80
	s_clause 0x1
	global_load_b64 v[108:109], v[60:61], off
	global_load_b64 v[110:111], v[62:63], off
	v_lshlrev_b64 v[1:2], 3, v[112:113]
	v_lshlrev_b64 v[66:67], 3, v[114:115]
	;; [unrolled: 1-line block ×5, first 2 shown]
	v_add_co_u32 v64, vcc_lo, s0, v1
	v_add_co_ci_u32_e32 v65, vcc_lo, s1, v2, vcc_lo
	v_lshlrev_b64 v[1:2], 3, v[116:117]
	v_add_co_u32 v66, vcc_lo, s0, v66
	v_add_co_ci_u32_e32 v67, vcc_lo, s1, v67, vcc_lo
	global_load_b64 v[112:113], v[64:65], off
	v_add_co_u32 v68, vcc_lo, s0, v1
	global_load_b64 v[114:115], v[66:67], off
	v_add_co_ci_u32_e32 v69, vcc_lo, s1, v2, vcc_lo
	v_lshlrev_b64 v[1:2], 3, v[120:121]
	v_add_co_u32 v70, vcc_lo, s0, v70
	v_add_co_ci_u32_e32 v71, vcc_lo, s1, v71, vcc_lo
	s_delay_alu instid0(VALU_DEP_3) | instskip(NEXT) | instid1(VALU_DEP_4)
	v_add_co_u32 v72, vcc_lo, s0, v1
	v_add_co_ci_u32_e32 v73, vcc_lo, s1, v2, vcc_lo
	v_lshlrev_b64 v[1:2], 3, v[124:125]
	v_add_co_u32 v74, vcc_lo, s0, v74
	v_add_co_ci_u32_e32 v75, vcc_lo, s1, v75, vcc_lo
	s_delay_alu instid0(VALU_DEP_3) | instskip(NEXT) | instid1(VALU_DEP_4)
	v_add_co_u32 v76, vcc_lo, s0, v1
	v_add_co_ci_u32_e32 v77, vcc_lo, s1, v2, vcc_lo
	v_lshlrev_b64 v[1:2], 3, v[128:129]
	v_add_co_u32 v78, vcc_lo, s0, v78
	v_add_co_ci_u32_e32 v79, vcc_lo, s1, v79, vcc_lo
	s_waitcnt vmcnt(17)
	scratch_store_b128 off, v[80:83], off offset:96
	v_lshlrev_b64 v[82:83], 3, v[130:131]
	v_add_co_u32 v80, vcc_lo, s0, v1
	v_add_co_ci_u32_e32 v81, vcc_lo, s1, v2, vcc_lo
	v_lshlrev_b64 v[1:2], 3, v[134:135]
	s_delay_alu instid0(VALU_DEP_4)
	v_add_co_u32 v82, vcc_lo, s0, v82
	v_add_co_ci_u32_e32 v83, vcc_lo, s1, v83, vcc_lo
	s_waitcnt vmcnt(14)
	scratch_store_b128 off, v[84:87], off offset:112
	s_waitcnt vmcnt(12)
	scratch_store_b128 off, v[88:91], off offset:128
	s_clause 0x3
	global_load_b64 v[116:117], v[68:69], off
	global_load_b64 v[118:119], v[70:71], off
	;; [unrolled: 1-line block ×4, first 2 shown]
	v_lshlrev_b64 v[86:87], 3, v[136:137]
	v_add_co_u32 v84, vcc_lo, s0, v1
	v_add_co_ci_u32_e32 v85, vcc_lo, s1, v2, vcc_lo
	v_lshlrev_b64 v[1:2], 3, v[138:139]
	s_delay_alu instid0(VALU_DEP_4) | instskip(SKIP_2) | instid1(VALU_DEP_4)
	v_add_co_u32 v86, vcc_lo, s0, v86
	v_add_co_ci_u32_e32 v87, vcc_lo, s1, v87, vcc_lo
	v_lshlrev_b64 v[90:91], 3, v[140:141]
	v_add_co_u32 v88, vcc_lo, s0, v1
	s_waitcnt vmcnt(14)
	scratch_store_b128 off, v[92:95], off offset:144
	s_waitcnt vmcnt(12)
	scratch_store_b128 off, v[96:99], off offset:160
	s_clause 0x3
	global_load_b64 v[124:125], v[76:77], off
	global_load_b64 v[126:127], v[78:79], off
	;; [unrolled: 1-line block ×4, first 2 shown]
	v_add_co_ci_u32_e32 v89, vcc_lo, s1, v2, vcc_lo
	v_lshlrev_b64 v[1:2], 3, v[142:143]
	v_add_co_u32 v90, vcc_lo, s0, v90
	v_lshlrev_b64 v[94:95], 3, v[144:145]
	v_add_co_ci_u32_e32 v91, vcc_lo, s1, v91, vcc_lo
	s_delay_alu instid0(VALU_DEP_4) | instskip(SKIP_1) | instid1(VALU_DEP_4)
	v_add_co_u32 v92, vcc_lo, s0, v1
	v_add_co_ci_u32_e32 v93, vcc_lo, s1, v2, vcc_lo
	v_add_co_u32 v94, vcc_lo, s0, v94
	v_add_co_ci_u32_e32 v95, vcc_lo, s1, v95, vcc_lo
	s_waitcnt vmcnt(14)
	scratch_store_b128 off, v[100:103], off offset:176
	s_waitcnt vmcnt(12)
	scratch_store_b128 off, v[104:107], off offset:192
	s_clause 0x3
	global_load_b64 v[134:135], v[84:85], off
	global_load_b64 v[136:137], v[86:87], off
	;; [unrolled: 1-line block ×4, first 2 shown]
	s_waitcnt vmcnt(14)
	scratch_store_b128 off, v[108:111], off offset:208
	s_clause 0x1
	global_load_b64 v[142:143], v[92:93], off
	global_load_b64 v[144:145], v[94:95], off
	v_lshlrev_b64 v[1:2], 3, v[146:147]
	v_lshlrev_b64 v[100:101], 3, v[150:151]
	;; [unrolled: 1-line block ×4, first 2 shown]
	s_delay_alu instid0(VALU_DEP_4)
	v_add_co_u32 v96, vcc_lo, s0, v1
	v_add_co_ci_u32_e32 v97, vcc_lo, s1, v2, vcc_lo
	v_lshlrev_b64 v[1:2], 3, v[148:149]
	global_load_b64 v[146:147], v[96:97], off
	v_add_co_u32 v98, vcc_lo, s0, v1
	v_add_co_ci_u32_e32 v99, vcc_lo, s1, v2, vcc_lo
	v_lshlrev_b64 v[1:2], 3, v[152:153]
	v_add_co_u32 v100, vcc_lo, s0, v100
	v_add_co_ci_u32_e32 v101, vcc_lo, s1, v101, vcc_lo
	s_waitcnt vmcnt(15)
	scratch_store_b128 off, v[112:115], off offset:224
	v_add_co_u32 v102, vcc_lo, s0, v1
	v_add_co_ci_u32_e32 v103, vcc_lo, s1, v2, vcc_lo
	v_lshlrev_b64 v[1:2], 3, v[156:157]
	v_add_co_u32 v104, vcc_lo, s0, v104
	v_add_co_ci_u32_e32 v105, vcc_lo, s1, v105, vcc_lo
	v_lshlrev_b64 v[112:113], 3, v[162:163]
	s_delay_alu instid0(VALU_DEP_4)
	v_add_co_u32 v106, vcc_lo, s0, v1
	v_add_co_ci_u32_e32 v107, vcc_lo, s1, v2, vcc_lo
	v_lshlrev_b64 v[1:2], 3, v[160:161]
	v_add_co_u32 v108, vcc_lo, s0, v108
	v_add_co_ci_u32_e32 v109, vcc_lo, s1, v109, vcc_lo
	s_waitcnt vmcnt(13)
	scratch_store_b128 off, v[116:119], off offset:240
	s_waitcnt vmcnt(11)
	scratch_store_b128 off, v[120:123], off offset:256
	v_add_co_u32 v110, vcc_lo, s0, v1
	v_add_co_ci_u32_e32 v111, vcc_lo, s1, v2, vcc_lo
	v_lshlrev_b64 v[1:2], 3, v[164:165]
	v_add_co_u32 v112, vcc_lo, s0, v112
	v_add_co_ci_u32_e32 v113, vcc_lo, s1, v113, vcc_lo
	v_lshlrev_b64 v[116:117], 3, v[166:167]
	s_delay_alu instid0(VALU_DEP_4) | instskip(SKIP_2) | instid1(VALU_DEP_4)
	v_add_co_u32 v114, vcc_lo, s0, v1
	v_add_co_ci_u32_e32 v115, vcc_lo, s1, v2, vcc_lo
	v_lshlrev_b64 v[1:2], 3, v[168:169]
	v_add_co_u32 v116, vcc_lo, s0, v116
	v_add_co_ci_u32_e32 v117, vcc_lo, s1, v117, vcc_lo
	v_lshlrev_b64 v[120:121], 3, v[170:171]
	s_delay_alu instid0(VALU_DEP_4) | instskip(SKIP_2) | instid1(VALU_DEP_4)
	v_add_co_u32 v118, vcc_lo, s0, v1
	v_add_co_ci_u32_e32 v119, vcc_lo, s1, v2, vcc_lo
	v_lshlrev_b64 v[1:2], 3, v[172:173]
	v_add_co_u32 v120, vcc_lo, s0, v120
	s_clause 0x3
	global_load_b64 v[148:149], v[98:99], off
	global_load_b64 v[150:151], v[100:101], off
	global_load_b64 v[152:153], v[102:103], off
	global_load_b64 v[154:155], v[104:105], off
	s_waitcnt vmcnt(13)
	scratch_store_b128 off, v[124:127], off offset:272
	s_waitcnt vmcnt(11)
	scratch_store_b128 off, v[128:131], off offset:288
	v_add_co_ci_u32_e32 v121, vcc_lo, s1, v121, vcc_lo
	v_lshlrev_b64 v[124:125], 3, v[174:175]
	v_add_co_u32 v122, vcc_lo, s0, v1
	v_add_co_ci_u32_e32 v123, vcc_lo, s1, v2, vcc_lo
	v_lshlrev_b64 v[1:2], 3, v[4:5]
	s_delay_alu instid0(VALU_DEP_4) | instskip(SKIP_2) | instid1(VALU_DEP_4)
	v_add_co_u32 v124, vcc_lo, s0, v124
	v_lshlrev_b64 v[4:5], 3, v[176:177]
	v_add_co_ci_u32_e32 v125, vcc_lo, s1, v125, vcc_lo
	v_add_co_u32 v126, vcc_lo, s0, v1
	v_add_co_ci_u32_e32 v127, vcc_lo, s1, v2, vcc_lo
	s_delay_alu instid0(VALU_DEP_4)
	v_add_co_u32 v128, vcc_lo, s0, v4
	s_clause 0x3
	global_load_b64 v[156:157], v[106:107], off
	global_load_b64 v[158:159], v[108:109], off
	;; [unrolled: 1-line block ×4, first 2 shown]
	s_waitcnt vmcnt(13)
	scratch_store_b128 off, v[134:137], off offset:304
	s_waitcnt vmcnt(11)
	scratch_store_b128 off, v[138:141], off offset:320
	v_add_co_ci_u32_e32 v129, vcc_lo, s1, v5, vcc_lo
	s_clause 0x3
	global_load_b64 v[164:165], v[114:115], off
	global_load_b64 v[134:135], v[116:117], off
	;; [unrolled: 1-line block ×4, first 2 shown]
	s_waitcnt vmcnt(13)
	scratch_store_b128 off, v[142:145], off offset:336
	s_clause 0x3
	global_load_b64 v[140:141], v[122:123], off
	global_load_b64 v[142:143], v[124:125], off
	;; [unrolled: 1-line block ×4, first 2 shown]
	s_mov_b32 s1, -1
	s_waitcnt vmcnt(15)
	scratch_store_b128 off, v[146:149], off offset:352
	s_waitcnt vmcnt(13)
	scratch_store_b128 off, v[150:153], off offset:368
	;; [unrolled: 2-line block ×9, first 2 shown]
	s_cbranch_scc1 .LBB61_256
; %bb.4:
	v_cmp_eq_u32_e64 s0, 0, v0
	s_delay_alu instid0(VALU_DEP_1)
	s_and_saveexec_b32 s1, s0
	s_cbranch_execz .LBB61_6
; %bb.5:
	v_mov_b32_e32 v1, 0
	ds_store_b32 v1, v1 offset:992
.LBB61_6:
	s_or_b32 exec_lo, exec_lo, s1
	s_waitcnt lgkmcnt(0)
	s_waitcnt_vscnt null, 0x0
	s_barrier
	buffer_gl0_inv
	scratch_load_b64 v[1:2], v3, off
	s_mov_b32 s2, exec_lo
	s_waitcnt vmcnt(0)
	v_cmpx_eq_f64_e32 0, v[1:2]
	s_cbranch_execz .LBB61_10
; %bb.7:
	v_mov_b32_e32 v1, 0
	s_mov_b32 s3, 0
	ds_load_b32 v2, v1 offset:992
	s_waitcnt lgkmcnt(0)
	v_readfirstlane_b32 s1, v2
	v_add_nc_u32_e32 v2, 1, v0
	s_delay_alu instid0(VALU_DEP_2) | instskip(NEXT) | instid1(VALU_DEP_1)
	s_cmp_eq_u32 s1, 0
	v_cmp_gt_i32_e32 vcc_lo, s1, v2
	s_cselect_b32 s4, -1, 0
	s_delay_alu instid0(SALU_CYCLE_1) | instskip(NEXT) | instid1(SALU_CYCLE_1)
	s_or_b32 s4, s4, vcc_lo
	s_and_b32 exec_lo, exec_lo, s4
	s_cbranch_execz .LBB61_10
; %bb.8:
	v_mov_b32_e32 v4, s1
.LBB61_9:                               ; =>This Inner Loop Header: Depth=1
	ds_cmpstore_rtn_b32 v4, v1, v2, v4 offset:992
	s_waitcnt lgkmcnt(0)
	v_cmp_ne_u32_e32 vcc_lo, 0, v4
	v_cmp_le_i32_e64 s1, v4, v2
	s_delay_alu instid0(VALU_DEP_1) | instskip(NEXT) | instid1(SALU_CYCLE_1)
	s_and_b32 s1, vcc_lo, s1
	s_and_b32 s1, exec_lo, s1
	s_delay_alu instid0(SALU_CYCLE_1) | instskip(NEXT) | instid1(SALU_CYCLE_1)
	s_or_b32 s3, s1, s3
	s_and_not1_b32 exec_lo, exec_lo, s3
	s_cbranch_execnz .LBB61_9
.LBB61_10:
	s_or_b32 exec_lo, exec_lo, s2
	v_mov_b32_e32 v1, 0
	s_barrier
	buffer_gl0_inv
	ds_load_b32 v2, v1 offset:992
	s_and_saveexec_b32 s1, s0
	s_cbranch_execz .LBB61_12
; %bb.11:
	s_lshl_b64 s[2:3], s[14:15], 2
	s_delay_alu instid0(SALU_CYCLE_1)
	s_add_u32 s2, s6, s2
	s_addc_u32 s3, s7, s3
	s_waitcnt lgkmcnt(0)
	global_store_b32 v1, v2, s[2:3]
.LBB61_12:
	s_or_b32 exec_lo, exec_lo, s1
	s_waitcnt lgkmcnt(0)
	v_cmp_ne_u32_e32 vcc_lo, 0, v2
	s_mov_b32 s1, 0
	s_cbranch_vccnz .LBB61_256
; %bb.13:
	v_add_nc_u32_e32 v4, 0, v3
	v_add_nc_u32_e32 v5, 0x1f0, v3
	scratch_load_b64 v[1:2], v4, off
	s_waitcnt vmcnt(0)
	v_div_scale_f64 v[130:131], null, v[1:2], v[1:2], 1.0
	v_div_scale_f64 v[136:137], vcc_lo, 1.0, v[1:2], 1.0
	s_delay_alu instid0(VALU_DEP_2) | instskip(SKIP_2) | instid1(VALU_DEP_1)
	v_rcp_f64_e32 v[132:133], v[130:131]
	s_waitcnt_depctr 0xfff
	v_fma_f64 v[134:135], -v[130:131], v[132:133], 1.0
	v_fma_f64 v[132:133], v[132:133], v[134:135], v[132:133]
	s_delay_alu instid0(VALU_DEP_1) | instskip(NEXT) | instid1(VALU_DEP_1)
	v_fma_f64 v[134:135], -v[130:131], v[132:133], 1.0
	v_fma_f64 v[132:133], v[132:133], v[134:135], v[132:133]
	s_delay_alu instid0(VALU_DEP_1) | instskip(NEXT) | instid1(VALU_DEP_1)
	v_mul_f64 v[134:135], v[136:137], v[132:133]
	v_fma_f64 v[130:131], -v[130:131], v[134:135], v[136:137]
	s_delay_alu instid0(VALU_DEP_1) | instskip(NEXT) | instid1(VALU_DEP_1)
	v_div_fmas_f64 v[130:131], v[130:131], v[132:133], v[134:135]
	v_div_fixup_f64 v[1:2], v[130:131], v[1:2], 1.0
	scratch_store_b64 v4, v[1:2], off
	scratch_load_b64 v[130:131], off, off offset:8
	v_xor_b32_e32 v2, 0x80000000, v2
	s_waitcnt vmcnt(0)
	ds_store_2addr_b64 v3, v[1:2], v[130:131] offset1:62
	s_waitcnt lgkmcnt(0)
	s_waitcnt_vscnt null, 0x0
	s_barrier
	buffer_gl0_inv
	s_and_saveexec_b32 s1, s0
	s_cbranch_execz .LBB61_15
; %bb.14:
	scratch_load_b64 v[1:2], v4, off
	ds_load_b64 v[130:131], v5
	s_waitcnt vmcnt(0) lgkmcnt(0)
	v_fma_f64 v[1:2], v[1:2], v[130:131], 0
	v_mov_b32_e32 v130, 0
	ds_load_b64 v[130:131], v130 offset:8
	s_waitcnt lgkmcnt(0)
	v_mul_f64 v[1:2], v[1:2], v[130:131]
	scratch_store_b64 off, v[1:2], off offset:8
.LBB61_15:
	s_or_b32 exec_lo, exec_lo, s1
	s_waitcnt_vscnt null, 0x0
	s_barrier
	buffer_gl0_inv
	scratch_load_b64 v[1:2], off, off offset:16
	s_mov_b32 s1, exec_lo
	s_waitcnt vmcnt(0)
	ds_store_b64 v5, v[1:2]
	s_waitcnt lgkmcnt(0)
	s_barrier
	buffer_gl0_inv
	v_cmpx_gt_u32_e32 2, v0
	s_cbranch_execz .LBB61_19
; %bb.16:
	scratch_load_b64 v[1:2], v4, off
	ds_load_b64 v[130:131], v5
	s_waitcnt vmcnt(0) lgkmcnt(0)
	v_fma_f64 v[1:2], v[1:2], v[130:131], 0
	s_and_saveexec_b32 s2, s0
	s_cbranch_execz .LBB61_18
; %bb.17:
	scratch_load_b64 v[130:131], off, off offset:8
	v_mov_b32_e32 v132, 0
	ds_load_b64 v[132:133], v132 offset:504
	s_waitcnt vmcnt(0) lgkmcnt(0)
	v_fma_f64 v[1:2], v[130:131], v[132:133], v[1:2]
.LBB61_18:
	s_or_b32 exec_lo, exec_lo, s2
	v_mov_b32_e32 v130, 0
	ds_load_b64 v[130:131], v130 offset:16
	s_waitcnt lgkmcnt(0)
	v_mul_f64 v[1:2], v[1:2], v[130:131]
	scratch_store_b64 off, v[1:2], off offset:16
.LBB61_19:
	s_or_b32 exec_lo, exec_lo, s1
	s_waitcnt_vscnt null, 0x0
	s_barrier
	buffer_gl0_inv
	scratch_load_b64 v[1:2], off, off offset:24
	v_add_nc_u32_e32 v130, -1, v0
	s_mov_b32 s0, exec_lo
	s_waitcnt vmcnt(0)
	ds_store_b64 v5, v[1:2]
	s_waitcnt lgkmcnt(0)
	s_barrier
	buffer_gl0_inv
	v_cmpx_gt_u32_e32 3, v0
	s_cbranch_execz .LBB61_23
; %bb.20:
	v_dual_mov_b32 v1, 0 :: v_dual_add_nc_u32 v132, 0x1f0, v3
	v_dual_mov_b32 v2, 0 :: v_dual_add_nc_u32 v131, -1, v0
	v_add_nc_u32_e32 v133, 0, v3
	s_mov_b32 s1, 0
.LBB61_21:                              ; =>This Inner Loop Header: Depth=1
	scratch_load_b64 v[134:135], v133, off
	ds_load_b64 v[136:137], v132
	v_add_nc_u32_e32 v131, 1, v131
	v_add_nc_u32_e32 v132, 8, v132
	v_add_nc_u32_e32 v133, 8, v133
	s_delay_alu instid0(VALU_DEP_3)
	v_cmp_lt_u32_e32 vcc_lo, 1, v131
	s_or_b32 s1, vcc_lo, s1
	s_waitcnt vmcnt(0) lgkmcnt(0)
	v_fma_f64 v[1:2], v[134:135], v[136:137], v[1:2]
	s_and_not1_b32 exec_lo, exec_lo, s1
	s_cbranch_execnz .LBB61_21
; %bb.22:
	s_or_b32 exec_lo, exec_lo, s1
	v_mov_b32_e32 v131, 0
	ds_load_b64 v[131:132], v131 offset:24
	s_waitcnt lgkmcnt(0)
	v_mul_f64 v[1:2], v[1:2], v[131:132]
	scratch_store_b64 off, v[1:2], off offset:24
.LBB61_23:
	s_or_b32 exec_lo, exec_lo, s0
	s_waitcnt_vscnt null, 0x0
	s_barrier
	buffer_gl0_inv
	scratch_load_b64 v[1:2], off, off offset:32
	s_mov_b32 s0, exec_lo
	s_waitcnt vmcnt(0)
	ds_store_b64 v5, v[1:2]
	s_waitcnt lgkmcnt(0)
	s_barrier
	buffer_gl0_inv
	v_cmpx_gt_u32_e32 4, v0
	s_cbranch_execz .LBB61_27
; %bb.24:
	v_dual_mov_b32 v1, 0 :: v_dual_add_nc_u32 v132, 0x1f0, v3
	v_dual_mov_b32 v2, 0 :: v_dual_add_nc_u32 v131, -1, v0
	v_add_nc_u32_e32 v133, 0, v3
	s_mov_b32 s1, 0
.LBB61_25:                              ; =>This Inner Loop Header: Depth=1
	scratch_load_b64 v[134:135], v133, off
	ds_load_b64 v[136:137], v132
	v_add_nc_u32_e32 v131, 1, v131
	v_add_nc_u32_e32 v132, 8, v132
	v_add_nc_u32_e32 v133, 8, v133
	s_delay_alu instid0(VALU_DEP_3)
	v_cmp_lt_u32_e32 vcc_lo, 2, v131
	s_or_b32 s1, vcc_lo, s1
	s_waitcnt vmcnt(0) lgkmcnt(0)
	v_fma_f64 v[1:2], v[134:135], v[136:137], v[1:2]
	s_and_not1_b32 exec_lo, exec_lo, s1
	s_cbranch_execnz .LBB61_25
; %bb.26:
	s_or_b32 exec_lo, exec_lo, s1
	v_mov_b32_e32 v131, 0
	ds_load_b64 v[131:132], v131 offset:32
	s_waitcnt lgkmcnt(0)
	v_mul_f64 v[1:2], v[1:2], v[131:132]
	scratch_store_b64 off, v[1:2], off offset:32
.LBB61_27:
	s_or_b32 exec_lo, exec_lo, s0
	s_waitcnt_vscnt null, 0x0
	s_barrier
	buffer_gl0_inv
	scratch_load_b64 v[1:2], off, off offset:40
	;; [unrolled: 39-line block ×20, first 2 shown]
	s_mov_b32 s0, exec_lo
	s_waitcnt vmcnt(0)
	ds_store_b64 v5, v[1:2]
	s_waitcnt lgkmcnt(0)
	s_barrier
	buffer_gl0_inv
	v_cmpx_gt_u32_e32 23, v0
	s_cbranch_execz .LBB61_103
; %bb.100:
	v_dual_mov_b32 v1, 0 :: v_dual_add_nc_u32 v132, 0x1f0, v3
	v_dual_mov_b32 v2, 0 :: v_dual_add_nc_u32 v131, -1, v0
	v_add_nc_u32_e32 v133, 0, v3
	s_mov_b32 s1, 0
.LBB61_101:                             ; =>This Inner Loop Header: Depth=1
	scratch_load_b64 v[134:135], v133, off
	ds_load_b64 v[136:137], v132
	v_add_nc_u32_e32 v131, 1, v131
	v_add_nc_u32_e32 v132, 8, v132
	v_add_nc_u32_e32 v133, 8, v133
	s_delay_alu instid0(VALU_DEP_3)
	v_cmp_lt_u32_e32 vcc_lo, 21, v131
	s_or_b32 s1, vcc_lo, s1
	s_waitcnt vmcnt(0) lgkmcnt(0)
	v_fma_f64 v[1:2], v[134:135], v[136:137], v[1:2]
	s_and_not1_b32 exec_lo, exec_lo, s1
	s_cbranch_execnz .LBB61_101
; %bb.102:
	s_or_b32 exec_lo, exec_lo, s1
	v_mov_b32_e32 v131, 0
	ds_load_b64 v[131:132], v131 offset:184
	s_waitcnt lgkmcnt(0)
	v_mul_f64 v[1:2], v[1:2], v[131:132]
	scratch_store_b64 off, v[1:2], off offset:184
.LBB61_103:
	s_or_b32 exec_lo, exec_lo, s0
	s_waitcnt_vscnt null, 0x0
	s_barrier
	buffer_gl0_inv
	scratch_load_b64 v[1:2], off, off offset:192
	s_mov_b32 s0, exec_lo
	s_waitcnt vmcnt(0)
	ds_store_b64 v5, v[1:2]
	s_waitcnt lgkmcnt(0)
	s_barrier
	buffer_gl0_inv
	v_cmpx_gt_u32_e32 24, v0
	s_cbranch_execz .LBB61_107
; %bb.104:
	v_dual_mov_b32 v1, 0 :: v_dual_add_nc_u32 v132, 0x1f0, v3
	v_dual_mov_b32 v2, 0 :: v_dual_add_nc_u32 v131, -1, v0
	v_add_nc_u32_e32 v133, 0, v3
	s_mov_b32 s1, 0
.LBB61_105:                             ; =>This Inner Loop Header: Depth=1
	scratch_load_b64 v[134:135], v133, off
	ds_load_b64 v[136:137], v132
	v_add_nc_u32_e32 v131, 1, v131
	v_add_nc_u32_e32 v132, 8, v132
	v_add_nc_u32_e32 v133, 8, v133
	s_delay_alu instid0(VALU_DEP_3)
	v_cmp_lt_u32_e32 vcc_lo, 22, v131
	s_or_b32 s1, vcc_lo, s1
	s_waitcnt vmcnt(0) lgkmcnt(0)
	v_fma_f64 v[1:2], v[134:135], v[136:137], v[1:2]
	s_and_not1_b32 exec_lo, exec_lo, s1
	s_cbranch_execnz .LBB61_105
; %bb.106:
	s_or_b32 exec_lo, exec_lo, s1
	v_mov_b32_e32 v131, 0
	ds_load_b64 v[131:132], v131 offset:192
	s_waitcnt lgkmcnt(0)
	v_mul_f64 v[1:2], v[1:2], v[131:132]
	scratch_store_b64 off, v[1:2], off offset:192
.LBB61_107:
	s_or_b32 exec_lo, exec_lo, s0
	s_waitcnt_vscnt null, 0x0
	s_barrier
	buffer_gl0_inv
	scratch_load_b64 v[1:2], off, off offset:200
	;; [unrolled: 39-line block ×38, first 2 shown]
	s_mov_b32 s0, exec_lo
	s_waitcnt vmcnt(0)
	ds_store_b64 v5, v[1:2]
	s_waitcnt lgkmcnt(0)
	s_barrier
	buffer_gl0_inv
	v_cmpx_ne_u32_e32 61, v0
	s_cbranch_execz .LBB61_255
; %bb.252:
	v_mov_b32_e32 v1, 0
	v_mov_b32_e32 v2, 0
	s_mov_b32 s1, 0
.LBB61_253:                             ; =>This Inner Loop Header: Depth=1
	scratch_load_b64 v[131:132], v4, off
	ds_load_b64 v[133:134], v5
	v_add_nc_u32_e32 v130, 1, v130
	v_add_nc_u32_e32 v5, 8, v5
	;; [unrolled: 1-line block ×3, first 2 shown]
	s_delay_alu instid0(VALU_DEP_3)
	v_cmp_lt_u32_e32 vcc_lo, 59, v130
	s_or_b32 s1, vcc_lo, s1
	s_waitcnt vmcnt(0) lgkmcnt(0)
	v_fma_f64 v[1:2], v[131:132], v[133:134], v[1:2]
	s_and_not1_b32 exec_lo, exec_lo, s1
	s_cbranch_execnz .LBB61_253
; %bb.254:
	s_or_b32 exec_lo, exec_lo, s1
	v_mov_b32_e32 v3, 0
	ds_load_b64 v[3:4], v3 offset:488
	s_waitcnt lgkmcnt(0)
	v_mul_f64 v[1:2], v[1:2], v[3:4]
	scratch_store_b64 off, v[1:2], off offset:488
.LBB61_255:
	s_or_b32 exec_lo, exec_lo, s0
	s_mov_b32 s1, -1
	s_waitcnt_vscnt null, 0x0
	s_barrier
	buffer_gl0_inv
.LBB61_256:
	s_and_b32 vcc_lo, exec_lo, s1
	s_cbranch_vccz .LBB61_258
; %bb.257:
	s_lshl_b64 s[0:1], s[14:15], 2
	v_mov_b32_e32 v1, 0
	s_add_u32 s0, s6, s0
	s_addc_u32 s1, s7, s1
	global_load_b32 v1, v1, s[0:1]
	s_waitcnt vmcnt(0)
	v_cmp_ne_u32_e32 vcc_lo, 0, v1
	s_cbranch_vccz .LBB61_259
.LBB61_258:
	s_endpgm
.LBB61_259:
	v_lshl_add_u32 v5, v0, 3, 0x1f0
	s_mov_b32 s0, exec_lo
	v_cmpx_eq_u32_e32 61, v0
	s_cbranch_execz .LBB61_261
; %bb.260:
	scratch_load_b64 v[1:2], off, off offset:480
	v_mov_b32_e32 v3, 0
	s_delay_alu instid0(VALU_DEP_1)
	v_mov_b32_e32 v4, v3
	scratch_store_b64 off, v[3:4], off offset:480
	s_waitcnt vmcnt(0)
	ds_store_b64 v5, v[1:2]
.LBB61_261:
	s_or_b32 exec_lo, exec_lo, s0
	s_waitcnt lgkmcnt(0)
	s_waitcnt_vscnt null, 0x0
	s_barrier
	buffer_gl0_inv
	scratch_load_b128 v[130:133], off, off offset:480
	v_mov_b32_e32 v1, 0
	s_mov_b32 s0, exec_lo
	ds_load_b64 v[2:3], v1 offset:984
	s_waitcnt vmcnt(0) lgkmcnt(0)
	v_fma_f64 v[2:3], v[132:133], v[2:3], 0
	s_delay_alu instid0(VALU_DEP_1)
	v_add_f64 v[2:3], v[130:131], -v[2:3]
	scratch_store_b64 off, v[2:3], off offset:480
	v_cmpx_lt_u32_e32 59, v0
	s_cbranch_execz .LBB61_263
; %bb.262:
	scratch_load_b64 v[3:4], off, off offset:472
	v_mov_b32_e32 v2, v1
	scratch_store_b64 off, v[1:2], off offset:472
	s_waitcnt vmcnt(0)
	ds_store_b64 v5, v[3:4]
.LBB61_263:
	s_or_b32 exec_lo, exec_lo, s0
	s_waitcnt lgkmcnt(0)
	s_waitcnt_vscnt null, 0x0
	s_barrier
	buffer_gl0_inv
	s_clause 0x1
	scratch_load_b128 v[130:133], off, off offset:472
	scratch_load_b64 v[134:135], off, off offset:488
	ds_load_b128 v[1:4], v1 offset:976
	s_mov_b32 s0, exec_lo
	s_waitcnt vmcnt(1) lgkmcnt(0)
	v_fma_f64 v[1:2], v[132:133], v[1:2], 0
	s_waitcnt vmcnt(0)
	s_delay_alu instid0(VALU_DEP_1) | instskip(NEXT) | instid1(VALU_DEP_1)
	v_fma_f64 v[1:2], v[134:135], v[3:4], v[1:2]
	v_add_f64 v[1:2], v[130:131], -v[1:2]
	scratch_store_b64 off, v[1:2], off offset:472
	v_cmpx_lt_u32_e32 58, v0
	s_cbranch_execz .LBB61_265
; %bb.264:
	scratch_load_b64 v[1:2], off, off offset:464
	v_mov_b32_e32 v3, 0
	s_delay_alu instid0(VALU_DEP_1)
	v_mov_b32_e32 v4, v3
	scratch_store_b64 off, v[3:4], off offset:464
	s_waitcnt vmcnt(0)
	ds_store_b64 v5, v[1:2]
.LBB61_265:
	s_or_b32 exec_lo, exec_lo, s0
	s_waitcnt lgkmcnt(0)
	s_waitcnt_vscnt null, 0x0
	s_barrier
	buffer_gl0_inv
	s_clause 0x1
	scratch_load_b128 v[130:133], off, off offset:464
	scratch_load_b128 v[134:137], off, off offset:480
	v_mov_b32_e32 v1, 0
	ds_load_2addr_b64 v[138:141], v1 offset0:121 offset1:122
	ds_load_b64 v[2:3], v1 offset:984
	s_mov_b32 s0, exec_lo
	s_waitcnt vmcnt(1) lgkmcnt(1)
	v_fma_f64 v[132:133], v[132:133], v[138:139], 0
	s_waitcnt vmcnt(0)
	s_delay_alu instid0(VALU_DEP_1) | instskip(SKIP_1) | instid1(VALU_DEP_1)
	v_fma_f64 v[132:133], v[134:135], v[140:141], v[132:133]
	s_waitcnt lgkmcnt(0)
	v_fma_f64 v[2:3], v[136:137], v[2:3], v[132:133]
	s_delay_alu instid0(VALU_DEP_1)
	v_add_f64 v[2:3], v[130:131], -v[2:3]
	scratch_store_b64 off, v[2:3], off offset:464
	v_cmpx_lt_u32_e32 57, v0
	s_cbranch_execz .LBB61_267
; %bb.266:
	scratch_load_b64 v[3:4], off, off offset:456
	v_mov_b32_e32 v2, v1
	scratch_store_b64 off, v[1:2], off offset:456
	s_waitcnt vmcnt(0)
	ds_store_b64 v5, v[3:4]
.LBB61_267:
	s_or_b32 exec_lo, exec_lo, s0
	s_waitcnt lgkmcnt(0)
	s_waitcnt_vscnt null, 0x0
	s_barrier
	buffer_gl0_inv
	s_clause 0x2
	scratch_load_b128 v[130:133], off, off offset:456
	scratch_load_b128 v[134:137], off, off offset:472
	scratch_load_b64 v[142:143], off, off offset:488
	ds_load_b128 v[138:141], v1 offset:960
	s_mov_b32 s0, exec_lo
	s_waitcnt vmcnt(2) lgkmcnt(0)
	v_fma_f64 v[2:3], v[132:133], v[138:139], 0
	s_waitcnt vmcnt(1)
	s_delay_alu instid0(VALU_DEP_1) | instskip(SKIP_4) | instid1(VALU_DEP_1)
	v_fma_f64 v[132:133], v[134:135], v[140:141], v[2:3]
	ds_load_b128 v[1:4], v1 offset:976
	s_waitcnt lgkmcnt(0)
	v_fma_f64 v[1:2], v[136:137], v[1:2], v[132:133]
	s_waitcnt vmcnt(0)
	v_fma_f64 v[1:2], v[142:143], v[3:4], v[1:2]
	s_delay_alu instid0(VALU_DEP_1)
	v_add_f64 v[1:2], v[130:131], -v[1:2]
	scratch_store_b64 off, v[1:2], off offset:456
	v_cmpx_lt_u32_e32 56, v0
	s_cbranch_execz .LBB61_269
; %bb.268:
	scratch_load_b64 v[1:2], off, off offset:448
	v_mov_b32_e32 v3, 0
	s_delay_alu instid0(VALU_DEP_1)
	v_mov_b32_e32 v4, v3
	scratch_store_b64 off, v[3:4], off offset:448
	s_waitcnt vmcnt(0)
	ds_store_b64 v5, v[1:2]
.LBB61_269:
	s_or_b32 exec_lo, exec_lo, s0
	s_waitcnt lgkmcnt(0)
	s_waitcnt_vscnt null, 0x0
	s_barrier
	buffer_gl0_inv
	s_clause 0x2
	scratch_load_b128 v[130:133], off, off offset:448
	scratch_load_b128 v[134:137], off, off offset:464
	;; [unrolled: 1-line block ×3, first 2 shown]
	v_mov_b32_e32 v1, 0
	s_mov_b32 s0, exec_lo
	ds_load_2addr_b64 v[142:145], v1 offset0:119 offset1:120
	s_waitcnt vmcnt(2) lgkmcnt(0)
	v_fma_f64 v[2:3], v[132:133], v[142:143], 0
	s_waitcnt vmcnt(1)
	s_delay_alu instid0(VALU_DEP_1)
	v_fma_f64 v[2:3], v[134:135], v[144:145], v[2:3]
	ds_load_2addr_b64 v[132:135], v1 offset0:121 offset1:122
	s_waitcnt lgkmcnt(0)
	v_fma_f64 v[2:3], v[136:137], v[132:133], v[2:3]
	ds_load_b64 v[132:133], v1 offset:984
	s_waitcnt vmcnt(0)
	v_fma_f64 v[2:3], v[138:139], v[134:135], v[2:3]
	s_waitcnt lgkmcnt(0)
	s_delay_alu instid0(VALU_DEP_1) | instskip(NEXT) | instid1(VALU_DEP_1)
	v_fma_f64 v[2:3], v[140:141], v[132:133], v[2:3]
	v_add_f64 v[2:3], v[130:131], -v[2:3]
	scratch_store_b64 off, v[2:3], off offset:448
	v_cmpx_lt_u32_e32 55, v0
	s_cbranch_execz .LBB61_271
; %bb.270:
	scratch_load_b64 v[3:4], off, off offset:440
	v_mov_b32_e32 v2, v1
	scratch_store_b64 off, v[1:2], off offset:440
	s_waitcnt vmcnt(0)
	ds_store_b64 v5, v[3:4]
.LBB61_271:
	s_or_b32 exec_lo, exec_lo, s0
	s_waitcnt lgkmcnt(0)
	s_waitcnt_vscnt null, 0x0
	s_barrier
	buffer_gl0_inv
	s_clause 0x3
	scratch_load_b128 v[130:133], off, off offset:440
	scratch_load_b128 v[134:137], off, off offset:456
	;; [unrolled: 1-line block ×3, first 2 shown]
	scratch_load_b64 v[150:151], off, off offset:488
	ds_load_b128 v[142:145], v1 offset:944
	ds_load_b128 v[146:149], v1 offset:960
	s_mov_b32 s0, exec_lo
	s_waitcnt vmcnt(3) lgkmcnt(1)
	v_fma_f64 v[2:3], v[132:133], v[142:143], 0
	s_waitcnt vmcnt(2)
	s_delay_alu instid0(VALU_DEP_1) | instskip(SKIP_1) | instid1(VALU_DEP_1)
	v_fma_f64 v[2:3], v[134:135], v[144:145], v[2:3]
	s_waitcnt lgkmcnt(0)
	v_fma_f64 v[2:3], v[136:137], v[146:147], v[2:3]
	s_waitcnt vmcnt(1)
	s_delay_alu instid0(VALU_DEP_1) | instskip(SKIP_4) | instid1(VALU_DEP_1)
	v_fma_f64 v[132:133], v[138:139], v[148:149], v[2:3]
	ds_load_b128 v[1:4], v1 offset:976
	s_waitcnt lgkmcnt(0)
	v_fma_f64 v[1:2], v[140:141], v[1:2], v[132:133]
	s_waitcnt vmcnt(0)
	v_fma_f64 v[1:2], v[150:151], v[3:4], v[1:2]
	s_delay_alu instid0(VALU_DEP_1)
	v_add_f64 v[1:2], v[130:131], -v[1:2]
	scratch_store_b64 off, v[1:2], off offset:440
	v_cmpx_lt_u32_e32 54, v0
	s_cbranch_execz .LBB61_273
; %bb.272:
	scratch_load_b64 v[1:2], off, off offset:432
	v_mov_b32_e32 v3, 0
	s_delay_alu instid0(VALU_DEP_1)
	v_mov_b32_e32 v4, v3
	scratch_store_b64 off, v[3:4], off offset:432
	s_waitcnt vmcnt(0)
	ds_store_b64 v5, v[1:2]
.LBB61_273:
	s_or_b32 exec_lo, exec_lo, s0
	s_waitcnt lgkmcnt(0)
	s_waitcnt_vscnt null, 0x0
	s_barrier
	buffer_gl0_inv
	s_clause 0x3
	scratch_load_b128 v[130:133], off, off offset:432
	scratch_load_b128 v[134:137], off, off offset:448
	;; [unrolled: 1-line block ×4, first 2 shown]
	v_mov_b32_e32 v1, 0
	ds_load_2addr_b64 v[146:149], v1 offset0:117 offset1:118
	ds_load_2addr_b64 v[150:153], v1 offset0:119 offset1:120
	s_mov_b32 s0, exec_lo
	s_waitcnt vmcnt(3) lgkmcnt(1)
	v_fma_f64 v[2:3], v[132:133], v[146:147], 0
	s_waitcnt vmcnt(2)
	s_delay_alu instid0(VALU_DEP_1) | instskip(SKIP_1) | instid1(VALU_DEP_1)
	v_fma_f64 v[2:3], v[134:135], v[148:149], v[2:3]
	s_waitcnt lgkmcnt(0)
	v_fma_f64 v[2:3], v[136:137], v[150:151], v[2:3]
	ds_load_2addr_b64 v[132:135], v1 offset0:121 offset1:122
	ds_load_b64 v[136:137], v1 offset:984
	s_waitcnt vmcnt(1)
	v_fma_f64 v[2:3], v[138:139], v[152:153], v[2:3]
	s_waitcnt lgkmcnt(1)
	s_delay_alu instid0(VALU_DEP_1) | instskip(SKIP_1) | instid1(VALU_DEP_1)
	v_fma_f64 v[2:3], v[140:141], v[132:133], v[2:3]
	s_waitcnt vmcnt(0)
	v_fma_f64 v[2:3], v[142:143], v[134:135], v[2:3]
	s_waitcnt lgkmcnt(0)
	s_delay_alu instid0(VALU_DEP_1) | instskip(NEXT) | instid1(VALU_DEP_1)
	v_fma_f64 v[2:3], v[144:145], v[136:137], v[2:3]
	v_add_f64 v[2:3], v[130:131], -v[2:3]
	scratch_store_b64 off, v[2:3], off offset:432
	v_cmpx_lt_u32_e32 53, v0
	s_cbranch_execz .LBB61_275
; %bb.274:
	scratch_load_b64 v[3:4], off, off offset:424
	v_mov_b32_e32 v2, v1
	scratch_store_b64 off, v[1:2], off offset:424
	s_waitcnt vmcnt(0)
	ds_store_b64 v5, v[3:4]
.LBB61_275:
	s_or_b32 exec_lo, exec_lo, s0
	s_waitcnt lgkmcnt(0)
	s_waitcnt_vscnt null, 0x0
	s_barrier
	buffer_gl0_inv
	s_clause 0x4
	scratch_load_b128 v[130:133], off, off offset:424
	scratch_load_b128 v[134:137], off, off offset:440
	;; [unrolled: 1-line block ×4, first 2 shown]
	scratch_load_b64 v[154:155], off, off offset:488
	ds_load_b128 v[146:149], v1 offset:928
	ds_load_b128 v[150:153], v1 offset:944
	s_mov_b32 s0, exec_lo
	s_waitcnt vmcnt(4) lgkmcnt(1)
	v_fma_f64 v[2:3], v[132:133], v[146:147], 0
	s_waitcnt vmcnt(3)
	s_delay_alu instid0(VALU_DEP_1) | instskip(SKIP_1) | instid1(VALU_DEP_1)
	v_fma_f64 v[2:3], v[134:135], v[148:149], v[2:3]
	s_waitcnt lgkmcnt(0)
	v_fma_f64 v[2:3], v[136:137], v[150:151], v[2:3]
	s_waitcnt vmcnt(2)
	s_delay_alu instid0(VALU_DEP_1)
	v_fma_f64 v[136:137], v[138:139], v[152:153], v[2:3]
	ds_load_b128 v[132:135], v1 offset:960
	ds_load_b128 v[1:4], v1 offset:976
	s_waitcnt lgkmcnt(1)
	v_fma_f64 v[132:133], v[140:141], v[132:133], v[136:137]
	s_waitcnt vmcnt(1)
	s_delay_alu instid0(VALU_DEP_1) | instskip(SKIP_1) | instid1(VALU_DEP_1)
	v_fma_f64 v[132:133], v[142:143], v[134:135], v[132:133]
	s_waitcnt lgkmcnt(0)
	v_fma_f64 v[1:2], v[144:145], v[1:2], v[132:133]
	s_waitcnt vmcnt(0)
	s_delay_alu instid0(VALU_DEP_1) | instskip(NEXT) | instid1(VALU_DEP_1)
	v_fma_f64 v[1:2], v[154:155], v[3:4], v[1:2]
	v_add_f64 v[1:2], v[130:131], -v[1:2]
	scratch_store_b64 off, v[1:2], off offset:424
	v_cmpx_lt_u32_e32 52, v0
	s_cbranch_execz .LBB61_277
; %bb.276:
	scratch_load_b64 v[1:2], off, off offset:416
	v_mov_b32_e32 v3, 0
	s_delay_alu instid0(VALU_DEP_1)
	v_mov_b32_e32 v4, v3
	scratch_store_b64 off, v[3:4], off offset:416
	s_waitcnt vmcnt(0)
	ds_store_b64 v5, v[1:2]
.LBB61_277:
	s_or_b32 exec_lo, exec_lo, s0
	s_waitcnt lgkmcnt(0)
	s_waitcnt_vscnt null, 0x0
	s_barrier
	buffer_gl0_inv
	s_clause 0x4
	scratch_load_b128 v[130:133], off, off offset:416
	scratch_load_b128 v[134:137], off, off offset:432
	;; [unrolled: 1-line block ×5, first 2 shown]
	v_mov_b32_e32 v1, 0
	ds_load_2addr_b64 v[150:153], v1 offset0:115 offset1:116
	ds_load_2addr_b64 v[154:157], v1 offset0:117 offset1:118
	s_mov_b32 s0, exec_lo
	s_waitcnt vmcnt(4) lgkmcnt(1)
	v_fma_f64 v[2:3], v[132:133], v[150:151], 0
	s_waitcnt vmcnt(3)
	s_delay_alu instid0(VALU_DEP_1) | instskip(SKIP_1) | instid1(VALU_DEP_1)
	v_fma_f64 v[2:3], v[134:135], v[152:153], v[2:3]
	s_waitcnt lgkmcnt(0)
	v_fma_f64 v[2:3], v[136:137], v[154:155], v[2:3]
	s_waitcnt vmcnt(2)
	s_delay_alu instid0(VALU_DEP_1)
	v_fma_f64 v[2:3], v[138:139], v[156:157], v[2:3]
	ds_load_2addr_b64 v[132:135], v1 offset0:119 offset1:120
	ds_load_2addr_b64 v[136:139], v1 offset0:121 offset1:122
	s_waitcnt lgkmcnt(1)
	v_fma_f64 v[2:3], v[140:141], v[132:133], v[2:3]
	ds_load_b64 v[132:133], v1 offset:984
	s_waitcnt vmcnt(1)
	v_fma_f64 v[2:3], v[142:143], v[134:135], v[2:3]
	s_waitcnt lgkmcnt(1)
	s_delay_alu instid0(VALU_DEP_1) | instskip(SKIP_1) | instid1(VALU_DEP_1)
	v_fma_f64 v[2:3], v[144:145], v[136:137], v[2:3]
	s_waitcnt vmcnt(0)
	v_fma_f64 v[2:3], v[146:147], v[138:139], v[2:3]
	s_waitcnt lgkmcnt(0)
	s_delay_alu instid0(VALU_DEP_1) | instskip(NEXT) | instid1(VALU_DEP_1)
	v_fma_f64 v[2:3], v[148:149], v[132:133], v[2:3]
	v_add_f64 v[2:3], v[130:131], -v[2:3]
	scratch_store_b64 off, v[2:3], off offset:416
	v_cmpx_lt_u32_e32 51, v0
	s_cbranch_execz .LBB61_279
; %bb.278:
	scratch_load_b64 v[3:4], off, off offset:408
	v_mov_b32_e32 v2, v1
	scratch_store_b64 off, v[1:2], off offset:408
	s_waitcnt vmcnt(0)
	ds_store_b64 v5, v[3:4]
.LBB61_279:
	s_or_b32 exec_lo, exec_lo, s0
	s_waitcnt lgkmcnt(0)
	s_waitcnt_vscnt null, 0x0
	s_barrier
	buffer_gl0_inv
	s_clause 0x4
	scratch_load_b128 v[130:133], off, off offset:408
	scratch_load_b128 v[134:137], off, off offset:424
	;; [unrolled: 1-line block ×5, first 2 shown]
	ds_load_b128 v[150:153], v1 offset:912
	ds_load_b128 v[154:157], v1 offset:928
	s_mov_b32 s0, exec_lo
	s_waitcnt vmcnt(4) lgkmcnt(1)
	v_fma_f64 v[2:3], v[132:133], v[150:151], 0
	scratch_load_b64 v[150:151], off, off offset:488
	s_waitcnt vmcnt(4)
	v_fma_f64 v[2:3], v[134:135], v[152:153], v[2:3]
	s_waitcnt lgkmcnt(0)
	s_delay_alu instid0(VALU_DEP_1) | instskip(SKIP_1) | instid1(VALU_DEP_1)
	v_fma_f64 v[2:3], v[136:137], v[154:155], v[2:3]
	s_waitcnt vmcnt(3)
	v_fma_f64 v[2:3], v[138:139], v[156:157], v[2:3]
	ds_load_b128 v[132:135], v1 offset:944
	ds_load_b128 v[136:139], v1 offset:960
	s_waitcnt lgkmcnt(1)
	v_fma_f64 v[2:3], v[140:141], v[132:133], v[2:3]
	s_waitcnt vmcnt(2)
	s_delay_alu instid0(VALU_DEP_1) | instskip(SKIP_1) | instid1(VALU_DEP_1)
	v_fma_f64 v[2:3], v[142:143], v[134:135], v[2:3]
	s_waitcnt lgkmcnt(0)
	v_fma_f64 v[2:3], v[144:145], v[136:137], v[2:3]
	s_waitcnt vmcnt(1)
	s_delay_alu instid0(VALU_DEP_1) | instskip(SKIP_4) | instid1(VALU_DEP_1)
	v_fma_f64 v[132:133], v[146:147], v[138:139], v[2:3]
	ds_load_b128 v[1:4], v1 offset:976
	s_waitcnt lgkmcnt(0)
	v_fma_f64 v[1:2], v[148:149], v[1:2], v[132:133]
	s_waitcnt vmcnt(0)
	v_fma_f64 v[1:2], v[150:151], v[3:4], v[1:2]
	s_delay_alu instid0(VALU_DEP_1)
	v_add_f64 v[1:2], v[130:131], -v[1:2]
	scratch_store_b64 off, v[1:2], off offset:408
	v_cmpx_lt_u32_e32 50, v0
	s_cbranch_execz .LBB61_281
; %bb.280:
	scratch_load_b64 v[1:2], off, off offset:400
	v_mov_b32_e32 v3, 0
	s_delay_alu instid0(VALU_DEP_1)
	v_mov_b32_e32 v4, v3
	scratch_store_b64 off, v[3:4], off offset:400
	s_waitcnt vmcnt(0)
	ds_store_b64 v5, v[1:2]
.LBB61_281:
	s_or_b32 exec_lo, exec_lo, s0
	s_waitcnt lgkmcnt(0)
	s_waitcnt_vscnt null, 0x0
	s_barrier
	buffer_gl0_inv
	s_clause 0x4
	scratch_load_b128 v[130:133], off, off offset:400
	scratch_load_b128 v[134:137], off, off offset:416
	;; [unrolled: 1-line block ×5, first 2 shown]
	v_mov_b32_e32 v1, 0
	ds_load_2addr_b64 v[150:153], v1 offset0:113 offset1:114
	ds_load_2addr_b64 v[154:157], v1 offset0:115 offset1:116
	scratch_load_b128 v[158:161], off, off offset:480
	s_mov_b32 s0, exec_lo
	s_waitcnt vmcnt(5) lgkmcnt(1)
	v_fma_f64 v[2:3], v[132:133], v[150:151], 0
	s_waitcnt vmcnt(4)
	s_delay_alu instid0(VALU_DEP_1) | instskip(SKIP_1) | instid1(VALU_DEP_1)
	v_fma_f64 v[2:3], v[134:135], v[152:153], v[2:3]
	s_waitcnt lgkmcnt(0)
	v_fma_f64 v[2:3], v[136:137], v[154:155], v[2:3]
	s_waitcnt vmcnt(3)
	s_delay_alu instid0(VALU_DEP_1)
	v_fma_f64 v[2:3], v[138:139], v[156:157], v[2:3]
	ds_load_2addr_b64 v[132:135], v1 offset0:117 offset1:118
	ds_load_2addr_b64 v[136:139], v1 offset0:119 offset1:120
	s_waitcnt lgkmcnt(1)
	v_fma_f64 v[2:3], v[140:141], v[132:133], v[2:3]
	s_waitcnt vmcnt(2)
	s_delay_alu instid0(VALU_DEP_1) | instskip(SKIP_1) | instid1(VALU_DEP_1)
	v_fma_f64 v[2:3], v[142:143], v[134:135], v[2:3]
	s_waitcnt lgkmcnt(0)
	v_fma_f64 v[2:3], v[144:145], v[136:137], v[2:3]
	ds_load_2addr_b64 v[132:135], v1 offset0:121 offset1:122
	ds_load_b64 v[136:137], v1 offset:984
	s_waitcnt vmcnt(1)
	v_fma_f64 v[2:3], v[146:147], v[138:139], v[2:3]
	s_waitcnt lgkmcnt(1)
	s_delay_alu instid0(VALU_DEP_1) | instskip(SKIP_1) | instid1(VALU_DEP_1)
	v_fma_f64 v[2:3], v[148:149], v[132:133], v[2:3]
	s_waitcnt vmcnt(0)
	v_fma_f64 v[2:3], v[158:159], v[134:135], v[2:3]
	s_waitcnt lgkmcnt(0)
	s_delay_alu instid0(VALU_DEP_1) | instskip(NEXT) | instid1(VALU_DEP_1)
	v_fma_f64 v[2:3], v[160:161], v[136:137], v[2:3]
	v_add_f64 v[2:3], v[130:131], -v[2:3]
	scratch_store_b64 off, v[2:3], off offset:400
	v_cmpx_lt_u32_e32 49, v0
	s_cbranch_execz .LBB61_283
; %bb.282:
	scratch_load_b64 v[3:4], off, off offset:392
	v_mov_b32_e32 v2, v1
	scratch_store_b64 off, v[1:2], off offset:392
	s_waitcnt vmcnt(0)
	ds_store_b64 v5, v[3:4]
.LBB61_283:
	s_or_b32 exec_lo, exec_lo, s0
	s_waitcnt lgkmcnt(0)
	s_waitcnt_vscnt null, 0x0
	s_barrier
	buffer_gl0_inv
	s_clause 0x4
	scratch_load_b128 v[130:133], off, off offset:392
	scratch_load_b128 v[134:137], off, off offset:408
	;; [unrolled: 1-line block ×5, first 2 shown]
	ds_load_b128 v[150:153], v1 offset:896
	ds_load_b128 v[154:157], v1 offset:912
	scratch_load_b128 v[158:161], off, off offset:472
	s_mov_b32 s0, exec_lo
	s_waitcnt vmcnt(5) lgkmcnt(1)
	v_fma_f64 v[2:3], v[132:133], v[150:151], 0
	scratch_load_b64 v[150:151], off, off offset:488
	s_waitcnt vmcnt(5)
	v_fma_f64 v[2:3], v[134:135], v[152:153], v[2:3]
	s_waitcnt lgkmcnt(0)
	s_delay_alu instid0(VALU_DEP_1) | instskip(SKIP_1) | instid1(VALU_DEP_1)
	v_fma_f64 v[2:3], v[136:137], v[154:155], v[2:3]
	s_waitcnt vmcnt(4)
	v_fma_f64 v[2:3], v[138:139], v[156:157], v[2:3]
	ds_load_b128 v[132:135], v1 offset:928
	ds_load_b128 v[136:139], v1 offset:944
	s_waitcnt lgkmcnt(1)
	v_fma_f64 v[2:3], v[140:141], v[132:133], v[2:3]
	s_waitcnt vmcnt(3)
	s_delay_alu instid0(VALU_DEP_1) | instskip(SKIP_1) | instid1(VALU_DEP_1)
	v_fma_f64 v[2:3], v[142:143], v[134:135], v[2:3]
	s_waitcnt lgkmcnt(0)
	v_fma_f64 v[2:3], v[144:145], v[136:137], v[2:3]
	s_waitcnt vmcnt(2)
	s_delay_alu instid0(VALU_DEP_1)
	v_fma_f64 v[136:137], v[146:147], v[138:139], v[2:3]
	ds_load_b128 v[132:135], v1 offset:960
	ds_load_b128 v[1:4], v1 offset:976
	s_waitcnt lgkmcnt(1)
	v_fma_f64 v[132:133], v[148:149], v[132:133], v[136:137]
	s_waitcnt vmcnt(1)
	s_delay_alu instid0(VALU_DEP_1) | instskip(SKIP_1) | instid1(VALU_DEP_1)
	v_fma_f64 v[132:133], v[158:159], v[134:135], v[132:133]
	s_waitcnt lgkmcnt(0)
	v_fma_f64 v[1:2], v[160:161], v[1:2], v[132:133]
	s_waitcnt vmcnt(0)
	s_delay_alu instid0(VALU_DEP_1) | instskip(NEXT) | instid1(VALU_DEP_1)
	v_fma_f64 v[1:2], v[150:151], v[3:4], v[1:2]
	v_add_f64 v[1:2], v[130:131], -v[1:2]
	scratch_store_b64 off, v[1:2], off offset:392
	v_cmpx_lt_u32_e32 48, v0
	s_cbranch_execz .LBB61_285
; %bb.284:
	scratch_load_b64 v[1:2], off, off offset:384
	v_mov_b32_e32 v3, 0
	s_delay_alu instid0(VALU_DEP_1)
	v_mov_b32_e32 v4, v3
	scratch_store_b64 off, v[3:4], off offset:384
	s_waitcnt vmcnt(0)
	ds_store_b64 v5, v[1:2]
.LBB61_285:
	s_or_b32 exec_lo, exec_lo, s0
	s_waitcnt lgkmcnt(0)
	s_waitcnt_vscnt null, 0x0
	s_barrier
	buffer_gl0_inv
	s_clause 0x4
	scratch_load_b128 v[130:133], off, off offset:384
	scratch_load_b128 v[134:137], off, off offset:400
	;; [unrolled: 1-line block ×5, first 2 shown]
	v_mov_b32_e32 v1, 0
	ds_load_2addr_b64 v[150:153], v1 offset0:111 offset1:112
	ds_load_2addr_b64 v[154:157], v1 offset0:113 offset1:114
	scratch_load_b128 v[158:161], off, off offset:464
	s_mov_b32 s0, exec_lo
	s_waitcnt vmcnt(5) lgkmcnt(1)
	v_fma_f64 v[2:3], v[132:133], v[150:151], 0
	s_waitcnt vmcnt(4)
	s_delay_alu instid0(VALU_DEP_1) | instskip(SKIP_4) | instid1(VALU_DEP_1)
	v_fma_f64 v[2:3], v[134:135], v[152:153], v[2:3]
	scratch_load_b128 v[132:135], off, off offset:480
	s_waitcnt lgkmcnt(0)
	v_fma_f64 v[2:3], v[136:137], v[154:155], v[2:3]
	s_waitcnt vmcnt(4)
	v_fma_f64 v[2:3], v[138:139], v[156:157], v[2:3]
	ds_load_2addr_b64 v[136:139], v1 offset0:115 offset1:116
	ds_load_2addr_b64 v[150:153], v1 offset0:117 offset1:118
	s_waitcnt lgkmcnt(1)
	v_fma_f64 v[2:3], v[140:141], v[136:137], v[2:3]
	s_waitcnt vmcnt(3)
	s_delay_alu instid0(VALU_DEP_1)
	v_fma_f64 v[2:3], v[142:143], v[138:139], v[2:3]
	ds_load_2addr_b64 v[136:139], v1 offset0:119 offset1:120
	ds_load_2addr_b64 v[140:143], v1 offset0:121 offset1:122
	s_waitcnt lgkmcnt(2)
	v_fma_f64 v[2:3], v[144:145], v[150:151], v[2:3]
	s_waitcnt vmcnt(2)
	s_delay_alu instid0(VALU_DEP_1) | instskip(SKIP_1) | instid1(VALU_DEP_1)
	v_fma_f64 v[2:3], v[146:147], v[152:153], v[2:3]
	s_waitcnt lgkmcnt(1)
	v_fma_f64 v[2:3], v[148:149], v[136:137], v[2:3]
	s_waitcnt vmcnt(1)
	s_delay_alu instid0(VALU_DEP_1) | instskip(SKIP_1) | instid1(VALU_DEP_1)
	v_fma_f64 v[2:3], v[158:159], v[138:139], v[2:3]
	s_waitcnt lgkmcnt(0)
	v_fma_f64 v[2:3], v[160:161], v[140:141], v[2:3]
	s_waitcnt vmcnt(0)
	s_delay_alu instid0(VALU_DEP_1) | instskip(SKIP_3) | instid1(VALU_DEP_1)
	v_fma_f64 v[2:3], v[132:133], v[142:143], v[2:3]
	ds_load_b64 v[132:133], v1 offset:984
	s_waitcnt lgkmcnt(0)
	v_fma_f64 v[2:3], v[134:135], v[132:133], v[2:3]
	v_add_f64 v[2:3], v[130:131], -v[2:3]
	scratch_store_b64 off, v[2:3], off offset:384
	v_cmpx_lt_u32_e32 47, v0
	s_cbranch_execz .LBB61_287
; %bb.286:
	scratch_load_b64 v[3:4], off, off offset:376
	v_mov_b32_e32 v2, v1
	scratch_store_b64 off, v[1:2], off offset:376
	s_waitcnt vmcnt(0)
	ds_store_b64 v5, v[3:4]
.LBB61_287:
	s_or_b32 exec_lo, exec_lo, s0
	s_waitcnt lgkmcnt(0)
	s_waitcnt_vscnt null, 0x0
	s_barrier
	buffer_gl0_inv
	s_clause 0x4
	scratch_load_b128 v[130:133], off, off offset:376
	scratch_load_b128 v[134:137], off, off offset:392
	;; [unrolled: 1-line block ×5, first 2 shown]
	ds_load_b128 v[150:153], v1 offset:880
	ds_load_b128 v[154:157], v1 offset:896
	scratch_load_b128 v[158:161], off, off offset:456
	s_mov_b32 s0, exec_lo
	s_waitcnt vmcnt(5) lgkmcnt(1)
	v_fma_f64 v[2:3], v[132:133], v[150:151], 0
	s_waitcnt vmcnt(4)
	s_delay_alu instid0(VALU_DEP_1) | instskip(SKIP_4) | instid1(VALU_DEP_1)
	v_fma_f64 v[2:3], v[134:135], v[152:153], v[2:3]
	scratch_load_b128 v[132:135], off, off offset:472
	s_waitcnt lgkmcnt(0)
	v_fma_f64 v[2:3], v[136:137], v[154:155], v[2:3]
	s_waitcnt vmcnt(4)
	v_fma_f64 v[2:3], v[138:139], v[156:157], v[2:3]
	ds_load_b128 v[136:139], v1 offset:912
	ds_load_b128 v[150:153], v1 offset:928
	scratch_load_b64 v[154:155], off, off offset:488
	s_waitcnt lgkmcnt(1)
	v_fma_f64 v[2:3], v[140:141], v[136:137], v[2:3]
	s_waitcnt vmcnt(4)
	s_delay_alu instid0(VALU_DEP_1)
	v_fma_f64 v[2:3], v[142:143], v[138:139], v[2:3]
	ds_load_b128 v[136:139], v1 offset:944
	ds_load_b128 v[140:143], v1 offset:960
	s_waitcnt lgkmcnt(2)
	v_fma_f64 v[2:3], v[144:145], v[150:151], v[2:3]
	s_waitcnt vmcnt(3)
	s_delay_alu instid0(VALU_DEP_1) | instskip(SKIP_1) | instid1(VALU_DEP_1)
	v_fma_f64 v[2:3], v[146:147], v[152:153], v[2:3]
	s_waitcnt lgkmcnt(1)
	v_fma_f64 v[2:3], v[148:149], v[136:137], v[2:3]
	s_waitcnt vmcnt(2)
	s_delay_alu instid0(VALU_DEP_1) | instskip(SKIP_1) | instid1(VALU_DEP_1)
	v_fma_f64 v[2:3], v[158:159], v[138:139], v[2:3]
	s_waitcnt lgkmcnt(0)
	v_fma_f64 v[2:3], v[160:161], v[140:141], v[2:3]
	s_waitcnt vmcnt(1)
	s_delay_alu instid0(VALU_DEP_1) | instskip(SKIP_4) | instid1(VALU_DEP_1)
	v_fma_f64 v[132:133], v[132:133], v[142:143], v[2:3]
	ds_load_b128 v[1:4], v1 offset:976
	s_waitcnt lgkmcnt(0)
	v_fma_f64 v[1:2], v[134:135], v[1:2], v[132:133]
	s_waitcnt vmcnt(0)
	v_fma_f64 v[1:2], v[154:155], v[3:4], v[1:2]
	s_delay_alu instid0(VALU_DEP_1)
	v_add_f64 v[1:2], v[130:131], -v[1:2]
	scratch_store_b64 off, v[1:2], off offset:376
	v_cmpx_lt_u32_e32 46, v0
	s_cbranch_execz .LBB61_289
; %bb.288:
	scratch_load_b64 v[1:2], off, off offset:368
	v_mov_b32_e32 v3, 0
	s_delay_alu instid0(VALU_DEP_1)
	v_mov_b32_e32 v4, v3
	scratch_store_b64 off, v[3:4], off offset:368
	s_waitcnt vmcnt(0)
	ds_store_b64 v5, v[1:2]
.LBB61_289:
	s_or_b32 exec_lo, exec_lo, s0
	s_waitcnt lgkmcnt(0)
	s_waitcnt_vscnt null, 0x0
	s_barrier
	buffer_gl0_inv
	s_clause 0x4
	scratch_load_b128 v[130:133], off, off offset:368
	scratch_load_b128 v[134:137], off, off offset:384
	;; [unrolled: 1-line block ×5, first 2 shown]
	v_mov_b32_e32 v1, 0
	ds_load_2addr_b64 v[150:153], v1 offset0:109 offset1:110
	ds_load_2addr_b64 v[154:157], v1 offset0:111 offset1:112
	scratch_load_b128 v[158:161], off, off offset:448
	s_mov_b32 s0, exec_lo
	s_waitcnt vmcnt(5) lgkmcnt(1)
	v_fma_f64 v[2:3], v[132:133], v[150:151], 0
	s_waitcnt vmcnt(4)
	s_delay_alu instid0(VALU_DEP_1) | instskip(SKIP_4) | instid1(VALU_DEP_1)
	v_fma_f64 v[2:3], v[134:135], v[152:153], v[2:3]
	scratch_load_b128 v[132:135], off, off offset:464
	s_waitcnt lgkmcnt(0)
	v_fma_f64 v[2:3], v[136:137], v[154:155], v[2:3]
	s_waitcnt vmcnt(4)
	v_fma_f64 v[2:3], v[138:139], v[156:157], v[2:3]
	ds_load_2addr_b64 v[136:139], v1 offset0:113 offset1:114
	ds_load_2addr_b64 v[150:153], v1 offset0:115 offset1:116
	scratch_load_b128 v[154:157], off, off offset:480
	s_waitcnt lgkmcnt(1)
	v_fma_f64 v[2:3], v[140:141], v[136:137], v[2:3]
	s_waitcnt vmcnt(4)
	s_delay_alu instid0(VALU_DEP_1)
	v_fma_f64 v[2:3], v[142:143], v[138:139], v[2:3]
	ds_load_2addr_b64 v[136:139], v1 offset0:117 offset1:118
	ds_load_2addr_b64 v[140:143], v1 offset0:119 offset1:120
	s_waitcnt lgkmcnt(2)
	v_fma_f64 v[2:3], v[144:145], v[150:151], v[2:3]
	s_waitcnt vmcnt(3)
	s_delay_alu instid0(VALU_DEP_1) | instskip(SKIP_1) | instid1(VALU_DEP_1)
	v_fma_f64 v[2:3], v[146:147], v[152:153], v[2:3]
	s_waitcnt lgkmcnt(1)
	v_fma_f64 v[2:3], v[148:149], v[136:137], v[2:3]
	s_waitcnt vmcnt(2)
	s_delay_alu instid0(VALU_DEP_1) | instskip(SKIP_1) | instid1(VALU_DEP_1)
	v_fma_f64 v[2:3], v[158:159], v[138:139], v[2:3]
	s_waitcnt lgkmcnt(0)
	v_fma_f64 v[2:3], v[160:161], v[140:141], v[2:3]
	s_waitcnt vmcnt(1)
	s_delay_alu instid0(VALU_DEP_1)
	v_fma_f64 v[2:3], v[132:133], v[142:143], v[2:3]
	ds_load_2addr_b64 v[136:139], v1 offset0:121 offset1:122
	ds_load_b64 v[132:133], v1 offset:984
	s_waitcnt lgkmcnt(1)
	v_fma_f64 v[2:3], v[134:135], v[136:137], v[2:3]
	s_waitcnt vmcnt(0)
	s_delay_alu instid0(VALU_DEP_1) | instskip(SKIP_1) | instid1(VALU_DEP_1)
	v_fma_f64 v[2:3], v[154:155], v[138:139], v[2:3]
	s_waitcnt lgkmcnt(0)
	v_fma_f64 v[2:3], v[156:157], v[132:133], v[2:3]
	s_delay_alu instid0(VALU_DEP_1)
	v_add_f64 v[2:3], v[130:131], -v[2:3]
	scratch_store_b64 off, v[2:3], off offset:368
	v_cmpx_lt_u32_e32 45, v0
	s_cbranch_execz .LBB61_291
; %bb.290:
	scratch_load_b64 v[3:4], off, off offset:360
	v_mov_b32_e32 v2, v1
	scratch_store_b64 off, v[1:2], off offset:360
	s_waitcnt vmcnt(0)
	ds_store_b64 v5, v[3:4]
.LBB61_291:
	s_or_b32 exec_lo, exec_lo, s0
	s_waitcnt lgkmcnt(0)
	s_waitcnt_vscnt null, 0x0
	s_barrier
	buffer_gl0_inv
	s_clause 0x4
	scratch_load_b128 v[130:133], off, off offset:360
	scratch_load_b128 v[134:137], off, off offset:376
	;; [unrolled: 1-line block ×5, first 2 shown]
	ds_load_b128 v[150:153], v1 offset:864
	ds_load_b128 v[154:157], v1 offset:880
	scratch_load_b128 v[158:161], off, off offset:440
	s_mov_b32 s0, exec_lo
	s_waitcnt vmcnt(5) lgkmcnt(1)
	v_fma_f64 v[2:3], v[132:133], v[150:151], 0
	s_waitcnt vmcnt(4)
	s_delay_alu instid0(VALU_DEP_1) | instskip(SKIP_4) | instid1(VALU_DEP_1)
	v_fma_f64 v[2:3], v[134:135], v[152:153], v[2:3]
	scratch_load_b128 v[132:135], off, off offset:456
	s_waitcnt lgkmcnt(0)
	v_fma_f64 v[2:3], v[136:137], v[154:155], v[2:3]
	s_waitcnt vmcnt(4)
	v_fma_f64 v[2:3], v[138:139], v[156:157], v[2:3]
	ds_load_b128 v[136:139], v1 offset:896
	ds_load_b128 v[150:153], v1 offset:912
	scratch_load_b128 v[154:157], off, off offset:472
	s_waitcnt lgkmcnt(1)
	v_fma_f64 v[2:3], v[140:141], v[136:137], v[2:3]
	s_waitcnt vmcnt(4)
	s_delay_alu instid0(VALU_DEP_1) | instskip(SKIP_1) | instid1(VALU_DEP_1)
	v_fma_f64 v[2:3], v[142:143], v[138:139], v[2:3]
	s_waitcnt lgkmcnt(0)
	v_fma_f64 v[2:3], v[144:145], v[150:151], v[2:3]
	scratch_load_b64 v[144:145], off, off offset:488
	ds_load_b128 v[136:139], v1 offset:928
	ds_load_b128 v[140:143], v1 offset:944
	s_waitcnt vmcnt(4)
	v_fma_f64 v[2:3], v[146:147], v[152:153], v[2:3]
	s_waitcnt lgkmcnt(1)
	s_delay_alu instid0(VALU_DEP_1) | instskip(SKIP_1) | instid1(VALU_DEP_1)
	v_fma_f64 v[2:3], v[148:149], v[136:137], v[2:3]
	s_waitcnt vmcnt(3)
	v_fma_f64 v[2:3], v[158:159], v[138:139], v[2:3]
	s_waitcnt lgkmcnt(0)
	s_delay_alu instid0(VALU_DEP_1) | instskip(SKIP_1) | instid1(VALU_DEP_1)
	v_fma_f64 v[2:3], v[160:161], v[140:141], v[2:3]
	s_waitcnt vmcnt(2)
	v_fma_f64 v[132:133], v[132:133], v[142:143], v[2:3]
	ds_load_b128 v[136:139], v1 offset:960
	ds_load_b128 v[1:4], v1 offset:976
	s_waitcnt lgkmcnt(1)
	v_fma_f64 v[132:133], v[134:135], v[136:137], v[132:133]
	s_waitcnt vmcnt(1)
	s_delay_alu instid0(VALU_DEP_1) | instskip(SKIP_1) | instid1(VALU_DEP_1)
	v_fma_f64 v[132:133], v[154:155], v[138:139], v[132:133]
	s_waitcnt lgkmcnt(0)
	v_fma_f64 v[1:2], v[156:157], v[1:2], v[132:133]
	s_waitcnt vmcnt(0)
	s_delay_alu instid0(VALU_DEP_1) | instskip(NEXT) | instid1(VALU_DEP_1)
	v_fma_f64 v[1:2], v[144:145], v[3:4], v[1:2]
	v_add_f64 v[1:2], v[130:131], -v[1:2]
	scratch_store_b64 off, v[1:2], off offset:360
	v_cmpx_lt_u32_e32 44, v0
	s_cbranch_execz .LBB61_293
; %bb.292:
	scratch_load_b64 v[1:2], off, off offset:352
	v_mov_b32_e32 v3, 0
	s_delay_alu instid0(VALU_DEP_1)
	v_mov_b32_e32 v4, v3
	scratch_store_b64 off, v[3:4], off offset:352
	s_waitcnt vmcnt(0)
	ds_store_b64 v5, v[1:2]
.LBB61_293:
	s_or_b32 exec_lo, exec_lo, s0
	s_waitcnt lgkmcnt(0)
	s_waitcnt_vscnt null, 0x0
	s_barrier
	buffer_gl0_inv
	s_clause 0x4
	scratch_load_b128 v[130:133], off, off offset:352
	scratch_load_b128 v[134:137], off, off offset:368
	;; [unrolled: 1-line block ×5, first 2 shown]
	v_mov_b32_e32 v1, 0
	ds_load_2addr_b64 v[150:153], v1 offset0:107 offset1:108
	ds_load_2addr_b64 v[154:157], v1 offset0:109 offset1:110
	scratch_load_b128 v[158:161], off, off offset:432
	s_mov_b32 s0, exec_lo
	s_waitcnt vmcnt(5) lgkmcnt(1)
	v_fma_f64 v[2:3], v[132:133], v[150:151], 0
	s_waitcnt vmcnt(4)
	s_delay_alu instid0(VALU_DEP_1) | instskip(SKIP_4) | instid1(VALU_DEP_1)
	v_fma_f64 v[2:3], v[134:135], v[152:153], v[2:3]
	scratch_load_b128 v[132:135], off, off offset:448
	s_waitcnt lgkmcnt(0)
	v_fma_f64 v[2:3], v[136:137], v[154:155], v[2:3]
	s_waitcnt vmcnt(4)
	v_fma_f64 v[2:3], v[138:139], v[156:157], v[2:3]
	ds_load_2addr_b64 v[136:139], v1 offset0:111 offset1:112
	ds_load_2addr_b64 v[150:153], v1 offset0:113 offset1:114
	scratch_load_b128 v[154:157], off, off offset:464
	s_waitcnt lgkmcnt(1)
	v_fma_f64 v[2:3], v[140:141], v[136:137], v[2:3]
	s_waitcnt vmcnt(4)
	s_delay_alu instid0(VALU_DEP_1) | instskip(SKIP_4) | instid1(VALU_DEP_1)
	v_fma_f64 v[2:3], v[142:143], v[138:139], v[2:3]
	scratch_load_b128 v[136:139], off, off offset:480
	s_waitcnt lgkmcnt(0)
	v_fma_f64 v[2:3], v[144:145], v[150:151], v[2:3]
	s_waitcnt vmcnt(4)
	v_fma_f64 v[2:3], v[146:147], v[152:153], v[2:3]
	ds_load_2addr_b64 v[140:143], v1 offset0:115 offset1:116
	ds_load_2addr_b64 v[144:147], v1 offset0:117 offset1:118
	s_waitcnt lgkmcnt(1)
	v_fma_f64 v[2:3], v[148:149], v[140:141], v[2:3]
	s_waitcnt vmcnt(3)
	s_delay_alu instid0(VALU_DEP_1) | instskip(SKIP_1) | instid1(VALU_DEP_1)
	v_fma_f64 v[2:3], v[158:159], v[142:143], v[2:3]
	s_waitcnt lgkmcnt(0)
	v_fma_f64 v[2:3], v[160:161], v[144:145], v[2:3]
	s_waitcnt vmcnt(2)
	s_delay_alu instid0(VALU_DEP_1)
	v_fma_f64 v[2:3], v[132:133], v[146:147], v[2:3]
	ds_load_2addr_b64 v[140:143], v1 offset0:119 offset1:120
	ds_load_2addr_b64 v[144:147], v1 offset0:121 offset1:122
	ds_load_b64 v[132:133], v1 offset:984
	s_waitcnt lgkmcnt(2)
	v_fma_f64 v[2:3], v[134:135], v[140:141], v[2:3]
	s_waitcnt vmcnt(1)
	s_delay_alu instid0(VALU_DEP_1) | instskip(SKIP_1) | instid1(VALU_DEP_1)
	v_fma_f64 v[2:3], v[154:155], v[142:143], v[2:3]
	s_waitcnt lgkmcnt(1)
	v_fma_f64 v[2:3], v[156:157], v[144:145], v[2:3]
	s_waitcnt vmcnt(0)
	s_delay_alu instid0(VALU_DEP_1) | instskip(SKIP_1) | instid1(VALU_DEP_1)
	v_fma_f64 v[2:3], v[136:137], v[146:147], v[2:3]
	s_waitcnt lgkmcnt(0)
	v_fma_f64 v[2:3], v[138:139], v[132:133], v[2:3]
	s_delay_alu instid0(VALU_DEP_1)
	v_add_f64 v[2:3], v[130:131], -v[2:3]
	scratch_store_b64 off, v[2:3], off offset:352
	v_cmpx_lt_u32_e32 43, v0
	s_cbranch_execz .LBB61_295
; %bb.294:
	scratch_load_b64 v[3:4], off, off offset:344
	v_mov_b32_e32 v2, v1
	scratch_store_b64 off, v[1:2], off offset:344
	s_waitcnt vmcnt(0)
	ds_store_b64 v5, v[3:4]
.LBB61_295:
	s_or_b32 exec_lo, exec_lo, s0
	s_waitcnt lgkmcnt(0)
	s_waitcnt_vscnt null, 0x0
	s_barrier
	buffer_gl0_inv
	s_clause 0x4
	scratch_load_b128 v[130:133], off, off offset:344
	scratch_load_b128 v[134:137], off, off offset:360
	;; [unrolled: 1-line block ×5, first 2 shown]
	ds_load_b128 v[150:153], v1 offset:848
	ds_load_b128 v[154:157], v1 offset:864
	scratch_load_b128 v[158:161], off, off offset:424
	s_mov_b32 s0, exec_lo
	s_waitcnt vmcnt(5) lgkmcnt(1)
	v_fma_f64 v[2:3], v[132:133], v[150:151], 0
	s_waitcnt vmcnt(4)
	s_delay_alu instid0(VALU_DEP_1) | instskip(SKIP_4) | instid1(VALU_DEP_1)
	v_fma_f64 v[2:3], v[134:135], v[152:153], v[2:3]
	scratch_load_b128 v[132:135], off, off offset:440
	s_waitcnt lgkmcnt(0)
	v_fma_f64 v[2:3], v[136:137], v[154:155], v[2:3]
	s_waitcnt vmcnt(4)
	v_fma_f64 v[2:3], v[138:139], v[156:157], v[2:3]
	ds_load_b128 v[136:139], v1 offset:880
	ds_load_b128 v[150:153], v1 offset:896
	scratch_load_b128 v[154:157], off, off offset:456
	s_waitcnt lgkmcnt(1)
	v_fma_f64 v[2:3], v[140:141], v[136:137], v[2:3]
	s_waitcnt vmcnt(4)
	s_delay_alu instid0(VALU_DEP_1) | instskip(SKIP_4) | instid1(VALU_DEP_1)
	v_fma_f64 v[2:3], v[142:143], v[138:139], v[2:3]
	scratch_load_b128 v[136:139], off, off offset:472
	s_waitcnt lgkmcnt(0)
	v_fma_f64 v[2:3], v[144:145], v[150:151], v[2:3]
	s_waitcnt vmcnt(4)
	v_fma_f64 v[2:3], v[146:147], v[152:153], v[2:3]
	ds_load_b128 v[140:143], v1 offset:912
	ds_load_b128 v[144:147], v1 offset:928
	s_waitcnt lgkmcnt(1)
	v_fma_f64 v[2:3], v[148:149], v[140:141], v[2:3]
	scratch_load_b64 v[148:149], off, off offset:488
	s_waitcnt vmcnt(4)
	v_fma_f64 v[2:3], v[158:159], v[142:143], v[2:3]
	s_waitcnt lgkmcnt(0)
	s_delay_alu instid0(VALU_DEP_1) | instskip(SKIP_1) | instid1(VALU_DEP_1)
	v_fma_f64 v[2:3], v[160:161], v[144:145], v[2:3]
	s_waitcnt vmcnt(3)
	v_fma_f64 v[2:3], v[132:133], v[146:147], v[2:3]
	ds_load_b128 v[140:143], v1 offset:944
	ds_load_b128 v[144:147], v1 offset:960
	s_waitcnt lgkmcnt(1)
	v_fma_f64 v[2:3], v[134:135], v[140:141], v[2:3]
	s_waitcnt vmcnt(2)
	s_delay_alu instid0(VALU_DEP_1) | instskip(SKIP_1) | instid1(VALU_DEP_1)
	v_fma_f64 v[2:3], v[154:155], v[142:143], v[2:3]
	s_waitcnt lgkmcnt(0)
	v_fma_f64 v[2:3], v[156:157], v[144:145], v[2:3]
	s_waitcnt vmcnt(1)
	s_delay_alu instid0(VALU_DEP_1) | instskip(SKIP_4) | instid1(VALU_DEP_1)
	v_fma_f64 v[132:133], v[136:137], v[146:147], v[2:3]
	ds_load_b128 v[1:4], v1 offset:976
	s_waitcnt lgkmcnt(0)
	v_fma_f64 v[1:2], v[138:139], v[1:2], v[132:133]
	s_waitcnt vmcnt(0)
	v_fma_f64 v[1:2], v[148:149], v[3:4], v[1:2]
	s_delay_alu instid0(VALU_DEP_1)
	v_add_f64 v[1:2], v[130:131], -v[1:2]
	scratch_store_b64 off, v[1:2], off offset:344
	v_cmpx_lt_u32_e32 42, v0
	s_cbranch_execz .LBB61_297
; %bb.296:
	scratch_load_b64 v[1:2], off, off offset:336
	v_mov_b32_e32 v3, 0
	s_delay_alu instid0(VALU_DEP_1)
	v_mov_b32_e32 v4, v3
	scratch_store_b64 off, v[3:4], off offset:336
	s_waitcnt vmcnt(0)
	ds_store_b64 v5, v[1:2]
.LBB61_297:
	s_or_b32 exec_lo, exec_lo, s0
	s_waitcnt lgkmcnt(0)
	s_waitcnt_vscnt null, 0x0
	s_barrier
	buffer_gl0_inv
	s_clause 0x4
	scratch_load_b128 v[130:133], off, off offset:336
	scratch_load_b128 v[134:137], off, off offset:352
	;; [unrolled: 1-line block ×5, first 2 shown]
	v_mov_b32_e32 v1, 0
	ds_load_2addr_b64 v[150:153], v1 offset0:105 offset1:106
	ds_load_2addr_b64 v[154:157], v1 offset0:107 offset1:108
	scratch_load_b128 v[158:161], off, off offset:416
	s_mov_b32 s0, exec_lo
	s_waitcnt vmcnt(5) lgkmcnt(1)
	v_fma_f64 v[2:3], v[132:133], v[150:151], 0
	s_waitcnt vmcnt(4)
	s_delay_alu instid0(VALU_DEP_1) | instskip(SKIP_4) | instid1(VALU_DEP_1)
	v_fma_f64 v[2:3], v[134:135], v[152:153], v[2:3]
	scratch_load_b128 v[132:135], off, off offset:432
	s_waitcnt lgkmcnt(0)
	v_fma_f64 v[2:3], v[136:137], v[154:155], v[2:3]
	s_waitcnt vmcnt(4)
	v_fma_f64 v[2:3], v[138:139], v[156:157], v[2:3]
	ds_load_2addr_b64 v[136:139], v1 offset0:109 offset1:110
	ds_load_2addr_b64 v[150:153], v1 offset0:111 offset1:112
	scratch_load_b128 v[154:157], off, off offset:448
	s_waitcnt lgkmcnt(1)
	v_fma_f64 v[2:3], v[140:141], v[136:137], v[2:3]
	s_waitcnt vmcnt(4)
	s_delay_alu instid0(VALU_DEP_1) | instskip(SKIP_4) | instid1(VALU_DEP_1)
	v_fma_f64 v[2:3], v[142:143], v[138:139], v[2:3]
	scratch_load_b128 v[136:139], off, off offset:464
	s_waitcnt lgkmcnt(0)
	v_fma_f64 v[2:3], v[144:145], v[150:151], v[2:3]
	s_waitcnt vmcnt(4)
	v_fma_f64 v[2:3], v[146:147], v[152:153], v[2:3]
	ds_load_2addr_b64 v[140:143], v1 offset0:113 offset1:114
	ds_load_2addr_b64 v[144:147], v1 offset0:115 offset1:116
	s_waitcnt lgkmcnt(1)
	v_fma_f64 v[2:3], v[148:149], v[140:141], v[2:3]
	scratch_load_b128 v[148:151], off, off offset:480
	s_waitcnt vmcnt(4)
	v_fma_f64 v[2:3], v[158:159], v[142:143], v[2:3]
	s_waitcnt lgkmcnt(0)
	s_delay_alu instid0(VALU_DEP_1) | instskip(SKIP_1) | instid1(VALU_DEP_1)
	v_fma_f64 v[2:3], v[160:161], v[144:145], v[2:3]
	s_waitcnt vmcnt(3)
	v_fma_f64 v[2:3], v[132:133], v[146:147], v[2:3]
	ds_load_2addr_b64 v[140:143], v1 offset0:117 offset1:118
	ds_load_2addr_b64 v[144:147], v1 offset0:119 offset1:120
	s_waitcnt lgkmcnt(1)
	v_fma_f64 v[2:3], v[134:135], v[140:141], v[2:3]
	s_waitcnt vmcnt(2)
	s_delay_alu instid0(VALU_DEP_1) | instskip(SKIP_1) | instid1(VALU_DEP_1)
	v_fma_f64 v[2:3], v[154:155], v[142:143], v[2:3]
	s_waitcnt lgkmcnt(0)
	v_fma_f64 v[2:3], v[156:157], v[144:145], v[2:3]
	s_waitcnt vmcnt(1)
	s_delay_alu instid0(VALU_DEP_1)
	v_fma_f64 v[2:3], v[136:137], v[146:147], v[2:3]
	ds_load_2addr_b64 v[132:135], v1 offset0:121 offset1:122
	ds_load_b64 v[136:137], v1 offset:984
	s_waitcnt lgkmcnt(1)
	v_fma_f64 v[2:3], v[138:139], v[132:133], v[2:3]
	s_waitcnt vmcnt(0)
	s_delay_alu instid0(VALU_DEP_1) | instskip(SKIP_1) | instid1(VALU_DEP_1)
	v_fma_f64 v[2:3], v[148:149], v[134:135], v[2:3]
	s_waitcnt lgkmcnt(0)
	v_fma_f64 v[2:3], v[150:151], v[136:137], v[2:3]
	s_delay_alu instid0(VALU_DEP_1)
	v_add_f64 v[2:3], v[130:131], -v[2:3]
	scratch_store_b64 off, v[2:3], off offset:336
	v_cmpx_lt_u32_e32 41, v0
	s_cbranch_execz .LBB61_299
; %bb.298:
	scratch_load_b64 v[3:4], off, off offset:328
	v_mov_b32_e32 v2, v1
	scratch_store_b64 off, v[1:2], off offset:328
	s_waitcnt vmcnt(0)
	ds_store_b64 v5, v[3:4]
.LBB61_299:
	s_or_b32 exec_lo, exec_lo, s0
	s_waitcnt lgkmcnt(0)
	s_waitcnt_vscnt null, 0x0
	s_barrier
	buffer_gl0_inv
	s_clause 0x4
	scratch_load_b128 v[130:133], off, off offset:328
	scratch_load_b128 v[134:137], off, off offset:344
	;; [unrolled: 1-line block ×5, first 2 shown]
	ds_load_b128 v[150:153], v1 offset:832
	ds_load_b128 v[154:157], v1 offset:848
	scratch_load_b128 v[158:161], off, off offset:408
	s_mov_b32 s0, exec_lo
	s_waitcnt vmcnt(5) lgkmcnt(1)
	v_fma_f64 v[2:3], v[132:133], v[150:151], 0
	s_waitcnt vmcnt(4)
	s_delay_alu instid0(VALU_DEP_1) | instskip(SKIP_4) | instid1(VALU_DEP_1)
	v_fma_f64 v[2:3], v[134:135], v[152:153], v[2:3]
	scratch_load_b128 v[132:135], off, off offset:424
	s_waitcnt lgkmcnt(0)
	v_fma_f64 v[2:3], v[136:137], v[154:155], v[2:3]
	s_waitcnt vmcnt(4)
	v_fma_f64 v[2:3], v[138:139], v[156:157], v[2:3]
	ds_load_b128 v[136:139], v1 offset:864
	ds_load_b128 v[150:153], v1 offset:880
	scratch_load_b128 v[154:157], off, off offset:440
	s_waitcnt lgkmcnt(1)
	v_fma_f64 v[2:3], v[140:141], v[136:137], v[2:3]
	s_waitcnt vmcnt(4)
	s_delay_alu instid0(VALU_DEP_1) | instskip(SKIP_4) | instid1(VALU_DEP_1)
	v_fma_f64 v[2:3], v[142:143], v[138:139], v[2:3]
	scratch_load_b128 v[136:139], off, off offset:456
	s_waitcnt lgkmcnt(0)
	v_fma_f64 v[2:3], v[144:145], v[150:151], v[2:3]
	s_waitcnt vmcnt(4)
	v_fma_f64 v[2:3], v[146:147], v[152:153], v[2:3]
	ds_load_b128 v[140:143], v1 offset:896
	ds_load_b128 v[144:147], v1 offset:912
	scratch_load_b64 v[152:153], off, off offset:488
	s_waitcnt lgkmcnt(1)
	v_fma_f64 v[2:3], v[148:149], v[140:141], v[2:3]
	scratch_load_b128 v[148:151], off, off offset:472
	s_waitcnt vmcnt(5)
	v_fma_f64 v[2:3], v[158:159], v[142:143], v[2:3]
	s_waitcnt lgkmcnt(0)
	s_delay_alu instid0(VALU_DEP_1) | instskip(SKIP_1) | instid1(VALU_DEP_1)
	v_fma_f64 v[2:3], v[160:161], v[144:145], v[2:3]
	s_waitcnt vmcnt(4)
	v_fma_f64 v[2:3], v[132:133], v[146:147], v[2:3]
	ds_load_b128 v[140:143], v1 offset:928
	ds_load_b128 v[144:147], v1 offset:944
	s_waitcnt lgkmcnt(1)
	v_fma_f64 v[2:3], v[134:135], v[140:141], v[2:3]
	s_waitcnt vmcnt(3)
	s_delay_alu instid0(VALU_DEP_1) | instskip(SKIP_1) | instid1(VALU_DEP_1)
	v_fma_f64 v[2:3], v[154:155], v[142:143], v[2:3]
	s_waitcnt lgkmcnt(0)
	v_fma_f64 v[2:3], v[156:157], v[144:145], v[2:3]
	s_waitcnt vmcnt(2)
	s_delay_alu instid0(VALU_DEP_1)
	v_fma_f64 v[136:137], v[136:137], v[146:147], v[2:3]
	ds_load_b128 v[132:135], v1 offset:960
	ds_load_b128 v[1:4], v1 offset:976
	s_waitcnt lgkmcnt(1)
	v_fma_f64 v[132:133], v[138:139], v[132:133], v[136:137]
	s_waitcnt vmcnt(0)
	s_delay_alu instid0(VALU_DEP_1) | instskip(SKIP_1) | instid1(VALU_DEP_1)
	v_fma_f64 v[132:133], v[148:149], v[134:135], v[132:133]
	s_waitcnt lgkmcnt(0)
	v_fma_f64 v[1:2], v[150:151], v[1:2], v[132:133]
	s_delay_alu instid0(VALU_DEP_1) | instskip(NEXT) | instid1(VALU_DEP_1)
	v_fma_f64 v[1:2], v[152:153], v[3:4], v[1:2]
	v_add_f64 v[1:2], v[130:131], -v[1:2]
	scratch_store_b64 off, v[1:2], off offset:328
	v_cmpx_lt_u32_e32 40, v0
	s_cbranch_execz .LBB61_301
; %bb.300:
	scratch_load_b64 v[1:2], off, off offset:320
	v_mov_b32_e32 v3, 0
	s_delay_alu instid0(VALU_DEP_1)
	v_mov_b32_e32 v4, v3
	scratch_store_b64 off, v[3:4], off offset:320
	s_waitcnt vmcnt(0)
	ds_store_b64 v5, v[1:2]
.LBB61_301:
	s_or_b32 exec_lo, exec_lo, s0
	s_waitcnt lgkmcnt(0)
	s_waitcnt_vscnt null, 0x0
	s_barrier
	buffer_gl0_inv
	s_clause 0x4
	scratch_load_b128 v[130:133], off, off offset:320
	scratch_load_b128 v[134:137], off, off offset:336
	;; [unrolled: 1-line block ×5, first 2 shown]
	v_mov_b32_e32 v1, 0
	ds_load_2addr_b64 v[150:153], v1 offset0:103 offset1:104
	ds_load_2addr_b64 v[154:157], v1 offset0:105 offset1:106
	scratch_load_b128 v[158:161], off, off offset:400
	s_mov_b32 s0, exec_lo
	s_waitcnt vmcnt(5) lgkmcnt(1)
	v_fma_f64 v[2:3], v[132:133], v[150:151], 0
	s_waitcnt vmcnt(4)
	s_delay_alu instid0(VALU_DEP_1) | instskip(SKIP_4) | instid1(VALU_DEP_1)
	v_fma_f64 v[2:3], v[134:135], v[152:153], v[2:3]
	scratch_load_b128 v[132:135], off, off offset:416
	s_waitcnt lgkmcnt(0)
	v_fma_f64 v[2:3], v[136:137], v[154:155], v[2:3]
	s_waitcnt vmcnt(4)
	v_fma_f64 v[2:3], v[138:139], v[156:157], v[2:3]
	ds_load_2addr_b64 v[136:139], v1 offset0:107 offset1:108
	ds_load_2addr_b64 v[150:153], v1 offset0:109 offset1:110
	scratch_load_b128 v[154:157], off, off offset:432
	s_waitcnt lgkmcnt(1)
	v_fma_f64 v[2:3], v[140:141], v[136:137], v[2:3]
	s_waitcnt vmcnt(4)
	s_delay_alu instid0(VALU_DEP_1) | instskip(SKIP_4) | instid1(VALU_DEP_1)
	v_fma_f64 v[2:3], v[142:143], v[138:139], v[2:3]
	scratch_load_b128 v[136:139], off, off offset:448
	s_waitcnt lgkmcnt(0)
	v_fma_f64 v[2:3], v[144:145], v[150:151], v[2:3]
	s_waitcnt vmcnt(4)
	v_fma_f64 v[2:3], v[146:147], v[152:153], v[2:3]
	ds_load_2addr_b64 v[140:143], v1 offset0:111 offset1:112
	ds_load_2addr_b64 v[144:147], v1 offset0:113 offset1:114
	s_waitcnt lgkmcnt(1)
	v_fma_f64 v[2:3], v[148:149], v[140:141], v[2:3]
	scratch_load_b128 v[148:151], off, off offset:464
	s_waitcnt vmcnt(4)
	v_fma_f64 v[2:3], v[158:159], v[142:143], v[2:3]
	scratch_load_b128 v[140:143], off, off offset:480
	s_waitcnt lgkmcnt(0)
	v_fma_f64 v[2:3], v[160:161], v[144:145], v[2:3]
	s_waitcnt vmcnt(4)
	s_delay_alu instid0(VALU_DEP_1)
	v_fma_f64 v[2:3], v[132:133], v[146:147], v[2:3]
	ds_load_2addr_b64 v[144:147], v1 offset0:115 offset1:116
	ds_load_2addr_b64 v[158:161], v1 offset0:117 offset1:118
	s_waitcnt lgkmcnt(1)
	v_fma_f64 v[2:3], v[134:135], v[144:145], v[2:3]
	s_waitcnt vmcnt(3)
	s_delay_alu instid0(VALU_DEP_1)
	v_fma_f64 v[2:3], v[154:155], v[146:147], v[2:3]
	ds_load_2addr_b64 v[132:135], v1 offset0:119 offset1:120
	ds_load_2addr_b64 v[144:147], v1 offset0:121 offset1:122
	s_waitcnt lgkmcnt(2)
	v_fma_f64 v[2:3], v[156:157], v[158:159], v[2:3]
	s_waitcnt vmcnt(2)
	s_delay_alu instid0(VALU_DEP_1) | instskip(SKIP_1) | instid1(VALU_DEP_1)
	v_fma_f64 v[2:3], v[136:137], v[160:161], v[2:3]
	s_waitcnt lgkmcnt(1)
	v_fma_f64 v[2:3], v[138:139], v[132:133], v[2:3]
	ds_load_b64 v[132:133], v1 offset:984
	s_waitcnt vmcnt(1)
	v_fma_f64 v[2:3], v[148:149], v[134:135], v[2:3]
	s_waitcnt lgkmcnt(1)
	s_delay_alu instid0(VALU_DEP_1) | instskip(SKIP_1) | instid1(VALU_DEP_1)
	v_fma_f64 v[2:3], v[150:151], v[144:145], v[2:3]
	s_waitcnt vmcnt(0)
	v_fma_f64 v[2:3], v[140:141], v[146:147], v[2:3]
	s_waitcnt lgkmcnt(0)
	s_delay_alu instid0(VALU_DEP_1) | instskip(NEXT) | instid1(VALU_DEP_1)
	v_fma_f64 v[2:3], v[142:143], v[132:133], v[2:3]
	v_add_f64 v[2:3], v[130:131], -v[2:3]
	scratch_store_b64 off, v[2:3], off offset:320
	v_cmpx_lt_u32_e32 39, v0
	s_cbranch_execz .LBB61_303
; %bb.302:
	scratch_load_b64 v[3:4], off, off offset:312
	v_mov_b32_e32 v2, v1
	scratch_store_b64 off, v[1:2], off offset:312
	s_waitcnt vmcnt(0)
	ds_store_b64 v5, v[3:4]
.LBB61_303:
	s_or_b32 exec_lo, exec_lo, s0
	s_waitcnt lgkmcnt(0)
	s_waitcnt_vscnt null, 0x0
	s_barrier
	buffer_gl0_inv
	s_clause 0x4
	scratch_load_b128 v[130:133], off, off offset:312
	scratch_load_b128 v[134:137], off, off offset:328
	;; [unrolled: 1-line block ×5, first 2 shown]
	ds_load_b128 v[150:153], v1 offset:816
	ds_load_b128 v[154:157], v1 offset:832
	scratch_load_b128 v[158:161], off, off offset:392
	s_mov_b32 s0, exec_lo
	s_waitcnt vmcnt(5) lgkmcnt(1)
	v_fma_f64 v[2:3], v[132:133], v[150:151], 0
	s_waitcnt vmcnt(4)
	s_delay_alu instid0(VALU_DEP_1) | instskip(SKIP_4) | instid1(VALU_DEP_1)
	v_fma_f64 v[2:3], v[134:135], v[152:153], v[2:3]
	scratch_load_b128 v[132:135], off, off offset:408
	s_waitcnt lgkmcnt(0)
	v_fma_f64 v[2:3], v[136:137], v[154:155], v[2:3]
	s_waitcnt vmcnt(4)
	v_fma_f64 v[2:3], v[138:139], v[156:157], v[2:3]
	ds_load_b128 v[136:139], v1 offset:848
	ds_load_b128 v[150:153], v1 offset:864
	scratch_load_b128 v[154:157], off, off offset:424
	s_waitcnt lgkmcnt(1)
	v_fma_f64 v[2:3], v[140:141], v[136:137], v[2:3]
	s_waitcnt vmcnt(4)
	s_delay_alu instid0(VALU_DEP_1) | instskip(SKIP_4) | instid1(VALU_DEP_1)
	v_fma_f64 v[2:3], v[142:143], v[138:139], v[2:3]
	scratch_load_b128 v[136:139], off, off offset:440
	s_waitcnt lgkmcnt(0)
	v_fma_f64 v[2:3], v[144:145], v[150:151], v[2:3]
	s_waitcnt vmcnt(4)
	v_fma_f64 v[2:3], v[146:147], v[152:153], v[2:3]
	ds_load_b128 v[140:143], v1 offset:880
	ds_load_b128 v[144:147], v1 offset:896
	s_waitcnt lgkmcnt(1)
	v_fma_f64 v[2:3], v[148:149], v[140:141], v[2:3]
	scratch_load_b128 v[148:151], off, off offset:456
	s_waitcnt vmcnt(4)
	v_fma_f64 v[2:3], v[158:159], v[142:143], v[2:3]
	scratch_load_b128 v[140:143], off, off offset:472
	s_waitcnt lgkmcnt(0)
	v_fma_f64 v[2:3], v[160:161], v[144:145], v[2:3]
	s_waitcnt vmcnt(4)
	s_delay_alu instid0(VALU_DEP_1)
	v_fma_f64 v[2:3], v[132:133], v[146:147], v[2:3]
	ds_load_b128 v[144:147], v1 offset:912
	ds_load_b128 v[158:161], v1 offset:928
	scratch_load_b64 v[152:153], off, off offset:488
	s_waitcnt lgkmcnt(1)
	v_fma_f64 v[2:3], v[134:135], v[144:145], v[2:3]
	s_waitcnt vmcnt(4)
	s_delay_alu instid0(VALU_DEP_1)
	v_fma_f64 v[2:3], v[154:155], v[146:147], v[2:3]
	ds_load_b128 v[132:135], v1 offset:944
	ds_load_b128 v[144:147], v1 offset:960
	s_waitcnt lgkmcnt(2)
	v_fma_f64 v[2:3], v[156:157], v[158:159], v[2:3]
	s_waitcnt vmcnt(3)
	s_delay_alu instid0(VALU_DEP_1) | instskip(SKIP_1) | instid1(VALU_DEP_1)
	v_fma_f64 v[2:3], v[136:137], v[160:161], v[2:3]
	s_waitcnt lgkmcnt(1)
	v_fma_f64 v[2:3], v[138:139], v[132:133], v[2:3]
	s_waitcnt vmcnt(2)
	s_delay_alu instid0(VALU_DEP_1) | instskip(SKIP_1) | instid1(VALU_DEP_1)
	v_fma_f64 v[2:3], v[148:149], v[134:135], v[2:3]
	s_waitcnt lgkmcnt(0)
	v_fma_f64 v[2:3], v[150:151], v[144:145], v[2:3]
	s_waitcnt vmcnt(1)
	s_delay_alu instid0(VALU_DEP_1) | instskip(SKIP_4) | instid1(VALU_DEP_1)
	v_fma_f64 v[132:133], v[140:141], v[146:147], v[2:3]
	ds_load_b128 v[1:4], v1 offset:976
	s_waitcnt lgkmcnt(0)
	v_fma_f64 v[1:2], v[142:143], v[1:2], v[132:133]
	s_waitcnt vmcnt(0)
	v_fma_f64 v[1:2], v[152:153], v[3:4], v[1:2]
	s_delay_alu instid0(VALU_DEP_1)
	v_add_f64 v[1:2], v[130:131], -v[1:2]
	scratch_store_b64 off, v[1:2], off offset:312
	v_cmpx_lt_u32_e32 38, v0
	s_cbranch_execz .LBB61_305
; %bb.304:
	scratch_load_b64 v[1:2], off, off offset:304
	v_mov_b32_e32 v3, 0
	s_delay_alu instid0(VALU_DEP_1)
	v_mov_b32_e32 v4, v3
	scratch_store_b64 off, v[3:4], off offset:304
	s_waitcnt vmcnt(0)
	ds_store_b64 v5, v[1:2]
.LBB61_305:
	s_or_b32 exec_lo, exec_lo, s0
	s_waitcnt lgkmcnt(0)
	s_waitcnt_vscnt null, 0x0
	s_barrier
	buffer_gl0_inv
	s_clause 0x4
	scratch_load_b128 v[130:133], off, off offset:304
	scratch_load_b128 v[134:137], off, off offset:320
	;; [unrolled: 1-line block ×5, first 2 shown]
	v_mov_b32_e32 v1, 0
	ds_load_2addr_b64 v[150:153], v1 offset0:101 offset1:102
	ds_load_2addr_b64 v[154:157], v1 offset0:103 offset1:104
	scratch_load_b128 v[158:161], off, off offset:384
	s_mov_b32 s0, exec_lo
	s_waitcnt vmcnt(5) lgkmcnt(1)
	v_fma_f64 v[2:3], v[132:133], v[150:151], 0
	s_waitcnt vmcnt(4)
	s_delay_alu instid0(VALU_DEP_1) | instskip(SKIP_4) | instid1(VALU_DEP_1)
	v_fma_f64 v[2:3], v[134:135], v[152:153], v[2:3]
	scratch_load_b128 v[132:135], off, off offset:400
	s_waitcnt lgkmcnt(0)
	v_fma_f64 v[2:3], v[136:137], v[154:155], v[2:3]
	s_waitcnt vmcnt(4)
	v_fma_f64 v[2:3], v[138:139], v[156:157], v[2:3]
	ds_load_2addr_b64 v[136:139], v1 offset0:105 offset1:106
	ds_load_2addr_b64 v[150:153], v1 offset0:107 offset1:108
	scratch_load_b128 v[154:157], off, off offset:416
	s_waitcnt lgkmcnt(1)
	v_fma_f64 v[2:3], v[140:141], v[136:137], v[2:3]
	s_waitcnt vmcnt(4)
	s_delay_alu instid0(VALU_DEP_1) | instskip(SKIP_4) | instid1(VALU_DEP_1)
	v_fma_f64 v[2:3], v[142:143], v[138:139], v[2:3]
	scratch_load_b128 v[136:139], off, off offset:432
	s_waitcnt lgkmcnt(0)
	v_fma_f64 v[2:3], v[144:145], v[150:151], v[2:3]
	s_waitcnt vmcnt(4)
	v_fma_f64 v[2:3], v[146:147], v[152:153], v[2:3]
	ds_load_2addr_b64 v[140:143], v1 offset0:109 offset1:110
	ds_load_2addr_b64 v[144:147], v1 offset0:111 offset1:112
	s_waitcnt lgkmcnt(1)
	v_fma_f64 v[2:3], v[148:149], v[140:141], v[2:3]
	scratch_load_b128 v[148:151], off, off offset:448
	s_waitcnt vmcnt(4)
	v_fma_f64 v[2:3], v[158:159], v[142:143], v[2:3]
	scratch_load_b128 v[140:143], off, off offset:464
	s_waitcnt lgkmcnt(0)
	v_fma_f64 v[2:3], v[160:161], v[144:145], v[2:3]
	s_waitcnt vmcnt(4)
	s_delay_alu instid0(VALU_DEP_1)
	v_fma_f64 v[2:3], v[132:133], v[146:147], v[2:3]
	ds_load_2addr_b64 v[144:147], v1 offset0:113 offset1:114
	ds_load_2addr_b64 v[158:161], v1 offset0:115 offset1:116
	s_waitcnt lgkmcnt(1)
	v_fma_f64 v[2:3], v[134:135], v[144:145], v[2:3]
	scratch_load_b128 v[132:135], off, off offset:480
	s_waitcnt vmcnt(4)
	v_fma_f64 v[2:3], v[154:155], v[146:147], v[2:3]
	ds_load_2addr_b64 v[144:147], v1 offset0:117 offset1:118
	ds_load_2addr_b64 v[152:155], v1 offset0:119 offset1:120
	s_waitcnt lgkmcnt(2)
	v_fma_f64 v[2:3], v[156:157], v[158:159], v[2:3]
	s_waitcnt vmcnt(3)
	s_delay_alu instid0(VALU_DEP_1) | instskip(SKIP_1) | instid1(VALU_DEP_1)
	v_fma_f64 v[2:3], v[136:137], v[160:161], v[2:3]
	s_waitcnt lgkmcnt(1)
	v_fma_f64 v[2:3], v[138:139], v[144:145], v[2:3]
	s_waitcnt vmcnt(2)
	s_delay_alu instid0(VALU_DEP_1) | instskip(SKIP_1) | instid1(VALU_DEP_1)
	v_fma_f64 v[2:3], v[148:149], v[146:147], v[2:3]
	s_waitcnt lgkmcnt(0)
	v_fma_f64 v[2:3], v[150:151], v[152:153], v[2:3]
	s_waitcnt vmcnt(1)
	s_delay_alu instid0(VALU_DEP_1)
	v_fma_f64 v[2:3], v[140:141], v[154:155], v[2:3]
	ds_load_2addr_b64 v[136:139], v1 offset0:121 offset1:122
	ds_load_b64 v[140:141], v1 offset:984
	s_waitcnt lgkmcnt(1)
	v_fma_f64 v[2:3], v[142:143], v[136:137], v[2:3]
	s_waitcnt vmcnt(0)
	s_delay_alu instid0(VALU_DEP_1) | instskip(SKIP_1) | instid1(VALU_DEP_1)
	v_fma_f64 v[2:3], v[132:133], v[138:139], v[2:3]
	s_waitcnt lgkmcnt(0)
	v_fma_f64 v[2:3], v[134:135], v[140:141], v[2:3]
	s_delay_alu instid0(VALU_DEP_1)
	v_add_f64 v[2:3], v[130:131], -v[2:3]
	scratch_store_b64 off, v[2:3], off offset:304
	v_cmpx_lt_u32_e32 37, v0
	s_cbranch_execz .LBB61_307
; %bb.306:
	scratch_load_b64 v[3:4], off, off offset:296
	v_mov_b32_e32 v2, v1
	scratch_store_b64 off, v[1:2], off offset:296
	s_waitcnt vmcnt(0)
	ds_store_b64 v5, v[3:4]
.LBB61_307:
	s_or_b32 exec_lo, exec_lo, s0
	s_waitcnt lgkmcnt(0)
	s_waitcnt_vscnt null, 0x0
	s_barrier
	buffer_gl0_inv
	s_clause 0x4
	scratch_load_b128 v[130:133], off, off offset:296
	scratch_load_b128 v[134:137], off, off offset:312
	;; [unrolled: 1-line block ×5, first 2 shown]
	ds_load_b128 v[150:153], v1 offset:800
	ds_load_b128 v[154:157], v1 offset:816
	scratch_load_b128 v[158:161], off, off offset:376
	s_mov_b32 s0, exec_lo
	s_waitcnt vmcnt(5) lgkmcnt(1)
	v_fma_f64 v[2:3], v[132:133], v[150:151], 0
	s_waitcnt vmcnt(4)
	s_delay_alu instid0(VALU_DEP_1) | instskip(SKIP_4) | instid1(VALU_DEP_1)
	v_fma_f64 v[2:3], v[134:135], v[152:153], v[2:3]
	scratch_load_b128 v[132:135], off, off offset:392
	s_waitcnt lgkmcnt(0)
	v_fma_f64 v[2:3], v[136:137], v[154:155], v[2:3]
	s_waitcnt vmcnt(4)
	v_fma_f64 v[2:3], v[138:139], v[156:157], v[2:3]
	ds_load_b128 v[136:139], v1 offset:832
	ds_load_b128 v[150:153], v1 offset:848
	scratch_load_b128 v[154:157], off, off offset:408
	s_waitcnt lgkmcnt(1)
	v_fma_f64 v[2:3], v[140:141], v[136:137], v[2:3]
	s_waitcnt vmcnt(4)
	s_delay_alu instid0(VALU_DEP_1) | instskip(SKIP_4) | instid1(VALU_DEP_1)
	v_fma_f64 v[2:3], v[142:143], v[138:139], v[2:3]
	scratch_load_b128 v[136:139], off, off offset:424
	s_waitcnt lgkmcnt(0)
	v_fma_f64 v[2:3], v[144:145], v[150:151], v[2:3]
	s_waitcnt vmcnt(4)
	v_fma_f64 v[2:3], v[146:147], v[152:153], v[2:3]
	ds_load_b128 v[140:143], v1 offset:864
	ds_load_b128 v[144:147], v1 offset:880
	s_waitcnt lgkmcnt(1)
	v_fma_f64 v[2:3], v[148:149], v[140:141], v[2:3]
	scratch_load_b128 v[148:151], off, off offset:440
	s_waitcnt vmcnt(4)
	v_fma_f64 v[2:3], v[158:159], v[142:143], v[2:3]
	scratch_load_b128 v[140:143], off, off offset:456
	s_waitcnt lgkmcnt(0)
	v_fma_f64 v[2:3], v[160:161], v[144:145], v[2:3]
	s_waitcnt vmcnt(4)
	s_delay_alu instid0(VALU_DEP_1)
	v_fma_f64 v[2:3], v[132:133], v[146:147], v[2:3]
	ds_load_b128 v[144:147], v1 offset:896
	ds_load_b128 v[158:161], v1 offset:912
	s_waitcnt lgkmcnt(1)
	v_fma_f64 v[2:3], v[134:135], v[144:145], v[2:3]
	scratch_load_b128 v[132:135], off, off offset:472
	s_waitcnt vmcnt(4)
	v_fma_f64 v[2:3], v[154:155], v[146:147], v[2:3]
	s_waitcnt lgkmcnt(0)
	s_delay_alu instid0(VALU_DEP_1)
	v_fma_f64 v[2:3], v[156:157], v[158:159], v[2:3]
	scratch_load_b64 v[156:157], off, off offset:488
	ds_load_b128 v[144:147], v1 offset:928
	ds_load_b128 v[152:155], v1 offset:944
	s_waitcnt vmcnt(4)
	v_fma_f64 v[2:3], v[136:137], v[160:161], v[2:3]
	s_waitcnt lgkmcnt(1)
	s_delay_alu instid0(VALU_DEP_1) | instskip(SKIP_1) | instid1(VALU_DEP_1)
	v_fma_f64 v[2:3], v[138:139], v[144:145], v[2:3]
	s_waitcnt vmcnt(3)
	v_fma_f64 v[2:3], v[148:149], v[146:147], v[2:3]
	s_waitcnt lgkmcnt(0)
	s_delay_alu instid0(VALU_DEP_1) | instskip(SKIP_1) | instid1(VALU_DEP_1)
	v_fma_f64 v[2:3], v[150:151], v[152:153], v[2:3]
	s_waitcnt vmcnt(2)
	v_fma_f64 v[140:141], v[140:141], v[154:155], v[2:3]
	ds_load_b128 v[136:139], v1 offset:960
	ds_load_b128 v[1:4], v1 offset:976
	s_waitcnt lgkmcnt(1)
	v_fma_f64 v[136:137], v[142:143], v[136:137], v[140:141]
	s_waitcnt vmcnt(1)
	s_delay_alu instid0(VALU_DEP_1) | instskip(SKIP_1) | instid1(VALU_DEP_1)
	v_fma_f64 v[132:133], v[132:133], v[138:139], v[136:137]
	s_waitcnt lgkmcnt(0)
	v_fma_f64 v[1:2], v[134:135], v[1:2], v[132:133]
	s_waitcnt vmcnt(0)
	s_delay_alu instid0(VALU_DEP_1) | instskip(NEXT) | instid1(VALU_DEP_1)
	v_fma_f64 v[1:2], v[156:157], v[3:4], v[1:2]
	v_add_f64 v[1:2], v[130:131], -v[1:2]
	scratch_store_b64 off, v[1:2], off offset:296
	v_cmpx_lt_u32_e32 36, v0
	s_cbranch_execz .LBB61_309
; %bb.308:
	scratch_load_b64 v[1:2], off, off offset:288
	v_mov_b32_e32 v3, 0
	s_delay_alu instid0(VALU_DEP_1)
	v_mov_b32_e32 v4, v3
	scratch_store_b64 off, v[3:4], off offset:288
	s_waitcnt vmcnt(0)
	ds_store_b64 v5, v[1:2]
.LBB61_309:
	s_or_b32 exec_lo, exec_lo, s0
	s_waitcnt lgkmcnt(0)
	s_waitcnt_vscnt null, 0x0
	s_barrier
	buffer_gl0_inv
	s_clause 0x4
	scratch_load_b128 v[130:133], off, off offset:288
	scratch_load_b128 v[134:137], off, off offset:304
	;; [unrolled: 1-line block ×5, first 2 shown]
	v_mov_b32_e32 v1, 0
	ds_load_2addr_b64 v[150:153], v1 offset0:99 offset1:100
	ds_load_2addr_b64 v[154:157], v1 offset0:101 offset1:102
	scratch_load_b128 v[158:161], off, off offset:368
	s_mov_b32 s0, exec_lo
	s_waitcnt vmcnt(5) lgkmcnt(1)
	v_fma_f64 v[2:3], v[132:133], v[150:151], 0
	s_waitcnt vmcnt(4)
	s_delay_alu instid0(VALU_DEP_1) | instskip(SKIP_4) | instid1(VALU_DEP_1)
	v_fma_f64 v[2:3], v[134:135], v[152:153], v[2:3]
	scratch_load_b128 v[132:135], off, off offset:384
	s_waitcnt lgkmcnt(0)
	v_fma_f64 v[2:3], v[136:137], v[154:155], v[2:3]
	s_waitcnt vmcnt(4)
	v_fma_f64 v[2:3], v[138:139], v[156:157], v[2:3]
	ds_load_2addr_b64 v[136:139], v1 offset0:103 offset1:104
	ds_load_2addr_b64 v[150:153], v1 offset0:105 offset1:106
	scratch_load_b128 v[154:157], off, off offset:400
	s_waitcnt lgkmcnt(1)
	v_fma_f64 v[2:3], v[140:141], v[136:137], v[2:3]
	s_waitcnt vmcnt(4)
	s_delay_alu instid0(VALU_DEP_1) | instskip(SKIP_4) | instid1(VALU_DEP_1)
	v_fma_f64 v[2:3], v[142:143], v[138:139], v[2:3]
	scratch_load_b128 v[136:139], off, off offset:416
	s_waitcnt lgkmcnt(0)
	v_fma_f64 v[2:3], v[144:145], v[150:151], v[2:3]
	s_waitcnt vmcnt(4)
	v_fma_f64 v[2:3], v[146:147], v[152:153], v[2:3]
	ds_load_2addr_b64 v[140:143], v1 offset0:107 offset1:108
	ds_load_2addr_b64 v[144:147], v1 offset0:109 offset1:110
	s_waitcnt lgkmcnt(1)
	v_fma_f64 v[2:3], v[148:149], v[140:141], v[2:3]
	scratch_load_b128 v[148:151], off, off offset:432
	s_waitcnt vmcnt(4)
	v_fma_f64 v[2:3], v[158:159], v[142:143], v[2:3]
	scratch_load_b128 v[140:143], off, off offset:448
	s_waitcnt lgkmcnt(0)
	v_fma_f64 v[2:3], v[160:161], v[144:145], v[2:3]
	s_waitcnt vmcnt(4)
	s_delay_alu instid0(VALU_DEP_1)
	v_fma_f64 v[2:3], v[132:133], v[146:147], v[2:3]
	ds_load_2addr_b64 v[144:147], v1 offset0:111 offset1:112
	ds_load_2addr_b64 v[158:161], v1 offset0:113 offset1:114
	s_waitcnt lgkmcnt(1)
	v_fma_f64 v[2:3], v[134:135], v[144:145], v[2:3]
	scratch_load_b128 v[132:135], off, off offset:464
	s_waitcnt vmcnt(4)
	v_fma_f64 v[2:3], v[154:155], v[146:147], v[2:3]
	scratch_load_b128 v[144:147], off, off offset:480
	s_waitcnt lgkmcnt(0)
	v_fma_f64 v[2:3], v[156:157], v[158:159], v[2:3]
	ds_load_2addr_b64 v[152:155], v1 offset0:115 offset1:116
	ds_load_2addr_b64 v[156:159], v1 offset0:117 offset1:118
	s_waitcnt vmcnt(4)
	v_fma_f64 v[2:3], v[136:137], v[160:161], v[2:3]
	s_waitcnt lgkmcnt(1)
	s_delay_alu instid0(VALU_DEP_1) | instskip(SKIP_1) | instid1(VALU_DEP_1)
	v_fma_f64 v[2:3], v[138:139], v[152:153], v[2:3]
	s_waitcnt vmcnt(3)
	v_fma_f64 v[2:3], v[148:149], v[154:155], v[2:3]
	s_waitcnt lgkmcnt(0)
	s_delay_alu instid0(VALU_DEP_1)
	v_fma_f64 v[2:3], v[150:151], v[156:157], v[2:3]
	ds_load_2addr_b64 v[136:139], v1 offset0:119 offset1:120
	ds_load_2addr_b64 v[148:151], v1 offset0:121 offset1:122
	s_waitcnt vmcnt(2)
	v_fma_f64 v[2:3], v[140:141], v[158:159], v[2:3]
	s_waitcnt lgkmcnt(1)
	s_delay_alu instid0(VALU_DEP_1) | instskip(SKIP_1) | instid1(VALU_DEP_1)
	v_fma_f64 v[2:3], v[142:143], v[136:137], v[2:3]
	s_waitcnt vmcnt(1)
	v_fma_f64 v[2:3], v[132:133], v[138:139], v[2:3]
	ds_load_b64 v[132:133], v1 offset:984
	s_waitcnt lgkmcnt(1)
	v_fma_f64 v[2:3], v[134:135], v[148:149], v[2:3]
	s_waitcnt vmcnt(0)
	s_delay_alu instid0(VALU_DEP_1) | instskip(SKIP_1) | instid1(VALU_DEP_1)
	v_fma_f64 v[2:3], v[144:145], v[150:151], v[2:3]
	s_waitcnt lgkmcnt(0)
	v_fma_f64 v[2:3], v[146:147], v[132:133], v[2:3]
	s_delay_alu instid0(VALU_DEP_1)
	v_add_f64 v[2:3], v[130:131], -v[2:3]
	scratch_store_b64 off, v[2:3], off offset:288
	v_cmpx_lt_u32_e32 35, v0
	s_cbranch_execz .LBB61_311
; %bb.310:
	scratch_load_b64 v[3:4], off, off offset:280
	v_mov_b32_e32 v2, v1
	scratch_store_b64 off, v[1:2], off offset:280
	s_waitcnt vmcnt(0)
	ds_store_b64 v5, v[3:4]
.LBB61_311:
	s_or_b32 exec_lo, exec_lo, s0
	s_waitcnt lgkmcnt(0)
	s_waitcnt_vscnt null, 0x0
	s_barrier
	buffer_gl0_inv
	s_clause 0x4
	scratch_load_b128 v[130:133], off, off offset:280
	scratch_load_b128 v[134:137], off, off offset:296
	scratch_load_b128 v[138:141], off, off offset:312
	scratch_load_b128 v[142:145], off, off offset:328
	scratch_load_b128 v[146:149], off, off offset:344
	ds_load_b128 v[150:153], v1 offset:784
	ds_load_b128 v[154:157], v1 offset:800
	scratch_load_b128 v[158:161], off, off offset:360
	s_mov_b32 s0, exec_lo
	s_waitcnt vmcnt(5) lgkmcnt(1)
	v_fma_f64 v[2:3], v[132:133], v[150:151], 0
	s_waitcnt vmcnt(4)
	s_delay_alu instid0(VALU_DEP_1) | instskip(SKIP_4) | instid1(VALU_DEP_1)
	v_fma_f64 v[2:3], v[134:135], v[152:153], v[2:3]
	scratch_load_b128 v[132:135], off, off offset:376
	s_waitcnt lgkmcnt(0)
	v_fma_f64 v[2:3], v[136:137], v[154:155], v[2:3]
	s_waitcnt vmcnt(4)
	v_fma_f64 v[2:3], v[138:139], v[156:157], v[2:3]
	ds_load_b128 v[136:139], v1 offset:816
	ds_load_b128 v[150:153], v1 offset:832
	scratch_load_b128 v[154:157], off, off offset:392
	s_waitcnt lgkmcnt(1)
	v_fma_f64 v[2:3], v[140:141], v[136:137], v[2:3]
	s_waitcnt vmcnt(4)
	s_delay_alu instid0(VALU_DEP_1) | instskip(SKIP_4) | instid1(VALU_DEP_1)
	v_fma_f64 v[2:3], v[142:143], v[138:139], v[2:3]
	scratch_load_b128 v[136:139], off, off offset:408
	s_waitcnt lgkmcnt(0)
	v_fma_f64 v[2:3], v[144:145], v[150:151], v[2:3]
	s_waitcnt vmcnt(4)
	v_fma_f64 v[2:3], v[146:147], v[152:153], v[2:3]
	ds_load_b128 v[140:143], v1 offset:848
	ds_load_b128 v[144:147], v1 offset:864
	s_waitcnt lgkmcnt(1)
	v_fma_f64 v[2:3], v[148:149], v[140:141], v[2:3]
	scratch_load_b128 v[148:151], off, off offset:424
	s_waitcnt vmcnt(4)
	v_fma_f64 v[2:3], v[158:159], v[142:143], v[2:3]
	scratch_load_b128 v[140:143], off, off offset:440
	s_waitcnt lgkmcnt(0)
	v_fma_f64 v[2:3], v[160:161], v[144:145], v[2:3]
	s_waitcnt vmcnt(4)
	s_delay_alu instid0(VALU_DEP_1)
	v_fma_f64 v[2:3], v[132:133], v[146:147], v[2:3]
	ds_load_b128 v[144:147], v1 offset:880
	ds_load_b128 v[158:161], v1 offset:896
	s_waitcnt lgkmcnt(1)
	v_fma_f64 v[2:3], v[134:135], v[144:145], v[2:3]
	scratch_load_b128 v[132:135], off, off offset:456
	s_waitcnt vmcnt(4)
	v_fma_f64 v[2:3], v[154:155], v[146:147], v[2:3]
	scratch_load_b128 v[144:147], off, off offset:472
	s_waitcnt lgkmcnt(0)
	v_fma_f64 v[2:3], v[156:157], v[158:159], v[2:3]
	ds_load_b128 v[152:155], v1 offset:912
	ds_load_b128 v[156:159], v1 offset:928
	s_waitcnt vmcnt(4)
	v_fma_f64 v[2:3], v[136:137], v[160:161], v[2:3]
	s_waitcnt lgkmcnt(1)
	s_delay_alu instid0(VALU_DEP_1) | instskip(SKIP_4) | instid1(VALU_DEP_1)
	v_fma_f64 v[2:3], v[138:139], v[152:153], v[2:3]
	scratch_load_b64 v[152:153], off, off offset:488
	s_waitcnt vmcnt(4)
	v_fma_f64 v[2:3], v[148:149], v[154:155], v[2:3]
	s_waitcnt lgkmcnt(0)
	v_fma_f64 v[2:3], v[150:151], v[156:157], v[2:3]
	ds_load_b128 v[136:139], v1 offset:944
	ds_load_b128 v[148:151], v1 offset:960
	s_waitcnt vmcnt(3)
	v_fma_f64 v[2:3], v[140:141], v[158:159], v[2:3]
	s_waitcnt lgkmcnt(1)
	s_delay_alu instid0(VALU_DEP_1) | instskip(SKIP_1) | instid1(VALU_DEP_1)
	v_fma_f64 v[2:3], v[142:143], v[136:137], v[2:3]
	s_waitcnt vmcnt(2)
	v_fma_f64 v[2:3], v[132:133], v[138:139], v[2:3]
	s_waitcnt lgkmcnt(0)
	s_delay_alu instid0(VALU_DEP_1) | instskip(SKIP_1) | instid1(VALU_DEP_1)
	v_fma_f64 v[2:3], v[134:135], v[148:149], v[2:3]
	s_waitcnt vmcnt(1)
	v_fma_f64 v[132:133], v[144:145], v[150:151], v[2:3]
	ds_load_b128 v[1:4], v1 offset:976
	s_waitcnt lgkmcnt(0)
	v_fma_f64 v[1:2], v[146:147], v[1:2], v[132:133]
	s_waitcnt vmcnt(0)
	s_delay_alu instid0(VALU_DEP_1) | instskip(NEXT) | instid1(VALU_DEP_1)
	v_fma_f64 v[1:2], v[152:153], v[3:4], v[1:2]
	v_add_f64 v[1:2], v[130:131], -v[1:2]
	scratch_store_b64 off, v[1:2], off offset:280
	v_cmpx_lt_u32_e32 34, v0
	s_cbranch_execz .LBB61_313
; %bb.312:
	scratch_load_b64 v[1:2], off, off offset:272
	v_mov_b32_e32 v3, 0
	s_delay_alu instid0(VALU_DEP_1)
	v_mov_b32_e32 v4, v3
	scratch_store_b64 off, v[3:4], off offset:272
	s_waitcnt vmcnt(0)
	ds_store_b64 v5, v[1:2]
.LBB61_313:
	s_or_b32 exec_lo, exec_lo, s0
	s_waitcnt lgkmcnt(0)
	s_waitcnt_vscnt null, 0x0
	s_barrier
	buffer_gl0_inv
	s_clause 0x4
	scratch_load_b128 v[130:133], off, off offset:272
	scratch_load_b128 v[134:137], off, off offset:288
	;; [unrolled: 1-line block ×5, first 2 shown]
	v_mov_b32_e32 v1, 0
	ds_load_2addr_b64 v[150:153], v1 offset0:97 offset1:98
	ds_load_2addr_b64 v[154:157], v1 offset0:99 offset1:100
	scratch_load_b128 v[158:161], off, off offset:352
	s_mov_b32 s0, exec_lo
	s_waitcnt vmcnt(5) lgkmcnt(1)
	v_fma_f64 v[2:3], v[132:133], v[150:151], 0
	s_waitcnt vmcnt(4)
	s_delay_alu instid0(VALU_DEP_1) | instskip(SKIP_4) | instid1(VALU_DEP_1)
	v_fma_f64 v[2:3], v[134:135], v[152:153], v[2:3]
	scratch_load_b128 v[132:135], off, off offset:368
	s_waitcnt lgkmcnt(0)
	v_fma_f64 v[2:3], v[136:137], v[154:155], v[2:3]
	s_waitcnt vmcnt(4)
	v_fma_f64 v[2:3], v[138:139], v[156:157], v[2:3]
	ds_load_2addr_b64 v[136:139], v1 offset0:101 offset1:102
	ds_load_2addr_b64 v[150:153], v1 offset0:103 offset1:104
	scratch_load_b128 v[154:157], off, off offset:384
	s_waitcnt lgkmcnt(1)
	v_fma_f64 v[2:3], v[140:141], v[136:137], v[2:3]
	s_waitcnt vmcnt(4)
	s_delay_alu instid0(VALU_DEP_1) | instskip(SKIP_4) | instid1(VALU_DEP_1)
	v_fma_f64 v[2:3], v[142:143], v[138:139], v[2:3]
	scratch_load_b128 v[136:139], off, off offset:400
	s_waitcnt lgkmcnt(0)
	v_fma_f64 v[2:3], v[144:145], v[150:151], v[2:3]
	s_waitcnt vmcnt(4)
	v_fma_f64 v[2:3], v[146:147], v[152:153], v[2:3]
	ds_load_2addr_b64 v[140:143], v1 offset0:105 offset1:106
	ds_load_2addr_b64 v[144:147], v1 offset0:107 offset1:108
	s_waitcnt lgkmcnt(1)
	v_fma_f64 v[2:3], v[148:149], v[140:141], v[2:3]
	scratch_load_b128 v[148:151], off, off offset:416
	s_waitcnt vmcnt(4)
	v_fma_f64 v[2:3], v[158:159], v[142:143], v[2:3]
	scratch_load_b128 v[140:143], off, off offset:432
	s_waitcnt lgkmcnt(0)
	v_fma_f64 v[2:3], v[160:161], v[144:145], v[2:3]
	s_waitcnt vmcnt(4)
	s_delay_alu instid0(VALU_DEP_1)
	v_fma_f64 v[2:3], v[132:133], v[146:147], v[2:3]
	ds_load_2addr_b64 v[144:147], v1 offset0:109 offset1:110
	ds_load_2addr_b64 v[158:161], v1 offset0:111 offset1:112
	s_waitcnt lgkmcnt(1)
	v_fma_f64 v[2:3], v[134:135], v[144:145], v[2:3]
	scratch_load_b128 v[132:135], off, off offset:448
	s_waitcnt vmcnt(4)
	v_fma_f64 v[2:3], v[154:155], v[146:147], v[2:3]
	scratch_load_b128 v[144:147], off, off offset:464
	s_waitcnt lgkmcnt(0)
	v_fma_f64 v[2:3], v[156:157], v[158:159], v[2:3]
	ds_load_2addr_b64 v[152:155], v1 offset0:113 offset1:114
	ds_load_2addr_b64 v[156:159], v1 offset0:115 offset1:116
	s_waitcnt vmcnt(4)
	v_fma_f64 v[2:3], v[136:137], v[160:161], v[2:3]
	s_waitcnt lgkmcnt(1)
	s_delay_alu instid0(VALU_DEP_1) | instskip(SKIP_4) | instid1(VALU_DEP_1)
	v_fma_f64 v[2:3], v[138:139], v[152:153], v[2:3]
	scratch_load_b128 v[136:139], off, off offset:480
	s_waitcnt vmcnt(4)
	v_fma_f64 v[2:3], v[148:149], v[154:155], v[2:3]
	s_waitcnt lgkmcnt(0)
	v_fma_f64 v[2:3], v[150:151], v[156:157], v[2:3]
	ds_load_2addr_b64 v[148:151], v1 offset0:117 offset1:118
	ds_load_2addr_b64 v[152:155], v1 offset0:119 offset1:120
	s_waitcnt vmcnt(3)
	v_fma_f64 v[2:3], v[140:141], v[158:159], v[2:3]
	s_waitcnt lgkmcnt(1)
	s_delay_alu instid0(VALU_DEP_1) | instskip(SKIP_1) | instid1(VALU_DEP_1)
	v_fma_f64 v[2:3], v[142:143], v[148:149], v[2:3]
	s_waitcnt vmcnt(2)
	v_fma_f64 v[2:3], v[132:133], v[150:151], v[2:3]
	s_waitcnt lgkmcnt(0)
	s_delay_alu instid0(VALU_DEP_1)
	v_fma_f64 v[2:3], v[134:135], v[152:153], v[2:3]
	ds_load_2addr_b64 v[132:135], v1 offset0:121 offset1:122
	ds_load_b64 v[140:141], v1 offset:984
	s_waitcnt vmcnt(1)
	v_fma_f64 v[2:3], v[144:145], v[154:155], v[2:3]
	s_waitcnt lgkmcnt(1)
	s_delay_alu instid0(VALU_DEP_1) | instskip(SKIP_1) | instid1(VALU_DEP_1)
	v_fma_f64 v[2:3], v[146:147], v[132:133], v[2:3]
	s_waitcnt vmcnt(0)
	v_fma_f64 v[2:3], v[136:137], v[134:135], v[2:3]
	s_waitcnt lgkmcnt(0)
	s_delay_alu instid0(VALU_DEP_1) | instskip(NEXT) | instid1(VALU_DEP_1)
	v_fma_f64 v[2:3], v[138:139], v[140:141], v[2:3]
	v_add_f64 v[2:3], v[130:131], -v[2:3]
	scratch_store_b64 off, v[2:3], off offset:272
	v_cmpx_lt_u32_e32 33, v0
	s_cbranch_execz .LBB61_315
; %bb.314:
	scratch_load_b64 v[3:4], off, off offset:264
	v_mov_b32_e32 v2, v1
	scratch_store_b64 off, v[1:2], off offset:264
	s_waitcnt vmcnt(0)
	ds_store_b64 v5, v[3:4]
.LBB61_315:
	s_or_b32 exec_lo, exec_lo, s0
	s_waitcnt lgkmcnt(0)
	s_waitcnt_vscnt null, 0x0
	s_barrier
	buffer_gl0_inv
	s_clause 0x4
	scratch_load_b128 v[130:133], off, off offset:264
	scratch_load_b128 v[134:137], off, off offset:280
	;; [unrolled: 1-line block ×5, first 2 shown]
	ds_load_b128 v[150:153], v1 offset:768
	ds_load_b128 v[154:157], v1 offset:784
	scratch_load_b128 v[158:161], off, off offset:344
	s_mov_b32 s0, exec_lo
	s_waitcnt vmcnt(5) lgkmcnt(1)
	v_fma_f64 v[2:3], v[132:133], v[150:151], 0
	s_waitcnt vmcnt(4)
	s_delay_alu instid0(VALU_DEP_1) | instskip(SKIP_4) | instid1(VALU_DEP_1)
	v_fma_f64 v[2:3], v[134:135], v[152:153], v[2:3]
	scratch_load_b128 v[132:135], off, off offset:360
	s_waitcnt lgkmcnt(0)
	v_fma_f64 v[2:3], v[136:137], v[154:155], v[2:3]
	s_waitcnt vmcnt(4)
	v_fma_f64 v[2:3], v[138:139], v[156:157], v[2:3]
	ds_load_b128 v[136:139], v1 offset:800
	ds_load_b128 v[150:153], v1 offset:816
	scratch_load_b128 v[154:157], off, off offset:376
	s_waitcnt lgkmcnt(1)
	v_fma_f64 v[2:3], v[140:141], v[136:137], v[2:3]
	s_waitcnt vmcnt(4)
	s_delay_alu instid0(VALU_DEP_1) | instskip(SKIP_4) | instid1(VALU_DEP_1)
	v_fma_f64 v[2:3], v[142:143], v[138:139], v[2:3]
	scratch_load_b128 v[136:139], off, off offset:392
	s_waitcnt lgkmcnt(0)
	v_fma_f64 v[2:3], v[144:145], v[150:151], v[2:3]
	s_waitcnt vmcnt(4)
	v_fma_f64 v[2:3], v[146:147], v[152:153], v[2:3]
	ds_load_b128 v[140:143], v1 offset:832
	ds_load_b128 v[144:147], v1 offset:848
	s_waitcnt lgkmcnt(1)
	v_fma_f64 v[2:3], v[148:149], v[140:141], v[2:3]
	scratch_load_b128 v[148:151], off, off offset:408
	s_waitcnt vmcnt(4)
	v_fma_f64 v[2:3], v[158:159], v[142:143], v[2:3]
	scratch_load_b128 v[140:143], off, off offset:424
	s_waitcnt lgkmcnt(0)
	v_fma_f64 v[2:3], v[160:161], v[144:145], v[2:3]
	s_waitcnt vmcnt(4)
	s_delay_alu instid0(VALU_DEP_1)
	v_fma_f64 v[2:3], v[132:133], v[146:147], v[2:3]
	ds_load_b128 v[144:147], v1 offset:864
	ds_load_b128 v[158:161], v1 offset:880
	s_waitcnt lgkmcnt(1)
	v_fma_f64 v[2:3], v[134:135], v[144:145], v[2:3]
	scratch_load_b128 v[132:135], off, off offset:440
	s_waitcnt vmcnt(4)
	v_fma_f64 v[2:3], v[154:155], v[146:147], v[2:3]
	scratch_load_b128 v[144:147], off, off offset:456
	s_waitcnt lgkmcnt(0)
	v_fma_f64 v[2:3], v[156:157], v[158:159], v[2:3]
	ds_load_b128 v[152:155], v1 offset:896
	ds_load_b128 v[156:159], v1 offset:912
	s_waitcnt vmcnt(4)
	v_fma_f64 v[2:3], v[136:137], v[160:161], v[2:3]
	s_waitcnt lgkmcnt(1)
	s_delay_alu instid0(VALU_DEP_1) | instskip(SKIP_4) | instid1(VALU_DEP_1)
	v_fma_f64 v[2:3], v[138:139], v[152:153], v[2:3]
	scratch_load_b128 v[136:139], off, off offset:472
	s_waitcnt vmcnt(4)
	v_fma_f64 v[2:3], v[148:149], v[154:155], v[2:3]
	s_waitcnt lgkmcnt(0)
	v_fma_f64 v[2:3], v[150:151], v[156:157], v[2:3]
	scratch_load_b64 v[156:157], off, off offset:488
	ds_load_b128 v[148:151], v1 offset:928
	ds_load_b128 v[152:155], v1 offset:944
	s_waitcnt vmcnt(4)
	v_fma_f64 v[2:3], v[140:141], v[158:159], v[2:3]
	s_waitcnt lgkmcnt(1)
	s_delay_alu instid0(VALU_DEP_1) | instskip(SKIP_1) | instid1(VALU_DEP_1)
	v_fma_f64 v[2:3], v[142:143], v[148:149], v[2:3]
	s_waitcnt vmcnt(3)
	v_fma_f64 v[2:3], v[132:133], v[150:151], v[2:3]
	s_waitcnt lgkmcnt(0)
	s_delay_alu instid0(VALU_DEP_1) | instskip(SKIP_1) | instid1(VALU_DEP_1)
	v_fma_f64 v[2:3], v[134:135], v[152:153], v[2:3]
	s_waitcnt vmcnt(2)
	v_fma_f64 v[140:141], v[144:145], v[154:155], v[2:3]
	ds_load_b128 v[132:135], v1 offset:960
	ds_load_b128 v[1:4], v1 offset:976
	s_waitcnt lgkmcnt(1)
	v_fma_f64 v[132:133], v[146:147], v[132:133], v[140:141]
	s_waitcnt vmcnt(1)
	s_delay_alu instid0(VALU_DEP_1) | instskip(SKIP_1) | instid1(VALU_DEP_1)
	v_fma_f64 v[132:133], v[136:137], v[134:135], v[132:133]
	s_waitcnt lgkmcnt(0)
	v_fma_f64 v[1:2], v[138:139], v[1:2], v[132:133]
	s_waitcnt vmcnt(0)
	s_delay_alu instid0(VALU_DEP_1) | instskip(NEXT) | instid1(VALU_DEP_1)
	v_fma_f64 v[1:2], v[156:157], v[3:4], v[1:2]
	v_add_f64 v[1:2], v[130:131], -v[1:2]
	scratch_store_b64 off, v[1:2], off offset:264
	v_cmpx_lt_u32_e32 32, v0
	s_cbranch_execz .LBB61_317
; %bb.316:
	scratch_load_b64 v[1:2], off, off offset:256
	v_mov_b32_e32 v3, 0
	s_delay_alu instid0(VALU_DEP_1)
	v_mov_b32_e32 v4, v3
	scratch_store_b64 off, v[3:4], off offset:256
	s_waitcnt vmcnt(0)
	ds_store_b64 v5, v[1:2]
.LBB61_317:
	s_or_b32 exec_lo, exec_lo, s0
	s_waitcnt lgkmcnt(0)
	s_waitcnt_vscnt null, 0x0
	s_barrier
	buffer_gl0_inv
	s_clause 0x4
	scratch_load_b128 v[130:133], off, off offset:256
	scratch_load_b128 v[134:137], off, off offset:272
	;; [unrolled: 1-line block ×5, first 2 shown]
	v_mov_b32_e32 v1, 0
	ds_load_2addr_b64 v[150:153], v1 offset0:95 offset1:96
	ds_load_2addr_b64 v[154:157], v1 offset0:97 offset1:98
	scratch_load_b128 v[158:161], off, off offset:336
	s_mov_b32 s0, exec_lo
	s_waitcnt vmcnt(5) lgkmcnt(1)
	v_fma_f64 v[2:3], v[132:133], v[150:151], 0
	s_waitcnt vmcnt(4)
	s_delay_alu instid0(VALU_DEP_1) | instskip(SKIP_4) | instid1(VALU_DEP_1)
	v_fma_f64 v[2:3], v[134:135], v[152:153], v[2:3]
	scratch_load_b128 v[132:135], off, off offset:352
	s_waitcnt lgkmcnt(0)
	v_fma_f64 v[2:3], v[136:137], v[154:155], v[2:3]
	s_waitcnt vmcnt(4)
	v_fma_f64 v[2:3], v[138:139], v[156:157], v[2:3]
	ds_load_2addr_b64 v[136:139], v1 offset0:99 offset1:100
	ds_load_2addr_b64 v[150:153], v1 offset0:101 offset1:102
	scratch_load_b128 v[154:157], off, off offset:368
	s_waitcnt lgkmcnt(1)
	v_fma_f64 v[2:3], v[140:141], v[136:137], v[2:3]
	s_waitcnt vmcnt(4)
	s_delay_alu instid0(VALU_DEP_1) | instskip(SKIP_4) | instid1(VALU_DEP_1)
	v_fma_f64 v[2:3], v[142:143], v[138:139], v[2:3]
	scratch_load_b128 v[136:139], off, off offset:384
	s_waitcnt lgkmcnt(0)
	v_fma_f64 v[2:3], v[144:145], v[150:151], v[2:3]
	s_waitcnt vmcnt(4)
	v_fma_f64 v[2:3], v[146:147], v[152:153], v[2:3]
	ds_load_2addr_b64 v[140:143], v1 offset0:103 offset1:104
	ds_load_2addr_b64 v[144:147], v1 offset0:105 offset1:106
	s_waitcnt lgkmcnt(1)
	v_fma_f64 v[2:3], v[148:149], v[140:141], v[2:3]
	scratch_load_b128 v[148:151], off, off offset:400
	s_waitcnt vmcnt(4)
	v_fma_f64 v[2:3], v[158:159], v[142:143], v[2:3]
	scratch_load_b128 v[140:143], off, off offset:416
	s_waitcnt lgkmcnt(0)
	v_fma_f64 v[2:3], v[160:161], v[144:145], v[2:3]
	s_waitcnt vmcnt(4)
	s_delay_alu instid0(VALU_DEP_1)
	v_fma_f64 v[2:3], v[132:133], v[146:147], v[2:3]
	ds_load_2addr_b64 v[144:147], v1 offset0:107 offset1:108
	ds_load_2addr_b64 v[158:161], v1 offset0:109 offset1:110
	s_waitcnt lgkmcnt(1)
	v_fma_f64 v[2:3], v[134:135], v[144:145], v[2:3]
	scratch_load_b128 v[132:135], off, off offset:432
	s_waitcnt vmcnt(4)
	v_fma_f64 v[2:3], v[154:155], v[146:147], v[2:3]
	scratch_load_b128 v[144:147], off, off offset:448
	s_waitcnt lgkmcnt(0)
	v_fma_f64 v[2:3], v[156:157], v[158:159], v[2:3]
	ds_load_2addr_b64 v[152:155], v1 offset0:111 offset1:112
	ds_load_2addr_b64 v[156:159], v1 offset0:113 offset1:114
	s_waitcnt vmcnt(4)
	v_fma_f64 v[2:3], v[136:137], v[160:161], v[2:3]
	s_waitcnt lgkmcnt(1)
	s_delay_alu instid0(VALU_DEP_1) | instskip(SKIP_4) | instid1(VALU_DEP_1)
	v_fma_f64 v[2:3], v[138:139], v[152:153], v[2:3]
	scratch_load_b128 v[136:139], off, off offset:464
	s_waitcnt vmcnt(4)
	v_fma_f64 v[2:3], v[148:149], v[154:155], v[2:3]
	s_waitcnt lgkmcnt(0)
	v_fma_f64 v[2:3], v[150:151], v[156:157], v[2:3]
	scratch_load_b128 v[148:151], off, off offset:480
	s_waitcnt vmcnt(4)
	v_fma_f64 v[2:3], v[140:141], v[158:159], v[2:3]
	ds_load_2addr_b64 v[152:155], v1 offset0:115 offset1:116
	ds_load_2addr_b64 v[156:159], v1 offset0:117 offset1:118
	s_waitcnt lgkmcnt(1)
	v_fma_f64 v[2:3], v[142:143], v[152:153], v[2:3]
	s_waitcnt vmcnt(3)
	s_delay_alu instid0(VALU_DEP_1) | instskip(SKIP_1) | instid1(VALU_DEP_1)
	v_fma_f64 v[2:3], v[132:133], v[154:155], v[2:3]
	s_waitcnt lgkmcnt(0)
	v_fma_f64 v[2:3], v[134:135], v[156:157], v[2:3]
	ds_load_2addr_b64 v[132:135], v1 offset0:119 offset1:120
	ds_load_2addr_b64 v[140:143], v1 offset0:121 offset1:122
	s_waitcnt vmcnt(2)
	v_fma_f64 v[2:3], v[144:145], v[158:159], v[2:3]
	s_waitcnt lgkmcnt(1)
	s_delay_alu instid0(VALU_DEP_1) | instskip(SKIP_4) | instid1(VALU_DEP_1)
	v_fma_f64 v[2:3], v[146:147], v[132:133], v[2:3]
	ds_load_b64 v[132:133], v1 offset:984
	s_waitcnt vmcnt(1)
	v_fma_f64 v[2:3], v[136:137], v[134:135], v[2:3]
	s_waitcnt lgkmcnt(1)
	v_fma_f64 v[2:3], v[138:139], v[140:141], v[2:3]
	s_waitcnt vmcnt(0)
	s_delay_alu instid0(VALU_DEP_1) | instskip(SKIP_1) | instid1(VALU_DEP_1)
	v_fma_f64 v[2:3], v[148:149], v[142:143], v[2:3]
	s_waitcnt lgkmcnt(0)
	v_fma_f64 v[2:3], v[150:151], v[132:133], v[2:3]
	s_delay_alu instid0(VALU_DEP_1)
	v_add_f64 v[2:3], v[130:131], -v[2:3]
	scratch_store_b64 off, v[2:3], off offset:256
	v_cmpx_lt_u32_e32 31, v0
	s_cbranch_execz .LBB61_319
; %bb.318:
	scratch_load_b64 v[3:4], off, off offset:248
	v_mov_b32_e32 v2, v1
	scratch_store_b64 off, v[1:2], off offset:248
	s_waitcnt vmcnt(0)
	ds_store_b64 v5, v[3:4]
.LBB61_319:
	s_or_b32 exec_lo, exec_lo, s0
	s_waitcnt lgkmcnt(0)
	s_waitcnt_vscnt null, 0x0
	s_barrier
	buffer_gl0_inv
	s_clause 0x4
	scratch_load_b128 v[130:133], off, off offset:248
	scratch_load_b128 v[134:137], off, off offset:264
	;; [unrolled: 1-line block ×5, first 2 shown]
	ds_load_b128 v[150:153], v1 offset:752
	ds_load_b128 v[154:157], v1 offset:768
	scratch_load_b128 v[158:161], off, off offset:328
	s_mov_b32 s0, exec_lo
	s_waitcnt vmcnt(5) lgkmcnt(1)
	v_fma_f64 v[2:3], v[132:133], v[150:151], 0
	s_waitcnt vmcnt(4)
	s_delay_alu instid0(VALU_DEP_1) | instskip(SKIP_4) | instid1(VALU_DEP_1)
	v_fma_f64 v[2:3], v[134:135], v[152:153], v[2:3]
	scratch_load_b128 v[132:135], off, off offset:344
	s_waitcnt lgkmcnt(0)
	v_fma_f64 v[2:3], v[136:137], v[154:155], v[2:3]
	s_waitcnt vmcnt(4)
	v_fma_f64 v[2:3], v[138:139], v[156:157], v[2:3]
	ds_load_b128 v[136:139], v1 offset:784
	ds_load_b128 v[150:153], v1 offset:800
	scratch_load_b128 v[154:157], off, off offset:360
	s_waitcnt lgkmcnt(1)
	v_fma_f64 v[2:3], v[140:141], v[136:137], v[2:3]
	s_waitcnt vmcnt(4)
	s_delay_alu instid0(VALU_DEP_1) | instskip(SKIP_4) | instid1(VALU_DEP_1)
	v_fma_f64 v[2:3], v[142:143], v[138:139], v[2:3]
	scratch_load_b128 v[136:139], off, off offset:376
	s_waitcnt lgkmcnt(0)
	v_fma_f64 v[2:3], v[144:145], v[150:151], v[2:3]
	s_waitcnt vmcnt(4)
	v_fma_f64 v[2:3], v[146:147], v[152:153], v[2:3]
	ds_load_b128 v[140:143], v1 offset:816
	ds_load_b128 v[144:147], v1 offset:832
	s_waitcnt lgkmcnt(1)
	v_fma_f64 v[2:3], v[148:149], v[140:141], v[2:3]
	scratch_load_b128 v[148:151], off, off offset:392
	s_waitcnt vmcnt(4)
	v_fma_f64 v[2:3], v[158:159], v[142:143], v[2:3]
	scratch_load_b128 v[140:143], off, off offset:408
	s_waitcnt lgkmcnt(0)
	v_fma_f64 v[2:3], v[160:161], v[144:145], v[2:3]
	s_waitcnt vmcnt(4)
	s_delay_alu instid0(VALU_DEP_1)
	v_fma_f64 v[2:3], v[132:133], v[146:147], v[2:3]
	ds_load_b128 v[144:147], v1 offset:848
	ds_load_b128 v[158:161], v1 offset:864
	s_waitcnt lgkmcnt(1)
	v_fma_f64 v[2:3], v[134:135], v[144:145], v[2:3]
	scratch_load_b128 v[132:135], off, off offset:424
	s_waitcnt vmcnt(4)
	v_fma_f64 v[2:3], v[154:155], v[146:147], v[2:3]
	scratch_load_b128 v[144:147], off, off offset:440
	s_waitcnt lgkmcnt(0)
	v_fma_f64 v[2:3], v[156:157], v[158:159], v[2:3]
	ds_load_b128 v[152:155], v1 offset:880
	ds_load_b128 v[156:159], v1 offset:896
	s_waitcnt vmcnt(4)
	v_fma_f64 v[2:3], v[136:137], v[160:161], v[2:3]
	s_waitcnt lgkmcnt(1)
	s_delay_alu instid0(VALU_DEP_1) | instskip(SKIP_4) | instid1(VALU_DEP_1)
	v_fma_f64 v[2:3], v[138:139], v[152:153], v[2:3]
	scratch_load_b128 v[136:139], off, off offset:456
	s_waitcnt vmcnt(4)
	v_fma_f64 v[2:3], v[148:149], v[154:155], v[2:3]
	s_waitcnt lgkmcnt(0)
	v_fma_f64 v[2:3], v[150:151], v[156:157], v[2:3]
	scratch_load_b128 v[148:151], off, off offset:472
	s_waitcnt vmcnt(4)
	v_fma_f64 v[2:3], v[140:141], v[158:159], v[2:3]
	ds_load_b128 v[152:155], v1 offset:912
	ds_load_b128 v[156:159], v1 offset:928
	s_waitcnt lgkmcnt(1)
	v_fma_f64 v[2:3], v[142:143], v[152:153], v[2:3]
	scratch_load_b64 v[152:153], off, off offset:488
	s_waitcnt vmcnt(4)
	v_fma_f64 v[2:3], v[132:133], v[154:155], v[2:3]
	s_waitcnt lgkmcnt(0)
	s_delay_alu instid0(VALU_DEP_1)
	v_fma_f64 v[2:3], v[134:135], v[156:157], v[2:3]
	ds_load_b128 v[132:135], v1 offset:944
	ds_load_b128 v[140:143], v1 offset:960
	s_waitcnt vmcnt(3)
	v_fma_f64 v[2:3], v[144:145], v[158:159], v[2:3]
	s_waitcnt lgkmcnt(1)
	s_delay_alu instid0(VALU_DEP_1) | instskip(SKIP_1) | instid1(VALU_DEP_1)
	v_fma_f64 v[2:3], v[146:147], v[132:133], v[2:3]
	s_waitcnt vmcnt(2)
	v_fma_f64 v[2:3], v[136:137], v[134:135], v[2:3]
	s_waitcnt lgkmcnt(0)
	s_delay_alu instid0(VALU_DEP_1) | instskip(SKIP_1) | instid1(VALU_DEP_1)
	v_fma_f64 v[2:3], v[138:139], v[140:141], v[2:3]
	s_waitcnt vmcnt(1)
	v_fma_f64 v[132:133], v[148:149], v[142:143], v[2:3]
	ds_load_b128 v[1:4], v1 offset:976
	s_waitcnt lgkmcnt(0)
	v_fma_f64 v[1:2], v[150:151], v[1:2], v[132:133]
	s_waitcnt vmcnt(0)
	s_delay_alu instid0(VALU_DEP_1) | instskip(NEXT) | instid1(VALU_DEP_1)
	v_fma_f64 v[1:2], v[152:153], v[3:4], v[1:2]
	v_add_f64 v[1:2], v[130:131], -v[1:2]
	scratch_store_b64 off, v[1:2], off offset:248
	v_cmpx_lt_u32_e32 30, v0
	s_cbranch_execz .LBB61_321
; %bb.320:
	scratch_load_b64 v[1:2], off, off offset:240
	v_mov_b32_e32 v3, 0
	s_delay_alu instid0(VALU_DEP_1)
	v_mov_b32_e32 v4, v3
	scratch_store_b64 off, v[3:4], off offset:240
	s_waitcnt vmcnt(0)
	ds_store_b64 v5, v[1:2]
.LBB61_321:
	s_or_b32 exec_lo, exec_lo, s0
	s_waitcnt lgkmcnt(0)
	s_waitcnt_vscnt null, 0x0
	s_barrier
	buffer_gl0_inv
	s_clause 0x4
	scratch_load_b128 v[130:133], off, off offset:240
	scratch_load_b128 v[134:137], off, off offset:256
	;; [unrolled: 1-line block ×5, first 2 shown]
	v_mov_b32_e32 v1, 0
	ds_load_2addr_b64 v[150:153], v1 offset0:93 offset1:94
	ds_load_2addr_b64 v[154:157], v1 offset0:95 offset1:96
	scratch_load_b128 v[158:161], off, off offset:320
	s_mov_b32 s0, exec_lo
	s_waitcnt vmcnt(5) lgkmcnt(1)
	v_fma_f64 v[2:3], v[132:133], v[150:151], 0
	s_waitcnt vmcnt(4)
	s_delay_alu instid0(VALU_DEP_1) | instskip(SKIP_4) | instid1(VALU_DEP_1)
	v_fma_f64 v[2:3], v[134:135], v[152:153], v[2:3]
	scratch_load_b128 v[132:135], off, off offset:336
	s_waitcnt lgkmcnt(0)
	v_fma_f64 v[2:3], v[136:137], v[154:155], v[2:3]
	s_waitcnt vmcnt(4)
	v_fma_f64 v[2:3], v[138:139], v[156:157], v[2:3]
	ds_load_2addr_b64 v[136:139], v1 offset0:97 offset1:98
	ds_load_2addr_b64 v[150:153], v1 offset0:99 offset1:100
	scratch_load_b128 v[154:157], off, off offset:352
	s_waitcnt lgkmcnt(1)
	v_fma_f64 v[2:3], v[140:141], v[136:137], v[2:3]
	s_waitcnt vmcnt(4)
	s_delay_alu instid0(VALU_DEP_1) | instskip(SKIP_4) | instid1(VALU_DEP_1)
	v_fma_f64 v[2:3], v[142:143], v[138:139], v[2:3]
	scratch_load_b128 v[136:139], off, off offset:368
	s_waitcnt lgkmcnt(0)
	v_fma_f64 v[2:3], v[144:145], v[150:151], v[2:3]
	s_waitcnt vmcnt(4)
	v_fma_f64 v[2:3], v[146:147], v[152:153], v[2:3]
	ds_load_2addr_b64 v[140:143], v1 offset0:101 offset1:102
	ds_load_2addr_b64 v[144:147], v1 offset0:103 offset1:104
	s_waitcnt lgkmcnt(1)
	v_fma_f64 v[2:3], v[148:149], v[140:141], v[2:3]
	scratch_load_b128 v[148:151], off, off offset:384
	s_waitcnt vmcnt(4)
	v_fma_f64 v[2:3], v[158:159], v[142:143], v[2:3]
	scratch_load_b128 v[140:143], off, off offset:400
	s_waitcnt lgkmcnt(0)
	v_fma_f64 v[2:3], v[160:161], v[144:145], v[2:3]
	s_waitcnt vmcnt(4)
	s_delay_alu instid0(VALU_DEP_1)
	v_fma_f64 v[2:3], v[132:133], v[146:147], v[2:3]
	ds_load_2addr_b64 v[144:147], v1 offset0:105 offset1:106
	ds_load_2addr_b64 v[158:161], v1 offset0:107 offset1:108
	s_waitcnt lgkmcnt(1)
	v_fma_f64 v[2:3], v[134:135], v[144:145], v[2:3]
	scratch_load_b128 v[132:135], off, off offset:416
	s_waitcnt vmcnt(4)
	v_fma_f64 v[2:3], v[154:155], v[146:147], v[2:3]
	scratch_load_b128 v[144:147], off, off offset:432
	s_waitcnt lgkmcnt(0)
	v_fma_f64 v[2:3], v[156:157], v[158:159], v[2:3]
	ds_load_2addr_b64 v[152:155], v1 offset0:109 offset1:110
	ds_load_2addr_b64 v[156:159], v1 offset0:111 offset1:112
	s_waitcnt vmcnt(4)
	v_fma_f64 v[2:3], v[136:137], v[160:161], v[2:3]
	s_waitcnt lgkmcnt(1)
	s_delay_alu instid0(VALU_DEP_1) | instskip(SKIP_4) | instid1(VALU_DEP_1)
	v_fma_f64 v[2:3], v[138:139], v[152:153], v[2:3]
	scratch_load_b128 v[136:139], off, off offset:448
	s_waitcnt vmcnt(4)
	v_fma_f64 v[2:3], v[148:149], v[154:155], v[2:3]
	s_waitcnt lgkmcnt(0)
	v_fma_f64 v[2:3], v[150:151], v[156:157], v[2:3]
	scratch_load_b128 v[148:151], off, off offset:464
	s_waitcnt vmcnt(4)
	v_fma_f64 v[2:3], v[140:141], v[158:159], v[2:3]
	ds_load_2addr_b64 v[152:155], v1 offset0:113 offset1:114
	ds_load_2addr_b64 v[156:159], v1 offset0:115 offset1:116
	s_waitcnt lgkmcnt(1)
	v_fma_f64 v[2:3], v[142:143], v[152:153], v[2:3]
	scratch_load_b128 v[140:143], off, off offset:480
	s_waitcnt vmcnt(4)
	v_fma_f64 v[2:3], v[132:133], v[154:155], v[2:3]
	s_waitcnt lgkmcnt(0)
	s_delay_alu instid0(VALU_DEP_1)
	v_fma_f64 v[2:3], v[134:135], v[156:157], v[2:3]
	ds_load_2addr_b64 v[132:135], v1 offset0:117 offset1:118
	ds_load_2addr_b64 v[152:155], v1 offset0:119 offset1:120
	s_waitcnt vmcnt(3)
	v_fma_f64 v[2:3], v[144:145], v[158:159], v[2:3]
	s_waitcnt lgkmcnt(1)
	s_delay_alu instid0(VALU_DEP_1) | instskip(SKIP_1) | instid1(VALU_DEP_1)
	v_fma_f64 v[2:3], v[146:147], v[132:133], v[2:3]
	s_waitcnt vmcnt(2)
	v_fma_f64 v[2:3], v[136:137], v[134:135], v[2:3]
	ds_load_2addr_b64 v[132:135], v1 offset0:121 offset1:122
	ds_load_b64 v[136:137], v1 offset:984
	s_waitcnt lgkmcnt(2)
	v_fma_f64 v[2:3], v[138:139], v[152:153], v[2:3]
	s_waitcnt vmcnt(1)
	s_delay_alu instid0(VALU_DEP_1) | instskip(SKIP_1) | instid1(VALU_DEP_1)
	v_fma_f64 v[2:3], v[148:149], v[154:155], v[2:3]
	s_waitcnt lgkmcnt(1)
	v_fma_f64 v[2:3], v[150:151], v[132:133], v[2:3]
	s_waitcnt vmcnt(0)
	s_delay_alu instid0(VALU_DEP_1) | instskip(SKIP_1) | instid1(VALU_DEP_1)
	v_fma_f64 v[2:3], v[140:141], v[134:135], v[2:3]
	s_waitcnt lgkmcnt(0)
	v_fma_f64 v[2:3], v[142:143], v[136:137], v[2:3]
	s_delay_alu instid0(VALU_DEP_1)
	v_add_f64 v[2:3], v[130:131], -v[2:3]
	scratch_store_b64 off, v[2:3], off offset:240
	v_cmpx_lt_u32_e32 29, v0
	s_cbranch_execz .LBB61_323
; %bb.322:
	scratch_load_b64 v[3:4], off, off offset:232
	v_mov_b32_e32 v2, v1
	scratch_store_b64 off, v[1:2], off offset:232
	s_waitcnt vmcnt(0)
	ds_store_b64 v5, v[3:4]
.LBB61_323:
	s_or_b32 exec_lo, exec_lo, s0
	s_waitcnt lgkmcnt(0)
	s_waitcnt_vscnt null, 0x0
	s_barrier
	buffer_gl0_inv
	s_clause 0x4
	scratch_load_b128 v[130:133], off, off offset:232
	scratch_load_b128 v[134:137], off, off offset:248
	;; [unrolled: 1-line block ×5, first 2 shown]
	ds_load_b128 v[150:153], v1 offset:736
	ds_load_b128 v[154:157], v1 offset:752
	scratch_load_b128 v[158:161], off, off offset:312
	s_mov_b32 s0, exec_lo
	s_waitcnt vmcnt(5) lgkmcnt(1)
	v_fma_f64 v[2:3], v[132:133], v[150:151], 0
	s_waitcnt vmcnt(4)
	s_delay_alu instid0(VALU_DEP_1) | instskip(SKIP_4) | instid1(VALU_DEP_1)
	v_fma_f64 v[2:3], v[134:135], v[152:153], v[2:3]
	scratch_load_b128 v[132:135], off, off offset:328
	s_waitcnt lgkmcnt(0)
	v_fma_f64 v[2:3], v[136:137], v[154:155], v[2:3]
	s_waitcnt vmcnt(4)
	v_fma_f64 v[2:3], v[138:139], v[156:157], v[2:3]
	ds_load_b128 v[136:139], v1 offset:768
	ds_load_b128 v[150:153], v1 offset:784
	scratch_load_b128 v[154:157], off, off offset:344
	s_waitcnt lgkmcnt(1)
	v_fma_f64 v[2:3], v[140:141], v[136:137], v[2:3]
	s_waitcnt vmcnt(4)
	s_delay_alu instid0(VALU_DEP_1) | instskip(SKIP_4) | instid1(VALU_DEP_1)
	v_fma_f64 v[2:3], v[142:143], v[138:139], v[2:3]
	scratch_load_b128 v[136:139], off, off offset:360
	s_waitcnt lgkmcnt(0)
	v_fma_f64 v[2:3], v[144:145], v[150:151], v[2:3]
	s_waitcnt vmcnt(4)
	v_fma_f64 v[2:3], v[146:147], v[152:153], v[2:3]
	ds_load_b128 v[140:143], v1 offset:800
	ds_load_b128 v[144:147], v1 offset:816
	s_waitcnt lgkmcnt(1)
	v_fma_f64 v[2:3], v[148:149], v[140:141], v[2:3]
	scratch_load_b128 v[148:151], off, off offset:376
	s_waitcnt vmcnt(4)
	v_fma_f64 v[2:3], v[158:159], v[142:143], v[2:3]
	scratch_load_b128 v[140:143], off, off offset:392
	s_waitcnt lgkmcnt(0)
	v_fma_f64 v[2:3], v[160:161], v[144:145], v[2:3]
	s_waitcnt vmcnt(4)
	s_delay_alu instid0(VALU_DEP_1)
	v_fma_f64 v[2:3], v[132:133], v[146:147], v[2:3]
	ds_load_b128 v[144:147], v1 offset:832
	ds_load_b128 v[158:161], v1 offset:848
	s_waitcnt lgkmcnt(1)
	v_fma_f64 v[2:3], v[134:135], v[144:145], v[2:3]
	scratch_load_b128 v[132:135], off, off offset:408
	s_waitcnt vmcnt(4)
	v_fma_f64 v[2:3], v[154:155], v[146:147], v[2:3]
	scratch_load_b128 v[144:147], off, off offset:424
	s_waitcnt lgkmcnt(0)
	v_fma_f64 v[2:3], v[156:157], v[158:159], v[2:3]
	ds_load_b128 v[152:155], v1 offset:864
	ds_load_b128 v[156:159], v1 offset:880
	s_waitcnt vmcnt(4)
	v_fma_f64 v[2:3], v[136:137], v[160:161], v[2:3]
	s_waitcnt lgkmcnt(1)
	s_delay_alu instid0(VALU_DEP_1) | instskip(SKIP_4) | instid1(VALU_DEP_1)
	v_fma_f64 v[2:3], v[138:139], v[152:153], v[2:3]
	scratch_load_b128 v[136:139], off, off offset:440
	s_waitcnt vmcnt(4)
	v_fma_f64 v[2:3], v[148:149], v[154:155], v[2:3]
	s_waitcnt lgkmcnt(0)
	v_fma_f64 v[2:3], v[150:151], v[156:157], v[2:3]
	scratch_load_b128 v[148:151], off, off offset:456
	s_waitcnt vmcnt(4)
	v_fma_f64 v[2:3], v[140:141], v[158:159], v[2:3]
	ds_load_b128 v[152:155], v1 offset:896
	ds_load_b128 v[156:159], v1 offset:912
	s_waitcnt lgkmcnt(1)
	v_fma_f64 v[2:3], v[142:143], v[152:153], v[2:3]
	scratch_load_b128 v[140:143], off, off offset:472
	s_waitcnt vmcnt(4)
	v_fma_f64 v[2:3], v[132:133], v[154:155], v[2:3]
	s_waitcnt lgkmcnt(0)
	s_delay_alu instid0(VALU_DEP_1)
	v_fma_f64 v[2:3], v[134:135], v[156:157], v[2:3]
	scratch_load_b64 v[156:157], off, off offset:488
	ds_load_b128 v[132:135], v1 offset:928
	ds_load_b128 v[152:155], v1 offset:944
	s_waitcnt vmcnt(4)
	v_fma_f64 v[2:3], v[144:145], v[158:159], v[2:3]
	s_waitcnt lgkmcnt(1)
	s_delay_alu instid0(VALU_DEP_1) | instskip(SKIP_1) | instid1(VALU_DEP_1)
	v_fma_f64 v[2:3], v[146:147], v[132:133], v[2:3]
	s_waitcnt vmcnt(3)
	v_fma_f64 v[2:3], v[136:137], v[134:135], v[2:3]
	s_waitcnt lgkmcnt(0)
	s_delay_alu instid0(VALU_DEP_1) | instskip(SKIP_1) | instid1(VALU_DEP_1)
	v_fma_f64 v[2:3], v[138:139], v[152:153], v[2:3]
	s_waitcnt vmcnt(2)
	v_fma_f64 v[136:137], v[148:149], v[154:155], v[2:3]
	ds_load_b128 v[132:135], v1 offset:960
	ds_load_b128 v[1:4], v1 offset:976
	s_waitcnt lgkmcnt(1)
	v_fma_f64 v[132:133], v[150:151], v[132:133], v[136:137]
	s_waitcnt vmcnt(1)
	s_delay_alu instid0(VALU_DEP_1) | instskip(SKIP_1) | instid1(VALU_DEP_1)
	v_fma_f64 v[132:133], v[140:141], v[134:135], v[132:133]
	s_waitcnt lgkmcnt(0)
	v_fma_f64 v[1:2], v[142:143], v[1:2], v[132:133]
	s_waitcnt vmcnt(0)
	s_delay_alu instid0(VALU_DEP_1) | instskip(NEXT) | instid1(VALU_DEP_1)
	v_fma_f64 v[1:2], v[156:157], v[3:4], v[1:2]
	v_add_f64 v[1:2], v[130:131], -v[1:2]
	scratch_store_b64 off, v[1:2], off offset:232
	v_cmpx_lt_u32_e32 28, v0
	s_cbranch_execz .LBB61_325
; %bb.324:
	scratch_load_b64 v[1:2], off, off offset:224
	v_mov_b32_e32 v3, 0
	s_delay_alu instid0(VALU_DEP_1)
	v_mov_b32_e32 v4, v3
	scratch_store_b64 off, v[3:4], off offset:224
	s_waitcnt vmcnt(0)
	ds_store_b64 v5, v[1:2]
.LBB61_325:
	s_or_b32 exec_lo, exec_lo, s0
	s_waitcnt lgkmcnt(0)
	s_waitcnt_vscnt null, 0x0
	s_barrier
	buffer_gl0_inv
	s_clause 0x4
	scratch_load_b128 v[130:133], off, off offset:224
	scratch_load_b128 v[134:137], off, off offset:240
	;; [unrolled: 1-line block ×5, first 2 shown]
	v_mov_b32_e32 v1, 0
	ds_load_2addr_b64 v[150:153], v1 offset0:91 offset1:92
	ds_load_2addr_b64 v[154:157], v1 offset0:93 offset1:94
	scratch_load_b128 v[158:161], off, off offset:304
	s_mov_b32 s0, exec_lo
	s_waitcnt vmcnt(5) lgkmcnt(1)
	v_fma_f64 v[2:3], v[132:133], v[150:151], 0
	s_waitcnt vmcnt(4)
	s_delay_alu instid0(VALU_DEP_1) | instskip(SKIP_4) | instid1(VALU_DEP_1)
	v_fma_f64 v[2:3], v[134:135], v[152:153], v[2:3]
	scratch_load_b128 v[132:135], off, off offset:320
	s_waitcnt lgkmcnt(0)
	v_fma_f64 v[2:3], v[136:137], v[154:155], v[2:3]
	s_waitcnt vmcnt(4)
	v_fma_f64 v[2:3], v[138:139], v[156:157], v[2:3]
	ds_load_2addr_b64 v[136:139], v1 offset0:95 offset1:96
	ds_load_2addr_b64 v[150:153], v1 offset0:97 offset1:98
	scratch_load_b128 v[154:157], off, off offset:336
	s_waitcnt lgkmcnt(1)
	v_fma_f64 v[2:3], v[140:141], v[136:137], v[2:3]
	s_waitcnt vmcnt(4)
	s_delay_alu instid0(VALU_DEP_1) | instskip(SKIP_4) | instid1(VALU_DEP_1)
	v_fma_f64 v[2:3], v[142:143], v[138:139], v[2:3]
	scratch_load_b128 v[136:139], off, off offset:352
	s_waitcnt lgkmcnt(0)
	v_fma_f64 v[2:3], v[144:145], v[150:151], v[2:3]
	s_waitcnt vmcnt(4)
	v_fma_f64 v[2:3], v[146:147], v[152:153], v[2:3]
	ds_load_2addr_b64 v[140:143], v1 offset0:99 offset1:100
	ds_load_2addr_b64 v[144:147], v1 offset0:101 offset1:102
	s_waitcnt lgkmcnt(1)
	v_fma_f64 v[2:3], v[148:149], v[140:141], v[2:3]
	scratch_load_b128 v[148:151], off, off offset:368
	s_waitcnt vmcnt(4)
	v_fma_f64 v[2:3], v[158:159], v[142:143], v[2:3]
	scratch_load_b128 v[140:143], off, off offset:384
	s_waitcnt lgkmcnt(0)
	v_fma_f64 v[2:3], v[160:161], v[144:145], v[2:3]
	s_waitcnt vmcnt(4)
	s_delay_alu instid0(VALU_DEP_1)
	v_fma_f64 v[2:3], v[132:133], v[146:147], v[2:3]
	ds_load_2addr_b64 v[144:147], v1 offset0:103 offset1:104
	ds_load_2addr_b64 v[158:161], v1 offset0:105 offset1:106
	s_waitcnt lgkmcnt(1)
	v_fma_f64 v[2:3], v[134:135], v[144:145], v[2:3]
	scratch_load_b128 v[132:135], off, off offset:400
	s_waitcnt vmcnt(4)
	v_fma_f64 v[2:3], v[154:155], v[146:147], v[2:3]
	scratch_load_b128 v[144:147], off, off offset:416
	s_waitcnt lgkmcnt(0)
	v_fma_f64 v[2:3], v[156:157], v[158:159], v[2:3]
	ds_load_2addr_b64 v[152:155], v1 offset0:107 offset1:108
	ds_load_2addr_b64 v[156:159], v1 offset0:109 offset1:110
	s_waitcnt vmcnt(4)
	v_fma_f64 v[2:3], v[136:137], v[160:161], v[2:3]
	s_waitcnt lgkmcnt(1)
	s_delay_alu instid0(VALU_DEP_1) | instskip(SKIP_4) | instid1(VALU_DEP_1)
	v_fma_f64 v[2:3], v[138:139], v[152:153], v[2:3]
	scratch_load_b128 v[136:139], off, off offset:432
	s_waitcnt vmcnt(4)
	v_fma_f64 v[2:3], v[148:149], v[154:155], v[2:3]
	s_waitcnt lgkmcnt(0)
	v_fma_f64 v[2:3], v[150:151], v[156:157], v[2:3]
	scratch_load_b128 v[148:151], off, off offset:448
	s_waitcnt vmcnt(4)
	v_fma_f64 v[2:3], v[140:141], v[158:159], v[2:3]
	ds_load_2addr_b64 v[152:155], v1 offset0:111 offset1:112
	ds_load_2addr_b64 v[156:159], v1 offset0:113 offset1:114
	s_waitcnt lgkmcnt(1)
	v_fma_f64 v[2:3], v[142:143], v[152:153], v[2:3]
	scratch_load_b128 v[140:143], off, off offset:464
	s_waitcnt vmcnt(4)
	v_fma_f64 v[2:3], v[132:133], v[154:155], v[2:3]
	s_waitcnt lgkmcnt(0)
	s_delay_alu instid0(VALU_DEP_1)
	v_fma_f64 v[2:3], v[134:135], v[156:157], v[2:3]
	scratch_load_b128 v[132:135], off, off offset:480
	s_waitcnt vmcnt(4)
	v_fma_f64 v[2:3], v[144:145], v[158:159], v[2:3]
	ds_load_2addr_b64 v[152:155], v1 offset0:115 offset1:116
	ds_load_2addr_b64 v[156:159], v1 offset0:117 offset1:118
	s_waitcnt lgkmcnt(1)
	v_fma_f64 v[2:3], v[146:147], v[152:153], v[2:3]
	s_waitcnt vmcnt(3)
	s_delay_alu instid0(VALU_DEP_1) | instskip(SKIP_1) | instid1(VALU_DEP_1)
	v_fma_f64 v[2:3], v[136:137], v[154:155], v[2:3]
	s_waitcnt lgkmcnt(0)
	v_fma_f64 v[2:3], v[138:139], v[156:157], v[2:3]
	ds_load_2addr_b64 v[136:139], v1 offset0:119 offset1:120
	ds_load_2addr_b64 v[144:147], v1 offset0:121 offset1:122
	s_waitcnt vmcnt(2)
	v_fma_f64 v[2:3], v[148:149], v[158:159], v[2:3]
	s_waitcnt lgkmcnt(1)
	s_delay_alu instid0(VALU_DEP_1) | instskip(SKIP_1) | instid1(VALU_DEP_1)
	v_fma_f64 v[2:3], v[150:151], v[136:137], v[2:3]
	s_waitcnt vmcnt(1)
	v_fma_f64 v[2:3], v[140:141], v[138:139], v[2:3]
	s_waitcnt lgkmcnt(0)
	s_delay_alu instid0(VALU_DEP_1) | instskip(SKIP_1) | instid1(VALU_DEP_1)
	v_fma_f64 v[2:3], v[142:143], v[144:145], v[2:3]
	s_waitcnt vmcnt(0)
	v_fma_f64 v[2:3], v[132:133], v[146:147], v[2:3]
	ds_load_b64 v[132:133], v1 offset:984
	s_waitcnt lgkmcnt(0)
	v_fma_f64 v[2:3], v[134:135], v[132:133], v[2:3]
	s_delay_alu instid0(VALU_DEP_1)
	v_add_f64 v[2:3], v[130:131], -v[2:3]
	scratch_store_b64 off, v[2:3], off offset:224
	v_cmpx_lt_u32_e32 27, v0
	s_cbranch_execz .LBB61_327
; %bb.326:
	scratch_load_b64 v[3:4], off, off offset:216
	v_mov_b32_e32 v2, v1
	scratch_store_b64 off, v[1:2], off offset:216
	s_waitcnt vmcnt(0)
	ds_store_b64 v5, v[3:4]
.LBB61_327:
	s_or_b32 exec_lo, exec_lo, s0
	s_waitcnt lgkmcnt(0)
	s_waitcnt_vscnt null, 0x0
	s_barrier
	buffer_gl0_inv
	s_clause 0x4
	scratch_load_b128 v[130:133], off, off offset:216
	scratch_load_b128 v[134:137], off, off offset:232
	;; [unrolled: 1-line block ×5, first 2 shown]
	ds_load_b128 v[150:153], v1 offset:720
	ds_load_b128 v[154:157], v1 offset:736
	scratch_load_b128 v[158:161], off, off offset:296
	s_mov_b32 s0, exec_lo
	s_waitcnt vmcnt(5) lgkmcnt(1)
	v_fma_f64 v[2:3], v[132:133], v[150:151], 0
	s_waitcnt vmcnt(4)
	s_delay_alu instid0(VALU_DEP_1) | instskip(SKIP_4) | instid1(VALU_DEP_1)
	v_fma_f64 v[2:3], v[134:135], v[152:153], v[2:3]
	scratch_load_b128 v[132:135], off, off offset:312
	s_waitcnt lgkmcnt(0)
	v_fma_f64 v[2:3], v[136:137], v[154:155], v[2:3]
	s_waitcnt vmcnt(4)
	v_fma_f64 v[2:3], v[138:139], v[156:157], v[2:3]
	ds_load_b128 v[136:139], v1 offset:752
	ds_load_b128 v[150:153], v1 offset:768
	scratch_load_b128 v[154:157], off, off offset:328
	s_waitcnt lgkmcnt(1)
	v_fma_f64 v[2:3], v[140:141], v[136:137], v[2:3]
	s_waitcnt vmcnt(4)
	s_delay_alu instid0(VALU_DEP_1) | instskip(SKIP_4) | instid1(VALU_DEP_1)
	v_fma_f64 v[2:3], v[142:143], v[138:139], v[2:3]
	scratch_load_b128 v[136:139], off, off offset:344
	s_waitcnt lgkmcnt(0)
	v_fma_f64 v[2:3], v[144:145], v[150:151], v[2:3]
	s_waitcnt vmcnt(4)
	v_fma_f64 v[2:3], v[146:147], v[152:153], v[2:3]
	ds_load_b128 v[140:143], v1 offset:784
	ds_load_b128 v[144:147], v1 offset:800
	s_waitcnt lgkmcnt(1)
	v_fma_f64 v[2:3], v[148:149], v[140:141], v[2:3]
	scratch_load_b128 v[148:151], off, off offset:360
	s_waitcnt vmcnt(4)
	v_fma_f64 v[2:3], v[158:159], v[142:143], v[2:3]
	scratch_load_b128 v[140:143], off, off offset:376
	s_waitcnt lgkmcnt(0)
	v_fma_f64 v[2:3], v[160:161], v[144:145], v[2:3]
	s_waitcnt vmcnt(4)
	s_delay_alu instid0(VALU_DEP_1)
	v_fma_f64 v[2:3], v[132:133], v[146:147], v[2:3]
	ds_load_b128 v[144:147], v1 offset:816
	ds_load_b128 v[158:161], v1 offset:832
	s_waitcnt lgkmcnt(1)
	v_fma_f64 v[2:3], v[134:135], v[144:145], v[2:3]
	scratch_load_b128 v[132:135], off, off offset:392
	s_waitcnt vmcnt(4)
	v_fma_f64 v[2:3], v[154:155], v[146:147], v[2:3]
	scratch_load_b128 v[144:147], off, off offset:408
	s_waitcnt lgkmcnt(0)
	v_fma_f64 v[2:3], v[156:157], v[158:159], v[2:3]
	ds_load_b128 v[152:155], v1 offset:848
	ds_load_b128 v[156:159], v1 offset:864
	s_waitcnt vmcnt(4)
	v_fma_f64 v[2:3], v[136:137], v[160:161], v[2:3]
	s_waitcnt lgkmcnt(1)
	s_delay_alu instid0(VALU_DEP_1) | instskip(SKIP_4) | instid1(VALU_DEP_1)
	v_fma_f64 v[2:3], v[138:139], v[152:153], v[2:3]
	scratch_load_b128 v[136:139], off, off offset:424
	s_waitcnt vmcnt(4)
	v_fma_f64 v[2:3], v[148:149], v[154:155], v[2:3]
	s_waitcnt lgkmcnt(0)
	v_fma_f64 v[2:3], v[150:151], v[156:157], v[2:3]
	scratch_load_b128 v[148:151], off, off offset:440
	s_waitcnt vmcnt(4)
	v_fma_f64 v[2:3], v[140:141], v[158:159], v[2:3]
	ds_load_b128 v[152:155], v1 offset:880
	ds_load_b128 v[156:159], v1 offset:896
	s_waitcnt lgkmcnt(1)
	v_fma_f64 v[2:3], v[142:143], v[152:153], v[2:3]
	scratch_load_b128 v[140:143], off, off offset:456
	s_waitcnt vmcnt(4)
	v_fma_f64 v[2:3], v[132:133], v[154:155], v[2:3]
	s_waitcnt lgkmcnt(0)
	s_delay_alu instid0(VALU_DEP_1)
	v_fma_f64 v[2:3], v[134:135], v[156:157], v[2:3]
	scratch_load_b128 v[132:135], off, off offset:472
	s_waitcnt vmcnt(4)
	v_fma_f64 v[2:3], v[144:145], v[158:159], v[2:3]
	ds_load_b128 v[152:155], v1 offset:912
	ds_load_b128 v[156:159], v1 offset:928
	s_waitcnt lgkmcnt(1)
	v_fma_f64 v[2:3], v[146:147], v[152:153], v[2:3]
	scratch_load_b64 v[152:153], off, off offset:488
	s_waitcnt vmcnt(4)
	v_fma_f64 v[2:3], v[136:137], v[154:155], v[2:3]
	s_waitcnt lgkmcnt(0)
	s_delay_alu instid0(VALU_DEP_1)
	v_fma_f64 v[2:3], v[138:139], v[156:157], v[2:3]
	ds_load_b128 v[136:139], v1 offset:944
	ds_load_b128 v[144:147], v1 offset:960
	s_waitcnt vmcnt(3)
	v_fma_f64 v[2:3], v[148:149], v[158:159], v[2:3]
	s_waitcnt lgkmcnt(1)
	s_delay_alu instid0(VALU_DEP_1) | instskip(SKIP_1) | instid1(VALU_DEP_1)
	v_fma_f64 v[2:3], v[150:151], v[136:137], v[2:3]
	s_waitcnt vmcnt(2)
	v_fma_f64 v[2:3], v[140:141], v[138:139], v[2:3]
	s_waitcnt lgkmcnt(0)
	s_delay_alu instid0(VALU_DEP_1) | instskip(SKIP_1) | instid1(VALU_DEP_1)
	v_fma_f64 v[2:3], v[142:143], v[144:145], v[2:3]
	s_waitcnt vmcnt(1)
	v_fma_f64 v[132:133], v[132:133], v[146:147], v[2:3]
	ds_load_b128 v[1:4], v1 offset:976
	s_waitcnt lgkmcnt(0)
	v_fma_f64 v[1:2], v[134:135], v[1:2], v[132:133]
	s_waitcnt vmcnt(0)
	s_delay_alu instid0(VALU_DEP_1) | instskip(NEXT) | instid1(VALU_DEP_1)
	v_fma_f64 v[1:2], v[152:153], v[3:4], v[1:2]
	v_add_f64 v[1:2], v[130:131], -v[1:2]
	scratch_store_b64 off, v[1:2], off offset:216
	v_cmpx_lt_u32_e32 26, v0
	s_cbranch_execz .LBB61_329
; %bb.328:
	scratch_load_b64 v[1:2], off, off offset:208
	v_mov_b32_e32 v3, 0
	s_delay_alu instid0(VALU_DEP_1)
	v_mov_b32_e32 v4, v3
	scratch_store_b64 off, v[3:4], off offset:208
	s_waitcnt vmcnt(0)
	ds_store_b64 v5, v[1:2]
.LBB61_329:
	s_or_b32 exec_lo, exec_lo, s0
	s_waitcnt lgkmcnt(0)
	s_waitcnt_vscnt null, 0x0
	s_barrier
	buffer_gl0_inv
	s_clause 0x4
	scratch_load_b128 v[130:133], off, off offset:208
	scratch_load_b128 v[134:137], off, off offset:224
	;; [unrolled: 1-line block ×5, first 2 shown]
	v_mov_b32_e32 v1, 0
	ds_load_2addr_b64 v[150:153], v1 offset0:89 offset1:90
	ds_load_2addr_b64 v[154:157], v1 offset0:91 offset1:92
	scratch_load_b128 v[158:161], off, off offset:288
	s_mov_b32 s0, exec_lo
	s_waitcnt vmcnt(5) lgkmcnt(1)
	v_fma_f64 v[2:3], v[132:133], v[150:151], 0
	s_waitcnt vmcnt(4)
	s_delay_alu instid0(VALU_DEP_1) | instskip(SKIP_4) | instid1(VALU_DEP_1)
	v_fma_f64 v[2:3], v[134:135], v[152:153], v[2:3]
	scratch_load_b128 v[132:135], off, off offset:304
	s_waitcnt lgkmcnt(0)
	v_fma_f64 v[2:3], v[136:137], v[154:155], v[2:3]
	s_waitcnt vmcnt(4)
	v_fma_f64 v[2:3], v[138:139], v[156:157], v[2:3]
	ds_load_2addr_b64 v[136:139], v1 offset0:93 offset1:94
	ds_load_2addr_b64 v[150:153], v1 offset0:95 offset1:96
	scratch_load_b128 v[154:157], off, off offset:320
	s_waitcnt lgkmcnt(1)
	v_fma_f64 v[2:3], v[140:141], v[136:137], v[2:3]
	s_waitcnt vmcnt(4)
	s_delay_alu instid0(VALU_DEP_1) | instskip(SKIP_4) | instid1(VALU_DEP_1)
	v_fma_f64 v[2:3], v[142:143], v[138:139], v[2:3]
	scratch_load_b128 v[136:139], off, off offset:336
	s_waitcnt lgkmcnt(0)
	v_fma_f64 v[2:3], v[144:145], v[150:151], v[2:3]
	s_waitcnt vmcnt(4)
	v_fma_f64 v[2:3], v[146:147], v[152:153], v[2:3]
	ds_load_2addr_b64 v[140:143], v1 offset0:97 offset1:98
	ds_load_2addr_b64 v[144:147], v1 offset0:99 offset1:100
	s_waitcnt lgkmcnt(1)
	v_fma_f64 v[2:3], v[148:149], v[140:141], v[2:3]
	scratch_load_b128 v[148:151], off, off offset:352
	s_waitcnt vmcnt(4)
	v_fma_f64 v[2:3], v[158:159], v[142:143], v[2:3]
	scratch_load_b128 v[140:143], off, off offset:368
	s_waitcnt lgkmcnt(0)
	v_fma_f64 v[2:3], v[160:161], v[144:145], v[2:3]
	s_waitcnt vmcnt(4)
	s_delay_alu instid0(VALU_DEP_1)
	v_fma_f64 v[2:3], v[132:133], v[146:147], v[2:3]
	ds_load_2addr_b64 v[144:147], v1 offset0:101 offset1:102
	ds_load_2addr_b64 v[158:161], v1 offset0:103 offset1:104
	s_waitcnt lgkmcnt(1)
	v_fma_f64 v[2:3], v[134:135], v[144:145], v[2:3]
	scratch_load_b128 v[132:135], off, off offset:384
	s_waitcnt vmcnt(4)
	v_fma_f64 v[2:3], v[154:155], v[146:147], v[2:3]
	scratch_load_b128 v[144:147], off, off offset:400
	s_waitcnt lgkmcnt(0)
	v_fma_f64 v[2:3], v[156:157], v[158:159], v[2:3]
	ds_load_2addr_b64 v[152:155], v1 offset0:105 offset1:106
	ds_load_2addr_b64 v[156:159], v1 offset0:107 offset1:108
	s_waitcnt vmcnt(4)
	v_fma_f64 v[2:3], v[136:137], v[160:161], v[2:3]
	s_waitcnt lgkmcnt(1)
	s_delay_alu instid0(VALU_DEP_1) | instskip(SKIP_4) | instid1(VALU_DEP_1)
	v_fma_f64 v[2:3], v[138:139], v[152:153], v[2:3]
	scratch_load_b128 v[136:139], off, off offset:416
	s_waitcnt vmcnt(4)
	v_fma_f64 v[2:3], v[148:149], v[154:155], v[2:3]
	s_waitcnt lgkmcnt(0)
	v_fma_f64 v[2:3], v[150:151], v[156:157], v[2:3]
	scratch_load_b128 v[148:151], off, off offset:432
	s_waitcnt vmcnt(4)
	v_fma_f64 v[2:3], v[140:141], v[158:159], v[2:3]
	ds_load_2addr_b64 v[152:155], v1 offset0:109 offset1:110
	ds_load_2addr_b64 v[156:159], v1 offset0:111 offset1:112
	s_waitcnt lgkmcnt(1)
	v_fma_f64 v[2:3], v[142:143], v[152:153], v[2:3]
	scratch_load_b128 v[140:143], off, off offset:448
	s_waitcnt vmcnt(4)
	v_fma_f64 v[2:3], v[132:133], v[154:155], v[2:3]
	s_waitcnt lgkmcnt(0)
	s_delay_alu instid0(VALU_DEP_1)
	v_fma_f64 v[2:3], v[134:135], v[156:157], v[2:3]
	scratch_load_b128 v[132:135], off, off offset:464
	s_waitcnt vmcnt(4)
	v_fma_f64 v[2:3], v[144:145], v[158:159], v[2:3]
	ds_load_2addr_b64 v[152:155], v1 offset0:113 offset1:114
	ds_load_2addr_b64 v[156:159], v1 offset0:115 offset1:116
	s_waitcnt lgkmcnt(1)
	v_fma_f64 v[2:3], v[146:147], v[152:153], v[2:3]
	scratch_load_b128 v[144:147], off, off offset:480
	s_waitcnt vmcnt(4)
	v_fma_f64 v[2:3], v[136:137], v[154:155], v[2:3]
	s_waitcnt lgkmcnt(0)
	s_delay_alu instid0(VALU_DEP_1)
	v_fma_f64 v[2:3], v[138:139], v[156:157], v[2:3]
	ds_load_2addr_b64 v[136:139], v1 offset0:117 offset1:118
	ds_load_2addr_b64 v[152:155], v1 offset0:119 offset1:120
	s_waitcnt vmcnt(3)
	v_fma_f64 v[2:3], v[148:149], v[158:159], v[2:3]
	s_waitcnt lgkmcnt(1)
	s_delay_alu instid0(VALU_DEP_1) | instskip(SKIP_1) | instid1(VALU_DEP_1)
	v_fma_f64 v[2:3], v[150:151], v[136:137], v[2:3]
	s_waitcnt vmcnt(2)
	v_fma_f64 v[2:3], v[140:141], v[138:139], v[2:3]
	s_waitcnt lgkmcnt(0)
	s_delay_alu instid0(VALU_DEP_1) | instskip(SKIP_1) | instid1(VALU_DEP_1)
	v_fma_f64 v[2:3], v[142:143], v[152:153], v[2:3]
	s_waitcnt vmcnt(1)
	v_fma_f64 v[2:3], v[132:133], v[154:155], v[2:3]
	ds_load_2addr_b64 v[136:139], v1 offset0:121 offset1:122
	ds_load_b64 v[132:133], v1 offset:984
	s_waitcnt lgkmcnt(1)
	v_fma_f64 v[2:3], v[134:135], v[136:137], v[2:3]
	s_waitcnt vmcnt(0)
	s_delay_alu instid0(VALU_DEP_1) | instskip(SKIP_1) | instid1(VALU_DEP_1)
	v_fma_f64 v[2:3], v[144:145], v[138:139], v[2:3]
	s_waitcnt lgkmcnt(0)
	v_fma_f64 v[2:3], v[146:147], v[132:133], v[2:3]
	s_delay_alu instid0(VALU_DEP_1)
	v_add_f64 v[2:3], v[130:131], -v[2:3]
	scratch_store_b64 off, v[2:3], off offset:208
	v_cmpx_lt_u32_e32 25, v0
	s_cbranch_execz .LBB61_331
; %bb.330:
	scratch_load_b64 v[3:4], off, off offset:200
	v_mov_b32_e32 v2, v1
	scratch_store_b64 off, v[1:2], off offset:200
	s_waitcnt vmcnt(0)
	ds_store_b64 v5, v[3:4]
.LBB61_331:
	s_or_b32 exec_lo, exec_lo, s0
	s_waitcnt lgkmcnt(0)
	s_waitcnt_vscnt null, 0x0
	s_barrier
	buffer_gl0_inv
	s_clause 0x4
	scratch_load_b128 v[130:133], off, off offset:200
	scratch_load_b128 v[134:137], off, off offset:216
	scratch_load_b128 v[138:141], off, off offset:232
	scratch_load_b128 v[142:145], off, off offset:248
	scratch_load_b128 v[146:149], off, off offset:264
	ds_load_b128 v[150:153], v1 offset:704
	ds_load_b128 v[154:157], v1 offset:720
	scratch_load_b128 v[158:161], off, off offset:280
	s_mov_b32 s0, exec_lo
	s_waitcnt vmcnt(5) lgkmcnt(1)
	v_fma_f64 v[2:3], v[132:133], v[150:151], 0
	s_waitcnt vmcnt(4)
	s_delay_alu instid0(VALU_DEP_1) | instskip(SKIP_4) | instid1(VALU_DEP_1)
	v_fma_f64 v[2:3], v[134:135], v[152:153], v[2:3]
	scratch_load_b128 v[132:135], off, off offset:296
	s_waitcnt lgkmcnt(0)
	v_fma_f64 v[2:3], v[136:137], v[154:155], v[2:3]
	s_waitcnt vmcnt(4)
	v_fma_f64 v[2:3], v[138:139], v[156:157], v[2:3]
	ds_load_b128 v[136:139], v1 offset:736
	ds_load_b128 v[150:153], v1 offset:752
	scratch_load_b128 v[154:157], off, off offset:312
	s_waitcnt lgkmcnt(1)
	v_fma_f64 v[2:3], v[140:141], v[136:137], v[2:3]
	s_waitcnt vmcnt(4)
	s_delay_alu instid0(VALU_DEP_1) | instskip(SKIP_4) | instid1(VALU_DEP_1)
	v_fma_f64 v[2:3], v[142:143], v[138:139], v[2:3]
	scratch_load_b128 v[136:139], off, off offset:328
	s_waitcnt lgkmcnt(0)
	v_fma_f64 v[2:3], v[144:145], v[150:151], v[2:3]
	s_waitcnt vmcnt(4)
	v_fma_f64 v[2:3], v[146:147], v[152:153], v[2:3]
	ds_load_b128 v[140:143], v1 offset:768
	ds_load_b128 v[144:147], v1 offset:784
	s_waitcnt lgkmcnt(1)
	v_fma_f64 v[2:3], v[148:149], v[140:141], v[2:3]
	scratch_load_b128 v[148:151], off, off offset:344
	s_waitcnt vmcnt(4)
	v_fma_f64 v[2:3], v[158:159], v[142:143], v[2:3]
	scratch_load_b128 v[140:143], off, off offset:360
	s_waitcnt lgkmcnt(0)
	v_fma_f64 v[2:3], v[160:161], v[144:145], v[2:3]
	s_waitcnt vmcnt(4)
	s_delay_alu instid0(VALU_DEP_1)
	v_fma_f64 v[2:3], v[132:133], v[146:147], v[2:3]
	ds_load_b128 v[144:147], v1 offset:800
	ds_load_b128 v[158:161], v1 offset:816
	s_waitcnt lgkmcnt(1)
	v_fma_f64 v[2:3], v[134:135], v[144:145], v[2:3]
	scratch_load_b128 v[132:135], off, off offset:376
	s_waitcnt vmcnt(4)
	v_fma_f64 v[2:3], v[154:155], v[146:147], v[2:3]
	scratch_load_b128 v[144:147], off, off offset:392
	s_waitcnt lgkmcnt(0)
	v_fma_f64 v[2:3], v[156:157], v[158:159], v[2:3]
	ds_load_b128 v[152:155], v1 offset:832
	ds_load_b128 v[156:159], v1 offset:848
	s_waitcnt vmcnt(4)
	v_fma_f64 v[2:3], v[136:137], v[160:161], v[2:3]
	s_waitcnt lgkmcnt(1)
	s_delay_alu instid0(VALU_DEP_1) | instskip(SKIP_4) | instid1(VALU_DEP_1)
	v_fma_f64 v[2:3], v[138:139], v[152:153], v[2:3]
	scratch_load_b128 v[136:139], off, off offset:408
	s_waitcnt vmcnt(4)
	v_fma_f64 v[2:3], v[148:149], v[154:155], v[2:3]
	s_waitcnt lgkmcnt(0)
	v_fma_f64 v[2:3], v[150:151], v[156:157], v[2:3]
	scratch_load_b128 v[148:151], off, off offset:424
	s_waitcnt vmcnt(4)
	v_fma_f64 v[2:3], v[140:141], v[158:159], v[2:3]
	ds_load_b128 v[152:155], v1 offset:864
	ds_load_b128 v[156:159], v1 offset:880
	s_waitcnt lgkmcnt(1)
	v_fma_f64 v[2:3], v[142:143], v[152:153], v[2:3]
	scratch_load_b128 v[140:143], off, off offset:440
	s_waitcnt vmcnt(4)
	v_fma_f64 v[2:3], v[132:133], v[154:155], v[2:3]
	s_waitcnt lgkmcnt(0)
	s_delay_alu instid0(VALU_DEP_1)
	v_fma_f64 v[2:3], v[134:135], v[156:157], v[2:3]
	scratch_load_b128 v[132:135], off, off offset:456
	s_waitcnt vmcnt(4)
	v_fma_f64 v[2:3], v[144:145], v[158:159], v[2:3]
	ds_load_b128 v[152:155], v1 offset:896
	ds_load_b128 v[156:159], v1 offset:912
	s_waitcnt lgkmcnt(1)
	v_fma_f64 v[2:3], v[146:147], v[152:153], v[2:3]
	scratch_load_b128 v[144:147], off, off offset:472
	s_waitcnt vmcnt(4)
	v_fma_f64 v[2:3], v[136:137], v[154:155], v[2:3]
	s_waitcnt lgkmcnt(0)
	s_delay_alu instid0(VALU_DEP_1)
	v_fma_f64 v[2:3], v[138:139], v[156:157], v[2:3]
	scratch_load_b64 v[156:157], off, off offset:488
	ds_load_b128 v[136:139], v1 offset:928
	ds_load_b128 v[152:155], v1 offset:944
	s_waitcnt vmcnt(4)
	v_fma_f64 v[2:3], v[148:149], v[158:159], v[2:3]
	s_waitcnt lgkmcnt(1)
	s_delay_alu instid0(VALU_DEP_1) | instskip(SKIP_1) | instid1(VALU_DEP_1)
	v_fma_f64 v[2:3], v[150:151], v[136:137], v[2:3]
	s_waitcnt vmcnt(3)
	v_fma_f64 v[2:3], v[140:141], v[138:139], v[2:3]
	s_waitcnt lgkmcnt(0)
	s_delay_alu instid0(VALU_DEP_1) | instskip(SKIP_1) | instid1(VALU_DEP_1)
	v_fma_f64 v[2:3], v[142:143], v[152:153], v[2:3]
	s_waitcnt vmcnt(2)
	v_fma_f64 v[132:133], v[132:133], v[154:155], v[2:3]
	ds_load_b128 v[136:139], v1 offset:960
	ds_load_b128 v[1:4], v1 offset:976
	s_waitcnt lgkmcnt(1)
	v_fma_f64 v[132:133], v[134:135], v[136:137], v[132:133]
	s_waitcnt vmcnt(1)
	s_delay_alu instid0(VALU_DEP_1) | instskip(SKIP_1) | instid1(VALU_DEP_1)
	v_fma_f64 v[132:133], v[144:145], v[138:139], v[132:133]
	s_waitcnt lgkmcnt(0)
	v_fma_f64 v[1:2], v[146:147], v[1:2], v[132:133]
	s_waitcnt vmcnt(0)
	s_delay_alu instid0(VALU_DEP_1) | instskip(NEXT) | instid1(VALU_DEP_1)
	v_fma_f64 v[1:2], v[156:157], v[3:4], v[1:2]
	v_add_f64 v[1:2], v[130:131], -v[1:2]
	scratch_store_b64 off, v[1:2], off offset:200
	v_cmpx_lt_u32_e32 24, v0
	s_cbranch_execz .LBB61_333
; %bb.332:
	scratch_load_b64 v[1:2], off, off offset:192
	v_mov_b32_e32 v3, 0
	s_delay_alu instid0(VALU_DEP_1)
	v_mov_b32_e32 v4, v3
	scratch_store_b64 off, v[3:4], off offset:192
	s_waitcnt vmcnt(0)
	ds_store_b64 v5, v[1:2]
.LBB61_333:
	s_or_b32 exec_lo, exec_lo, s0
	s_waitcnt lgkmcnt(0)
	s_waitcnt_vscnt null, 0x0
	s_barrier
	buffer_gl0_inv
	s_clause 0x4
	scratch_load_b128 v[130:133], off, off offset:192
	scratch_load_b128 v[134:137], off, off offset:208
	;; [unrolled: 1-line block ×5, first 2 shown]
	v_mov_b32_e32 v1, 0
	ds_load_2addr_b64 v[150:153], v1 offset0:87 offset1:88
	ds_load_2addr_b64 v[154:157], v1 offset0:89 offset1:90
	scratch_load_b128 v[158:161], off, off offset:272
	s_mov_b32 s0, exec_lo
	s_waitcnt vmcnt(5) lgkmcnt(1)
	v_fma_f64 v[2:3], v[132:133], v[150:151], 0
	s_waitcnt vmcnt(4)
	s_delay_alu instid0(VALU_DEP_1) | instskip(SKIP_4) | instid1(VALU_DEP_1)
	v_fma_f64 v[2:3], v[134:135], v[152:153], v[2:3]
	scratch_load_b128 v[132:135], off, off offset:288
	s_waitcnt lgkmcnt(0)
	v_fma_f64 v[2:3], v[136:137], v[154:155], v[2:3]
	s_waitcnt vmcnt(4)
	v_fma_f64 v[2:3], v[138:139], v[156:157], v[2:3]
	ds_load_2addr_b64 v[136:139], v1 offset0:91 offset1:92
	ds_load_2addr_b64 v[150:153], v1 offset0:93 offset1:94
	scratch_load_b128 v[154:157], off, off offset:304
	s_waitcnt lgkmcnt(1)
	v_fma_f64 v[2:3], v[140:141], v[136:137], v[2:3]
	s_waitcnt vmcnt(4)
	s_delay_alu instid0(VALU_DEP_1) | instskip(SKIP_4) | instid1(VALU_DEP_1)
	v_fma_f64 v[2:3], v[142:143], v[138:139], v[2:3]
	scratch_load_b128 v[136:139], off, off offset:320
	s_waitcnt lgkmcnt(0)
	v_fma_f64 v[2:3], v[144:145], v[150:151], v[2:3]
	s_waitcnt vmcnt(4)
	v_fma_f64 v[2:3], v[146:147], v[152:153], v[2:3]
	ds_load_2addr_b64 v[140:143], v1 offset0:95 offset1:96
	ds_load_2addr_b64 v[144:147], v1 offset0:97 offset1:98
	s_waitcnt lgkmcnt(1)
	v_fma_f64 v[2:3], v[148:149], v[140:141], v[2:3]
	scratch_load_b128 v[148:151], off, off offset:336
	s_waitcnt vmcnt(4)
	v_fma_f64 v[2:3], v[158:159], v[142:143], v[2:3]
	scratch_load_b128 v[140:143], off, off offset:352
	s_waitcnt lgkmcnt(0)
	v_fma_f64 v[2:3], v[160:161], v[144:145], v[2:3]
	s_waitcnt vmcnt(4)
	s_delay_alu instid0(VALU_DEP_1)
	v_fma_f64 v[2:3], v[132:133], v[146:147], v[2:3]
	ds_load_2addr_b64 v[144:147], v1 offset0:99 offset1:100
	ds_load_2addr_b64 v[158:161], v1 offset0:101 offset1:102
	s_waitcnt lgkmcnt(1)
	v_fma_f64 v[2:3], v[134:135], v[144:145], v[2:3]
	scratch_load_b128 v[132:135], off, off offset:368
	s_waitcnt vmcnt(4)
	v_fma_f64 v[2:3], v[154:155], v[146:147], v[2:3]
	scratch_load_b128 v[144:147], off, off offset:384
	s_waitcnt lgkmcnt(0)
	v_fma_f64 v[2:3], v[156:157], v[158:159], v[2:3]
	ds_load_2addr_b64 v[152:155], v1 offset0:103 offset1:104
	ds_load_2addr_b64 v[156:159], v1 offset0:105 offset1:106
	s_waitcnt vmcnt(4)
	v_fma_f64 v[2:3], v[136:137], v[160:161], v[2:3]
	s_waitcnt lgkmcnt(1)
	s_delay_alu instid0(VALU_DEP_1) | instskip(SKIP_4) | instid1(VALU_DEP_1)
	v_fma_f64 v[2:3], v[138:139], v[152:153], v[2:3]
	scratch_load_b128 v[136:139], off, off offset:400
	s_waitcnt vmcnt(4)
	v_fma_f64 v[2:3], v[148:149], v[154:155], v[2:3]
	s_waitcnt lgkmcnt(0)
	v_fma_f64 v[2:3], v[150:151], v[156:157], v[2:3]
	scratch_load_b128 v[148:151], off, off offset:416
	s_waitcnt vmcnt(4)
	v_fma_f64 v[2:3], v[140:141], v[158:159], v[2:3]
	ds_load_2addr_b64 v[152:155], v1 offset0:107 offset1:108
	ds_load_2addr_b64 v[156:159], v1 offset0:109 offset1:110
	s_waitcnt lgkmcnt(1)
	v_fma_f64 v[2:3], v[142:143], v[152:153], v[2:3]
	scratch_load_b128 v[140:143], off, off offset:432
	s_waitcnt vmcnt(4)
	v_fma_f64 v[2:3], v[132:133], v[154:155], v[2:3]
	s_waitcnt lgkmcnt(0)
	s_delay_alu instid0(VALU_DEP_1)
	v_fma_f64 v[2:3], v[134:135], v[156:157], v[2:3]
	scratch_load_b128 v[132:135], off, off offset:448
	s_waitcnt vmcnt(4)
	v_fma_f64 v[2:3], v[144:145], v[158:159], v[2:3]
	ds_load_2addr_b64 v[152:155], v1 offset0:111 offset1:112
	ds_load_2addr_b64 v[156:159], v1 offset0:113 offset1:114
	s_waitcnt lgkmcnt(1)
	v_fma_f64 v[2:3], v[146:147], v[152:153], v[2:3]
	scratch_load_b128 v[144:147], off, off offset:464
	s_waitcnt vmcnt(4)
	v_fma_f64 v[2:3], v[136:137], v[154:155], v[2:3]
	s_waitcnt lgkmcnt(0)
	s_delay_alu instid0(VALU_DEP_1)
	v_fma_f64 v[2:3], v[138:139], v[156:157], v[2:3]
	scratch_load_b128 v[136:139], off, off offset:480
	s_waitcnt vmcnt(4)
	v_fma_f64 v[2:3], v[148:149], v[158:159], v[2:3]
	ds_load_2addr_b64 v[152:155], v1 offset0:115 offset1:116
	ds_load_2addr_b64 v[156:159], v1 offset0:117 offset1:118
	s_waitcnt lgkmcnt(1)
	v_fma_f64 v[2:3], v[150:151], v[152:153], v[2:3]
	s_waitcnt vmcnt(3)
	s_delay_alu instid0(VALU_DEP_1) | instskip(SKIP_1) | instid1(VALU_DEP_1)
	v_fma_f64 v[2:3], v[140:141], v[154:155], v[2:3]
	s_waitcnt lgkmcnt(0)
	v_fma_f64 v[2:3], v[142:143], v[156:157], v[2:3]
	ds_load_2addr_b64 v[140:143], v1 offset0:119 offset1:120
	ds_load_2addr_b64 v[148:151], v1 offset0:121 offset1:122
	s_waitcnt vmcnt(2)
	v_fma_f64 v[2:3], v[132:133], v[158:159], v[2:3]
	ds_load_b64 v[132:133], v1 offset:984
	s_waitcnt lgkmcnt(2)
	v_fma_f64 v[2:3], v[134:135], v[140:141], v[2:3]
	s_waitcnt vmcnt(1)
	s_delay_alu instid0(VALU_DEP_1) | instskip(SKIP_1) | instid1(VALU_DEP_1)
	v_fma_f64 v[2:3], v[144:145], v[142:143], v[2:3]
	s_waitcnt lgkmcnt(1)
	v_fma_f64 v[2:3], v[146:147], v[148:149], v[2:3]
	s_waitcnt vmcnt(0)
	s_delay_alu instid0(VALU_DEP_1) | instskip(SKIP_1) | instid1(VALU_DEP_1)
	v_fma_f64 v[2:3], v[136:137], v[150:151], v[2:3]
	s_waitcnt lgkmcnt(0)
	v_fma_f64 v[2:3], v[138:139], v[132:133], v[2:3]
	s_delay_alu instid0(VALU_DEP_1)
	v_add_f64 v[2:3], v[130:131], -v[2:3]
	scratch_store_b64 off, v[2:3], off offset:192
	v_cmpx_lt_u32_e32 23, v0
	s_cbranch_execz .LBB61_335
; %bb.334:
	scratch_load_b64 v[3:4], off, off offset:184
	v_mov_b32_e32 v2, v1
	scratch_store_b64 off, v[1:2], off offset:184
	s_waitcnt vmcnt(0)
	ds_store_b64 v5, v[3:4]
.LBB61_335:
	s_or_b32 exec_lo, exec_lo, s0
	s_waitcnt lgkmcnt(0)
	s_waitcnt_vscnt null, 0x0
	s_barrier
	buffer_gl0_inv
	s_clause 0x4
	scratch_load_b128 v[130:133], off, off offset:184
	scratch_load_b128 v[134:137], off, off offset:200
	;; [unrolled: 1-line block ×5, first 2 shown]
	ds_load_b128 v[150:153], v1 offset:688
	ds_load_b128 v[154:157], v1 offset:704
	scratch_load_b128 v[158:161], off, off offset:264
	s_mov_b32 s0, exec_lo
	s_waitcnt vmcnt(5) lgkmcnt(1)
	v_fma_f64 v[2:3], v[132:133], v[150:151], 0
	s_waitcnt vmcnt(4)
	s_delay_alu instid0(VALU_DEP_1) | instskip(SKIP_4) | instid1(VALU_DEP_1)
	v_fma_f64 v[2:3], v[134:135], v[152:153], v[2:3]
	scratch_load_b128 v[132:135], off, off offset:280
	s_waitcnt lgkmcnt(0)
	v_fma_f64 v[2:3], v[136:137], v[154:155], v[2:3]
	s_waitcnt vmcnt(4)
	v_fma_f64 v[2:3], v[138:139], v[156:157], v[2:3]
	ds_load_b128 v[136:139], v1 offset:720
	ds_load_b128 v[150:153], v1 offset:736
	scratch_load_b128 v[154:157], off, off offset:296
	s_waitcnt lgkmcnt(1)
	v_fma_f64 v[2:3], v[140:141], v[136:137], v[2:3]
	s_waitcnt vmcnt(4)
	s_delay_alu instid0(VALU_DEP_1) | instskip(SKIP_4) | instid1(VALU_DEP_1)
	v_fma_f64 v[2:3], v[142:143], v[138:139], v[2:3]
	scratch_load_b128 v[136:139], off, off offset:312
	s_waitcnt lgkmcnt(0)
	v_fma_f64 v[2:3], v[144:145], v[150:151], v[2:3]
	s_waitcnt vmcnt(4)
	v_fma_f64 v[2:3], v[146:147], v[152:153], v[2:3]
	ds_load_b128 v[140:143], v1 offset:752
	ds_load_b128 v[144:147], v1 offset:768
	s_waitcnt lgkmcnt(1)
	v_fma_f64 v[2:3], v[148:149], v[140:141], v[2:3]
	scratch_load_b128 v[148:151], off, off offset:328
	s_waitcnt vmcnt(4)
	v_fma_f64 v[2:3], v[158:159], v[142:143], v[2:3]
	scratch_load_b128 v[140:143], off, off offset:344
	s_waitcnt lgkmcnt(0)
	v_fma_f64 v[2:3], v[160:161], v[144:145], v[2:3]
	s_waitcnt vmcnt(4)
	s_delay_alu instid0(VALU_DEP_1)
	v_fma_f64 v[2:3], v[132:133], v[146:147], v[2:3]
	ds_load_b128 v[144:147], v1 offset:784
	ds_load_b128 v[158:161], v1 offset:800
	s_waitcnt lgkmcnt(1)
	v_fma_f64 v[2:3], v[134:135], v[144:145], v[2:3]
	scratch_load_b128 v[132:135], off, off offset:360
	s_waitcnt vmcnt(4)
	v_fma_f64 v[2:3], v[154:155], v[146:147], v[2:3]
	scratch_load_b128 v[144:147], off, off offset:376
	s_waitcnt lgkmcnt(0)
	v_fma_f64 v[2:3], v[156:157], v[158:159], v[2:3]
	ds_load_b128 v[152:155], v1 offset:816
	ds_load_b128 v[156:159], v1 offset:832
	s_waitcnt vmcnt(4)
	v_fma_f64 v[2:3], v[136:137], v[160:161], v[2:3]
	s_waitcnt lgkmcnt(1)
	s_delay_alu instid0(VALU_DEP_1) | instskip(SKIP_4) | instid1(VALU_DEP_1)
	v_fma_f64 v[2:3], v[138:139], v[152:153], v[2:3]
	scratch_load_b128 v[136:139], off, off offset:392
	s_waitcnt vmcnt(4)
	v_fma_f64 v[2:3], v[148:149], v[154:155], v[2:3]
	s_waitcnt lgkmcnt(0)
	v_fma_f64 v[2:3], v[150:151], v[156:157], v[2:3]
	scratch_load_b128 v[148:151], off, off offset:408
	s_waitcnt vmcnt(4)
	v_fma_f64 v[2:3], v[140:141], v[158:159], v[2:3]
	ds_load_b128 v[152:155], v1 offset:848
	ds_load_b128 v[156:159], v1 offset:864
	s_waitcnt lgkmcnt(1)
	v_fma_f64 v[2:3], v[142:143], v[152:153], v[2:3]
	scratch_load_b128 v[140:143], off, off offset:424
	s_waitcnt vmcnt(4)
	v_fma_f64 v[2:3], v[132:133], v[154:155], v[2:3]
	s_waitcnt lgkmcnt(0)
	s_delay_alu instid0(VALU_DEP_1)
	v_fma_f64 v[2:3], v[134:135], v[156:157], v[2:3]
	scratch_load_b128 v[132:135], off, off offset:440
	s_waitcnt vmcnt(4)
	v_fma_f64 v[2:3], v[144:145], v[158:159], v[2:3]
	ds_load_b128 v[152:155], v1 offset:880
	ds_load_b128 v[156:159], v1 offset:896
	s_waitcnt lgkmcnt(1)
	v_fma_f64 v[2:3], v[146:147], v[152:153], v[2:3]
	scratch_load_b128 v[144:147], off, off offset:456
	s_waitcnt vmcnt(4)
	v_fma_f64 v[2:3], v[136:137], v[154:155], v[2:3]
	s_waitcnt lgkmcnt(0)
	s_delay_alu instid0(VALU_DEP_1)
	v_fma_f64 v[2:3], v[138:139], v[156:157], v[2:3]
	scratch_load_b128 v[136:139], off, off offset:472
	s_waitcnt vmcnt(4)
	v_fma_f64 v[2:3], v[148:149], v[158:159], v[2:3]
	ds_load_b128 v[152:155], v1 offset:912
	ds_load_b128 v[156:159], v1 offset:928
	s_waitcnt lgkmcnt(1)
	v_fma_f64 v[2:3], v[150:151], v[152:153], v[2:3]
	scratch_load_b64 v[152:153], off, off offset:488
	s_waitcnt vmcnt(4)
	v_fma_f64 v[2:3], v[140:141], v[154:155], v[2:3]
	s_waitcnt lgkmcnt(0)
	s_delay_alu instid0(VALU_DEP_1)
	v_fma_f64 v[2:3], v[142:143], v[156:157], v[2:3]
	ds_load_b128 v[140:143], v1 offset:944
	ds_load_b128 v[148:151], v1 offset:960
	s_waitcnt vmcnt(3)
	v_fma_f64 v[2:3], v[132:133], v[158:159], v[2:3]
	s_waitcnt lgkmcnt(1)
	s_delay_alu instid0(VALU_DEP_1) | instskip(SKIP_1) | instid1(VALU_DEP_1)
	v_fma_f64 v[2:3], v[134:135], v[140:141], v[2:3]
	s_waitcnt vmcnt(2)
	v_fma_f64 v[2:3], v[144:145], v[142:143], v[2:3]
	s_waitcnt lgkmcnt(0)
	s_delay_alu instid0(VALU_DEP_1) | instskip(SKIP_1) | instid1(VALU_DEP_1)
	v_fma_f64 v[2:3], v[146:147], v[148:149], v[2:3]
	s_waitcnt vmcnt(1)
	v_fma_f64 v[132:133], v[136:137], v[150:151], v[2:3]
	ds_load_b128 v[1:4], v1 offset:976
	s_waitcnt lgkmcnt(0)
	v_fma_f64 v[1:2], v[138:139], v[1:2], v[132:133]
	s_waitcnt vmcnt(0)
	s_delay_alu instid0(VALU_DEP_1) | instskip(NEXT) | instid1(VALU_DEP_1)
	v_fma_f64 v[1:2], v[152:153], v[3:4], v[1:2]
	v_add_f64 v[1:2], v[130:131], -v[1:2]
	scratch_store_b64 off, v[1:2], off offset:184
	v_cmpx_lt_u32_e32 22, v0
	s_cbranch_execz .LBB61_337
; %bb.336:
	scratch_load_b64 v[1:2], off, off offset:176
	v_mov_b32_e32 v3, 0
	s_delay_alu instid0(VALU_DEP_1)
	v_mov_b32_e32 v4, v3
	scratch_store_b64 off, v[3:4], off offset:176
	s_waitcnt vmcnt(0)
	ds_store_b64 v5, v[1:2]
.LBB61_337:
	s_or_b32 exec_lo, exec_lo, s0
	s_waitcnt lgkmcnt(0)
	s_waitcnt_vscnt null, 0x0
	s_barrier
	buffer_gl0_inv
	s_clause 0x4
	scratch_load_b128 v[130:133], off, off offset:176
	scratch_load_b128 v[134:137], off, off offset:192
	;; [unrolled: 1-line block ×5, first 2 shown]
	v_mov_b32_e32 v1, 0
	ds_load_2addr_b64 v[150:153], v1 offset0:85 offset1:86
	ds_load_2addr_b64 v[154:157], v1 offset0:87 offset1:88
	scratch_load_b128 v[158:161], off, off offset:256
	s_mov_b32 s0, exec_lo
	s_waitcnt vmcnt(5) lgkmcnt(1)
	v_fma_f64 v[2:3], v[132:133], v[150:151], 0
	s_waitcnt vmcnt(4)
	s_delay_alu instid0(VALU_DEP_1) | instskip(SKIP_4) | instid1(VALU_DEP_1)
	v_fma_f64 v[2:3], v[134:135], v[152:153], v[2:3]
	scratch_load_b128 v[132:135], off, off offset:272
	s_waitcnt lgkmcnt(0)
	v_fma_f64 v[2:3], v[136:137], v[154:155], v[2:3]
	s_waitcnt vmcnt(4)
	v_fma_f64 v[2:3], v[138:139], v[156:157], v[2:3]
	ds_load_2addr_b64 v[136:139], v1 offset0:89 offset1:90
	ds_load_2addr_b64 v[150:153], v1 offset0:91 offset1:92
	scratch_load_b128 v[154:157], off, off offset:288
	s_waitcnt lgkmcnt(1)
	v_fma_f64 v[2:3], v[140:141], v[136:137], v[2:3]
	s_waitcnt vmcnt(4)
	s_delay_alu instid0(VALU_DEP_1) | instskip(SKIP_4) | instid1(VALU_DEP_1)
	v_fma_f64 v[2:3], v[142:143], v[138:139], v[2:3]
	scratch_load_b128 v[136:139], off, off offset:304
	s_waitcnt lgkmcnt(0)
	v_fma_f64 v[2:3], v[144:145], v[150:151], v[2:3]
	s_waitcnt vmcnt(4)
	v_fma_f64 v[2:3], v[146:147], v[152:153], v[2:3]
	ds_load_2addr_b64 v[140:143], v1 offset0:93 offset1:94
	ds_load_2addr_b64 v[144:147], v1 offset0:95 offset1:96
	s_waitcnt lgkmcnt(1)
	v_fma_f64 v[2:3], v[148:149], v[140:141], v[2:3]
	scratch_load_b128 v[148:151], off, off offset:320
	s_waitcnt vmcnt(4)
	v_fma_f64 v[2:3], v[158:159], v[142:143], v[2:3]
	scratch_load_b128 v[140:143], off, off offset:336
	s_waitcnt lgkmcnt(0)
	v_fma_f64 v[2:3], v[160:161], v[144:145], v[2:3]
	s_waitcnt vmcnt(4)
	s_delay_alu instid0(VALU_DEP_1)
	v_fma_f64 v[2:3], v[132:133], v[146:147], v[2:3]
	ds_load_2addr_b64 v[144:147], v1 offset0:97 offset1:98
	ds_load_2addr_b64 v[158:161], v1 offset0:99 offset1:100
	s_waitcnt lgkmcnt(1)
	v_fma_f64 v[2:3], v[134:135], v[144:145], v[2:3]
	scratch_load_b128 v[132:135], off, off offset:352
	s_waitcnt vmcnt(4)
	v_fma_f64 v[2:3], v[154:155], v[146:147], v[2:3]
	scratch_load_b128 v[144:147], off, off offset:368
	s_waitcnt lgkmcnt(0)
	v_fma_f64 v[2:3], v[156:157], v[158:159], v[2:3]
	ds_load_2addr_b64 v[152:155], v1 offset0:101 offset1:102
	ds_load_2addr_b64 v[156:159], v1 offset0:103 offset1:104
	s_waitcnt vmcnt(4)
	v_fma_f64 v[2:3], v[136:137], v[160:161], v[2:3]
	s_waitcnt lgkmcnt(1)
	s_delay_alu instid0(VALU_DEP_1) | instskip(SKIP_4) | instid1(VALU_DEP_1)
	v_fma_f64 v[2:3], v[138:139], v[152:153], v[2:3]
	scratch_load_b128 v[136:139], off, off offset:384
	s_waitcnt vmcnt(4)
	v_fma_f64 v[2:3], v[148:149], v[154:155], v[2:3]
	s_waitcnt lgkmcnt(0)
	v_fma_f64 v[2:3], v[150:151], v[156:157], v[2:3]
	scratch_load_b128 v[148:151], off, off offset:400
	s_waitcnt vmcnt(4)
	v_fma_f64 v[2:3], v[140:141], v[158:159], v[2:3]
	ds_load_2addr_b64 v[152:155], v1 offset0:105 offset1:106
	ds_load_2addr_b64 v[156:159], v1 offset0:107 offset1:108
	s_waitcnt lgkmcnt(1)
	v_fma_f64 v[2:3], v[142:143], v[152:153], v[2:3]
	scratch_load_b128 v[140:143], off, off offset:416
	s_waitcnt vmcnt(4)
	v_fma_f64 v[2:3], v[132:133], v[154:155], v[2:3]
	s_waitcnt lgkmcnt(0)
	s_delay_alu instid0(VALU_DEP_1)
	v_fma_f64 v[2:3], v[134:135], v[156:157], v[2:3]
	scratch_load_b128 v[132:135], off, off offset:432
	s_waitcnt vmcnt(4)
	v_fma_f64 v[2:3], v[144:145], v[158:159], v[2:3]
	ds_load_2addr_b64 v[152:155], v1 offset0:109 offset1:110
	ds_load_2addr_b64 v[156:159], v1 offset0:111 offset1:112
	s_waitcnt lgkmcnt(1)
	v_fma_f64 v[2:3], v[146:147], v[152:153], v[2:3]
	scratch_load_b128 v[144:147], off, off offset:448
	s_waitcnt vmcnt(4)
	v_fma_f64 v[2:3], v[136:137], v[154:155], v[2:3]
	s_waitcnt lgkmcnt(0)
	s_delay_alu instid0(VALU_DEP_1)
	;; [unrolled: 13-line block ×3, first 2 shown]
	v_fma_f64 v[2:3], v[142:143], v[156:157], v[2:3]
	ds_load_2addr_b64 v[140:143], v1 offset0:117 offset1:118
	ds_load_2addr_b64 v[152:155], v1 offset0:119 offset1:120
	s_waitcnt vmcnt(3)
	v_fma_f64 v[2:3], v[132:133], v[158:159], v[2:3]
	s_waitcnt lgkmcnt(1)
	s_delay_alu instid0(VALU_DEP_1) | instskip(SKIP_1) | instid1(VALU_DEP_1)
	v_fma_f64 v[2:3], v[134:135], v[140:141], v[2:3]
	s_waitcnt vmcnt(2)
	v_fma_f64 v[2:3], v[144:145], v[142:143], v[2:3]
	s_waitcnt lgkmcnt(0)
	s_delay_alu instid0(VALU_DEP_1) | instskip(SKIP_1) | instid1(VALU_DEP_1)
	v_fma_f64 v[2:3], v[146:147], v[152:153], v[2:3]
	s_waitcnt vmcnt(1)
	v_fma_f64 v[2:3], v[136:137], v[154:155], v[2:3]
	ds_load_2addr_b64 v[132:135], v1 offset0:121 offset1:122
	ds_load_b64 v[136:137], v1 offset:984
	s_waitcnt lgkmcnt(1)
	v_fma_f64 v[2:3], v[138:139], v[132:133], v[2:3]
	s_waitcnt vmcnt(0)
	s_delay_alu instid0(VALU_DEP_1) | instskip(SKIP_1) | instid1(VALU_DEP_1)
	v_fma_f64 v[2:3], v[148:149], v[134:135], v[2:3]
	s_waitcnt lgkmcnt(0)
	v_fma_f64 v[2:3], v[150:151], v[136:137], v[2:3]
	s_delay_alu instid0(VALU_DEP_1)
	v_add_f64 v[2:3], v[130:131], -v[2:3]
	scratch_store_b64 off, v[2:3], off offset:176
	v_cmpx_lt_u32_e32 21, v0
	s_cbranch_execz .LBB61_339
; %bb.338:
	scratch_load_b64 v[3:4], off, off offset:168
	v_mov_b32_e32 v2, v1
	scratch_store_b64 off, v[1:2], off offset:168
	s_waitcnt vmcnt(0)
	ds_store_b64 v5, v[3:4]
.LBB61_339:
	s_or_b32 exec_lo, exec_lo, s0
	s_waitcnt lgkmcnt(0)
	s_waitcnt_vscnt null, 0x0
	s_barrier
	buffer_gl0_inv
	s_clause 0x4
	scratch_load_b128 v[130:133], off, off offset:168
	scratch_load_b128 v[134:137], off, off offset:184
	;; [unrolled: 1-line block ×5, first 2 shown]
	ds_load_b128 v[150:153], v1 offset:672
	ds_load_b128 v[154:157], v1 offset:688
	scratch_load_b128 v[158:161], off, off offset:248
	s_mov_b32 s0, exec_lo
	s_waitcnt vmcnt(5) lgkmcnt(1)
	v_fma_f64 v[2:3], v[132:133], v[150:151], 0
	s_waitcnt vmcnt(4)
	s_delay_alu instid0(VALU_DEP_1) | instskip(SKIP_4) | instid1(VALU_DEP_1)
	v_fma_f64 v[2:3], v[134:135], v[152:153], v[2:3]
	scratch_load_b128 v[132:135], off, off offset:264
	s_waitcnt lgkmcnt(0)
	v_fma_f64 v[2:3], v[136:137], v[154:155], v[2:3]
	s_waitcnt vmcnt(4)
	v_fma_f64 v[2:3], v[138:139], v[156:157], v[2:3]
	ds_load_b128 v[136:139], v1 offset:704
	ds_load_b128 v[150:153], v1 offset:720
	scratch_load_b128 v[154:157], off, off offset:280
	s_waitcnt lgkmcnt(1)
	v_fma_f64 v[2:3], v[140:141], v[136:137], v[2:3]
	s_waitcnt vmcnt(4)
	s_delay_alu instid0(VALU_DEP_1) | instskip(SKIP_4) | instid1(VALU_DEP_1)
	v_fma_f64 v[2:3], v[142:143], v[138:139], v[2:3]
	scratch_load_b128 v[136:139], off, off offset:296
	s_waitcnt lgkmcnt(0)
	v_fma_f64 v[2:3], v[144:145], v[150:151], v[2:3]
	s_waitcnt vmcnt(4)
	v_fma_f64 v[2:3], v[146:147], v[152:153], v[2:3]
	ds_load_b128 v[140:143], v1 offset:736
	ds_load_b128 v[144:147], v1 offset:752
	s_waitcnt lgkmcnt(1)
	v_fma_f64 v[2:3], v[148:149], v[140:141], v[2:3]
	scratch_load_b128 v[148:151], off, off offset:312
	s_waitcnt vmcnt(4)
	v_fma_f64 v[2:3], v[158:159], v[142:143], v[2:3]
	scratch_load_b128 v[140:143], off, off offset:328
	s_waitcnt lgkmcnt(0)
	v_fma_f64 v[2:3], v[160:161], v[144:145], v[2:3]
	s_waitcnt vmcnt(4)
	s_delay_alu instid0(VALU_DEP_1)
	v_fma_f64 v[2:3], v[132:133], v[146:147], v[2:3]
	ds_load_b128 v[144:147], v1 offset:768
	ds_load_b128 v[158:161], v1 offset:784
	s_waitcnt lgkmcnt(1)
	v_fma_f64 v[2:3], v[134:135], v[144:145], v[2:3]
	scratch_load_b128 v[132:135], off, off offset:344
	s_waitcnt vmcnt(4)
	v_fma_f64 v[2:3], v[154:155], v[146:147], v[2:3]
	scratch_load_b128 v[144:147], off, off offset:360
	s_waitcnt lgkmcnt(0)
	v_fma_f64 v[2:3], v[156:157], v[158:159], v[2:3]
	ds_load_b128 v[152:155], v1 offset:800
	ds_load_b128 v[156:159], v1 offset:816
	s_waitcnt vmcnt(4)
	v_fma_f64 v[2:3], v[136:137], v[160:161], v[2:3]
	s_waitcnt lgkmcnt(1)
	s_delay_alu instid0(VALU_DEP_1) | instskip(SKIP_4) | instid1(VALU_DEP_1)
	v_fma_f64 v[2:3], v[138:139], v[152:153], v[2:3]
	scratch_load_b128 v[136:139], off, off offset:376
	s_waitcnt vmcnt(4)
	v_fma_f64 v[2:3], v[148:149], v[154:155], v[2:3]
	s_waitcnt lgkmcnt(0)
	v_fma_f64 v[2:3], v[150:151], v[156:157], v[2:3]
	scratch_load_b128 v[148:151], off, off offset:392
	s_waitcnt vmcnt(4)
	v_fma_f64 v[2:3], v[140:141], v[158:159], v[2:3]
	ds_load_b128 v[152:155], v1 offset:832
	ds_load_b128 v[156:159], v1 offset:848
	s_waitcnt lgkmcnt(1)
	v_fma_f64 v[2:3], v[142:143], v[152:153], v[2:3]
	scratch_load_b128 v[140:143], off, off offset:408
	s_waitcnt vmcnt(4)
	v_fma_f64 v[2:3], v[132:133], v[154:155], v[2:3]
	s_waitcnt lgkmcnt(0)
	s_delay_alu instid0(VALU_DEP_1)
	v_fma_f64 v[2:3], v[134:135], v[156:157], v[2:3]
	scratch_load_b128 v[132:135], off, off offset:424
	s_waitcnt vmcnt(4)
	v_fma_f64 v[2:3], v[144:145], v[158:159], v[2:3]
	ds_load_b128 v[152:155], v1 offset:864
	ds_load_b128 v[156:159], v1 offset:880
	s_waitcnt lgkmcnt(1)
	v_fma_f64 v[2:3], v[146:147], v[152:153], v[2:3]
	scratch_load_b128 v[144:147], off, off offset:440
	s_waitcnt vmcnt(4)
	v_fma_f64 v[2:3], v[136:137], v[154:155], v[2:3]
	s_waitcnt lgkmcnt(0)
	s_delay_alu instid0(VALU_DEP_1)
	;; [unrolled: 13-line block ×3, first 2 shown]
	v_fma_f64 v[2:3], v[142:143], v[156:157], v[2:3]
	scratch_load_b64 v[156:157], off, off offset:488
	ds_load_b128 v[140:143], v1 offset:928
	ds_load_b128 v[152:155], v1 offset:944
	s_waitcnt vmcnt(4)
	v_fma_f64 v[2:3], v[132:133], v[158:159], v[2:3]
	s_waitcnt lgkmcnt(1)
	s_delay_alu instid0(VALU_DEP_1) | instskip(SKIP_1) | instid1(VALU_DEP_1)
	v_fma_f64 v[2:3], v[134:135], v[140:141], v[2:3]
	s_waitcnt vmcnt(3)
	v_fma_f64 v[2:3], v[144:145], v[142:143], v[2:3]
	s_waitcnt lgkmcnt(0)
	s_delay_alu instid0(VALU_DEP_1) | instskip(SKIP_1) | instid1(VALU_DEP_1)
	v_fma_f64 v[2:3], v[146:147], v[152:153], v[2:3]
	s_waitcnt vmcnt(2)
	v_fma_f64 v[136:137], v[136:137], v[154:155], v[2:3]
	ds_load_b128 v[132:135], v1 offset:960
	ds_load_b128 v[1:4], v1 offset:976
	s_waitcnt lgkmcnt(1)
	v_fma_f64 v[132:133], v[138:139], v[132:133], v[136:137]
	s_waitcnt vmcnt(1)
	s_delay_alu instid0(VALU_DEP_1) | instskip(SKIP_1) | instid1(VALU_DEP_1)
	v_fma_f64 v[132:133], v[148:149], v[134:135], v[132:133]
	s_waitcnt lgkmcnt(0)
	v_fma_f64 v[1:2], v[150:151], v[1:2], v[132:133]
	s_waitcnt vmcnt(0)
	s_delay_alu instid0(VALU_DEP_1) | instskip(NEXT) | instid1(VALU_DEP_1)
	v_fma_f64 v[1:2], v[156:157], v[3:4], v[1:2]
	v_add_f64 v[1:2], v[130:131], -v[1:2]
	scratch_store_b64 off, v[1:2], off offset:168
	v_cmpx_lt_u32_e32 20, v0
	s_cbranch_execz .LBB61_341
; %bb.340:
	scratch_load_b64 v[1:2], off, off offset:160
	v_mov_b32_e32 v3, 0
	s_delay_alu instid0(VALU_DEP_1)
	v_mov_b32_e32 v4, v3
	scratch_store_b64 off, v[3:4], off offset:160
	s_waitcnt vmcnt(0)
	ds_store_b64 v5, v[1:2]
.LBB61_341:
	s_or_b32 exec_lo, exec_lo, s0
	s_waitcnt lgkmcnt(0)
	s_waitcnt_vscnt null, 0x0
	s_barrier
	buffer_gl0_inv
	s_clause 0x4
	scratch_load_b128 v[130:133], off, off offset:160
	scratch_load_b128 v[134:137], off, off offset:176
	;; [unrolled: 1-line block ×5, first 2 shown]
	v_mov_b32_e32 v1, 0
	ds_load_2addr_b64 v[150:153], v1 offset0:83 offset1:84
	ds_load_2addr_b64 v[154:157], v1 offset0:85 offset1:86
	scratch_load_b128 v[158:161], off, off offset:240
	s_mov_b32 s0, exec_lo
	s_waitcnt vmcnt(5) lgkmcnt(1)
	v_fma_f64 v[2:3], v[132:133], v[150:151], 0
	s_waitcnt vmcnt(4)
	s_delay_alu instid0(VALU_DEP_1) | instskip(SKIP_4) | instid1(VALU_DEP_1)
	v_fma_f64 v[2:3], v[134:135], v[152:153], v[2:3]
	scratch_load_b128 v[132:135], off, off offset:256
	s_waitcnt lgkmcnt(0)
	v_fma_f64 v[2:3], v[136:137], v[154:155], v[2:3]
	s_waitcnt vmcnt(4)
	v_fma_f64 v[2:3], v[138:139], v[156:157], v[2:3]
	ds_load_2addr_b64 v[136:139], v1 offset0:87 offset1:88
	ds_load_2addr_b64 v[150:153], v1 offset0:89 offset1:90
	scratch_load_b128 v[154:157], off, off offset:272
	s_waitcnt lgkmcnt(1)
	v_fma_f64 v[2:3], v[140:141], v[136:137], v[2:3]
	s_waitcnt vmcnt(4)
	s_delay_alu instid0(VALU_DEP_1) | instskip(SKIP_4) | instid1(VALU_DEP_1)
	v_fma_f64 v[2:3], v[142:143], v[138:139], v[2:3]
	scratch_load_b128 v[136:139], off, off offset:288
	s_waitcnt lgkmcnt(0)
	v_fma_f64 v[2:3], v[144:145], v[150:151], v[2:3]
	s_waitcnt vmcnt(4)
	v_fma_f64 v[2:3], v[146:147], v[152:153], v[2:3]
	ds_load_2addr_b64 v[140:143], v1 offset0:91 offset1:92
	ds_load_2addr_b64 v[144:147], v1 offset0:93 offset1:94
	s_waitcnt lgkmcnt(1)
	v_fma_f64 v[2:3], v[148:149], v[140:141], v[2:3]
	scratch_load_b128 v[148:151], off, off offset:304
	s_waitcnt vmcnt(4)
	v_fma_f64 v[2:3], v[158:159], v[142:143], v[2:3]
	scratch_load_b128 v[140:143], off, off offset:320
	s_waitcnt lgkmcnt(0)
	v_fma_f64 v[2:3], v[160:161], v[144:145], v[2:3]
	s_waitcnt vmcnt(4)
	s_delay_alu instid0(VALU_DEP_1)
	v_fma_f64 v[2:3], v[132:133], v[146:147], v[2:3]
	ds_load_2addr_b64 v[144:147], v1 offset0:95 offset1:96
	ds_load_2addr_b64 v[158:161], v1 offset0:97 offset1:98
	s_waitcnt lgkmcnt(1)
	v_fma_f64 v[2:3], v[134:135], v[144:145], v[2:3]
	scratch_load_b128 v[132:135], off, off offset:336
	s_waitcnt vmcnt(4)
	v_fma_f64 v[2:3], v[154:155], v[146:147], v[2:3]
	scratch_load_b128 v[144:147], off, off offset:352
	s_waitcnt lgkmcnt(0)
	v_fma_f64 v[2:3], v[156:157], v[158:159], v[2:3]
	ds_load_2addr_b64 v[152:155], v1 offset0:99 offset1:100
	ds_load_2addr_b64 v[156:159], v1 offset0:101 offset1:102
	s_waitcnt vmcnt(4)
	v_fma_f64 v[2:3], v[136:137], v[160:161], v[2:3]
	s_waitcnt lgkmcnt(1)
	s_delay_alu instid0(VALU_DEP_1) | instskip(SKIP_4) | instid1(VALU_DEP_1)
	v_fma_f64 v[2:3], v[138:139], v[152:153], v[2:3]
	scratch_load_b128 v[136:139], off, off offset:368
	s_waitcnt vmcnt(4)
	v_fma_f64 v[2:3], v[148:149], v[154:155], v[2:3]
	s_waitcnt lgkmcnt(0)
	v_fma_f64 v[2:3], v[150:151], v[156:157], v[2:3]
	scratch_load_b128 v[148:151], off, off offset:384
	s_waitcnt vmcnt(4)
	v_fma_f64 v[2:3], v[140:141], v[158:159], v[2:3]
	ds_load_2addr_b64 v[152:155], v1 offset0:103 offset1:104
	ds_load_2addr_b64 v[156:159], v1 offset0:105 offset1:106
	s_waitcnt lgkmcnt(1)
	v_fma_f64 v[2:3], v[142:143], v[152:153], v[2:3]
	scratch_load_b128 v[140:143], off, off offset:400
	s_waitcnt vmcnt(4)
	v_fma_f64 v[2:3], v[132:133], v[154:155], v[2:3]
	s_waitcnt lgkmcnt(0)
	s_delay_alu instid0(VALU_DEP_1)
	v_fma_f64 v[2:3], v[134:135], v[156:157], v[2:3]
	scratch_load_b128 v[132:135], off, off offset:416
	s_waitcnt vmcnt(4)
	v_fma_f64 v[2:3], v[144:145], v[158:159], v[2:3]
	ds_load_2addr_b64 v[152:155], v1 offset0:107 offset1:108
	ds_load_2addr_b64 v[156:159], v1 offset0:109 offset1:110
	s_waitcnt lgkmcnt(1)
	v_fma_f64 v[2:3], v[146:147], v[152:153], v[2:3]
	scratch_load_b128 v[144:147], off, off offset:432
	s_waitcnt vmcnt(4)
	v_fma_f64 v[2:3], v[136:137], v[154:155], v[2:3]
	s_waitcnt lgkmcnt(0)
	s_delay_alu instid0(VALU_DEP_1)
	;; [unrolled: 13-line block ×3, first 2 shown]
	v_fma_f64 v[2:3], v[142:143], v[156:157], v[2:3]
	scratch_load_b128 v[140:143], off, off offset:480
	s_waitcnt vmcnt(4)
	v_fma_f64 v[2:3], v[132:133], v[158:159], v[2:3]
	ds_load_2addr_b64 v[152:155], v1 offset0:115 offset1:116
	ds_load_2addr_b64 v[156:159], v1 offset0:117 offset1:118
	s_waitcnt lgkmcnt(1)
	v_fma_f64 v[2:3], v[134:135], v[152:153], v[2:3]
	s_waitcnt vmcnt(3)
	s_delay_alu instid0(VALU_DEP_1) | instskip(SKIP_1) | instid1(VALU_DEP_1)
	v_fma_f64 v[2:3], v[144:145], v[154:155], v[2:3]
	s_waitcnt lgkmcnt(0)
	v_fma_f64 v[2:3], v[146:147], v[156:157], v[2:3]
	ds_load_2addr_b64 v[132:135], v1 offset0:119 offset1:120
	ds_load_2addr_b64 v[144:147], v1 offset0:121 offset1:122
	s_waitcnt vmcnt(2)
	v_fma_f64 v[2:3], v[136:137], v[158:159], v[2:3]
	s_waitcnt lgkmcnt(1)
	s_delay_alu instid0(VALU_DEP_1) | instskip(SKIP_4) | instid1(VALU_DEP_1)
	v_fma_f64 v[2:3], v[138:139], v[132:133], v[2:3]
	ds_load_b64 v[132:133], v1 offset:984
	s_waitcnt vmcnt(1)
	v_fma_f64 v[2:3], v[148:149], v[134:135], v[2:3]
	s_waitcnt lgkmcnt(1)
	v_fma_f64 v[2:3], v[150:151], v[144:145], v[2:3]
	s_waitcnt vmcnt(0)
	s_delay_alu instid0(VALU_DEP_1) | instskip(SKIP_1) | instid1(VALU_DEP_1)
	v_fma_f64 v[2:3], v[140:141], v[146:147], v[2:3]
	s_waitcnt lgkmcnt(0)
	v_fma_f64 v[2:3], v[142:143], v[132:133], v[2:3]
	s_delay_alu instid0(VALU_DEP_1)
	v_add_f64 v[2:3], v[130:131], -v[2:3]
	scratch_store_b64 off, v[2:3], off offset:160
	v_cmpx_lt_u32_e32 19, v0
	s_cbranch_execz .LBB61_343
; %bb.342:
	scratch_load_b64 v[3:4], off, off offset:152
	v_mov_b32_e32 v2, v1
	scratch_store_b64 off, v[1:2], off offset:152
	s_waitcnt vmcnt(0)
	ds_store_b64 v5, v[3:4]
.LBB61_343:
	s_or_b32 exec_lo, exec_lo, s0
	s_waitcnt lgkmcnt(0)
	s_waitcnt_vscnt null, 0x0
	s_barrier
	buffer_gl0_inv
	s_clause 0x4
	scratch_load_b128 v[130:133], off, off offset:152
	scratch_load_b128 v[134:137], off, off offset:168
	;; [unrolled: 1-line block ×5, first 2 shown]
	ds_load_b128 v[150:153], v1 offset:656
	ds_load_b128 v[154:157], v1 offset:672
	scratch_load_b128 v[158:161], off, off offset:232
	s_mov_b32 s0, exec_lo
	s_waitcnt vmcnt(5) lgkmcnt(1)
	v_fma_f64 v[2:3], v[132:133], v[150:151], 0
	s_waitcnt vmcnt(4)
	s_delay_alu instid0(VALU_DEP_1) | instskip(SKIP_4) | instid1(VALU_DEP_1)
	v_fma_f64 v[2:3], v[134:135], v[152:153], v[2:3]
	scratch_load_b128 v[132:135], off, off offset:248
	s_waitcnt lgkmcnt(0)
	v_fma_f64 v[2:3], v[136:137], v[154:155], v[2:3]
	s_waitcnt vmcnt(4)
	v_fma_f64 v[2:3], v[138:139], v[156:157], v[2:3]
	ds_load_b128 v[136:139], v1 offset:688
	ds_load_b128 v[150:153], v1 offset:704
	scratch_load_b128 v[154:157], off, off offset:264
	s_waitcnt lgkmcnt(1)
	v_fma_f64 v[2:3], v[140:141], v[136:137], v[2:3]
	s_waitcnt vmcnt(4)
	s_delay_alu instid0(VALU_DEP_1) | instskip(SKIP_4) | instid1(VALU_DEP_1)
	v_fma_f64 v[2:3], v[142:143], v[138:139], v[2:3]
	scratch_load_b128 v[136:139], off, off offset:280
	s_waitcnt lgkmcnt(0)
	v_fma_f64 v[2:3], v[144:145], v[150:151], v[2:3]
	s_waitcnt vmcnt(4)
	v_fma_f64 v[2:3], v[146:147], v[152:153], v[2:3]
	ds_load_b128 v[140:143], v1 offset:720
	ds_load_b128 v[144:147], v1 offset:736
	s_waitcnt lgkmcnt(1)
	v_fma_f64 v[2:3], v[148:149], v[140:141], v[2:3]
	scratch_load_b128 v[148:151], off, off offset:296
	s_waitcnt vmcnt(4)
	v_fma_f64 v[2:3], v[158:159], v[142:143], v[2:3]
	scratch_load_b128 v[140:143], off, off offset:312
	s_waitcnt lgkmcnt(0)
	v_fma_f64 v[2:3], v[160:161], v[144:145], v[2:3]
	s_waitcnt vmcnt(4)
	s_delay_alu instid0(VALU_DEP_1)
	v_fma_f64 v[2:3], v[132:133], v[146:147], v[2:3]
	ds_load_b128 v[144:147], v1 offset:752
	ds_load_b128 v[158:161], v1 offset:768
	s_waitcnt lgkmcnt(1)
	v_fma_f64 v[2:3], v[134:135], v[144:145], v[2:3]
	scratch_load_b128 v[132:135], off, off offset:328
	s_waitcnt vmcnt(4)
	v_fma_f64 v[2:3], v[154:155], v[146:147], v[2:3]
	scratch_load_b128 v[144:147], off, off offset:344
	s_waitcnt lgkmcnt(0)
	v_fma_f64 v[2:3], v[156:157], v[158:159], v[2:3]
	ds_load_b128 v[152:155], v1 offset:784
	ds_load_b128 v[156:159], v1 offset:800
	s_waitcnt vmcnt(4)
	v_fma_f64 v[2:3], v[136:137], v[160:161], v[2:3]
	s_waitcnt lgkmcnt(1)
	s_delay_alu instid0(VALU_DEP_1) | instskip(SKIP_4) | instid1(VALU_DEP_1)
	v_fma_f64 v[2:3], v[138:139], v[152:153], v[2:3]
	scratch_load_b128 v[136:139], off, off offset:360
	s_waitcnt vmcnt(4)
	v_fma_f64 v[2:3], v[148:149], v[154:155], v[2:3]
	s_waitcnt lgkmcnt(0)
	v_fma_f64 v[2:3], v[150:151], v[156:157], v[2:3]
	scratch_load_b128 v[148:151], off, off offset:376
	s_waitcnt vmcnt(4)
	v_fma_f64 v[2:3], v[140:141], v[158:159], v[2:3]
	ds_load_b128 v[152:155], v1 offset:816
	ds_load_b128 v[156:159], v1 offset:832
	s_waitcnt lgkmcnt(1)
	v_fma_f64 v[2:3], v[142:143], v[152:153], v[2:3]
	scratch_load_b128 v[140:143], off, off offset:392
	s_waitcnt vmcnt(4)
	v_fma_f64 v[2:3], v[132:133], v[154:155], v[2:3]
	s_waitcnt lgkmcnt(0)
	s_delay_alu instid0(VALU_DEP_1)
	v_fma_f64 v[2:3], v[134:135], v[156:157], v[2:3]
	scratch_load_b128 v[132:135], off, off offset:408
	s_waitcnt vmcnt(4)
	v_fma_f64 v[2:3], v[144:145], v[158:159], v[2:3]
	ds_load_b128 v[152:155], v1 offset:848
	ds_load_b128 v[156:159], v1 offset:864
	s_waitcnt lgkmcnt(1)
	v_fma_f64 v[2:3], v[146:147], v[152:153], v[2:3]
	scratch_load_b128 v[144:147], off, off offset:424
	s_waitcnt vmcnt(4)
	v_fma_f64 v[2:3], v[136:137], v[154:155], v[2:3]
	s_waitcnt lgkmcnt(0)
	s_delay_alu instid0(VALU_DEP_1)
	;; [unrolled: 13-line block ×3, first 2 shown]
	v_fma_f64 v[2:3], v[142:143], v[156:157], v[2:3]
	scratch_load_b128 v[140:143], off, off offset:472
	s_waitcnt vmcnt(4)
	v_fma_f64 v[2:3], v[132:133], v[158:159], v[2:3]
	ds_load_b128 v[152:155], v1 offset:912
	ds_load_b128 v[156:159], v1 offset:928
	s_waitcnt lgkmcnt(1)
	v_fma_f64 v[2:3], v[134:135], v[152:153], v[2:3]
	scratch_load_b64 v[152:153], off, off offset:488
	s_waitcnt vmcnt(4)
	v_fma_f64 v[2:3], v[144:145], v[154:155], v[2:3]
	s_waitcnt lgkmcnt(0)
	s_delay_alu instid0(VALU_DEP_1)
	v_fma_f64 v[2:3], v[146:147], v[156:157], v[2:3]
	ds_load_b128 v[132:135], v1 offset:944
	ds_load_b128 v[144:147], v1 offset:960
	s_waitcnt vmcnt(3)
	v_fma_f64 v[2:3], v[136:137], v[158:159], v[2:3]
	s_waitcnt lgkmcnt(1)
	s_delay_alu instid0(VALU_DEP_1) | instskip(SKIP_1) | instid1(VALU_DEP_1)
	v_fma_f64 v[2:3], v[138:139], v[132:133], v[2:3]
	s_waitcnt vmcnt(2)
	v_fma_f64 v[2:3], v[148:149], v[134:135], v[2:3]
	s_waitcnt lgkmcnt(0)
	s_delay_alu instid0(VALU_DEP_1) | instskip(SKIP_1) | instid1(VALU_DEP_1)
	v_fma_f64 v[2:3], v[150:151], v[144:145], v[2:3]
	s_waitcnt vmcnt(1)
	v_fma_f64 v[132:133], v[140:141], v[146:147], v[2:3]
	ds_load_b128 v[1:4], v1 offset:976
	s_waitcnt lgkmcnt(0)
	v_fma_f64 v[1:2], v[142:143], v[1:2], v[132:133]
	s_waitcnt vmcnt(0)
	s_delay_alu instid0(VALU_DEP_1) | instskip(NEXT) | instid1(VALU_DEP_1)
	v_fma_f64 v[1:2], v[152:153], v[3:4], v[1:2]
	v_add_f64 v[1:2], v[130:131], -v[1:2]
	scratch_store_b64 off, v[1:2], off offset:152
	v_cmpx_lt_u32_e32 18, v0
	s_cbranch_execz .LBB61_345
; %bb.344:
	scratch_load_b64 v[1:2], off, off offset:144
	v_mov_b32_e32 v3, 0
	s_delay_alu instid0(VALU_DEP_1)
	v_mov_b32_e32 v4, v3
	scratch_store_b64 off, v[3:4], off offset:144
	s_waitcnt vmcnt(0)
	ds_store_b64 v5, v[1:2]
.LBB61_345:
	s_or_b32 exec_lo, exec_lo, s0
	s_waitcnt lgkmcnt(0)
	s_waitcnt_vscnt null, 0x0
	s_barrier
	buffer_gl0_inv
	s_clause 0x4
	scratch_load_b128 v[130:133], off, off offset:144
	scratch_load_b128 v[134:137], off, off offset:160
	;; [unrolled: 1-line block ×5, first 2 shown]
	v_mov_b32_e32 v1, 0
	ds_load_2addr_b64 v[150:153], v1 offset0:81 offset1:82
	ds_load_2addr_b64 v[154:157], v1 offset0:83 offset1:84
	scratch_load_b128 v[158:161], off, off offset:224
	s_mov_b32 s0, exec_lo
	s_waitcnt vmcnt(5) lgkmcnt(1)
	v_fma_f64 v[2:3], v[132:133], v[150:151], 0
	s_waitcnt vmcnt(4)
	s_delay_alu instid0(VALU_DEP_1) | instskip(SKIP_4) | instid1(VALU_DEP_1)
	v_fma_f64 v[2:3], v[134:135], v[152:153], v[2:3]
	scratch_load_b128 v[132:135], off, off offset:240
	s_waitcnt lgkmcnt(0)
	v_fma_f64 v[2:3], v[136:137], v[154:155], v[2:3]
	s_waitcnt vmcnt(4)
	v_fma_f64 v[2:3], v[138:139], v[156:157], v[2:3]
	ds_load_2addr_b64 v[136:139], v1 offset0:85 offset1:86
	ds_load_2addr_b64 v[150:153], v1 offset0:87 offset1:88
	scratch_load_b128 v[154:157], off, off offset:256
	s_waitcnt lgkmcnt(1)
	v_fma_f64 v[2:3], v[140:141], v[136:137], v[2:3]
	s_waitcnt vmcnt(4)
	s_delay_alu instid0(VALU_DEP_1) | instskip(SKIP_4) | instid1(VALU_DEP_1)
	v_fma_f64 v[2:3], v[142:143], v[138:139], v[2:3]
	scratch_load_b128 v[136:139], off, off offset:272
	s_waitcnt lgkmcnt(0)
	v_fma_f64 v[2:3], v[144:145], v[150:151], v[2:3]
	s_waitcnt vmcnt(4)
	v_fma_f64 v[2:3], v[146:147], v[152:153], v[2:3]
	ds_load_2addr_b64 v[140:143], v1 offset0:89 offset1:90
	ds_load_2addr_b64 v[144:147], v1 offset0:91 offset1:92
	s_waitcnt lgkmcnt(1)
	v_fma_f64 v[2:3], v[148:149], v[140:141], v[2:3]
	scratch_load_b128 v[148:151], off, off offset:288
	s_waitcnt vmcnt(4)
	v_fma_f64 v[2:3], v[158:159], v[142:143], v[2:3]
	scratch_load_b128 v[140:143], off, off offset:304
	s_waitcnt lgkmcnt(0)
	v_fma_f64 v[2:3], v[160:161], v[144:145], v[2:3]
	s_waitcnt vmcnt(4)
	s_delay_alu instid0(VALU_DEP_1)
	v_fma_f64 v[2:3], v[132:133], v[146:147], v[2:3]
	ds_load_2addr_b64 v[144:147], v1 offset0:93 offset1:94
	ds_load_2addr_b64 v[158:161], v1 offset0:95 offset1:96
	s_waitcnt lgkmcnt(1)
	v_fma_f64 v[2:3], v[134:135], v[144:145], v[2:3]
	scratch_load_b128 v[132:135], off, off offset:320
	s_waitcnt vmcnt(4)
	v_fma_f64 v[2:3], v[154:155], v[146:147], v[2:3]
	scratch_load_b128 v[144:147], off, off offset:336
	s_waitcnt lgkmcnt(0)
	v_fma_f64 v[2:3], v[156:157], v[158:159], v[2:3]
	ds_load_2addr_b64 v[152:155], v1 offset0:97 offset1:98
	ds_load_2addr_b64 v[156:159], v1 offset0:99 offset1:100
	s_waitcnt vmcnt(4)
	v_fma_f64 v[2:3], v[136:137], v[160:161], v[2:3]
	s_waitcnt lgkmcnt(1)
	s_delay_alu instid0(VALU_DEP_1) | instskip(SKIP_4) | instid1(VALU_DEP_1)
	v_fma_f64 v[2:3], v[138:139], v[152:153], v[2:3]
	scratch_load_b128 v[136:139], off, off offset:352
	s_waitcnt vmcnt(4)
	v_fma_f64 v[2:3], v[148:149], v[154:155], v[2:3]
	s_waitcnt lgkmcnt(0)
	v_fma_f64 v[2:3], v[150:151], v[156:157], v[2:3]
	scratch_load_b128 v[148:151], off, off offset:368
	s_waitcnt vmcnt(4)
	v_fma_f64 v[2:3], v[140:141], v[158:159], v[2:3]
	ds_load_2addr_b64 v[152:155], v1 offset0:101 offset1:102
	ds_load_2addr_b64 v[156:159], v1 offset0:103 offset1:104
	s_waitcnt lgkmcnt(1)
	v_fma_f64 v[2:3], v[142:143], v[152:153], v[2:3]
	scratch_load_b128 v[140:143], off, off offset:384
	s_waitcnt vmcnt(4)
	v_fma_f64 v[2:3], v[132:133], v[154:155], v[2:3]
	s_waitcnt lgkmcnt(0)
	s_delay_alu instid0(VALU_DEP_1)
	v_fma_f64 v[2:3], v[134:135], v[156:157], v[2:3]
	scratch_load_b128 v[132:135], off, off offset:400
	s_waitcnt vmcnt(4)
	v_fma_f64 v[2:3], v[144:145], v[158:159], v[2:3]
	ds_load_2addr_b64 v[152:155], v1 offset0:105 offset1:106
	ds_load_2addr_b64 v[156:159], v1 offset0:107 offset1:108
	s_waitcnt lgkmcnt(1)
	v_fma_f64 v[2:3], v[146:147], v[152:153], v[2:3]
	scratch_load_b128 v[144:147], off, off offset:416
	s_waitcnt vmcnt(4)
	v_fma_f64 v[2:3], v[136:137], v[154:155], v[2:3]
	s_waitcnt lgkmcnt(0)
	s_delay_alu instid0(VALU_DEP_1)
	;; [unrolled: 13-line block ×4, first 2 shown]
	v_fma_f64 v[2:3], v[146:147], v[156:157], v[2:3]
	ds_load_2addr_b64 v[144:147], v1 offset0:117 offset1:118
	ds_load_2addr_b64 v[152:155], v1 offset0:119 offset1:120
	s_waitcnt vmcnt(3)
	v_fma_f64 v[2:3], v[136:137], v[158:159], v[2:3]
	s_waitcnt lgkmcnt(1)
	s_delay_alu instid0(VALU_DEP_1) | instskip(SKIP_1) | instid1(VALU_DEP_1)
	v_fma_f64 v[2:3], v[138:139], v[144:145], v[2:3]
	s_waitcnt vmcnt(2)
	v_fma_f64 v[2:3], v[148:149], v[146:147], v[2:3]
	s_waitcnt lgkmcnt(0)
	s_delay_alu instid0(VALU_DEP_1) | instskip(SKIP_1) | instid1(VALU_DEP_1)
	v_fma_f64 v[2:3], v[150:151], v[152:153], v[2:3]
	s_waitcnt vmcnt(1)
	v_fma_f64 v[2:3], v[140:141], v[154:155], v[2:3]
	ds_load_2addr_b64 v[136:139], v1 offset0:121 offset1:122
	ds_load_b64 v[140:141], v1 offset:984
	s_waitcnt lgkmcnt(1)
	v_fma_f64 v[2:3], v[142:143], v[136:137], v[2:3]
	s_waitcnt vmcnt(0)
	s_delay_alu instid0(VALU_DEP_1) | instskip(SKIP_1) | instid1(VALU_DEP_1)
	v_fma_f64 v[2:3], v[132:133], v[138:139], v[2:3]
	s_waitcnt lgkmcnt(0)
	v_fma_f64 v[2:3], v[134:135], v[140:141], v[2:3]
	s_delay_alu instid0(VALU_DEP_1)
	v_add_f64 v[2:3], v[130:131], -v[2:3]
	scratch_store_b64 off, v[2:3], off offset:144
	v_cmpx_lt_u32_e32 17, v0
	s_cbranch_execz .LBB61_347
; %bb.346:
	scratch_load_b64 v[3:4], off, off offset:136
	v_mov_b32_e32 v2, v1
	scratch_store_b64 off, v[1:2], off offset:136
	s_waitcnt vmcnt(0)
	ds_store_b64 v5, v[3:4]
.LBB61_347:
	s_or_b32 exec_lo, exec_lo, s0
	s_waitcnt lgkmcnt(0)
	s_waitcnt_vscnt null, 0x0
	s_barrier
	buffer_gl0_inv
	s_clause 0x4
	scratch_load_b128 v[130:133], off, off offset:136
	scratch_load_b128 v[134:137], off, off offset:152
	;; [unrolled: 1-line block ×5, first 2 shown]
	ds_load_b128 v[150:153], v1 offset:640
	ds_load_b128 v[154:157], v1 offset:656
	scratch_load_b128 v[158:161], off, off offset:216
	s_mov_b32 s0, exec_lo
	s_waitcnt vmcnt(5) lgkmcnt(1)
	v_fma_f64 v[2:3], v[132:133], v[150:151], 0
	s_waitcnt vmcnt(4)
	s_delay_alu instid0(VALU_DEP_1) | instskip(SKIP_4) | instid1(VALU_DEP_1)
	v_fma_f64 v[2:3], v[134:135], v[152:153], v[2:3]
	scratch_load_b128 v[132:135], off, off offset:232
	s_waitcnt lgkmcnt(0)
	v_fma_f64 v[2:3], v[136:137], v[154:155], v[2:3]
	s_waitcnt vmcnt(4)
	v_fma_f64 v[2:3], v[138:139], v[156:157], v[2:3]
	ds_load_b128 v[136:139], v1 offset:672
	ds_load_b128 v[150:153], v1 offset:688
	scratch_load_b128 v[154:157], off, off offset:248
	s_waitcnt lgkmcnt(1)
	v_fma_f64 v[2:3], v[140:141], v[136:137], v[2:3]
	s_waitcnt vmcnt(4)
	s_delay_alu instid0(VALU_DEP_1) | instskip(SKIP_4) | instid1(VALU_DEP_1)
	v_fma_f64 v[2:3], v[142:143], v[138:139], v[2:3]
	scratch_load_b128 v[136:139], off, off offset:264
	s_waitcnt lgkmcnt(0)
	v_fma_f64 v[2:3], v[144:145], v[150:151], v[2:3]
	s_waitcnt vmcnt(4)
	v_fma_f64 v[2:3], v[146:147], v[152:153], v[2:3]
	ds_load_b128 v[140:143], v1 offset:704
	ds_load_b128 v[144:147], v1 offset:720
	s_waitcnt lgkmcnt(1)
	v_fma_f64 v[2:3], v[148:149], v[140:141], v[2:3]
	scratch_load_b128 v[148:151], off, off offset:280
	s_waitcnt vmcnt(4)
	v_fma_f64 v[2:3], v[158:159], v[142:143], v[2:3]
	scratch_load_b128 v[140:143], off, off offset:296
	s_waitcnt lgkmcnt(0)
	v_fma_f64 v[2:3], v[160:161], v[144:145], v[2:3]
	s_waitcnt vmcnt(4)
	s_delay_alu instid0(VALU_DEP_1)
	v_fma_f64 v[2:3], v[132:133], v[146:147], v[2:3]
	ds_load_b128 v[144:147], v1 offset:736
	ds_load_b128 v[158:161], v1 offset:752
	s_waitcnt lgkmcnt(1)
	v_fma_f64 v[2:3], v[134:135], v[144:145], v[2:3]
	scratch_load_b128 v[132:135], off, off offset:312
	s_waitcnt vmcnt(4)
	v_fma_f64 v[2:3], v[154:155], v[146:147], v[2:3]
	scratch_load_b128 v[144:147], off, off offset:328
	s_waitcnt lgkmcnt(0)
	v_fma_f64 v[2:3], v[156:157], v[158:159], v[2:3]
	ds_load_b128 v[152:155], v1 offset:768
	ds_load_b128 v[156:159], v1 offset:784
	s_waitcnt vmcnt(4)
	v_fma_f64 v[2:3], v[136:137], v[160:161], v[2:3]
	s_waitcnt lgkmcnt(1)
	s_delay_alu instid0(VALU_DEP_1) | instskip(SKIP_4) | instid1(VALU_DEP_1)
	v_fma_f64 v[2:3], v[138:139], v[152:153], v[2:3]
	scratch_load_b128 v[136:139], off, off offset:344
	s_waitcnt vmcnt(4)
	v_fma_f64 v[2:3], v[148:149], v[154:155], v[2:3]
	s_waitcnt lgkmcnt(0)
	v_fma_f64 v[2:3], v[150:151], v[156:157], v[2:3]
	scratch_load_b128 v[148:151], off, off offset:360
	s_waitcnt vmcnt(4)
	v_fma_f64 v[2:3], v[140:141], v[158:159], v[2:3]
	ds_load_b128 v[152:155], v1 offset:800
	ds_load_b128 v[156:159], v1 offset:816
	s_waitcnt lgkmcnt(1)
	v_fma_f64 v[2:3], v[142:143], v[152:153], v[2:3]
	scratch_load_b128 v[140:143], off, off offset:376
	s_waitcnt vmcnt(4)
	v_fma_f64 v[2:3], v[132:133], v[154:155], v[2:3]
	s_waitcnt lgkmcnt(0)
	s_delay_alu instid0(VALU_DEP_1)
	v_fma_f64 v[2:3], v[134:135], v[156:157], v[2:3]
	scratch_load_b128 v[132:135], off, off offset:392
	s_waitcnt vmcnt(4)
	v_fma_f64 v[2:3], v[144:145], v[158:159], v[2:3]
	ds_load_b128 v[152:155], v1 offset:832
	ds_load_b128 v[156:159], v1 offset:848
	s_waitcnt lgkmcnt(1)
	v_fma_f64 v[2:3], v[146:147], v[152:153], v[2:3]
	scratch_load_b128 v[144:147], off, off offset:408
	s_waitcnt vmcnt(4)
	v_fma_f64 v[2:3], v[136:137], v[154:155], v[2:3]
	s_waitcnt lgkmcnt(0)
	s_delay_alu instid0(VALU_DEP_1)
	v_fma_f64 v[2:3], v[138:139], v[156:157], v[2:3]
	scratch_load_b128 v[136:139], off, off offset:424
	s_waitcnt vmcnt(4)
	v_fma_f64 v[2:3], v[148:149], v[158:159], v[2:3]
	ds_load_b128 v[152:155], v1 offset:864
	ds_load_b128 v[156:159], v1 offset:880
	s_waitcnt lgkmcnt(1)
	v_fma_f64 v[2:3], v[150:151], v[152:153], v[2:3]
	scratch_load_b128 v[148:151], off, off offset:440
	s_waitcnt vmcnt(4)
	v_fma_f64 v[2:3], v[140:141], v[154:155], v[2:3]
	s_waitcnt lgkmcnt(0)
	s_delay_alu instid0(VALU_DEP_1)
	v_fma_f64 v[2:3], v[142:143], v[156:157], v[2:3]
	scratch_load_b128 v[140:143], off, off offset:456
	s_waitcnt vmcnt(4)
	v_fma_f64 v[2:3], v[132:133], v[158:159], v[2:3]
	ds_load_b128 v[152:155], v1 offset:896
	ds_load_b128 v[156:159], v1 offset:912
	s_waitcnt lgkmcnt(1)
	v_fma_f64 v[2:3], v[134:135], v[152:153], v[2:3]
	scratch_load_b128 v[132:135], off, off offset:472
	s_waitcnt vmcnt(4)
	v_fma_f64 v[2:3], v[144:145], v[154:155], v[2:3]
	s_waitcnt lgkmcnt(0)
	s_delay_alu instid0(VALU_DEP_1)
	v_fma_f64 v[2:3], v[146:147], v[156:157], v[2:3]
	scratch_load_b64 v[156:157], off, off offset:488
	ds_load_b128 v[144:147], v1 offset:928
	ds_load_b128 v[152:155], v1 offset:944
	s_waitcnt vmcnt(4)
	v_fma_f64 v[2:3], v[136:137], v[158:159], v[2:3]
	s_waitcnt lgkmcnt(1)
	s_delay_alu instid0(VALU_DEP_1) | instskip(SKIP_1) | instid1(VALU_DEP_1)
	v_fma_f64 v[2:3], v[138:139], v[144:145], v[2:3]
	s_waitcnt vmcnt(3)
	v_fma_f64 v[2:3], v[148:149], v[146:147], v[2:3]
	s_waitcnt lgkmcnt(0)
	s_delay_alu instid0(VALU_DEP_1) | instskip(SKIP_1) | instid1(VALU_DEP_1)
	v_fma_f64 v[2:3], v[150:151], v[152:153], v[2:3]
	s_waitcnt vmcnt(2)
	v_fma_f64 v[140:141], v[140:141], v[154:155], v[2:3]
	ds_load_b128 v[136:139], v1 offset:960
	ds_load_b128 v[1:4], v1 offset:976
	s_waitcnt lgkmcnt(1)
	v_fma_f64 v[136:137], v[142:143], v[136:137], v[140:141]
	s_waitcnt vmcnt(1)
	s_delay_alu instid0(VALU_DEP_1) | instskip(SKIP_1) | instid1(VALU_DEP_1)
	v_fma_f64 v[132:133], v[132:133], v[138:139], v[136:137]
	s_waitcnt lgkmcnt(0)
	v_fma_f64 v[1:2], v[134:135], v[1:2], v[132:133]
	s_waitcnt vmcnt(0)
	s_delay_alu instid0(VALU_DEP_1) | instskip(NEXT) | instid1(VALU_DEP_1)
	v_fma_f64 v[1:2], v[156:157], v[3:4], v[1:2]
	v_add_f64 v[1:2], v[130:131], -v[1:2]
	scratch_store_b64 off, v[1:2], off offset:136
	v_cmpx_lt_u32_e32 16, v0
	s_cbranch_execz .LBB61_349
; %bb.348:
	scratch_load_b64 v[1:2], off, off offset:128
	v_mov_b32_e32 v3, 0
	s_delay_alu instid0(VALU_DEP_1)
	v_mov_b32_e32 v4, v3
	scratch_store_b64 off, v[3:4], off offset:128
	s_waitcnt vmcnt(0)
	ds_store_b64 v5, v[1:2]
.LBB61_349:
	s_or_b32 exec_lo, exec_lo, s0
	s_waitcnt lgkmcnt(0)
	s_waitcnt_vscnt null, 0x0
	s_barrier
	buffer_gl0_inv
	s_clause 0x4
	scratch_load_b128 v[1:4], off, off offset:128
	scratch_load_b128 v[131:134], off, off offset:144
	scratch_load_b128 v[135:138], off, off offset:160
	scratch_load_b128 v[139:142], off, off offset:176
	scratch_load_b128 v[143:146], off, off offset:192
	v_mov_b32_e32 v130, 0
	ds_load_2addr_b64 v[147:150], v130 offset0:79 offset1:80
	ds_load_2addr_b64 v[151:154], v130 offset0:81 offset1:82
	scratch_load_b128 v[155:158], off, off offset:208
	s_mov_b32 s0, exec_lo
	s_waitcnt vmcnt(5) lgkmcnt(1)
	v_fma_f64 v[3:4], v[3:4], v[147:148], 0
	s_waitcnt vmcnt(4)
	s_delay_alu instid0(VALU_DEP_1) | instskip(SKIP_1) | instid1(VALU_DEP_1)
	v_fma_f64 v[3:4], v[131:132], v[149:150], v[3:4]
	s_waitcnt lgkmcnt(0)
	v_fma_f64 v[3:4], v[133:134], v[151:152], v[3:4]
	scratch_load_b128 v[131:134], off, off offset:224
	s_waitcnt vmcnt(4)
	v_fma_f64 v[3:4], v[135:136], v[153:154], v[3:4]
	ds_load_2addr_b64 v[147:150], v130 offset0:83 offset1:84
	ds_load_2addr_b64 v[151:154], v130 offset0:85 offset1:86
	s_waitcnt lgkmcnt(1)
	v_fma_f64 v[3:4], v[137:138], v[147:148], v[3:4]
	scratch_load_b128 v[135:138], off, off offset:240
	s_waitcnt vmcnt(4)
	v_fma_f64 v[3:4], v[139:140], v[149:150], v[3:4]
	s_waitcnt lgkmcnt(0)
	s_delay_alu instid0(VALU_DEP_1)
	v_fma_f64 v[3:4], v[141:142], v[151:152], v[3:4]
	scratch_load_b128 v[139:142], off, off offset:256
	s_waitcnt vmcnt(4)
	v_fma_f64 v[3:4], v[143:144], v[153:154], v[3:4]
	ds_load_2addr_b64 v[147:150], v130 offset0:87 offset1:88
	ds_load_2addr_b64 v[151:154], v130 offset0:89 offset1:90
	s_waitcnt lgkmcnt(1)
	v_fma_f64 v[3:4], v[145:146], v[147:148], v[3:4]
	scratch_load_b128 v[143:146], off, off offset:272
	s_waitcnt vmcnt(4)
	v_fma_f64 v[3:4], v[155:156], v[149:150], v[3:4]
	scratch_load_b128 v[147:150], off, off offset:288
	s_waitcnt lgkmcnt(0)
	v_fma_f64 v[3:4], v[157:158], v[151:152], v[3:4]
	s_waitcnt vmcnt(4)
	s_delay_alu instid0(VALU_DEP_1)
	v_fma_f64 v[3:4], v[131:132], v[153:154], v[3:4]
	ds_load_2addr_b64 v[151:154], v130 offset0:91 offset1:92
	ds_load_2addr_b64 v[155:158], v130 offset0:93 offset1:94
	s_waitcnt lgkmcnt(1)
	v_fma_f64 v[3:4], v[133:134], v[151:152], v[3:4]
	scratch_load_b128 v[131:134], off, off offset:304
	s_waitcnt vmcnt(4)
	v_fma_f64 v[3:4], v[135:136], v[153:154], v[3:4]
	s_waitcnt lgkmcnt(0)
	s_delay_alu instid0(VALU_DEP_1)
	v_fma_f64 v[3:4], v[137:138], v[155:156], v[3:4]
	scratch_load_b128 v[135:138], off, off offset:320
	s_waitcnt vmcnt(4)
	v_fma_f64 v[3:4], v[139:140], v[157:158], v[3:4]
	ds_load_2addr_b64 v[151:154], v130 offset0:95 offset1:96
	ds_load_2addr_b64 v[155:158], v130 offset0:97 offset1:98
	s_waitcnt lgkmcnt(1)
	v_fma_f64 v[3:4], v[141:142], v[151:152], v[3:4]
	scratch_load_b128 v[139:142], off, off offset:336
	s_waitcnt vmcnt(4)
	v_fma_f64 v[3:4], v[143:144], v[153:154], v[3:4]
	s_waitcnt lgkmcnt(0)
	s_delay_alu instid0(VALU_DEP_1)
	v_fma_f64 v[3:4], v[145:146], v[155:156], v[3:4]
	scratch_load_b128 v[143:146], off, off offset:352
	s_waitcnt vmcnt(4)
	;; [unrolled: 13-line block ×6, first 2 shown]
	v_fma_f64 v[3:4], v[139:140], v[157:158], v[3:4]
	ds_load_2addr_b64 v[151:154], v130 offset0:115 offset1:116
	ds_load_2addr_b64 v[155:158], v130 offset0:117 offset1:118
	s_waitcnt lgkmcnt(1)
	v_fma_f64 v[3:4], v[141:142], v[151:152], v[3:4]
	s_waitcnt vmcnt(3)
	s_delay_alu instid0(VALU_DEP_1) | instskip(SKIP_1) | instid1(VALU_DEP_1)
	v_fma_f64 v[3:4], v[143:144], v[153:154], v[3:4]
	s_waitcnt lgkmcnt(0)
	v_fma_f64 v[3:4], v[145:146], v[155:156], v[3:4]
	ds_load_2addr_b64 v[139:142], v130 offset0:119 offset1:120
	ds_load_2addr_b64 v[143:146], v130 offset0:121 offset1:122
	s_waitcnt vmcnt(2)
	v_fma_f64 v[3:4], v[147:148], v[157:158], v[3:4]
	s_waitcnt lgkmcnt(1)
	s_delay_alu instid0(VALU_DEP_1) | instskip(SKIP_1) | instid1(VALU_DEP_1)
	v_fma_f64 v[3:4], v[149:150], v[139:140], v[3:4]
	s_waitcnt vmcnt(1)
	v_fma_f64 v[3:4], v[131:132], v[141:142], v[3:4]
	ds_load_b64 v[131:132], v130 offset:984
	s_waitcnt lgkmcnt(1)
	v_fma_f64 v[3:4], v[133:134], v[143:144], v[3:4]
	s_waitcnt vmcnt(0)
	s_delay_alu instid0(VALU_DEP_1) | instskip(SKIP_1) | instid1(VALU_DEP_1)
	v_fma_f64 v[3:4], v[135:136], v[145:146], v[3:4]
	s_waitcnt lgkmcnt(0)
	v_fma_f64 v[3:4], v[137:138], v[131:132], v[3:4]
	s_delay_alu instid0(VALU_DEP_1)
	v_add_f64 v[1:2], v[1:2], -v[3:4]
	scratch_store_b64 off, v[1:2], off offset:128
	v_cmpx_lt_u32_e32 15, v0
	s_cbranch_execz .LBB61_351
; %bb.350:
	scratch_load_b64 v[1:2], off, off offset:120
	v_mov_b32_e32 v131, v130
	scratch_store_b64 off, v[130:131], off offset:120
	s_waitcnt vmcnt(0)
	ds_store_b64 v5, v[1:2]
.LBB61_351:
	s_or_b32 exec_lo, exec_lo, s0
	s_waitcnt lgkmcnt(0)
	s_waitcnt_vscnt null, 0x0
	s_barrier
	buffer_gl0_inv
	s_clause 0x4
	scratch_load_b128 v[1:4], off, off offset:120
	scratch_load_b128 v[131:134], off, off offset:136
	;; [unrolled: 1-line block ×5, first 2 shown]
	ds_load_b128 v[147:150], v130 offset:624
	ds_load_b128 v[151:154], v130 offset:640
	scratch_load_b128 v[155:158], off, off offset:200
	s_mov_b32 s0, exec_lo
	s_waitcnt vmcnt(5) lgkmcnt(1)
	v_fma_f64 v[3:4], v[3:4], v[147:148], 0
	s_waitcnt vmcnt(4)
	s_delay_alu instid0(VALU_DEP_1) | instskip(SKIP_1) | instid1(VALU_DEP_1)
	v_fma_f64 v[3:4], v[131:132], v[149:150], v[3:4]
	s_waitcnt lgkmcnt(0)
	v_fma_f64 v[3:4], v[133:134], v[151:152], v[3:4]
	scratch_load_b128 v[131:134], off, off offset:216
	s_waitcnt vmcnt(4)
	v_fma_f64 v[3:4], v[135:136], v[153:154], v[3:4]
	ds_load_b128 v[147:150], v130 offset:656
	ds_load_b128 v[151:154], v130 offset:672
	s_waitcnt lgkmcnt(1)
	v_fma_f64 v[3:4], v[137:138], v[147:148], v[3:4]
	scratch_load_b128 v[135:138], off, off offset:232
	s_waitcnt vmcnt(4)
	v_fma_f64 v[3:4], v[139:140], v[149:150], v[3:4]
	s_waitcnt lgkmcnt(0)
	s_delay_alu instid0(VALU_DEP_1)
	v_fma_f64 v[3:4], v[141:142], v[151:152], v[3:4]
	scratch_load_b128 v[139:142], off, off offset:248
	s_waitcnt vmcnt(4)
	v_fma_f64 v[3:4], v[143:144], v[153:154], v[3:4]
	ds_load_b128 v[147:150], v130 offset:688
	ds_load_b128 v[151:154], v130 offset:704
	s_waitcnt lgkmcnt(1)
	v_fma_f64 v[3:4], v[145:146], v[147:148], v[3:4]
	scratch_load_b128 v[143:146], off, off offset:264
	s_waitcnt vmcnt(4)
	v_fma_f64 v[3:4], v[155:156], v[149:150], v[3:4]
	scratch_load_b128 v[147:150], off, off offset:280
	s_waitcnt lgkmcnt(0)
	v_fma_f64 v[3:4], v[157:158], v[151:152], v[3:4]
	s_waitcnt vmcnt(4)
	s_delay_alu instid0(VALU_DEP_1)
	v_fma_f64 v[3:4], v[131:132], v[153:154], v[3:4]
	ds_load_b128 v[151:154], v130 offset:720
	ds_load_b128 v[155:158], v130 offset:736
	s_waitcnt lgkmcnt(1)
	v_fma_f64 v[3:4], v[133:134], v[151:152], v[3:4]
	scratch_load_b128 v[131:134], off, off offset:296
	s_waitcnt vmcnt(4)
	v_fma_f64 v[3:4], v[135:136], v[153:154], v[3:4]
	s_waitcnt lgkmcnt(0)
	s_delay_alu instid0(VALU_DEP_1)
	v_fma_f64 v[3:4], v[137:138], v[155:156], v[3:4]
	scratch_load_b128 v[135:138], off, off offset:312
	s_waitcnt vmcnt(4)
	v_fma_f64 v[3:4], v[139:140], v[157:158], v[3:4]
	ds_load_b128 v[151:154], v130 offset:752
	ds_load_b128 v[155:158], v130 offset:768
	s_waitcnt lgkmcnt(1)
	v_fma_f64 v[3:4], v[141:142], v[151:152], v[3:4]
	scratch_load_b128 v[139:142], off, off offset:328
	s_waitcnt vmcnt(4)
	v_fma_f64 v[3:4], v[143:144], v[153:154], v[3:4]
	s_waitcnt lgkmcnt(0)
	s_delay_alu instid0(VALU_DEP_1)
	v_fma_f64 v[3:4], v[145:146], v[155:156], v[3:4]
	scratch_load_b128 v[143:146], off, off offset:344
	s_waitcnt vmcnt(4)
	;; [unrolled: 13-line block ×6, first 2 shown]
	v_fma_f64 v[3:4], v[139:140], v[157:158], v[3:4]
	ds_load_b128 v[151:154], v130 offset:912
	ds_load_b128 v[155:158], v130 offset:928
	s_waitcnt lgkmcnt(1)
	v_fma_f64 v[3:4], v[141:142], v[151:152], v[3:4]
	scratch_load_b64 v[151:152], off, off offset:488
	s_waitcnt vmcnt(4)
	v_fma_f64 v[3:4], v[143:144], v[153:154], v[3:4]
	s_waitcnt lgkmcnt(0)
	s_delay_alu instid0(VALU_DEP_1)
	v_fma_f64 v[3:4], v[145:146], v[155:156], v[3:4]
	ds_load_b128 v[139:142], v130 offset:944
	ds_load_b128 v[143:146], v130 offset:960
	s_waitcnt vmcnt(3)
	v_fma_f64 v[3:4], v[147:148], v[157:158], v[3:4]
	s_waitcnt lgkmcnt(1)
	s_delay_alu instid0(VALU_DEP_1) | instskip(SKIP_1) | instid1(VALU_DEP_1)
	v_fma_f64 v[3:4], v[149:150], v[139:140], v[3:4]
	s_waitcnt vmcnt(2)
	v_fma_f64 v[3:4], v[131:132], v[141:142], v[3:4]
	s_waitcnt lgkmcnt(0)
	s_delay_alu instid0(VALU_DEP_1) | instskip(SKIP_4) | instid1(VALU_DEP_1)
	v_fma_f64 v[3:4], v[133:134], v[143:144], v[3:4]
	ds_load_b128 v[130:133], v130 offset:976
	s_waitcnt vmcnt(1)
	v_fma_f64 v[3:4], v[135:136], v[145:146], v[3:4]
	s_waitcnt lgkmcnt(0)
	v_fma_f64 v[3:4], v[137:138], v[130:131], v[3:4]
	s_waitcnt vmcnt(0)
	s_delay_alu instid0(VALU_DEP_1) | instskip(NEXT) | instid1(VALU_DEP_1)
	v_fma_f64 v[3:4], v[151:152], v[132:133], v[3:4]
	v_add_f64 v[1:2], v[1:2], -v[3:4]
	scratch_store_b64 off, v[1:2], off offset:120
	v_cmpx_lt_u32_e32 14, v0
	s_cbranch_execz .LBB61_353
; %bb.352:
	scratch_load_b64 v[1:2], off, off offset:112
	v_mov_b32_e32 v3, 0
	s_delay_alu instid0(VALU_DEP_1)
	v_mov_b32_e32 v4, v3
	scratch_store_b64 off, v[3:4], off offset:112
	s_waitcnt vmcnt(0)
	ds_store_b64 v5, v[1:2]
.LBB61_353:
	s_or_b32 exec_lo, exec_lo, s0
	s_waitcnt lgkmcnt(0)
	s_waitcnt_vscnt null, 0x0
	s_barrier
	buffer_gl0_inv
	s_clause 0x4
	scratch_load_b128 v[1:4], off, off offset:112
	scratch_load_b128 v[131:134], off, off offset:128
	scratch_load_b128 v[135:138], off, off offset:144
	scratch_load_b128 v[139:142], off, off offset:160
	scratch_load_b128 v[143:146], off, off offset:176
	v_mov_b32_e32 v130, 0
	ds_load_2addr_b64 v[147:150], v130 offset0:77 offset1:78
	ds_load_2addr_b64 v[151:154], v130 offset0:79 offset1:80
	scratch_load_b128 v[155:158], off, off offset:192
	s_mov_b32 s0, exec_lo
	s_waitcnt vmcnt(5) lgkmcnt(1)
	v_fma_f64 v[3:4], v[3:4], v[147:148], 0
	s_waitcnt vmcnt(4)
	s_delay_alu instid0(VALU_DEP_1) | instskip(SKIP_1) | instid1(VALU_DEP_1)
	v_fma_f64 v[3:4], v[131:132], v[149:150], v[3:4]
	s_waitcnt lgkmcnt(0)
	v_fma_f64 v[3:4], v[133:134], v[151:152], v[3:4]
	scratch_load_b128 v[131:134], off, off offset:208
	s_waitcnt vmcnt(4)
	v_fma_f64 v[3:4], v[135:136], v[153:154], v[3:4]
	ds_load_2addr_b64 v[147:150], v130 offset0:81 offset1:82
	ds_load_2addr_b64 v[151:154], v130 offset0:83 offset1:84
	s_waitcnt lgkmcnt(1)
	v_fma_f64 v[3:4], v[137:138], v[147:148], v[3:4]
	scratch_load_b128 v[135:138], off, off offset:224
	s_waitcnt vmcnt(4)
	v_fma_f64 v[3:4], v[139:140], v[149:150], v[3:4]
	s_waitcnt lgkmcnt(0)
	s_delay_alu instid0(VALU_DEP_1)
	v_fma_f64 v[3:4], v[141:142], v[151:152], v[3:4]
	scratch_load_b128 v[139:142], off, off offset:240
	s_waitcnt vmcnt(4)
	v_fma_f64 v[3:4], v[143:144], v[153:154], v[3:4]
	ds_load_2addr_b64 v[147:150], v130 offset0:85 offset1:86
	ds_load_2addr_b64 v[151:154], v130 offset0:87 offset1:88
	s_waitcnt lgkmcnt(1)
	v_fma_f64 v[3:4], v[145:146], v[147:148], v[3:4]
	scratch_load_b128 v[143:146], off, off offset:256
	s_waitcnt vmcnt(4)
	v_fma_f64 v[3:4], v[155:156], v[149:150], v[3:4]
	scratch_load_b128 v[147:150], off, off offset:272
	s_waitcnt lgkmcnt(0)
	v_fma_f64 v[3:4], v[157:158], v[151:152], v[3:4]
	s_waitcnt vmcnt(4)
	s_delay_alu instid0(VALU_DEP_1)
	v_fma_f64 v[3:4], v[131:132], v[153:154], v[3:4]
	ds_load_2addr_b64 v[151:154], v130 offset0:89 offset1:90
	ds_load_2addr_b64 v[155:158], v130 offset0:91 offset1:92
	s_waitcnt lgkmcnt(1)
	v_fma_f64 v[3:4], v[133:134], v[151:152], v[3:4]
	scratch_load_b128 v[131:134], off, off offset:288
	s_waitcnt vmcnt(4)
	v_fma_f64 v[3:4], v[135:136], v[153:154], v[3:4]
	s_waitcnt lgkmcnt(0)
	s_delay_alu instid0(VALU_DEP_1)
	v_fma_f64 v[3:4], v[137:138], v[155:156], v[3:4]
	scratch_load_b128 v[135:138], off, off offset:304
	s_waitcnt vmcnt(4)
	v_fma_f64 v[3:4], v[139:140], v[157:158], v[3:4]
	ds_load_2addr_b64 v[151:154], v130 offset0:93 offset1:94
	ds_load_2addr_b64 v[155:158], v130 offset0:95 offset1:96
	s_waitcnt lgkmcnt(1)
	v_fma_f64 v[3:4], v[141:142], v[151:152], v[3:4]
	scratch_load_b128 v[139:142], off, off offset:320
	s_waitcnt vmcnt(4)
	v_fma_f64 v[3:4], v[143:144], v[153:154], v[3:4]
	s_waitcnt lgkmcnt(0)
	s_delay_alu instid0(VALU_DEP_1)
	v_fma_f64 v[3:4], v[145:146], v[155:156], v[3:4]
	scratch_load_b128 v[143:146], off, off offset:336
	s_waitcnt vmcnt(4)
	;; [unrolled: 13-line block ×6, first 2 shown]
	v_fma_f64 v[3:4], v[139:140], v[157:158], v[3:4]
	ds_load_2addr_b64 v[151:154], v130 offset0:113 offset1:114
	ds_load_2addr_b64 v[155:158], v130 offset0:115 offset1:116
	s_waitcnt lgkmcnt(1)
	v_fma_f64 v[3:4], v[141:142], v[151:152], v[3:4]
	scratch_load_b128 v[139:142], off, off offset:480
	s_waitcnt vmcnt(4)
	v_fma_f64 v[3:4], v[143:144], v[153:154], v[3:4]
	s_waitcnt lgkmcnt(0)
	s_delay_alu instid0(VALU_DEP_1)
	v_fma_f64 v[3:4], v[145:146], v[155:156], v[3:4]
	ds_load_2addr_b64 v[143:146], v130 offset0:117 offset1:118
	ds_load_2addr_b64 v[151:154], v130 offset0:119 offset1:120
	s_waitcnt vmcnt(3)
	v_fma_f64 v[3:4], v[147:148], v[157:158], v[3:4]
	s_waitcnt lgkmcnt(1)
	s_delay_alu instid0(VALU_DEP_1) | instskip(SKIP_1) | instid1(VALU_DEP_1)
	v_fma_f64 v[3:4], v[149:150], v[143:144], v[3:4]
	s_waitcnt vmcnt(2)
	v_fma_f64 v[3:4], v[131:132], v[145:146], v[3:4]
	s_waitcnt lgkmcnt(0)
	s_delay_alu instid0(VALU_DEP_1) | instskip(SKIP_1) | instid1(VALU_DEP_1)
	v_fma_f64 v[3:4], v[133:134], v[151:152], v[3:4]
	s_waitcnt vmcnt(1)
	v_fma_f64 v[3:4], v[135:136], v[153:154], v[3:4]
	ds_load_2addr_b64 v[131:134], v130 offset0:121 offset1:122
	ds_load_b64 v[135:136], v130 offset:984
	s_waitcnt lgkmcnt(1)
	v_fma_f64 v[3:4], v[137:138], v[131:132], v[3:4]
	s_waitcnt vmcnt(0)
	s_delay_alu instid0(VALU_DEP_1) | instskip(SKIP_1) | instid1(VALU_DEP_1)
	v_fma_f64 v[3:4], v[139:140], v[133:134], v[3:4]
	s_waitcnt lgkmcnt(0)
	v_fma_f64 v[3:4], v[141:142], v[135:136], v[3:4]
	s_delay_alu instid0(VALU_DEP_1)
	v_add_f64 v[1:2], v[1:2], -v[3:4]
	scratch_store_b64 off, v[1:2], off offset:112
	v_cmpx_lt_u32_e32 13, v0
	s_cbranch_execz .LBB61_355
; %bb.354:
	scratch_load_b64 v[1:2], off, off offset:104
	v_mov_b32_e32 v131, v130
	scratch_store_b64 off, v[130:131], off offset:104
	s_waitcnt vmcnt(0)
	ds_store_b64 v5, v[1:2]
.LBB61_355:
	s_or_b32 exec_lo, exec_lo, s0
	s_waitcnt lgkmcnt(0)
	s_waitcnt_vscnt null, 0x0
	s_barrier
	buffer_gl0_inv
	s_clause 0x4
	scratch_load_b128 v[1:4], off, off offset:104
	scratch_load_b128 v[131:134], off, off offset:120
	;; [unrolled: 1-line block ×5, first 2 shown]
	ds_load_b128 v[147:150], v130 offset:608
	ds_load_b128 v[151:154], v130 offset:624
	scratch_load_b128 v[155:158], off, off offset:184
	s_mov_b32 s0, exec_lo
	s_waitcnt vmcnt(5) lgkmcnt(1)
	v_fma_f64 v[3:4], v[3:4], v[147:148], 0
	s_waitcnt vmcnt(4)
	s_delay_alu instid0(VALU_DEP_1) | instskip(SKIP_1) | instid1(VALU_DEP_1)
	v_fma_f64 v[3:4], v[131:132], v[149:150], v[3:4]
	s_waitcnt lgkmcnt(0)
	v_fma_f64 v[3:4], v[133:134], v[151:152], v[3:4]
	scratch_load_b128 v[131:134], off, off offset:200
	s_waitcnt vmcnt(4)
	v_fma_f64 v[3:4], v[135:136], v[153:154], v[3:4]
	ds_load_b128 v[147:150], v130 offset:640
	ds_load_b128 v[151:154], v130 offset:656
	s_waitcnt lgkmcnt(1)
	v_fma_f64 v[3:4], v[137:138], v[147:148], v[3:4]
	scratch_load_b128 v[135:138], off, off offset:216
	s_waitcnt vmcnt(4)
	v_fma_f64 v[3:4], v[139:140], v[149:150], v[3:4]
	s_waitcnt lgkmcnt(0)
	s_delay_alu instid0(VALU_DEP_1)
	v_fma_f64 v[3:4], v[141:142], v[151:152], v[3:4]
	scratch_load_b128 v[139:142], off, off offset:232
	s_waitcnt vmcnt(4)
	v_fma_f64 v[3:4], v[143:144], v[153:154], v[3:4]
	ds_load_b128 v[147:150], v130 offset:672
	ds_load_b128 v[151:154], v130 offset:688
	s_waitcnt lgkmcnt(1)
	v_fma_f64 v[3:4], v[145:146], v[147:148], v[3:4]
	scratch_load_b128 v[143:146], off, off offset:248
	s_waitcnt vmcnt(4)
	v_fma_f64 v[3:4], v[155:156], v[149:150], v[3:4]
	scratch_load_b128 v[147:150], off, off offset:264
	s_waitcnt lgkmcnt(0)
	v_fma_f64 v[3:4], v[157:158], v[151:152], v[3:4]
	s_waitcnt vmcnt(4)
	s_delay_alu instid0(VALU_DEP_1)
	v_fma_f64 v[3:4], v[131:132], v[153:154], v[3:4]
	ds_load_b128 v[151:154], v130 offset:704
	ds_load_b128 v[155:158], v130 offset:720
	s_waitcnt lgkmcnt(1)
	v_fma_f64 v[3:4], v[133:134], v[151:152], v[3:4]
	scratch_load_b128 v[131:134], off, off offset:280
	s_waitcnt vmcnt(4)
	v_fma_f64 v[3:4], v[135:136], v[153:154], v[3:4]
	s_waitcnt lgkmcnt(0)
	s_delay_alu instid0(VALU_DEP_1)
	v_fma_f64 v[3:4], v[137:138], v[155:156], v[3:4]
	scratch_load_b128 v[135:138], off, off offset:296
	s_waitcnt vmcnt(4)
	v_fma_f64 v[3:4], v[139:140], v[157:158], v[3:4]
	ds_load_b128 v[151:154], v130 offset:736
	ds_load_b128 v[155:158], v130 offset:752
	s_waitcnt lgkmcnt(1)
	v_fma_f64 v[3:4], v[141:142], v[151:152], v[3:4]
	scratch_load_b128 v[139:142], off, off offset:312
	s_waitcnt vmcnt(4)
	v_fma_f64 v[3:4], v[143:144], v[153:154], v[3:4]
	s_waitcnt lgkmcnt(0)
	s_delay_alu instid0(VALU_DEP_1)
	v_fma_f64 v[3:4], v[145:146], v[155:156], v[3:4]
	scratch_load_b128 v[143:146], off, off offset:328
	s_waitcnt vmcnt(4)
	;; [unrolled: 13-line block ×6, first 2 shown]
	v_fma_f64 v[3:4], v[139:140], v[157:158], v[3:4]
	ds_load_b128 v[151:154], v130 offset:896
	ds_load_b128 v[155:158], v130 offset:912
	s_waitcnt lgkmcnt(1)
	v_fma_f64 v[3:4], v[141:142], v[151:152], v[3:4]
	scratch_load_b128 v[139:142], off, off offset:472
	s_waitcnt vmcnt(4)
	v_fma_f64 v[3:4], v[143:144], v[153:154], v[3:4]
	s_waitcnt lgkmcnt(0)
	s_delay_alu instid0(VALU_DEP_1)
	v_fma_f64 v[3:4], v[145:146], v[155:156], v[3:4]
	scratch_load_b64 v[155:156], off, off offset:488
	ds_load_b128 v[143:146], v130 offset:928
	ds_load_b128 v[151:154], v130 offset:944
	s_waitcnt vmcnt(4)
	v_fma_f64 v[3:4], v[147:148], v[157:158], v[3:4]
	s_waitcnt lgkmcnt(1)
	s_delay_alu instid0(VALU_DEP_1) | instskip(SKIP_1) | instid1(VALU_DEP_1)
	v_fma_f64 v[3:4], v[149:150], v[143:144], v[3:4]
	s_waitcnt vmcnt(3)
	v_fma_f64 v[3:4], v[131:132], v[145:146], v[3:4]
	s_waitcnt lgkmcnt(0)
	s_delay_alu instid0(VALU_DEP_1)
	v_fma_f64 v[3:4], v[133:134], v[151:152], v[3:4]
	ds_load_b128 v[131:134], v130 offset:960
	ds_load_b128 v[143:146], v130 offset:976
	s_waitcnt vmcnt(2)
	v_fma_f64 v[3:4], v[135:136], v[153:154], v[3:4]
	s_waitcnt lgkmcnt(1)
	s_delay_alu instid0(VALU_DEP_1) | instskip(SKIP_1) | instid1(VALU_DEP_1)
	v_fma_f64 v[3:4], v[137:138], v[131:132], v[3:4]
	s_waitcnt vmcnt(1)
	v_fma_f64 v[3:4], v[139:140], v[133:134], v[3:4]
	s_waitcnt lgkmcnt(0)
	s_delay_alu instid0(VALU_DEP_1) | instskip(SKIP_1) | instid1(VALU_DEP_1)
	v_fma_f64 v[3:4], v[141:142], v[143:144], v[3:4]
	s_waitcnt vmcnt(0)
	v_fma_f64 v[3:4], v[155:156], v[145:146], v[3:4]
	s_delay_alu instid0(VALU_DEP_1)
	v_add_f64 v[1:2], v[1:2], -v[3:4]
	scratch_store_b64 off, v[1:2], off offset:104
	v_cmpx_lt_u32_e32 12, v0
	s_cbranch_execz .LBB61_357
; %bb.356:
	scratch_load_b64 v[1:2], off, off offset:96
	v_mov_b32_e32 v3, 0
	s_delay_alu instid0(VALU_DEP_1)
	v_mov_b32_e32 v4, v3
	scratch_store_b64 off, v[3:4], off offset:96
	s_waitcnt vmcnt(0)
	ds_store_b64 v5, v[1:2]
.LBB61_357:
	s_or_b32 exec_lo, exec_lo, s0
	s_waitcnt lgkmcnt(0)
	s_waitcnt_vscnt null, 0x0
	s_barrier
	buffer_gl0_inv
	s_clause 0x4
	scratch_load_b128 v[1:4], off, off offset:96
	scratch_load_b128 v[131:134], off, off offset:112
	;; [unrolled: 1-line block ×5, first 2 shown]
	v_mov_b32_e32 v130, 0
	ds_load_2addr_b64 v[147:150], v130 offset0:75 offset1:76
	ds_load_2addr_b64 v[151:154], v130 offset0:77 offset1:78
	scratch_load_b128 v[155:158], off, off offset:176
	s_mov_b32 s0, exec_lo
	s_waitcnt vmcnt(5) lgkmcnt(1)
	v_fma_f64 v[3:4], v[3:4], v[147:148], 0
	s_waitcnt vmcnt(4)
	s_delay_alu instid0(VALU_DEP_1) | instskip(SKIP_1) | instid1(VALU_DEP_1)
	v_fma_f64 v[3:4], v[131:132], v[149:150], v[3:4]
	s_waitcnt lgkmcnt(0)
	v_fma_f64 v[3:4], v[133:134], v[151:152], v[3:4]
	scratch_load_b128 v[131:134], off, off offset:192
	s_waitcnt vmcnt(4)
	v_fma_f64 v[3:4], v[135:136], v[153:154], v[3:4]
	ds_load_2addr_b64 v[147:150], v130 offset0:79 offset1:80
	ds_load_2addr_b64 v[151:154], v130 offset0:81 offset1:82
	s_waitcnt lgkmcnt(1)
	v_fma_f64 v[3:4], v[137:138], v[147:148], v[3:4]
	scratch_load_b128 v[135:138], off, off offset:208
	s_waitcnt vmcnt(4)
	v_fma_f64 v[3:4], v[139:140], v[149:150], v[3:4]
	s_waitcnt lgkmcnt(0)
	s_delay_alu instid0(VALU_DEP_1)
	v_fma_f64 v[3:4], v[141:142], v[151:152], v[3:4]
	scratch_load_b128 v[139:142], off, off offset:224
	s_waitcnt vmcnt(4)
	v_fma_f64 v[3:4], v[143:144], v[153:154], v[3:4]
	ds_load_2addr_b64 v[147:150], v130 offset0:83 offset1:84
	ds_load_2addr_b64 v[151:154], v130 offset0:85 offset1:86
	s_waitcnt lgkmcnt(1)
	v_fma_f64 v[3:4], v[145:146], v[147:148], v[3:4]
	scratch_load_b128 v[143:146], off, off offset:240
	s_waitcnt vmcnt(4)
	v_fma_f64 v[3:4], v[155:156], v[149:150], v[3:4]
	scratch_load_b128 v[147:150], off, off offset:256
	s_waitcnt lgkmcnt(0)
	v_fma_f64 v[3:4], v[157:158], v[151:152], v[3:4]
	s_waitcnt vmcnt(4)
	s_delay_alu instid0(VALU_DEP_1)
	v_fma_f64 v[3:4], v[131:132], v[153:154], v[3:4]
	ds_load_2addr_b64 v[151:154], v130 offset0:87 offset1:88
	ds_load_2addr_b64 v[155:158], v130 offset0:89 offset1:90
	s_waitcnt lgkmcnt(1)
	v_fma_f64 v[3:4], v[133:134], v[151:152], v[3:4]
	scratch_load_b128 v[131:134], off, off offset:272
	s_waitcnt vmcnt(4)
	v_fma_f64 v[3:4], v[135:136], v[153:154], v[3:4]
	s_waitcnt lgkmcnt(0)
	s_delay_alu instid0(VALU_DEP_1)
	v_fma_f64 v[3:4], v[137:138], v[155:156], v[3:4]
	scratch_load_b128 v[135:138], off, off offset:288
	s_waitcnt vmcnt(4)
	v_fma_f64 v[3:4], v[139:140], v[157:158], v[3:4]
	ds_load_2addr_b64 v[151:154], v130 offset0:91 offset1:92
	ds_load_2addr_b64 v[155:158], v130 offset0:93 offset1:94
	s_waitcnt lgkmcnt(1)
	v_fma_f64 v[3:4], v[141:142], v[151:152], v[3:4]
	scratch_load_b128 v[139:142], off, off offset:304
	s_waitcnt vmcnt(4)
	v_fma_f64 v[3:4], v[143:144], v[153:154], v[3:4]
	s_waitcnt lgkmcnt(0)
	s_delay_alu instid0(VALU_DEP_1)
	v_fma_f64 v[3:4], v[145:146], v[155:156], v[3:4]
	scratch_load_b128 v[143:146], off, off offset:320
	s_waitcnt vmcnt(4)
	;; [unrolled: 13-line block ×7, first 2 shown]
	v_fma_f64 v[3:4], v[147:148], v[157:158], v[3:4]
	ds_load_2addr_b64 v[151:154], v130 offset0:115 offset1:116
	ds_load_2addr_b64 v[155:158], v130 offset0:117 offset1:118
	s_waitcnt lgkmcnt(1)
	v_fma_f64 v[3:4], v[149:150], v[151:152], v[3:4]
	s_waitcnt vmcnt(3)
	s_delay_alu instid0(VALU_DEP_1) | instskip(SKIP_1) | instid1(VALU_DEP_1)
	v_fma_f64 v[3:4], v[131:132], v[153:154], v[3:4]
	s_waitcnt lgkmcnt(0)
	v_fma_f64 v[3:4], v[133:134], v[155:156], v[3:4]
	ds_load_2addr_b64 v[131:134], v130 offset0:119 offset1:120
	ds_load_2addr_b64 v[147:150], v130 offset0:121 offset1:122
	s_waitcnt vmcnt(2)
	v_fma_f64 v[3:4], v[135:136], v[157:158], v[3:4]
	s_waitcnt lgkmcnt(1)
	s_delay_alu instid0(VALU_DEP_1) | instskip(SKIP_4) | instid1(VALU_DEP_1)
	v_fma_f64 v[3:4], v[137:138], v[131:132], v[3:4]
	ds_load_b64 v[131:132], v130 offset:984
	s_waitcnt vmcnt(1)
	v_fma_f64 v[3:4], v[139:140], v[133:134], v[3:4]
	s_waitcnt lgkmcnt(1)
	v_fma_f64 v[3:4], v[141:142], v[147:148], v[3:4]
	s_waitcnt vmcnt(0)
	s_delay_alu instid0(VALU_DEP_1) | instskip(SKIP_1) | instid1(VALU_DEP_1)
	v_fma_f64 v[3:4], v[143:144], v[149:150], v[3:4]
	s_waitcnt lgkmcnt(0)
	v_fma_f64 v[3:4], v[145:146], v[131:132], v[3:4]
	s_delay_alu instid0(VALU_DEP_1)
	v_add_f64 v[1:2], v[1:2], -v[3:4]
	scratch_store_b64 off, v[1:2], off offset:96
	v_cmpx_lt_u32_e32 11, v0
	s_cbranch_execz .LBB61_359
; %bb.358:
	scratch_load_b64 v[1:2], off, off offset:88
	v_mov_b32_e32 v131, v130
	scratch_store_b64 off, v[130:131], off offset:88
	s_waitcnt vmcnt(0)
	ds_store_b64 v5, v[1:2]
.LBB61_359:
	s_or_b32 exec_lo, exec_lo, s0
	s_waitcnt lgkmcnt(0)
	s_waitcnt_vscnt null, 0x0
	s_barrier
	buffer_gl0_inv
	s_clause 0x4
	scratch_load_b128 v[1:4], off, off offset:88
	scratch_load_b128 v[131:134], off, off offset:104
	;; [unrolled: 1-line block ×5, first 2 shown]
	ds_load_b128 v[147:150], v130 offset:592
	ds_load_b128 v[151:154], v130 offset:608
	scratch_load_b128 v[155:158], off, off offset:168
	s_mov_b32 s0, exec_lo
	s_waitcnt vmcnt(5) lgkmcnt(1)
	v_fma_f64 v[3:4], v[3:4], v[147:148], 0
	s_waitcnt vmcnt(4)
	s_delay_alu instid0(VALU_DEP_1) | instskip(SKIP_1) | instid1(VALU_DEP_1)
	v_fma_f64 v[3:4], v[131:132], v[149:150], v[3:4]
	s_waitcnt lgkmcnt(0)
	v_fma_f64 v[3:4], v[133:134], v[151:152], v[3:4]
	scratch_load_b128 v[131:134], off, off offset:184
	s_waitcnt vmcnt(4)
	v_fma_f64 v[3:4], v[135:136], v[153:154], v[3:4]
	ds_load_b128 v[147:150], v130 offset:624
	ds_load_b128 v[151:154], v130 offset:640
	s_waitcnt lgkmcnt(1)
	v_fma_f64 v[3:4], v[137:138], v[147:148], v[3:4]
	scratch_load_b128 v[135:138], off, off offset:200
	s_waitcnt vmcnt(4)
	v_fma_f64 v[3:4], v[139:140], v[149:150], v[3:4]
	s_waitcnt lgkmcnt(0)
	s_delay_alu instid0(VALU_DEP_1)
	v_fma_f64 v[3:4], v[141:142], v[151:152], v[3:4]
	scratch_load_b128 v[139:142], off, off offset:216
	s_waitcnt vmcnt(4)
	v_fma_f64 v[3:4], v[143:144], v[153:154], v[3:4]
	ds_load_b128 v[147:150], v130 offset:656
	ds_load_b128 v[151:154], v130 offset:672
	s_waitcnt lgkmcnt(1)
	v_fma_f64 v[3:4], v[145:146], v[147:148], v[3:4]
	scratch_load_b128 v[143:146], off, off offset:232
	s_waitcnt vmcnt(4)
	v_fma_f64 v[3:4], v[155:156], v[149:150], v[3:4]
	scratch_load_b128 v[147:150], off, off offset:248
	s_waitcnt lgkmcnt(0)
	v_fma_f64 v[3:4], v[157:158], v[151:152], v[3:4]
	s_waitcnt vmcnt(4)
	s_delay_alu instid0(VALU_DEP_1)
	v_fma_f64 v[3:4], v[131:132], v[153:154], v[3:4]
	ds_load_b128 v[151:154], v130 offset:688
	ds_load_b128 v[155:158], v130 offset:704
	s_waitcnt lgkmcnt(1)
	v_fma_f64 v[3:4], v[133:134], v[151:152], v[3:4]
	scratch_load_b128 v[131:134], off, off offset:264
	s_waitcnt vmcnt(4)
	v_fma_f64 v[3:4], v[135:136], v[153:154], v[3:4]
	s_waitcnt lgkmcnt(0)
	s_delay_alu instid0(VALU_DEP_1)
	v_fma_f64 v[3:4], v[137:138], v[155:156], v[3:4]
	scratch_load_b128 v[135:138], off, off offset:280
	s_waitcnt vmcnt(4)
	v_fma_f64 v[3:4], v[139:140], v[157:158], v[3:4]
	ds_load_b128 v[151:154], v130 offset:720
	ds_load_b128 v[155:158], v130 offset:736
	s_waitcnt lgkmcnt(1)
	v_fma_f64 v[3:4], v[141:142], v[151:152], v[3:4]
	scratch_load_b128 v[139:142], off, off offset:296
	s_waitcnt vmcnt(4)
	v_fma_f64 v[3:4], v[143:144], v[153:154], v[3:4]
	s_waitcnt lgkmcnt(0)
	s_delay_alu instid0(VALU_DEP_1)
	v_fma_f64 v[3:4], v[145:146], v[155:156], v[3:4]
	scratch_load_b128 v[143:146], off, off offset:312
	s_waitcnt vmcnt(4)
	;; [unrolled: 13-line block ×7, first 2 shown]
	v_fma_f64 v[3:4], v[147:148], v[157:158], v[3:4]
	ds_load_b128 v[151:154], v130 offset:912
	ds_load_b128 v[155:158], v130 offset:928
	s_waitcnt lgkmcnt(1)
	v_fma_f64 v[3:4], v[149:150], v[151:152], v[3:4]
	scratch_load_b64 v[151:152], off, off offset:488
	s_waitcnt vmcnt(4)
	v_fma_f64 v[3:4], v[131:132], v[153:154], v[3:4]
	s_waitcnt lgkmcnt(0)
	s_delay_alu instid0(VALU_DEP_1)
	v_fma_f64 v[3:4], v[133:134], v[155:156], v[3:4]
	ds_load_b128 v[131:134], v130 offset:944
	ds_load_b128 v[147:150], v130 offset:960
	s_waitcnt vmcnt(3)
	v_fma_f64 v[3:4], v[135:136], v[157:158], v[3:4]
	s_waitcnt lgkmcnt(1)
	s_delay_alu instid0(VALU_DEP_1) | instskip(SKIP_1) | instid1(VALU_DEP_1)
	v_fma_f64 v[3:4], v[137:138], v[131:132], v[3:4]
	s_waitcnt vmcnt(2)
	v_fma_f64 v[3:4], v[139:140], v[133:134], v[3:4]
	ds_load_b128 v[130:133], v130 offset:976
	s_waitcnt lgkmcnt(1)
	v_fma_f64 v[3:4], v[141:142], v[147:148], v[3:4]
	s_waitcnt vmcnt(1)
	s_delay_alu instid0(VALU_DEP_1) | instskip(SKIP_1) | instid1(VALU_DEP_1)
	v_fma_f64 v[3:4], v[143:144], v[149:150], v[3:4]
	s_waitcnt lgkmcnt(0)
	v_fma_f64 v[3:4], v[145:146], v[130:131], v[3:4]
	s_waitcnt vmcnt(0)
	s_delay_alu instid0(VALU_DEP_1) | instskip(NEXT) | instid1(VALU_DEP_1)
	v_fma_f64 v[3:4], v[151:152], v[132:133], v[3:4]
	v_add_f64 v[1:2], v[1:2], -v[3:4]
	scratch_store_b64 off, v[1:2], off offset:88
	v_cmpx_lt_u32_e32 10, v0
	s_cbranch_execz .LBB61_361
; %bb.360:
	scratch_load_b64 v[1:2], off, off offset:80
	v_mov_b32_e32 v3, 0
	s_delay_alu instid0(VALU_DEP_1)
	v_mov_b32_e32 v4, v3
	scratch_store_b64 off, v[3:4], off offset:80
	s_waitcnt vmcnt(0)
	ds_store_b64 v5, v[1:2]
.LBB61_361:
	s_or_b32 exec_lo, exec_lo, s0
	s_waitcnt lgkmcnt(0)
	s_waitcnt_vscnt null, 0x0
	s_barrier
	buffer_gl0_inv
	s_clause 0x4
	scratch_load_b128 v[1:4], off, off offset:80
	scratch_load_b128 v[131:134], off, off offset:96
	;; [unrolled: 1-line block ×5, first 2 shown]
	v_mov_b32_e32 v130, 0
	ds_load_2addr_b64 v[147:150], v130 offset0:73 offset1:74
	ds_load_2addr_b64 v[151:154], v130 offset0:75 offset1:76
	scratch_load_b128 v[155:158], off, off offset:160
	s_mov_b32 s0, exec_lo
	s_waitcnt vmcnt(5) lgkmcnt(1)
	v_fma_f64 v[3:4], v[3:4], v[147:148], 0
	s_waitcnt vmcnt(4)
	s_delay_alu instid0(VALU_DEP_1) | instskip(SKIP_1) | instid1(VALU_DEP_1)
	v_fma_f64 v[3:4], v[131:132], v[149:150], v[3:4]
	s_waitcnt lgkmcnt(0)
	v_fma_f64 v[3:4], v[133:134], v[151:152], v[3:4]
	scratch_load_b128 v[131:134], off, off offset:176
	s_waitcnt vmcnt(4)
	v_fma_f64 v[3:4], v[135:136], v[153:154], v[3:4]
	ds_load_2addr_b64 v[147:150], v130 offset0:77 offset1:78
	ds_load_2addr_b64 v[151:154], v130 offset0:79 offset1:80
	s_waitcnt lgkmcnt(1)
	v_fma_f64 v[3:4], v[137:138], v[147:148], v[3:4]
	scratch_load_b128 v[135:138], off, off offset:192
	s_waitcnt vmcnt(4)
	v_fma_f64 v[3:4], v[139:140], v[149:150], v[3:4]
	s_waitcnt lgkmcnt(0)
	s_delay_alu instid0(VALU_DEP_1)
	v_fma_f64 v[3:4], v[141:142], v[151:152], v[3:4]
	scratch_load_b128 v[139:142], off, off offset:208
	s_waitcnt vmcnt(4)
	v_fma_f64 v[3:4], v[143:144], v[153:154], v[3:4]
	ds_load_2addr_b64 v[147:150], v130 offset0:81 offset1:82
	ds_load_2addr_b64 v[151:154], v130 offset0:83 offset1:84
	s_waitcnt lgkmcnt(1)
	v_fma_f64 v[3:4], v[145:146], v[147:148], v[3:4]
	scratch_load_b128 v[143:146], off, off offset:224
	s_waitcnt vmcnt(4)
	v_fma_f64 v[3:4], v[155:156], v[149:150], v[3:4]
	scratch_load_b128 v[147:150], off, off offset:240
	s_waitcnt lgkmcnt(0)
	v_fma_f64 v[3:4], v[157:158], v[151:152], v[3:4]
	s_waitcnt vmcnt(4)
	s_delay_alu instid0(VALU_DEP_1)
	v_fma_f64 v[3:4], v[131:132], v[153:154], v[3:4]
	ds_load_2addr_b64 v[151:154], v130 offset0:85 offset1:86
	ds_load_2addr_b64 v[155:158], v130 offset0:87 offset1:88
	s_waitcnt lgkmcnt(1)
	v_fma_f64 v[3:4], v[133:134], v[151:152], v[3:4]
	scratch_load_b128 v[131:134], off, off offset:256
	s_waitcnt vmcnt(4)
	v_fma_f64 v[3:4], v[135:136], v[153:154], v[3:4]
	s_waitcnt lgkmcnt(0)
	s_delay_alu instid0(VALU_DEP_1)
	v_fma_f64 v[3:4], v[137:138], v[155:156], v[3:4]
	scratch_load_b128 v[135:138], off, off offset:272
	s_waitcnt vmcnt(4)
	v_fma_f64 v[3:4], v[139:140], v[157:158], v[3:4]
	ds_load_2addr_b64 v[151:154], v130 offset0:89 offset1:90
	ds_load_2addr_b64 v[155:158], v130 offset0:91 offset1:92
	s_waitcnt lgkmcnt(1)
	v_fma_f64 v[3:4], v[141:142], v[151:152], v[3:4]
	scratch_load_b128 v[139:142], off, off offset:288
	s_waitcnt vmcnt(4)
	v_fma_f64 v[3:4], v[143:144], v[153:154], v[3:4]
	s_waitcnt lgkmcnt(0)
	s_delay_alu instid0(VALU_DEP_1)
	v_fma_f64 v[3:4], v[145:146], v[155:156], v[3:4]
	scratch_load_b128 v[143:146], off, off offset:304
	s_waitcnt vmcnt(4)
	;; [unrolled: 13-line block ×7, first 2 shown]
	v_fma_f64 v[3:4], v[147:148], v[157:158], v[3:4]
	ds_load_2addr_b64 v[151:154], v130 offset0:113 offset1:114
	ds_load_2addr_b64 v[155:158], v130 offset0:115 offset1:116
	s_waitcnt lgkmcnt(1)
	v_fma_f64 v[3:4], v[149:150], v[151:152], v[3:4]
	scratch_load_b128 v[147:150], off, off offset:480
	s_waitcnt vmcnt(4)
	v_fma_f64 v[3:4], v[131:132], v[153:154], v[3:4]
	s_waitcnt lgkmcnt(0)
	s_delay_alu instid0(VALU_DEP_1)
	v_fma_f64 v[3:4], v[133:134], v[155:156], v[3:4]
	ds_load_2addr_b64 v[131:134], v130 offset0:117 offset1:118
	ds_load_2addr_b64 v[151:154], v130 offset0:119 offset1:120
	s_waitcnt vmcnt(3)
	v_fma_f64 v[3:4], v[135:136], v[157:158], v[3:4]
	s_waitcnt lgkmcnt(1)
	s_delay_alu instid0(VALU_DEP_1) | instskip(SKIP_1) | instid1(VALU_DEP_1)
	v_fma_f64 v[3:4], v[137:138], v[131:132], v[3:4]
	s_waitcnt vmcnt(2)
	v_fma_f64 v[3:4], v[139:140], v[133:134], v[3:4]
	ds_load_2addr_b64 v[131:134], v130 offset0:121 offset1:122
	ds_load_b64 v[135:136], v130 offset:984
	s_waitcnt lgkmcnt(2)
	v_fma_f64 v[3:4], v[141:142], v[151:152], v[3:4]
	s_waitcnt vmcnt(1)
	s_delay_alu instid0(VALU_DEP_1) | instskip(SKIP_1) | instid1(VALU_DEP_1)
	v_fma_f64 v[3:4], v[143:144], v[153:154], v[3:4]
	s_waitcnt lgkmcnt(1)
	v_fma_f64 v[3:4], v[145:146], v[131:132], v[3:4]
	s_waitcnt vmcnt(0)
	s_delay_alu instid0(VALU_DEP_1) | instskip(SKIP_1) | instid1(VALU_DEP_1)
	v_fma_f64 v[3:4], v[147:148], v[133:134], v[3:4]
	s_waitcnt lgkmcnt(0)
	v_fma_f64 v[3:4], v[149:150], v[135:136], v[3:4]
	s_delay_alu instid0(VALU_DEP_1)
	v_add_f64 v[1:2], v[1:2], -v[3:4]
	scratch_store_b64 off, v[1:2], off offset:80
	v_cmpx_lt_u32_e32 9, v0
	s_cbranch_execz .LBB61_363
; %bb.362:
	scratch_load_b64 v[1:2], off, off offset:72
	v_mov_b32_e32 v131, v130
	scratch_store_b64 off, v[130:131], off offset:72
	s_waitcnt vmcnt(0)
	ds_store_b64 v5, v[1:2]
.LBB61_363:
	s_or_b32 exec_lo, exec_lo, s0
	s_waitcnt lgkmcnt(0)
	s_waitcnt_vscnt null, 0x0
	s_barrier
	buffer_gl0_inv
	s_clause 0x4
	scratch_load_b128 v[1:4], off, off offset:72
	scratch_load_b128 v[131:134], off, off offset:88
	;; [unrolled: 1-line block ×5, first 2 shown]
	ds_load_b128 v[147:150], v130 offset:576
	ds_load_b128 v[151:154], v130 offset:592
	scratch_load_b128 v[155:158], off, off offset:152
	s_mov_b32 s0, exec_lo
	s_waitcnt vmcnt(5) lgkmcnt(1)
	v_fma_f64 v[3:4], v[3:4], v[147:148], 0
	s_waitcnt vmcnt(4)
	s_delay_alu instid0(VALU_DEP_1) | instskip(SKIP_1) | instid1(VALU_DEP_1)
	v_fma_f64 v[3:4], v[131:132], v[149:150], v[3:4]
	s_waitcnt lgkmcnt(0)
	v_fma_f64 v[3:4], v[133:134], v[151:152], v[3:4]
	scratch_load_b128 v[131:134], off, off offset:168
	s_waitcnt vmcnt(4)
	v_fma_f64 v[3:4], v[135:136], v[153:154], v[3:4]
	ds_load_b128 v[147:150], v130 offset:608
	ds_load_b128 v[151:154], v130 offset:624
	s_waitcnt lgkmcnt(1)
	v_fma_f64 v[3:4], v[137:138], v[147:148], v[3:4]
	scratch_load_b128 v[135:138], off, off offset:184
	s_waitcnt vmcnt(4)
	v_fma_f64 v[3:4], v[139:140], v[149:150], v[3:4]
	s_waitcnt lgkmcnt(0)
	s_delay_alu instid0(VALU_DEP_1)
	v_fma_f64 v[3:4], v[141:142], v[151:152], v[3:4]
	scratch_load_b128 v[139:142], off, off offset:200
	s_waitcnt vmcnt(4)
	v_fma_f64 v[3:4], v[143:144], v[153:154], v[3:4]
	ds_load_b128 v[147:150], v130 offset:640
	ds_load_b128 v[151:154], v130 offset:656
	s_waitcnt lgkmcnt(1)
	v_fma_f64 v[3:4], v[145:146], v[147:148], v[3:4]
	scratch_load_b128 v[143:146], off, off offset:216
	s_waitcnt vmcnt(4)
	v_fma_f64 v[3:4], v[155:156], v[149:150], v[3:4]
	scratch_load_b128 v[147:150], off, off offset:232
	s_waitcnt lgkmcnt(0)
	v_fma_f64 v[3:4], v[157:158], v[151:152], v[3:4]
	s_waitcnt vmcnt(4)
	s_delay_alu instid0(VALU_DEP_1)
	v_fma_f64 v[3:4], v[131:132], v[153:154], v[3:4]
	ds_load_b128 v[151:154], v130 offset:672
	ds_load_b128 v[155:158], v130 offset:688
	s_waitcnt lgkmcnt(1)
	v_fma_f64 v[3:4], v[133:134], v[151:152], v[3:4]
	scratch_load_b128 v[131:134], off, off offset:248
	s_waitcnt vmcnt(4)
	v_fma_f64 v[3:4], v[135:136], v[153:154], v[3:4]
	s_waitcnt lgkmcnt(0)
	s_delay_alu instid0(VALU_DEP_1)
	v_fma_f64 v[3:4], v[137:138], v[155:156], v[3:4]
	scratch_load_b128 v[135:138], off, off offset:264
	s_waitcnt vmcnt(4)
	v_fma_f64 v[3:4], v[139:140], v[157:158], v[3:4]
	ds_load_b128 v[151:154], v130 offset:704
	ds_load_b128 v[155:158], v130 offset:720
	s_waitcnt lgkmcnt(1)
	v_fma_f64 v[3:4], v[141:142], v[151:152], v[3:4]
	scratch_load_b128 v[139:142], off, off offset:280
	s_waitcnt vmcnt(4)
	v_fma_f64 v[3:4], v[143:144], v[153:154], v[3:4]
	s_waitcnt lgkmcnt(0)
	s_delay_alu instid0(VALU_DEP_1)
	v_fma_f64 v[3:4], v[145:146], v[155:156], v[3:4]
	scratch_load_b128 v[143:146], off, off offset:296
	s_waitcnt vmcnt(4)
	;; [unrolled: 13-line block ×7, first 2 shown]
	v_fma_f64 v[3:4], v[147:148], v[157:158], v[3:4]
	ds_load_b128 v[151:154], v130 offset:896
	ds_load_b128 v[155:158], v130 offset:912
	s_waitcnt lgkmcnt(1)
	v_fma_f64 v[3:4], v[149:150], v[151:152], v[3:4]
	scratch_load_b128 v[147:150], off, off offset:472
	s_waitcnt vmcnt(4)
	v_fma_f64 v[3:4], v[131:132], v[153:154], v[3:4]
	s_waitcnt lgkmcnt(0)
	s_delay_alu instid0(VALU_DEP_1)
	v_fma_f64 v[3:4], v[133:134], v[155:156], v[3:4]
	scratch_load_b64 v[155:156], off, off offset:488
	ds_load_b128 v[131:134], v130 offset:928
	ds_load_b128 v[151:154], v130 offset:944
	s_waitcnt vmcnt(4)
	v_fma_f64 v[3:4], v[135:136], v[157:158], v[3:4]
	s_waitcnt lgkmcnt(1)
	s_delay_alu instid0(VALU_DEP_1) | instskip(SKIP_1) | instid1(VALU_DEP_1)
	v_fma_f64 v[3:4], v[137:138], v[131:132], v[3:4]
	s_waitcnt vmcnt(3)
	v_fma_f64 v[3:4], v[139:140], v[133:134], v[3:4]
	ds_load_b128 v[131:134], v130 offset:960
	ds_load_b128 v[135:138], v130 offset:976
	s_waitcnt lgkmcnt(2)
	v_fma_f64 v[3:4], v[141:142], v[151:152], v[3:4]
	s_waitcnt vmcnt(2)
	s_delay_alu instid0(VALU_DEP_1) | instskip(SKIP_1) | instid1(VALU_DEP_1)
	v_fma_f64 v[3:4], v[143:144], v[153:154], v[3:4]
	s_waitcnt lgkmcnt(1)
	v_fma_f64 v[3:4], v[145:146], v[131:132], v[3:4]
	s_waitcnt vmcnt(1)
	s_delay_alu instid0(VALU_DEP_1) | instskip(SKIP_1) | instid1(VALU_DEP_1)
	v_fma_f64 v[3:4], v[147:148], v[133:134], v[3:4]
	s_waitcnt lgkmcnt(0)
	v_fma_f64 v[3:4], v[149:150], v[135:136], v[3:4]
	s_waitcnt vmcnt(0)
	s_delay_alu instid0(VALU_DEP_1) | instskip(NEXT) | instid1(VALU_DEP_1)
	v_fma_f64 v[3:4], v[155:156], v[137:138], v[3:4]
	v_add_f64 v[1:2], v[1:2], -v[3:4]
	scratch_store_b64 off, v[1:2], off offset:72
	v_cmpx_lt_u32_e32 8, v0
	s_cbranch_execz .LBB61_365
; %bb.364:
	scratch_load_b64 v[1:2], off, off offset:64
	v_mov_b32_e32 v3, 0
	s_delay_alu instid0(VALU_DEP_1)
	v_mov_b32_e32 v4, v3
	scratch_store_b64 off, v[3:4], off offset:64
	s_waitcnt vmcnt(0)
	ds_store_b64 v5, v[1:2]
.LBB61_365:
	s_or_b32 exec_lo, exec_lo, s0
	s_waitcnt lgkmcnt(0)
	s_waitcnt_vscnt null, 0x0
	s_barrier
	buffer_gl0_inv
	s_clause 0x4
	scratch_load_b128 v[1:4], off, off offset:64
	scratch_load_b128 v[131:134], off, off offset:80
	;; [unrolled: 1-line block ×5, first 2 shown]
	v_mov_b32_e32 v130, 0
	ds_load_2addr_b64 v[147:150], v130 offset0:71 offset1:72
	ds_load_2addr_b64 v[151:154], v130 offset0:73 offset1:74
	scratch_load_b128 v[155:158], off, off offset:144
	s_mov_b32 s0, exec_lo
	s_waitcnt vmcnt(5) lgkmcnt(1)
	v_fma_f64 v[3:4], v[3:4], v[147:148], 0
	s_waitcnt vmcnt(4)
	s_delay_alu instid0(VALU_DEP_1) | instskip(SKIP_1) | instid1(VALU_DEP_1)
	v_fma_f64 v[3:4], v[131:132], v[149:150], v[3:4]
	s_waitcnt lgkmcnt(0)
	v_fma_f64 v[3:4], v[133:134], v[151:152], v[3:4]
	scratch_load_b128 v[131:134], off, off offset:160
	s_waitcnt vmcnt(4)
	v_fma_f64 v[3:4], v[135:136], v[153:154], v[3:4]
	ds_load_2addr_b64 v[147:150], v130 offset0:75 offset1:76
	ds_load_2addr_b64 v[151:154], v130 offset0:77 offset1:78
	s_waitcnt lgkmcnt(1)
	v_fma_f64 v[3:4], v[137:138], v[147:148], v[3:4]
	scratch_load_b128 v[135:138], off, off offset:176
	s_waitcnt vmcnt(4)
	v_fma_f64 v[3:4], v[139:140], v[149:150], v[3:4]
	s_waitcnt lgkmcnt(0)
	s_delay_alu instid0(VALU_DEP_1)
	v_fma_f64 v[3:4], v[141:142], v[151:152], v[3:4]
	scratch_load_b128 v[139:142], off, off offset:192
	s_waitcnt vmcnt(4)
	v_fma_f64 v[3:4], v[143:144], v[153:154], v[3:4]
	ds_load_2addr_b64 v[147:150], v130 offset0:79 offset1:80
	ds_load_2addr_b64 v[151:154], v130 offset0:81 offset1:82
	s_waitcnt lgkmcnt(1)
	v_fma_f64 v[3:4], v[145:146], v[147:148], v[3:4]
	scratch_load_b128 v[143:146], off, off offset:208
	s_waitcnt vmcnt(4)
	v_fma_f64 v[3:4], v[155:156], v[149:150], v[3:4]
	scratch_load_b128 v[147:150], off, off offset:224
	s_waitcnt lgkmcnt(0)
	v_fma_f64 v[3:4], v[157:158], v[151:152], v[3:4]
	s_waitcnt vmcnt(4)
	s_delay_alu instid0(VALU_DEP_1)
	v_fma_f64 v[3:4], v[131:132], v[153:154], v[3:4]
	ds_load_2addr_b64 v[151:154], v130 offset0:83 offset1:84
	ds_load_2addr_b64 v[155:158], v130 offset0:85 offset1:86
	s_waitcnt lgkmcnt(1)
	v_fma_f64 v[3:4], v[133:134], v[151:152], v[3:4]
	scratch_load_b128 v[131:134], off, off offset:240
	s_waitcnt vmcnt(4)
	v_fma_f64 v[3:4], v[135:136], v[153:154], v[3:4]
	s_waitcnt lgkmcnt(0)
	s_delay_alu instid0(VALU_DEP_1)
	v_fma_f64 v[3:4], v[137:138], v[155:156], v[3:4]
	scratch_load_b128 v[135:138], off, off offset:256
	s_waitcnt vmcnt(4)
	v_fma_f64 v[3:4], v[139:140], v[157:158], v[3:4]
	ds_load_2addr_b64 v[151:154], v130 offset0:87 offset1:88
	ds_load_2addr_b64 v[155:158], v130 offset0:89 offset1:90
	s_waitcnt lgkmcnt(1)
	v_fma_f64 v[3:4], v[141:142], v[151:152], v[3:4]
	scratch_load_b128 v[139:142], off, off offset:272
	s_waitcnt vmcnt(4)
	v_fma_f64 v[3:4], v[143:144], v[153:154], v[3:4]
	s_waitcnt lgkmcnt(0)
	s_delay_alu instid0(VALU_DEP_1)
	v_fma_f64 v[3:4], v[145:146], v[155:156], v[3:4]
	scratch_load_b128 v[143:146], off, off offset:288
	s_waitcnt vmcnt(4)
	;; [unrolled: 13-line block ×8, first 2 shown]
	v_fma_f64 v[3:4], v[135:136], v[157:158], v[3:4]
	ds_load_2addr_b64 v[151:154], v130 offset0:115 offset1:116
	ds_load_2addr_b64 v[155:158], v130 offset0:117 offset1:118
	s_waitcnt lgkmcnt(1)
	v_fma_f64 v[3:4], v[137:138], v[151:152], v[3:4]
	s_waitcnt vmcnt(3)
	s_delay_alu instid0(VALU_DEP_1) | instskip(SKIP_1) | instid1(VALU_DEP_1)
	v_fma_f64 v[3:4], v[139:140], v[153:154], v[3:4]
	s_waitcnt lgkmcnt(0)
	v_fma_f64 v[3:4], v[141:142], v[155:156], v[3:4]
	ds_load_2addr_b64 v[135:138], v130 offset0:119 offset1:120
	ds_load_2addr_b64 v[139:142], v130 offset0:121 offset1:122
	s_waitcnt vmcnt(2)
	v_fma_f64 v[3:4], v[143:144], v[157:158], v[3:4]
	s_waitcnt lgkmcnt(1)
	s_delay_alu instid0(VALU_DEP_1) | instskip(SKIP_1) | instid1(VALU_DEP_1)
	v_fma_f64 v[3:4], v[145:146], v[135:136], v[3:4]
	s_waitcnt vmcnt(1)
	v_fma_f64 v[3:4], v[147:148], v[137:138], v[3:4]
	s_waitcnt lgkmcnt(0)
	s_delay_alu instid0(VALU_DEP_1) | instskip(SKIP_1) | instid1(VALU_DEP_1)
	v_fma_f64 v[3:4], v[149:150], v[139:140], v[3:4]
	s_waitcnt vmcnt(0)
	v_fma_f64 v[3:4], v[131:132], v[141:142], v[3:4]
	ds_load_b64 v[131:132], v130 offset:984
	s_waitcnt lgkmcnt(0)
	v_fma_f64 v[3:4], v[133:134], v[131:132], v[3:4]
	s_delay_alu instid0(VALU_DEP_1)
	v_add_f64 v[1:2], v[1:2], -v[3:4]
	scratch_store_b64 off, v[1:2], off offset:64
	v_cmpx_lt_u32_e32 7, v0
	s_cbranch_execz .LBB61_367
; %bb.366:
	scratch_load_b64 v[1:2], off, off offset:56
	v_mov_b32_e32 v131, v130
	scratch_store_b64 off, v[130:131], off offset:56
	s_waitcnt vmcnt(0)
	ds_store_b64 v5, v[1:2]
.LBB61_367:
	s_or_b32 exec_lo, exec_lo, s0
	s_waitcnt lgkmcnt(0)
	s_waitcnt_vscnt null, 0x0
	s_barrier
	buffer_gl0_inv
	s_clause 0x4
	scratch_load_b128 v[1:4], off, off offset:56
	scratch_load_b128 v[131:134], off, off offset:72
	;; [unrolled: 1-line block ×5, first 2 shown]
	ds_load_b128 v[147:150], v130 offset:560
	ds_load_b128 v[151:154], v130 offset:576
	scratch_load_b128 v[155:158], off, off offset:136
	s_mov_b32 s0, exec_lo
	s_waitcnt vmcnt(5) lgkmcnt(1)
	v_fma_f64 v[3:4], v[3:4], v[147:148], 0
	s_waitcnt vmcnt(4)
	s_delay_alu instid0(VALU_DEP_1) | instskip(SKIP_1) | instid1(VALU_DEP_1)
	v_fma_f64 v[3:4], v[131:132], v[149:150], v[3:4]
	s_waitcnt lgkmcnt(0)
	v_fma_f64 v[3:4], v[133:134], v[151:152], v[3:4]
	scratch_load_b128 v[131:134], off, off offset:152
	s_waitcnt vmcnt(4)
	v_fma_f64 v[3:4], v[135:136], v[153:154], v[3:4]
	ds_load_b128 v[147:150], v130 offset:592
	ds_load_b128 v[151:154], v130 offset:608
	s_waitcnt lgkmcnt(1)
	v_fma_f64 v[3:4], v[137:138], v[147:148], v[3:4]
	scratch_load_b128 v[135:138], off, off offset:168
	s_waitcnt vmcnt(4)
	v_fma_f64 v[3:4], v[139:140], v[149:150], v[3:4]
	s_waitcnt lgkmcnt(0)
	s_delay_alu instid0(VALU_DEP_1)
	v_fma_f64 v[3:4], v[141:142], v[151:152], v[3:4]
	scratch_load_b128 v[139:142], off, off offset:184
	s_waitcnt vmcnt(4)
	v_fma_f64 v[3:4], v[143:144], v[153:154], v[3:4]
	ds_load_b128 v[147:150], v130 offset:624
	ds_load_b128 v[151:154], v130 offset:640
	s_waitcnt lgkmcnt(1)
	v_fma_f64 v[3:4], v[145:146], v[147:148], v[3:4]
	scratch_load_b128 v[143:146], off, off offset:200
	s_waitcnt vmcnt(4)
	v_fma_f64 v[3:4], v[155:156], v[149:150], v[3:4]
	scratch_load_b128 v[147:150], off, off offset:216
	s_waitcnt lgkmcnt(0)
	v_fma_f64 v[3:4], v[157:158], v[151:152], v[3:4]
	s_waitcnt vmcnt(4)
	s_delay_alu instid0(VALU_DEP_1)
	v_fma_f64 v[3:4], v[131:132], v[153:154], v[3:4]
	ds_load_b128 v[151:154], v130 offset:656
	ds_load_b128 v[155:158], v130 offset:672
	s_waitcnt lgkmcnt(1)
	v_fma_f64 v[3:4], v[133:134], v[151:152], v[3:4]
	scratch_load_b128 v[131:134], off, off offset:232
	s_waitcnt vmcnt(4)
	v_fma_f64 v[3:4], v[135:136], v[153:154], v[3:4]
	s_waitcnt lgkmcnt(0)
	s_delay_alu instid0(VALU_DEP_1)
	v_fma_f64 v[3:4], v[137:138], v[155:156], v[3:4]
	scratch_load_b128 v[135:138], off, off offset:248
	s_waitcnt vmcnt(4)
	v_fma_f64 v[3:4], v[139:140], v[157:158], v[3:4]
	ds_load_b128 v[151:154], v130 offset:688
	ds_load_b128 v[155:158], v130 offset:704
	s_waitcnt lgkmcnt(1)
	v_fma_f64 v[3:4], v[141:142], v[151:152], v[3:4]
	scratch_load_b128 v[139:142], off, off offset:264
	s_waitcnt vmcnt(4)
	v_fma_f64 v[3:4], v[143:144], v[153:154], v[3:4]
	s_waitcnt lgkmcnt(0)
	s_delay_alu instid0(VALU_DEP_1)
	v_fma_f64 v[3:4], v[145:146], v[155:156], v[3:4]
	scratch_load_b128 v[143:146], off, off offset:280
	s_waitcnt vmcnt(4)
	v_fma_f64 v[3:4], v[147:148], v[157:158], v[3:4]
	ds_load_b128 v[151:154], v130 offset:720
	ds_load_b128 v[155:158], v130 offset:736
	s_waitcnt lgkmcnt(1)
	v_fma_f64 v[3:4], v[149:150], v[151:152], v[3:4]
	scratch_load_b128 v[147:150], off, off offset:296
	s_waitcnt vmcnt(4)
	v_fma_f64 v[3:4], v[131:132], v[153:154], v[3:4]
	s_waitcnt lgkmcnt(0)
	s_delay_alu instid0(VALU_DEP_1)
	v_fma_f64 v[3:4], v[133:134], v[155:156], v[3:4]
	scratch_load_b128 v[131:134], off, off offset:312
	s_waitcnt vmcnt(4)
	v_fma_f64 v[3:4], v[135:136], v[157:158], v[3:4]
	ds_load_b128 v[151:154], v130 offset:752
	ds_load_b128 v[155:158], v130 offset:768
	s_waitcnt lgkmcnt(1)
	v_fma_f64 v[3:4], v[137:138], v[151:152], v[3:4]
	scratch_load_b128 v[135:138], off, off offset:328
	s_waitcnt vmcnt(4)
	v_fma_f64 v[3:4], v[139:140], v[153:154], v[3:4]
	s_waitcnt lgkmcnt(0)
	s_delay_alu instid0(VALU_DEP_1)
	v_fma_f64 v[3:4], v[141:142], v[155:156], v[3:4]
	scratch_load_b128 v[139:142], off, off offset:344
	s_waitcnt vmcnt(4)
	v_fma_f64 v[3:4], v[143:144], v[157:158], v[3:4]
	ds_load_b128 v[151:154], v130 offset:784
	ds_load_b128 v[155:158], v130 offset:800
	s_waitcnt lgkmcnt(1)
	v_fma_f64 v[3:4], v[145:146], v[151:152], v[3:4]
	scratch_load_b128 v[143:146], off, off offset:360
	s_waitcnt vmcnt(4)
	v_fma_f64 v[3:4], v[147:148], v[153:154], v[3:4]
	s_waitcnt lgkmcnt(0)
	s_delay_alu instid0(VALU_DEP_1)
	v_fma_f64 v[3:4], v[149:150], v[155:156], v[3:4]
	scratch_load_b128 v[147:150], off, off offset:376
	s_waitcnt vmcnt(4)
	v_fma_f64 v[3:4], v[131:132], v[157:158], v[3:4]
	ds_load_b128 v[151:154], v130 offset:816
	ds_load_b128 v[155:158], v130 offset:832
	s_waitcnt lgkmcnt(1)
	v_fma_f64 v[3:4], v[133:134], v[151:152], v[3:4]
	scratch_load_b128 v[131:134], off, off offset:392
	s_waitcnt vmcnt(4)
	v_fma_f64 v[3:4], v[135:136], v[153:154], v[3:4]
	s_waitcnt lgkmcnt(0)
	s_delay_alu instid0(VALU_DEP_1)
	v_fma_f64 v[3:4], v[137:138], v[155:156], v[3:4]
	scratch_load_b128 v[135:138], off, off offset:408
	s_waitcnt vmcnt(4)
	v_fma_f64 v[3:4], v[139:140], v[157:158], v[3:4]
	ds_load_b128 v[151:154], v130 offset:848
	ds_load_b128 v[155:158], v130 offset:864
	s_waitcnt lgkmcnt(1)
	v_fma_f64 v[3:4], v[141:142], v[151:152], v[3:4]
	scratch_load_b128 v[139:142], off, off offset:424
	s_waitcnt vmcnt(4)
	v_fma_f64 v[3:4], v[143:144], v[153:154], v[3:4]
	s_waitcnt lgkmcnt(0)
	s_delay_alu instid0(VALU_DEP_1)
	v_fma_f64 v[3:4], v[145:146], v[155:156], v[3:4]
	scratch_load_b128 v[143:146], off, off offset:440
	s_waitcnt vmcnt(4)
	v_fma_f64 v[3:4], v[147:148], v[157:158], v[3:4]
	ds_load_b128 v[151:154], v130 offset:880
	ds_load_b128 v[155:158], v130 offset:896
	s_waitcnt lgkmcnt(1)
	v_fma_f64 v[3:4], v[149:150], v[151:152], v[3:4]
	scratch_load_b128 v[147:150], off, off offset:456
	s_waitcnt vmcnt(4)
	v_fma_f64 v[3:4], v[131:132], v[153:154], v[3:4]
	s_waitcnt lgkmcnt(0)
	s_delay_alu instid0(VALU_DEP_1)
	v_fma_f64 v[3:4], v[133:134], v[155:156], v[3:4]
	scratch_load_b128 v[131:134], off, off offset:472
	s_waitcnt vmcnt(4)
	v_fma_f64 v[3:4], v[135:136], v[157:158], v[3:4]
	ds_load_b128 v[151:154], v130 offset:912
	ds_load_b128 v[155:158], v130 offset:928
	s_waitcnt lgkmcnt(1)
	v_fma_f64 v[3:4], v[137:138], v[151:152], v[3:4]
	scratch_load_b64 v[151:152], off, off offset:488
	s_waitcnt vmcnt(4)
	v_fma_f64 v[3:4], v[139:140], v[153:154], v[3:4]
	s_waitcnt lgkmcnt(0)
	s_delay_alu instid0(VALU_DEP_1)
	v_fma_f64 v[3:4], v[141:142], v[155:156], v[3:4]
	ds_load_b128 v[135:138], v130 offset:944
	ds_load_b128 v[139:142], v130 offset:960
	s_waitcnt vmcnt(3)
	v_fma_f64 v[3:4], v[143:144], v[157:158], v[3:4]
	s_waitcnt lgkmcnt(1)
	s_delay_alu instid0(VALU_DEP_1) | instskip(SKIP_1) | instid1(VALU_DEP_1)
	v_fma_f64 v[3:4], v[145:146], v[135:136], v[3:4]
	s_waitcnt vmcnt(2)
	v_fma_f64 v[3:4], v[147:148], v[137:138], v[3:4]
	ds_load_b128 v[135:138], v130 offset:976
	s_waitcnt lgkmcnt(1)
	v_fma_f64 v[3:4], v[149:150], v[139:140], v[3:4]
	s_waitcnt vmcnt(1)
	s_delay_alu instid0(VALU_DEP_1) | instskip(SKIP_1) | instid1(VALU_DEP_1)
	v_fma_f64 v[3:4], v[131:132], v[141:142], v[3:4]
	s_waitcnt lgkmcnt(0)
	v_fma_f64 v[3:4], v[133:134], v[135:136], v[3:4]
	s_waitcnt vmcnt(0)
	s_delay_alu instid0(VALU_DEP_1) | instskip(NEXT) | instid1(VALU_DEP_1)
	v_fma_f64 v[3:4], v[151:152], v[137:138], v[3:4]
	v_add_f64 v[1:2], v[1:2], -v[3:4]
	scratch_store_b64 off, v[1:2], off offset:56
	v_cmpx_lt_u32_e32 6, v0
	s_cbranch_execz .LBB61_369
; %bb.368:
	scratch_load_b64 v[1:2], off, off offset:48
	v_mov_b32_e32 v3, 0
	s_delay_alu instid0(VALU_DEP_1)
	v_mov_b32_e32 v4, v3
	scratch_store_b64 off, v[3:4], off offset:48
	s_waitcnt vmcnt(0)
	ds_store_b64 v5, v[1:2]
.LBB61_369:
	s_or_b32 exec_lo, exec_lo, s0
	s_waitcnt lgkmcnt(0)
	s_waitcnt_vscnt null, 0x0
	s_barrier
	buffer_gl0_inv
	s_clause 0x4
	scratch_load_b128 v[1:4], off, off offset:48
	scratch_load_b128 v[131:134], off, off offset:64
	;; [unrolled: 1-line block ×5, first 2 shown]
	v_mov_b32_e32 v130, 0
	ds_load_2addr_b64 v[147:150], v130 offset0:69 offset1:70
	ds_load_2addr_b64 v[151:154], v130 offset0:71 offset1:72
	scratch_load_b128 v[155:158], off, off offset:128
	s_mov_b32 s0, exec_lo
	s_waitcnt vmcnt(5) lgkmcnt(1)
	v_fma_f64 v[3:4], v[3:4], v[147:148], 0
	s_waitcnt vmcnt(4)
	s_delay_alu instid0(VALU_DEP_1) | instskip(SKIP_1) | instid1(VALU_DEP_1)
	v_fma_f64 v[3:4], v[131:132], v[149:150], v[3:4]
	s_waitcnt lgkmcnt(0)
	v_fma_f64 v[3:4], v[133:134], v[151:152], v[3:4]
	scratch_load_b128 v[131:134], off, off offset:144
	s_waitcnt vmcnt(4)
	v_fma_f64 v[3:4], v[135:136], v[153:154], v[3:4]
	ds_load_2addr_b64 v[147:150], v130 offset0:73 offset1:74
	ds_load_2addr_b64 v[151:154], v130 offset0:75 offset1:76
	s_waitcnt lgkmcnt(1)
	v_fma_f64 v[3:4], v[137:138], v[147:148], v[3:4]
	scratch_load_b128 v[135:138], off, off offset:160
	s_waitcnt vmcnt(4)
	v_fma_f64 v[3:4], v[139:140], v[149:150], v[3:4]
	s_waitcnt lgkmcnt(0)
	s_delay_alu instid0(VALU_DEP_1)
	v_fma_f64 v[3:4], v[141:142], v[151:152], v[3:4]
	scratch_load_b128 v[139:142], off, off offset:176
	s_waitcnt vmcnt(4)
	v_fma_f64 v[3:4], v[143:144], v[153:154], v[3:4]
	ds_load_2addr_b64 v[147:150], v130 offset0:77 offset1:78
	ds_load_2addr_b64 v[151:154], v130 offset0:79 offset1:80
	s_waitcnt lgkmcnt(1)
	v_fma_f64 v[3:4], v[145:146], v[147:148], v[3:4]
	scratch_load_b128 v[143:146], off, off offset:192
	s_waitcnt vmcnt(4)
	v_fma_f64 v[3:4], v[155:156], v[149:150], v[3:4]
	scratch_load_b128 v[147:150], off, off offset:208
	s_waitcnt lgkmcnt(0)
	v_fma_f64 v[3:4], v[157:158], v[151:152], v[3:4]
	s_waitcnt vmcnt(4)
	s_delay_alu instid0(VALU_DEP_1)
	v_fma_f64 v[3:4], v[131:132], v[153:154], v[3:4]
	ds_load_2addr_b64 v[151:154], v130 offset0:81 offset1:82
	ds_load_2addr_b64 v[155:158], v130 offset0:83 offset1:84
	s_waitcnt lgkmcnt(1)
	v_fma_f64 v[3:4], v[133:134], v[151:152], v[3:4]
	scratch_load_b128 v[131:134], off, off offset:224
	s_waitcnt vmcnt(4)
	v_fma_f64 v[3:4], v[135:136], v[153:154], v[3:4]
	s_waitcnt lgkmcnt(0)
	s_delay_alu instid0(VALU_DEP_1)
	v_fma_f64 v[3:4], v[137:138], v[155:156], v[3:4]
	scratch_load_b128 v[135:138], off, off offset:240
	s_waitcnt vmcnt(4)
	v_fma_f64 v[3:4], v[139:140], v[157:158], v[3:4]
	ds_load_2addr_b64 v[151:154], v130 offset0:85 offset1:86
	ds_load_2addr_b64 v[155:158], v130 offset0:87 offset1:88
	s_waitcnt lgkmcnt(1)
	v_fma_f64 v[3:4], v[141:142], v[151:152], v[3:4]
	scratch_load_b128 v[139:142], off, off offset:256
	s_waitcnt vmcnt(4)
	v_fma_f64 v[3:4], v[143:144], v[153:154], v[3:4]
	s_waitcnt lgkmcnt(0)
	s_delay_alu instid0(VALU_DEP_1)
	v_fma_f64 v[3:4], v[145:146], v[155:156], v[3:4]
	scratch_load_b128 v[143:146], off, off offset:272
	s_waitcnt vmcnt(4)
	;; [unrolled: 13-line block ×8, first 2 shown]
	v_fma_f64 v[3:4], v[135:136], v[157:158], v[3:4]
	ds_load_2addr_b64 v[151:154], v130 offset0:113 offset1:114
	ds_load_2addr_b64 v[155:158], v130 offset0:115 offset1:116
	s_waitcnt lgkmcnt(1)
	v_fma_f64 v[3:4], v[137:138], v[151:152], v[3:4]
	scratch_load_b128 v[135:138], off, off offset:480
	s_waitcnt vmcnt(4)
	v_fma_f64 v[3:4], v[139:140], v[153:154], v[3:4]
	s_waitcnt lgkmcnt(0)
	s_delay_alu instid0(VALU_DEP_1)
	v_fma_f64 v[3:4], v[141:142], v[155:156], v[3:4]
	ds_load_2addr_b64 v[139:142], v130 offset0:117 offset1:118
	ds_load_2addr_b64 v[151:154], v130 offset0:119 offset1:120
	s_waitcnt vmcnt(3)
	v_fma_f64 v[3:4], v[143:144], v[157:158], v[3:4]
	s_waitcnt lgkmcnt(1)
	s_delay_alu instid0(VALU_DEP_1) | instskip(SKIP_1) | instid1(VALU_DEP_1)
	v_fma_f64 v[3:4], v[145:146], v[139:140], v[3:4]
	s_waitcnt vmcnt(2)
	v_fma_f64 v[3:4], v[147:148], v[141:142], v[3:4]
	s_waitcnt lgkmcnt(0)
	s_delay_alu instid0(VALU_DEP_1) | instskip(SKIP_1) | instid1(VALU_DEP_1)
	v_fma_f64 v[3:4], v[149:150], v[151:152], v[3:4]
	s_waitcnt vmcnt(1)
	v_fma_f64 v[3:4], v[131:132], v[153:154], v[3:4]
	ds_load_2addr_b64 v[139:142], v130 offset0:121 offset1:122
	ds_load_b64 v[131:132], v130 offset:984
	s_waitcnt lgkmcnt(1)
	v_fma_f64 v[3:4], v[133:134], v[139:140], v[3:4]
	s_waitcnt vmcnt(0)
	s_delay_alu instid0(VALU_DEP_1) | instskip(SKIP_1) | instid1(VALU_DEP_1)
	v_fma_f64 v[3:4], v[135:136], v[141:142], v[3:4]
	s_waitcnt lgkmcnt(0)
	v_fma_f64 v[3:4], v[137:138], v[131:132], v[3:4]
	s_delay_alu instid0(VALU_DEP_1)
	v_add_f64 v[1:2], v[1:2], -v[3:4]
	scratch_store_b64 off, v[1:2], off offset:48
	v_cmpx_lt_u32_e32 5, v0
	s_cbranch_execz .LBB61_371
; %bb.370:
	scratch_load_b64 v[1:2], off, off offset:40
	v_mov_b32_e32 v131, v130
	scratch_store_b64 off, v[130:131], off offset:40
	s_waitcnt vmcnt(0)
	ds_store_b64 v5, v[1:2]
.LBB61_371:
	s_or_b32 exec_lo, exec_lo, s0
	s_waitcnt lgkmcnt(0)
	s_waitcnt_vscnt null, 0x0
	s_barrier
	buffer_gl0_inv
	s_clause 0x4
	scratch_load_b128 v[1:4], off, off offset:40
	scratch_load_b128 v[131:134], off, off offset:56
	;; [unrolled: 1-line block ×5, first 2 shown]
	ds_load_b128 v[147:150], v130 offset:544
	ds_load_b128 v[151:154], v130 offset:560
	scratch_load_b128 v[155:158], off, off offset:120
	s_mov_b32 s0, exec_lo
	s_waitcnt vmcnt(5) lgkmcnt(1)
	v_fma_f64 v[3:4], v[3:4], v[147:148], 0
	s_waitcnt vmcnt(4)
	s_delay_alu instid0(VALU_DEP_1) | instskip(SKIP_1) | instid1(VALU_DEP_1)
	v_fma_f64 v[3:4], v[131:132], v[149:150], v[3:4]
	s_waitcnt lgkmcnt(0)
	v_fma_f64 v[3:4], v[133:134], v[151:152], v[3:4]
	scratch_load_b128 v[131:134], off, off offset:136
	s_waitcnt vmcnt(4)
	v_fma_f64 v[3:4], v[135:136], v[153:154], v[3:4]
	ds_load_b128 v[147:150], v130 offset:576
	ds_load_b128 v[151:154], v130 offset:592
	s_waitcnt lgkmcnt(1)
	v_fma_f64 v[3:4], v[137:138], v[147:148], v[3:4]
	scratch_load_b128 v[135:138], off, off offset:152
	s_waitcnt vmcnt(4)
	v_fma_f64 v[3:4], v[139:140], v[149:150], v[3:4]
	s_waitcnt lgkmcnt(0)
	s_delay_alu instid0(VALU_DEP_1)
	v_fma_f64 v[3:4], v[141:142], v[151:152], v[3:4]
	scratch_load_b128 v[139:142], off, off offset:168
	s_waitcnt vmcnt(4)
	v_fma_f64 v[3:4], v[143:144], v[153:154], v[3:4]
	ds_load_b128 v[147:150], v130 offset:608
	ds_load_b128 v[151:154], v130 offset:624
	s_waitcnt lgkmcnt(1)
	v_fma_f64 v[3:4], v[145:146], v[147:148], v[3:4]
	scratch_load_b128 v[143:146], off, off offset:184
	s_waitcnt vmcnt(4)
	v_fma_f64 v[3:4], v[155:156], v[149:150], v[3:4]
	scratch_load_b128 v[147:150], off, off offset:200
	s_waitcnt lgkmcnt(0)
	v_fma_f64 v[3:4], v[157:158], v[151:152], v[3:4]
	s_waitcnt vmcnt(4)
	s_delay_alu instid0(VALU_DEP_1)
	v_fma_f64 v[3:4], v[131:132], v[153:154], v[3:4]
	ds_load_b128 v[151:154], v130 offset:640
	ds_load_b128 v[155:158], v130 offset:656
	s_waitcnt lgkmcnt(1)
	v_fma_f64 v[3:4], v[133:134], v[151:152], v[3:4]
	scratch_load_b128 v[131:134], off, off offset:216
	s_waitcnt vmcnt(4)
	v_fma_f64 v[3:4], v[135:136], v[153:154], v[3:4]
	s_waitcnt lgkmcnt(0)
	s_delay_alu instid0(VALU_DEP_1)
	v_fma_f64 v[3:4], v[137:138], v[155:156], v[3:4]
	scratch_load_b128 v[135:138], off, off offset:232
	s_waitcnt vmcnt(4)
	v_fma_f64 v[3:4], v[139:140], v[157:158], v[3:4]
	ds_load_b128 v[151:154], v130 offset:672
	ds_load_b128 v[155:158], v130 offset:688
	s_waitcnt lgkmcnt(1)
	v_fma_f64 v[3:4], v[141:142], v[151:152], v[3:4]
	scratch_load_b128 v[139:142], off, off offset:248
	s_waitcnt vmcnt(4)
	v_fma_f64 v[3:4], v[143:144], v[153:154], v[3:4]
	s_waitcnt lgkmcnt(0)
	s_delay_alu instid0(VALU_DEP_1)
	v_fma_f64 v[3:4], v[145:146], v[155:156], v[3:4]
	scratch_load_b128 v[143:146], off, off offset:264
	s_waitcnt vmcnt(4)
	v_fma_f64 v[3:4], v[147:148], v[157:158], v[3:4]
	ds_load_b128 v[151:154], v130 offset:704
	ds_load_b128 v[155:158], v130 offset:720
	s_waitcnt lgkmcnt(1)
	v_fma_f64 v[3:4], v[149:150], v[151:152], v[3:4]
	scratch_load_b128 v[147:150], off, off offset:280
	s_waitcnt vmcnt(4)
	v_fma_f64 v[3:4], v[131:132], v[153:154], v[3:4]
	s_waitcnt lgkmcnt(0)
	s_delay_alu instid0(VALU_DEP_1)
	v_fma_f64 v[3:4], v[133:134], v[155:156], v[3:4]
	scratch_load_b128 v[131:134], off, off offset:296
	s_waitcnt vmcnt(4)
	v_fma_f64 v[3:4], v[135:136], v[157:158], v[3:4]
	ds_load_b128 v[151:154], v130 offset:736
	ds_load_b128 v[155:158], v130 offset:752
	s_waitcnt lgkmcnt(1)
	v_fma_f64 v[3:4], v[137:138], v[151:152], v[3:4]
	scratch_load_b128 v[135:138], off, off offset:312
	s_waitcnt vmcnt(4)
	v_fma_f64 v[3:4], v[139:140], v[153:154], v[3:4]
	s_waitcnt lgkmcnt(0)
	s_delay_alu instid0(VALU_DEP_1)
	v_fma_f64 v[3:4], v[141:142], v[155:156], v[3:4]
	scratch_load_b128 v[139:142], off, off offset:328
	s_waitcnt vmcnt(4)
	v_fma_f64 v[3:4], v[143:144], v[157:158], v[3:4]
	ds_load_b128 v[151:154], v130 offset:768
	ds_load_b128 v[155:158], v130 offset:784
	s_waitcnt lgkmcnt(1)
	v_fma_f64 v[3:4], v[145:146], v[151:152], v[3:4]
	scratch_load_b128 v[143:146], off, off offset:344
	s_waitcnt vmcnt(4)
	v_fma_f64 v[3:4], v[147:148], v[153:154], v[3:4]
	s_waitcnt lgkmcnt(0)
	s_delay_alu instid0(VALU_DEP_1)
	v_fma_f64 v[3:4], v[149:150], v[155:156], v[3:4]
	scratch_load_b128 v[147:150], off, off offset:360
	s_waitcnt vmcnt(4)
	v_fma_f64 v[3:4], v[131:132], v[157:158], v[3:4]
	ds_load_b128 v[151:154], v130 offset:800
	ds_load_b128 v[155:158], v130 offset:816
	s_waitcnt lgkmcnt(1)
	v_fma_f64 v[3:4], v[133:134], v[151:152], v[3:4]
	scratch_load_b128 v[131:134], off, off offset:376
	s_waitcnt vmcnt(4)
	v_fma_f64 v[3:4], v[135:136], v[153:154], v[3:4]
	s_waitcnt lgkmcnt(0)
	s_delay_alu instid0(VALU_DEP_1)
	v_fma_f64 v[3:4], v[137:138], v[155:156], v[3:4]
	scratch_load_b128 v[135:138], off, off offset:392
	s_waitcnt vmcnt(4)
	v_fma_f64 v[3:4], v[139:140], v[157:158], v[3:4]
	ds_load_b128 v[151:154], v130 offset:832
	ds_load_b128 v[155:158], v130 offset:848
	s_waitcnt lgkmcnt(1)
	v_fma_f64 v[3:4], v[141:142], v[151:152], v[3:4]
	scratch_load_b128 v[139:142], off, off offset:408
	s_waitcnt vmcnt(4)
	v_fma_f64 v[3:4], v[143:144], v[153:154], v[3:4]
	s_waitcnt lgkmcnt(0)
	s_delay_alu instid0(VALU_DEP_1)
	v_fma_f64 v[3:4], v[145:146], v[155:156], v[3:4]
	scratch_load_b128 v[143:146], off, off offset:424
	s_waitcnt vmcnt(4)
	v_fma_f64 v[3:4], v[147:148], v[157:158], v[3:4]
	ds_load_b128 v[151:154], v130 offset:864
	ds_load_b128 v[155:158], v130 offset:880
	s_waitcnt lgkmcnt(1)
	v_fma_f64 v[3:4], v[149:150], v[151:152], v[3:4]
	scratch_load_b128 v[147:150], off, off offset:440
	s_waitcnt vmcnt(4)
	v_fma_f64 v[3:4], v[131:132], v[153:154], v[3:4]
	s_waitcnt lgkmcnt(0)
	s_delay_alu instid0(VALU_DEP_1)
	v_fma_f64 v[3:4], v[133:134], v[155:156], v[3:4]
	scratch_load_b128 v[131:134], off, off offset:456
	s_waitcnt vmcnt(4)
	v_fma_f64 v[3:4], v[135:136], v[157:158], v[3:4]
	ds_load_b128 v[151:154], v130 offset:896
	ds_load_b128 v[155:158], v130 offset:912
	s_waitcnt lgkmcnt(1)
	v_fma_f64 v[3:4], v[137:138], v[151:152], v[3:4]
	scratch_load_b128 v[135:138], off, off offset:472
	s_waitcnt vmcnt(4)
	v_fma_f64 v[3:4], v[139:140], v[153:154], v[3:4]
	s_waitcnt lgkmcnt(0)
	s_delay_alu instid0(VALU_DEP_1)
	v_fma_f64 v[3:4], v[141:142], v[155:156], v[3:4]
	scratch_load_b64 v[155:156], off, off offset:488
	ds_load_b128 v[139:142], v130 offset:928
	ds_load_b128 v[151:154], v130 offset:944
	s_waitcnt vmcnt(4)
	v_fma_f64 v[3:4], v[143:144], v[157:158], v[3:4]
	s_waitcnt lgkmcnt(1)
	s_delay_alu instid0(VALU_DEP_1) | instskip(SKIP_1) | instid1(VALU_DEP_1)
	v_fma_f64 v[3:4], v[145:146], v[139:140], v[3:4]
	s_waitcnt vmcnt(3)
	v_fma_f64 v[3:4], v[147:148], v[141:142], v[3:4]
	ds_load_b128 v[139:142], v130 offset:960
	ds_load_b128 v[143:146], v130 offset:976
	s_waitcnt lgkmcnt(2)
	v_fma_f64 v[3:4], v[149:150], v[151:152], v[3:4]
	s_waitcnt vmcnt(2)
	s_delay_alu instid0(VALU_DEP_1) | instskip(SKIP_1) | instid1(VALU_DEP_1)
	v_fma_f64 v[3:4], v[131:132], v[153:154], v[3:4]
	s_waitcnt lgkmcnt(1)
	v_fma_f64 v[3:4], v[133:134], v[139:140], v[3:4]
	s_waitcnt vmcnt(1)
	s_delay_alu instid0(VALU_DEP_1) | instskip(SKIP_1) | instid1(VALU_DEP_1)
	v_fma_f64 v[3:4], v[135:136], v[141:142], v[3:4]
	s_waitcnt lgkmcnt(0)
	v_fma_f64 v[3:4], v[137:138], v[143:144], v[3:4]
	s_waitcnt vmcnt(0)
	s_delay_alu instid0(VALU_DEP_1) | instskip(NEXT) | instid1(VALU_DEP_1)
	v_fma_f64 v[3:4], v[155:156], v[145:146], v[3:4]
	v_add_f64 v[1:2], v[1:2], -v[3:4]
	scratch_store_b64 off, v[1:2], off offset:40
	v_cmpx_lt_u32_e32 4, v0
	s_cbranch_execz .LBB61_373
; %bb.372:
	scratch_load_b64 v[1:2], off, off offset:32
	v_mov_b32_e32 v3, 0
	s_delay_alu instid0(VALU_DEP_1)
	v_mov_b32_e32 v4, v3
	scratch_store_b64 off, v[3:4], off offset:32
	s_waitcnt vmcnt(0)
	ds_store_b64 v5, v[1:2]
.LBB61_373:
	s_or_b32 exec_lo, exec_lo, s0
	s_waitcnt lgkmcnt(0)
	s_waitcnt_vscnt null, 0x0
	s_barrier
	buffer_gl0_inv
	s_clause 0x4
	scratch_load_b128 v[1:4], off, off offset:32
	scratch_load_b128 v[131:134], off, off offset:48
	;; [unrolled: 1-line block ×5, first 2 shown]
	v_mov_b32_e32 v130, 0
	ds_load_2addr_b64 v[147:150], v130 offset0:67 offset1:68
	ds_load_2addr_b64 v[151:154], v130 offset0:69 offset1:70
	scratch_load_b128 v[155:158], off, off offset:112
	s_mov_b32 s0, exec_lo
	s_waitcnt vmcnt(5) lgkmcnt(1)
	v_fma_f64 v[3:4], v[3:4], v[147:148], 0
	s_waitcnt vmcnt(4)
	s_delay_alu instid0(VALU_DEP_1) | instskip(SKIP_1) | instid1(VALU_DEP_1)
	v_fma_f64 v[3:4], v[131:132], v[149:150], v[3:4]
	s_waitcnt lgkmcnt(0)
	v_fma_f64 v[3:4], v[133:134], v[151:152], v[3:4]
	scratch_load_b128 v[131:134], off, off offset:128
	s_waitcnt vmcnt(4)
	v_fma_f64 v[3:4], v[135:136], v[153:154], v[3:4]
	ds_load_2addr_b64 v[147:150], v130 offset0:71 offset1:72
	ds_load_2addr_b64 v[151:154], v130 offset0:73 offset1:74
	s_waitcnt lgkmcnt(1)
	v_fma_f64 v[3:4], v[137:138], v[147:148], v[3:4]
	scratch_load_b128 v[135:138], off, off offset:144
	s_waitcnt vmcnt(4)
	v_fma_f64 v[3:4], v[139:140], v[149:150], v[3:4]
	s_waitcnt lgkmcnt(0)
	s_delay_alu instid0(VALU_DEP_1)
	v_fma_f64 v[3:4], v[141:142], v[151:152], v[3:4]
	scratch_load_b128 v[139:142], off, off offset:160
	s_waitcnt vmcnt(4)
	v_fma_f64 v[3:4], v[143:144], v[153:154], v[3:4]
	ds_load_2addr_b64 v[147:150], v130 offset0:75 offset1:76
	ds_load_2addr_b64 v[151:154], v130 offset0:77 offset1:78
	s_waitcnt lgkmcnt(1)
	v_fma_f64 v[3:4], v[145:146], v[147:148], v[3:4]
	scratch_load_b128 v[143:146], off, off offset:176
	s_waitcnt vmcnt(4)
	v_fma_f64 v[3:4], v[155:156], v[149:150], v[3:4]
	scratch_load_b128 v[147:150], off, off offset:192
	s_waitcnt lgkmcnt(0)
	v_fma_f64 v[3:4], v[157:158], v[151:152], v[3:4]
	s_waitcnt vmcnt(4)
	s_delay_alu instid0(VALU_DEP_1)
	v_fma_f64 v[3:4], v[131:132], v[153:154], v[3:4]
	ds_load_2addr_b64 v[151:154], v130 offset0:79 offset1:80
	ds_load_2addr_b64 v[155:158], v130 offset0:81 offset1:82
	s_waitcnt lgkmcnt(1)
	v_fma_f64 v[3:4], v[133:134], v[151:152], v[3:4]
	scratch_load_b128 v[131:134], off, off offset:208
	s_waitcnt vmcnt(4)
	v_fma_f64 v[3:4], v[135:136], v[153:154], v[3:4]
	s_waitcnt lgkmcnt(0)
	s_delay_alu instid0(VALU_DEP_1)
	v_fma_f64 v[3:4], v[137:138], v[155:156], v[3:4]
	scratch_load_b128 v[135:138], off, off offset:224
	s_waitcnt vmcnt(4)
	v_fma_f64 v[3:4], v[139:140], v[157:158], v[3:4]
	ds_load_2addr_b64 v[151:154], v130 offset0:83 offset1:84
	ds_load_2addr_b64 v[155:158], v130 offset0:85 offset1:86
	s_waitcnt lgkmcnt(1)
	v_fma_f64 v[3:4], v[141:142], v[151:152], v[3:4]
	scratch_load_b128 v[139:142], off, off offset:240
	s_waitcnt vmcnt(4)
	v_fma_f64 v[3:4], v[143:144], v[153:154], v[3:4]
	s_waitcnt lgkmcnt(0)
	s_delay_alu instid0(VALU_DEP_1)
	v_fma_f64 v[3:4], v[145:146], v[155:156], v[3:4]
	scratch_load_b128 v[143:146], off, off offset:256
	s_waitcnt vmcnt(4)
	v_fma_f64 v[3:4], v[147:148], v[157:158], v[3:4]
	ds_load_2addr_b64 v[151:154], v130 offset0:87 offset1:88
	ds_load_2addr_b64 v[155:158], v130 offset0:89 offset1:90
	s_waitcnt lgkmcnt(1)
	v_fma_f64 v[3:4], v[149:150], v[151:152], v[3:4]
	scratch_load_b128 v[147:150], off, off offset:272
	s_waitcnt vmcnt(4)
	v_fma_f64 v[3:4], v[131:132], v[153:154], v[3:4]
	s_waitcnt lgkmcnt(0)
	s_delay_alu instid0(VALU_DEP_1)
	v_fma_f64 v[3:4], v[133:134], v[155:156], v[3:4]
	scratch_load_b128 v[131:134], off, off offset:288
	s_waitcnt vmcnt(4)
	v_fma_f64 v[3:4], v[135:136], v[157:158], v[3:4]
	ds_load_2addr_b64 v[151:154], v130 offset0:91 offset1:92
	ds_load_2addr_b64 v[155:158], v130 offset0:93 offset1:94
	s_waitcnt lgkmcnt(1)
	v_fma_f64 v[3:4], v[137:138], v[151:152], v[3:4]
	scratch_load_b128 v[135:138], off, off offset:304
	s_waitcnt vmcnt(4)
	v_fma_f64 v[3:4], v[139:140], v[153:154], v[3:4]
	s_waitcnt lgkmcnt(0)
	s_delay_alu instid0(VALU_DEP_1)
	v_fma_f64 v[3:4], v[141:142], v[155:156], v[3:4]
	scratch_load_b128 v[139:142], off, off offset:320
	s_waitcnt vmcnt(4)
	v_fma_f64 v[3:4], v[143:144], v[157:158], v[3:4]
	ds_load_2addr_b64 v[151:154], v130 offset0:95 offset1:96
	ds_load_2addr_b64 v[155:158], v130 offset0:97 offset1:98
	s_waitcnt lgkmcnt(1)
	v_fma_f64 v[3:4], v[145:146], v[151:152], v[3:4]
	scratch_load_b128 v[143:146], off, off offset:336
	s_waitcnt vmcnt(4)
	v_fma_f64 v[3:4], v[147:148], v[153:154], v[3:4]
	s_waitcnt lgkmcnt(0)
	s_delay_alu instid0(VALU_DEP_1)
	v_fma_f64 v[3:4], v[149:150], v[155:156], v[3:4]
	scratch_load_b128 v[147:150], off, off offset:352
	s_waitcnt vmcnt(4)
	v_fma_f64 v[3:4], v[131:132], v[157:158], v[3:4]
	ds_load_2addr_b64 v[151:154], v130 offset0:99 offset1:100
	ds_load_2addr_b64 v[155:158], v130 offset0:101 offset1:102
	s_waitcnt lgkmcnt(1)
	v_fma_f64 v[3:4], v[133:134], v[151:152], v[3:4]
	scratch_load_b128 v[131:134], off, off offset:368
	s_waitcnt vmcnt(4)
	v_fma_f64 v[3:4], v[135:136], v[153:154], v[3:4]
	s_waitcnt lgkmcnt(0)
	s_delay_alu instid0(VALU_DEP_1)
	v_fma_f64 v[3:4], v[137:138], v[155:156], v[3:4]
	scratch_load_b128 v[135:138], off, off offset:384
	s_waitcnt vmcnt(4)
	v_fma_f64 v[3:4], v[139:140], v[157:158], v[3:4]
	ds_load_2addr_b64 v[151:154], v130 offset0:103 offset1:104
	ds_load_2addr_b64 v[155:158], v130 offset0:105 offset1:106
	s_waitcnt lgkmcnt(1)
	v_fma_f64 v[3:4], v[141:142], v[151:152], v[3:4]
	scratch_load_b128 v[139:142], off, off offset:400
	s_waitcnt vmcnt(4)
	v_fma_f64 v[3:4], v[143:144], v[153:154], v[3:4]
	s_waitcnt lgkmcnt(0)
	s_delay_alu instid0(VALU_DEP_1)
	v_fma_f64 v[3:4], v[145:146], v[155:156], v[3:4]
	scratch_load_b128 v[143:146], off, off offset:416
	s_waitcnt vmcnt(4)
	v_fma_f64 v[3:4], v[147:148], v[157:158], v[3:4]
	ds_load_2addr_b64 v[151:154], v130 offset0:107 offset1:108
	ds_load_2addr_b64 v[155:158], v130 offset0:109 offset1:110
	s_waitcnt lgkmcnt(1)
	v_fma_f64 v[3:4], v[149:150], v[151:152], v[3:4]
	scratch_load_b128 v[147:150], off, off offset:432
	s_waitcnt vmcnt(4)
	v_fma_f64 v[3:4], v[131:132], v[153:154], v[3:4]
	s_waitcnt lgkmcnt(0)
	s_delay_alu instid0(VALU_DEP_1)
	v_fma_f64 v[3:4], v[133:134], v[155:156], v[3:4]
	scratch_load_b128 v[131:134], off, off offset:448
	s_waitcnt vmcnt(4)
	v_fma_f64 v[3:4], v[135:136], v[157:158], v[3:4]
	ds_load_2addr_b64 v[151:154], v130 offset0:111 offset1:112
	ds_load_2addr_b64 v[155:158], v130 offset0:113 offset1:114
	s_waitcnt lgkmcnt(1)
	v_fma_f64 v[3:4], v[137:138], v[151:152], v[3:4]
	scratch_load_b128 v[135:138], off, off offset:464
	s_waitcnt vmcnt(4)
	v_fma_f64 v[3:4], v[139:140], v[153:154], v[3:4]
	s_waitcnt lgkmcnt(0)
	s_delay_alu instid0(VALU_DEP_1)
	v_fma_f64 v[3:4], v[141:142], v[155:156], v[3:4]
	scratch_load_b128 v[139:142], off, off offset:480
	s_waitcnt vmcnt(4)
	v_fma_f64 v[3:4], v[143:144], v[157:158], v[3:4]
	ds_load_2addr_b64 v[151:154], v130 offset0:115 offset1:116
	ds_load_2addr_b64 v[155:158], v130 offset0:117 offset1:118
	s_waitcnt lgkmcnt(1)
	v_fma_f64 v[3:4], v[145:146], v[151:152], v[3:4]
	s_waitcnt vmcnt(3)
	s_delay_alu instid0(VALU_DEP_1) | instskip(SKIP_1) | instid1(VALU_DEP_1)
	v_fma_f64 v[3:4], v[147:148], v[153:154], v[3:4]
	s_waitcnt lgkmcnt(0)
	v_fma_f64 v[3:4], v[149:150], v[155:156], v[3:4]
	ds_load_2addr_b64 v[143:146], v130 offset0:119 offset1:120
	ds_load_2addr_b64 v[147:150], v130 offset0:121 offset1:122
	s_waitcnt vmcnt(2)
	v_fma_f64 v[3:4], v[131:132], v[157:158], v[3:4]
	ds_load_b64 v[131:132], v130 offset:984
	s_waitcnt lgkmcnt(2)
	v_fma_f64 v[3:4], v[133:134], v[143:144], v[3:4]
	s_waitcnt vmcnt(1)
	s_delay_alu instid0(VALU_DEP_1) | instskip(SKIP_1) | instid1(VALU_DEP_1)
	v_fma_f64 v[3:4], v[135:136], v[145:146], v[3:4]
	s_waitcnt lgkmcnt(1)
	v_fma_f64 v[3:4], v[137:138], v[147:148], v[3:4]
	s_waitcnt vmcnt(0)
	s_delay_alu instid0(VALU_DEP_1) | instskip(SKIP_1) | instid1(VALU_DEP_1)
	v_fma_f64 v[3:4], v[139:140], v[149:150], v[3:4]
	s_waitcnt lgkmcnt(0)
	v_fma_f64 v[3:4], v[141:142], v[131:132], v[3:4]
	s_delay_alu instid0(VALU_DEP_1)
	v_add_f64 v[1:2], v[1:2], -v[3:4]
	scratch_store_b64 off, v[1:2], off offset:32
	v_cmpx_lt_u32_e32 3, v0
	s_cbranch_execz .LBB61_375
; %bb.374:
	scratch_load_b64 v[1:2], off, off offset:24
	v_mov_b32_e32 v131, v130
	scratch_store_b64 off, v[130:131], off offset:24
	s_waitcnt vmcnt(0)
	ds_store_b64 v5, v[1:2]
.LBB61_375:
	s_or_b32 exec_lo, exec_lo, s0
	s_waitcnt lgkmcnt(0)
	s_waitcnt_vscnt null, 0x0
	s_barrier
	buffer_gl0_inv
	s_clause 0x4
	scratch_load_b128 v[1:4], off, off offset:24
	scratch_load_b128 v[131:134], off, off offset:40
	;; [unrolled: 1-line block ×5, first 2 shown]
	ds_load_b128 v[147:150], v130 offset:528
	ds_load_b128 v[151:154], v130 offset:544
	scratch_load_b128 v[155:158], off, off offset:104
	s_mov_b32 s0, exec_lo
	s_waitcnt vmcnt(5) lgkmcnt(1)
	v_fma_f64 v[3:4], v[3:4], v[147:148], 0
	s_waitcnt vmcnt(4)
	s_delay_alu instid0(VALU_DEP_1) | instskip(SKIP_1) | instid1(VALU_DEP_1)
	v_fma_f64 v[3:4], v[131:132], v[149:150], v[3:4]
	s_waitcnt lgkmcnt(0)
	v_fma_f64 v[3:4], v[133:134], v[151:152], v[3:4]
	scratch_load_b128 v[131:134], off, off offset:120
	s_waitcnt vmcnt(4)
	v_fma_f64 v[3:4], v[135:136], v[153:154], v[3:4]
	ds_load_b128 v[147:150], v130 offset:560
	ds_load_b128 v[151:154], v130 offset:576
	s_waitcnt lgkmcnt(1)
	v_fma_f64 v[3:4], v[137:138], v[147:148], v[3:4]
	scratch_load_b128 v[135:138], off, off offset:136
	s_waitcnt vmcnt(4)
	v_fma_f64 v[3:4], v[139:140], v[149:150], v[3:4]
	s_waitcnt lgkmcnt(0)
	s_delay_alu instid0(VALU_DEP_1)
	v_fma_f64 v[3:4], v[141:142], v[151:152], v[3:4]
	scratch_load_b128 v[139:142], off, off offset:152
	s_waitcnt vmcnt(4)
	v_fma_f64 v[3:4], v[143:144], v[153:154], v[3:4]
	ds_load_b128 v[147:150], v130 offset:592
	ds_load_b128 v[151:154], v130 offset:608
	s_waitcnt lgkmcnt(1)
	v_fma_f64 v[3:4], v[145:146], v[147:148], v[3:4]
	scratch_load_b128 v[143:146], off, off offset:168
	s_waitcnt vmcnt(4)
	v_fma_f64 v[3:4], v[155:156], v[149:150], v[3:4]
	scratch_load_b128 v[147:150], off, off offset:184
	s_waitcnt lgkmcnt(0)
	v_fma_f64 v[3:4], v[157:158], v[151:152], v[3:4]
	s_waitcnt vmcnt(4)
	s_delay_alu instid0(VALU_DEP_1)
	v_fma_f64 v[3:4], v[131:132], v[153:154], v[3:4]
	ds_load_b128 v[151:154], v130 offset:624
	ds_load_b128 v[155:158], v130 offset:640
	s_waitcnt lgkmcnt(1)
	v_fma_f64 v[3:4], v[133:134], v[151:152], v[3:4]
	scratch_load_b128 v[131:134], off, off offset:200
	s_waitcnt vmcnt(4)
	v_fma_f64 v[3:4], v[135:136], v[153:154], v[3:4]
	s_waitcnt lgkmcnt(0)
	s_delay_alu instid0(VALU_DEP_1)
	v_fma_f64 v[3:4], v[137:138], v[155:156], v[3:4]
	scratch_load_b128 v[135:138], off, off offset:216
	s_waitcnt vmcnt(4)
	v_fma_f64 v[3:4], v[139:140], v[157:158], v[3:4]
	ds_load_b128 v[151:154], v130 offset:656
	ds_load_b128 v[155:158], v130 offset:672
	s_waitcnt lgkmcnt(1)
	v_fma_f64 v[3:4], v[141:142], v[151:152], v[3:4]
	scratch_load_b128 v[139:142], off, off offset:232
	s_waitcnt vmcnt(4)
	v_fma_f64 v[3:4], v[143:144], v[153:154], v[3:4]
	s_waitcnt lgkmcnt(0)
	s_delay_alu instid0(VALU_DEP_1)
	v_fma_f64 v[3:4], v[145:146], v[155:156], v[3:4]
	scratch_load_b128 v[143:146], off, off offset:248
	s_waitcnt vmcnt(4)
	;; [unrolled: 13-line block ×9, first 2 shown]
	v_fma_f64 v[3:4], v[143:144], v[157:158], v[3:4]
	ds_load_b128 v[151:154], v130 offset:912
	ds_load_b128 v[155:158], v130 offset:928
	s_waitcnt lgkmcnt(1)
	v_fma_f64 v[3:4], v[145:146], v[151:152], v[3:4]
	scratch_load_b64 v[151:152], off, off offset:488
	s_waitcnt vmcnt(4)
	v_fma_f64 v[3:4], v[147:148], v[153:154], v[3:4]
	s_waitcnt lgkmcnt(0)
	s_delay_alu instid0(VALU_DEP_1)
	v_fma_f64 v[3:4], v[149:150], v[155:156], v[3:4]
	ds_load_b128 v[143:146], v130 offset:944
	ds_load_b128 v[147:150], v130 offset:960
	s_waitcnt vmcnt(3)
	v_fma_f64 v[3:4], v[131:132], v[157:158], v[3:4]
	s_waitcnt lgkmcnt(1)
	s_delay_alu instid0(VALU_DEP_1) | instskip(SKIP_4) | instid1(VALU_DEP_1)
	v_fma_f64 v[3:4], v[133:134], v[143:144], v[3:4]
	ds_load_b128 v[130:133], v130 offset:976
	s_waitcnt vmcnt(2)
	v_fma_f64 v[3:4], v[135:136], v[145:146], v[3:4]
	s_waitcnt lgkmcnt(1)
	v_fma_f64 v[3:4], v[137:138], v[147:148], v[3:4]
	s_waitcnt vmcnt(1)
	s_delay_alu instid0(VALU_DEP_1) | instskip(SKIP_1) | instid1(VALU_DEP_1)
	v_fma_f64 v[3:4], v[139:140], v[149:150], v[3:4]
	s_waitcnt lgkmcnt(0)
	v_fma_f64 v[3:4], v[141:142], v[130:131], v[3:4]
	s_waitcnt vmcnt(0)
	s_delay_alu instid0(VALU_DEP_1) | instskip(NEXT) | instid1(VALU_DEP_1)
	v_fma_f64 v[3:4], v[151:152], v[132:133], v[3:4]
	v_add_f64 v[1:2], v[1:2], -v[3:4]
	scratch_store_b64 off, v[1:2], off offset:24
	v_cmpx_lt_u32_e32 2, v0
	s_cbranch_execz .LBB61_377
; %bb.376:
	scratch_load_b64 v[1:2], off, off offset:16
	v_mov_b32_e32 v3, 0
	s_delay_alu instid0(VALU_DEP_1)
	v_mov_b32_e32 v4, v3
	scratch_store_b64 off, v[3:4], off offset:16
	s_waitcnt vmcnt(0)
	ds_store_b64 v5, v[1:2]
.LBB61_377:
	s_or_b32 exec_lo, exec_lo, s0
	s_waitcnt lgkmcnt(0)
	s_waitcnt_vscnt null, 0x0
	s_barrier
	buffer_gl0_inv
	s_clause 0x4
	scratch_load_b128 v[1:4], off, off offset:16
	scratch_load_b128 v[131:134], off, off offset:32
	;; [unrolled: 1-line block ×5, first 2 shown]
	v_mov_b32_e32 v130, 0
	ds_load_2addr_b64 v[147:150], v130 offset0:65 offset1:66
	ds_load_2addr_b64 v[151:154], v130 offset0:67 offset1:68
	scratch_load_b128 v[155:158], off, off offset:96
	s_mov_b32 s0, exec_lo
	s_waitcnt vmcnt(5) lgkmcnt(1)
	v_fma_f64 v[3:4], v[3:4], v[147:148], 0
	s_waitcnt vmcnt(4)
	s_delay_alu instid0(VALU_DEP_1) | instskip(SKIP_1) | instid1(VALU_DEP_1)
	v_fma_f64 v[3:4], v[131:132], v[149:150], v[3:4]
	s_waitcnt lgkmcnt(0)
	v_fma_f64 v[3:4], v[133:134], v[151:152], v[3:4]
	scratch_load_b128 v[131:134], off, off offset:112
	s_waitcnt vmcnt(4)
	v_fma_f64 v[3:4], v[135:136], v[153:154], v[3:4]
	ds_load_2addr_b64 v[147:150], v130 offset0:69 offset1:70
	ds_load_2addr_b64 v[151:154], v130 offset0:71 offset1:72
	s_waitcnt lgkmcnt(1)
	v_fma_f64 v[3:4], v[137:138], v[147:148], v[3:4]
	scratch_load_b128 v[135:138], off, off offset:128
	s_waitcnt vmcnt(4)
	v_fma_f64 v[3:4], v[139:140], v[149:150], v[3:4]
	s_waitcnt lgkmcnt(0)
	s_delay_alu instid0(VALU_DEP_1)
	v_fma_f64 v[3:4], v[141:142], v[151:152], v[3:4]
	scratch_load_b128 v[139:142], off, off offset:144
	s_waitcnt vmcnt(4)
	v_fma_f64 v[3:4], v[143:144], v[153:154], v[3:4]
	ds_load_2addr_b64 v[147:150], v130 offset0:73 offset1:74
	ds_load_2addr_b64 v[151:154], v130 offset0:75 offset1:76
	s_waitcnt lgkmcnt(1)
	v_fma_f64 v[3:4], v[145:146], v[147:148], v[3:4]
	scratch_load_b128 v[143:146], off, off offset:160
	s_waitcnt vmcnt(4)
	v_fma_f64 v[3:4], v[155:156], v[149:150], v[3:4]
	scratch_load_b128 v[147:150], off, off offset:176
	s_waitcnt lgkmcnt(0)
	v_fma_f64 v[3:4], v[157:158], v[151:152], v[3:4]
	s_waitcnt vmcnt(4)
	s_delay_alu instid0(VALU_DEP_1)
	v_fma_f64 v[3:4], v[131:132], v[153:154], v[3:4]
	ds_load_2addr_b64 v[151:154], v130 offset0:77 offset1:78
	ds_load_2addr_b64 v[155:158], v130 offset0:79 offset1:80
	s_waitcnt lgkmcnt(1)
	v_fma_f64 v[3:4], v[133:134], v[151:152], v[3:4]
	scratch_load_b128 v[131:134], off, off offset:192
	s_waitcnt vmcnt(4)
	v_fma_f64 v[3:4], v[135:136], v[153:154], v[3:4]
	s_waitcnt lgkmcnt(0)
	s_delay_alu instid0(VALU_DEP_1)
	v_fma_f64 v[3:4], v[137:138], v[155:156], v[3:4]
	scratch_load_b128 v[135:138], off, off offset:208
	s_waitcnt vmcnt(4)
	v_fma_f64 v[3:4], v[139:140], v[157:158], v[3:4]
	ds_load_2addr_b64 v[151:154], v130 offset0:81 offset1:82
	ds_load_2addr_b64 v[155:158], v130 offset0:83 offset1:84
	s_waitcnt lgkmcnt(1)
	v_fma_f64 v[3:4], v[141:142], v[151:152], v[3:4]
	scratch_load_b128 v[139:142], off, off offset:224
	s_waitcnt vmcnt(4)
	v_fma_f64 v[3:4], v[143:144], v[153:154], v[3:4]
	s_waitcnt lgkmcnt(0)
	s_delay_alu instid0(VALU_DEP_1)
	v_fma_f64 v[3:4], v[145:146], v[155:156], v[3:4]
	scratch_load_b128 v[143:146], off, off offset:240
	s_waitcnt vmcnt(4)
	;; [unrolled: 13-line block ×9, first 2 shown]
	v_fma_f64 v[3:4], v[143:144], v[157:158], v[3:4]
	ds_load_2addr_b64 v[151:154], v130 offset0:113 offset1:114
	ds_load_2addr_b64 v[155:158], v130 offset0:115 offset1:116
	s_waitcnt lgkmcnt(1)
	v_fma_f64 v[3:4], v[145:146], v[151:152], v[3:4]
	scratch_load_b128 v[143:146], off, off offset:480
	s_waitcnt vmcnt(4)
	v_fma_f64 v[3:4], v[147:148], v[153:154], v[3:4]
	s_waitcnt lgkmcnt(0)
	s_delay_alu instid0(VALU_DEP_1)
	v_fma_f64 v[3:4], v[149:150], v[155:156], v[3:4]
	ds_load_2addr_b64 v[147:150], v130 offset0:117 offset1:118
	ds_load_2addr_b64 v[151:154], v130 offset0:119 offset1:120
	s_waitcnt vmcnt(3)
	v_fma_f64 v[3:4], v[131:132], v[157:158], v[3:4]
	s_waitcnt lgkmcnt(1)
	s_delay_alu instid0(VALU_DEP_1) | instskip(SKIP_1) | instid1(VALU_DEP_1)
	v_fma_f64 v[3:4], v[133:134], v[147:148], v[3:4]
	s_waitcnt vmcnt(2)
	v_fma_f64 v[3:4], v[135:136], v[149:150], v[3:4]
	ds_load_2addr_b64 v[131:134], v130 offset0:121 offset1:122
	ds_load_b64 v[135:136], v130 offset:984
	s_waitcnt lgkmcnt(2)
	v_fma_f64 v[3:4], v[137:138], v[151:152], v[3:4]
	s_waitcnt vmcnt(1)
	s_delay_alu instid0(VALU_DEP_1) | instskip(SKIP_1) | instid1(VALU_DEP_1)
	v_fma_f64 v[3:4], v[139:140], v[153:154], v[3:4]
	s_waitcnt lgkmcnt(1)
	v_fma_f64 v[3:4], v[141:142], v[131:132], v[3:4]
	s_waitcnt vmcnt(0)
	s_delay_alu instid0(VALU_DEP_1) | instskip(SKIP_1) | instid1(VALU_DEP_1)
	v_fma_f64 v[3:4], v[143:144], v[133:134], v[3:4]
	s_waitcnt lgkmcnt(0)
	v_fma_f64 v[3:4], v[145:146], v[135:136], v[3:4]
	s_delay_alu instid0(VALU_DEP_1)
	v_add_f64 v[1:2], v[1:2], -v[3:4]
	scratch_store_b64 off, v[1:2], off offset:16
	v_cmpx_lt_u32_e32 1, v0
	s_cbranch_execz .LBB61_379
; %bb.378:
	scratch_load_b64 v[1:2], off, off offset:8
	v_mov_b32_e32 v131, v130
	scratch_store_b64 off, v[130:131], off offset:8
	s_waitcnt vmcnt(0)
	ds_store_b64 v5, v[1:2]
.LBB61_379:
	s_or_b32 exec_lo, exec_lo, s0
	s_waitcnt lgkmcnt(0)
	s_waitcnt_vscnt null, 0x0
	s_barrier
	buffer_gl0_inv
	s_clause 0x4
	scratch_load_b128 v[1:4], off, off offset:8
	scratch_load_b128 v[131:134], off, off offset:24
	;; [unrolled: 1-line block ×5, first 2 shown]
	ds_load_b128 v[147:150], v130 offset:512
	ds_load_b128 v[151:154], v130 offset:528
	scratch_load_b128 v[155:158], off, off offset:88
	s_mov_b32 s0, exec_lo
	s_waitcnt vmcnt(5) lgkmcnt(1)
	v_fma_f64 v[3:4], v[3:4], v[147:148], 0
	s_waitcnt vmcnt(4)
	s_delay_alu instid0(VALU_DEP_1) | instskip(SKIP_1) | instid1(VALU_DEP_1)
	v_fma_f64 v[3:4], v[131:132], v[149:150], v[3:4]
	s_waitcnt lgkmcnt(0)
	v_fma_f64 v[3:4], v[133:134], v[151:152], v[3:4]
	scratch_load_b128 v[131:134], off, off offset:104
	s_waitcnt vmcnt(4)
	v_fma_f64 v[3:4], v[135:136], v[153:154], v[3:4]
	ds_load_b128 v[147:150], v130 offset:544
	ds_load_b128 v[151:154], v130 offset:560
	s_waitcnt lgkmcnt(1)
	v_fma_f64 v[3:4], v[137:138], v[147:148], v[3:4]
	scratch_load_b128 v[135:138], off, off offset:120
	s_waitcnt vmcnt(4)
	v_fma_f64 v[3:4], v[139:140], v[149:150], v[3:4]
	s_waitcnt lgkmcnt(0)
	s_delay_alu instid0(VALU_DEP_1)
	v_fma_f64 v[3:4], v[141:142], v[151:152], v[3:4]
	scratch_load_b128 v[139:142], off, off offset:136
	s_waitcnt vmcnt(4)
	v_fma_f64 v[3:4], v[143:144], v[153:154], v[3:4]
	ds_load_b128 v[147:150], v130 offset:576
	ds_load_b128 v[151:154], v130 offset:592
	s_waitcnt lgkmcnt(1)
	v_fma_f64 v[3:4], v[145:146], v[147:148], v[3:4]
	scratch_load_b128 v[143:146], off, off offset:152
	s_waitcnt vmcnt(4)
	v_fma_f64 v[3:4], v[155:156], v[149:150], v[3:4]
	scratch_load_b128 v[147:150], off, off offset:168
	s_waitcnt lgkmcnt(0)
	v_fma_f64 v[3:4], v[157:158], v[151:152], v[3:4]
	s_waitcnt vmcnt(4)
	s_delay_alu instid0(VALU_DEP_1)
	v_fma_f64 v[3:4], v[131:132], v[153:154], v[3:4]
	ds_load_b128 v[151:154], v130 offset:608
	ds_load_b128 v[155:158], v130 offset:624
	s_waitcnt lgkmcnt(1)
	v_fma_f64 v[3:4], v[133:134], v[151:152], v[3:4]
	scratch_load_b128 v[131:134], off, off offset:184
	s_waitcnt vmcnt(4)
	v_fma_f64 v[3:4], v[135:136], v[153:154], v[3:4]
	s_waitcnt lgkmcnt(0)
	s_delay_alu instid0(VALU_DEP_1)
	v_fma_f64 v[3:4], v[137:138], v[155:156], v[3:4]
	scratch_load_b128 v[135:138], off, off offset:200
	s_waitcnt vmcnt(4)
	v_fma_f64 v[3:4], v[139:140], v[157:158], v[3:4]
	ds_load_b128 v[151:154], v130 offset:640
	ds_load_b128 v[155:158], v130 offset:656
	s_waitcnt lgkmcnt(1)
	v_fma_f64 v[3:4], v[141:142], v[151:152], v[3:4]
	scratch_load_b128 v[139:142], off, off offset:216
	s_waitcnt vmcnt(4)
	v_fma_f64 v[3:4], v[143:144], v[153:154], v[3:4]
	s_waitcnt lgkmcnt(0)
	s_delay_alu instid0(VALU_DEP_1)
	v_fma_f64 v[3:4], v[145:146], v[155:156], v[3:4]
	scratch_load_b128 v[143:146], off, off offset:232
	s_waitcnt vmcnt(4)
	;; [unrolled: 13-line block ×9, first 2 shown]
	v_fma_f64 v[3:4], v[143:144], v[157:158], v[3:4]
	ds_load_b128 v[151:154], v130 offset:896
	ds_load_b128 v[155:158], v130 offset:912
	s_waitcnt lgkmcnt(1)
	v_fma_f64 v[3:4], v[145:146], v[151:152], v[3:4]
	scratch_load_b128 v[143:146], off, off offset:472
	s_waitcnt vmcnt(4)
	v_fma_f64 v[3:4], v[147:148], v[153:154], v[3:4]
	s_waitcnt lgkmcnt(0)
	s_delay_alu instid0(VALU_DEP_1)
	v_fma_f64 v[3:4], v[149:150], v[155:156], v[3:4]
	scratch_load_b64 v[155:156], off, off offset:488
	ds_load_b128 v[147:150], v130 offset:928
	ds_load_b128 v[151:154], v130 offset:944
	s_waitcnt vmcnt(4)
	v_fma_f64 v[3:4], v[131:132], v[157:158], v[3:4]
	s_waitcnt lgkmcnt(1)
	s_delay_alu instid0(VALU_DEP_1) | instskip(SKIP_1) | instid1(VALU_DEP_1)
	v_fma_f64 v[3:4], v[133:134], v[147:148], v[3:4]
	s_waitcnt vmcnt(3)
	v_fma_f64 v[3:4], v[135:136], v[149:150], v[3:4]
	s_waitcnt lgkmcnt(0)
	s_delay_alu instid0(VALU_DEP_1)
	v_fma_f64 v[3:4], v[137:138], v[151:152], v[3:4]
	ds_load_b128 v[131:134], v130 offset:960
	ds_load_b128 v[135:138], v130 offset:976
	s_waitcnt vmcnt(2)
	v_fma_f64 v[3:4], v[139:140], v[153:154], v[3:4]
	s_waitcnt lgkmcnt(1)
	s_delay_alu instid0(VALU_DEP_1) | instskip(SKIP_1) | instid1(VALU_DEP_1)
	v_fma_f64 v[3:4], v[141:142], v[131:132], v[3:4]
	s_waitcnt vmcnt(1)
	v_fma_f64 v[3:4], v[143:144], v[133:134], v[3:4]
	s_waitcnt lgkmcnt(0)
	s_delay_alu instid0(VALU_DEP_1) | instskip(SKIP_1) | instid1(VALU_DEP_1)
	v_fma_f64 v[3:4], v[145:146], v[135:136], v[3:4]
	s_waitcnt vmcnt(0)
	v_fma_f64 v[3:4], v[155:156], v[137:138], v[3:4]
	s_delay_alu instid0(VALU_DEP_1)
	v_add_f64 v[1:2], v[1:2], -v[3:4]
	scratch_store_b64 off, v[1:2], off offset:8
	v_cmpx_ne_u32_e32 0, v0
	s_cbranch_execz .LBB61_381
; %bb.380:
	scratch_load_b64 v[0:1], off, off
	v_mov_b32_e32 v2, 0
	s_delay_alu instid0(VALU_DEP_1)
	v_mov_b32_e32 v3, v2
	scratch_store_b64 off, v[2:3], off
	s_waitcnt vmcnt(0)
	ds_store_b64 v5, v[0:1]
.LBB61_381:
	s_or_b32 exec_lo, exec_lo, s0
	s_waitcnt lgkmcnt(0)
	s_waitcnt_vscnt null, 0x0
	s_barrier
	buffer_gl0_inv
	s_clause 0x4
	scratch_load_b128 v[0:3], off, off
	scratch_load_b128 v[131:134], off, off offset:16
	scratch_load_b128 v[135:138], off, off offset:32
	;; [unrolled: 1-line block ×4, first 2 shown]
	v_mov_b32_e32 v130, 0
	ds_load_2addr_b64 v[147:150], v130 offset0:63 offset1:64
	ds_load_2addr_b64 v[151:154], v130 offset0:65 offset1:66
	s_and_b32 vcc_lo, exec_lo, s16
	s_waitcnt vmcnt(4) lgkmcnt(1)
	v_fma_f64 v[147:148], v[2:3], v[147:148], 0
	scratch_load_b128 v[2:5], off, off offset:80
	s_waitcnt vmcnt(4)
	v_fma_f64 v[131:132], v[131:132], v[149:150], v[147:148]
	s_waitcnt lgkmcnt(0)
	s_delay_alu instid0(VALU_DEP_1)
	v_fma_f64 v[147:148], v[133:134], v[151:152], v[131:132]
	scratch_load_b128 v[131:134], off, off offset:96
	s_waitcnt vmcnt(4)
	v_fma_f64 v[135:136], v[135:136], v[153:154], v[147:148]
	ds_load_2addr_b64 v[147:150], v130 offset0:67 offset1:68
	ds_load_2addr_b64 v[151:154], v130 offset0:69 offset1:70
	s_waitcnt lgkmcnt(1)
	v_fma_f64 v[147:148], v[137:138], v[147:148], v[135:136]
	scratch_load_b128 v[135:138], off, off offset:112
	s_waitcnt vmcnt(4)
	v_fma_f64 v[139:140], v[139:140], v[149:150], v[147:148]
	s_waitcnt lgkmcnt(0)
	s_delay_alu instid0(VALU_DEP_1)
	v_fma_f64 v[147:148], v[141:142], v[151:152], v[139:140]
	scratch_load_b128 v[139:142], off, off offset:128
	s_waitcnt vmcnt(4)
	v_fma_f64 v[143:144], v[143:144], v[153:154], v[147:148]
	ds_load_2addr_b64 v[147:150], v130 offset0:71 offset1:72
	ds_load_2addr_b64 v[151:154], v130 offset0:73 offset1:74
	s_waitcnt lgkmcnt(1)
	;; [unrolled: 13-line block ×13, first 2 shown]
	v_fma_f64 v[131:132], v[133:134], v[147:148], v[131:132]
	s_waitcnt vmcnt(3)
	s_delay_alu instid0(VALU_DEP_1) | instskip(SKIP_1) | instid1(VALU_DEP_1)
	v_fma_f64 v[131:132], v[135:136], v[149:150], v[131:132]
	s_waitcnt lgkmcnt(0)
	v_fma_f64 v[131:132], v[137:138], v[151:152], v[131:132]
	s_waitcnt vmcnt(2)
	s_delay_alu instid0(VALU_DEP_1)
	v_fma_f64 v[139:140], v[139:140], v[153:154], v[131:132]
	ds_load_2addr_b64 v[131:134], v130 offset0:119 offset1:120
	ds_load_2addr_b64 v[135:138], v130 offset0:121 offset1:122
	s_waitcnt lgkmcnt(1)
	v_fma_f64 v[131:132], v[141:142], v[131:132], v[139:140]
	s_waitcnt vmcnt(1)
	s_delay_alu instid0(VALU_DEP_1) | instskip(SKIP_4) | instid1(VALU_DEP_1)
	v_fma_f64 v[131:132], v[143:144], v[133:134], v[131:132]
	ds_load_b64 v[133:134], v130 offset:984
	s_waitcnt lgkmcnt(1)
	v_fma_f64 v[131:132], v[145:146], v[135:136], v[131:132]
	s_waitcnt vmcnt(0)
	v_fma_f64 v[131:132], v[2:3], v[137:138], v[131:132]
	s_waitcnt lgkmcnt(0)
	s_delay_alu instid0(VALU_DEP_1) | instskip(NEXT) | instid1(VALU_DEP_1)
	v_fma_f64 v[4:5], v[4:5], v[133:134], v[131:132]
	v_add_f64 v[0:1], v[0:1], -v[4:5]
	scratch_store_b64 off, v[0:1], off
	s_cbranch_vccz .LBB61_505
; %bb.382:
	v_dual_mov_b32 v0, s12 :: v_dual_mov_b32 v1, s13
	s_mov_b32 s0, exec_lo
	flat_load_b32 v0, v[0:1] offset:240
	s_waitcnt vmcnt(0) lgkmcnt(0)
	v_cmpx_ne_u32_e32 61, v0
	s_cbranch_execz .LBB61_384
; %bb.383:
	v_lshl_add_u32 v4, v0, 3, 0
	scratch_load_b64 v[0:1], v4, off offset:-8
	s_waitcnt vmcnt(0)
	scratch_store_b64 off, v[0:1], off offset:480
	scratch_store_b64 v4, v[2:3], off offset:-8
.LBB61_384:
	s_or_b32 exec_lo, exec_lo, s0
	v_dual_mov_b32 v0, s12 :: v_dual_mov_b32 v1, s13
	s_mov_b32 s0, exec_lo
	flat_load_b32 v0, v[0:1] offset:236
	s_waitcnt vmcnt(0) lgkmcnt(0)
	v_cmpx_ne_u32_e32 60, v0
	s_cbranch_execz .LBB61_386
; %bb.385:
	v_lshl_add_u32 v4, v0, 3, 0
	scratch_load_b64 v[0:1], v4, off offset:-8
	scratch_load_b64 v[2:3], off, off offset:472
	s_waitcnt vmcnt(1)
	scratch_store_b64 off, v[0:1], off offset:472
	s_waitcnt vmcnt(0)
	scratch_store_b64 v4, v[2:3], off offset:-8
.LBB61_386:
	s_or_b32 exec_lo, exec_lo, s0
	v_dual_mov_b32 v0, s12 :: v_dual_mov_b32 v1, s13
	s_mov_b32 s0, exec_lo
	flat_load_b32 v0, v[0:1] offset:232
	s_waitcnt vmcnt(0) lgkmcnt(0)
	v_cmpx_ne_u32_e32 59, v0
	s_cbranch_execz .LBB61_388
; %bb.387:
	v_lshl_add_u32 v4, v0, 3, 0
	scratch_load_b64 v[0:1], v4, off offset:-8
	scratch_load_b64 v[2:3], off, off offset:464
	s_waitcnt vmcnt(1)
	scratch_store_b64 off, v[0:1], off offset:464
	s_waitcnt vmcnt(0)
	scratch_store_b64 v4, v[2:3], off offset:-8
.LBB61_388:
	;; [unrolled: 16-line block ×59, first 2 shown]
	s_or_b32 exec_lo, exec_lo, s0
	v_dual_mov_b32 v0, s12 :: v_dual_mov_b32 v1, s13
	s_mov_b32 s0, exec_lo
	flat_load_b32 v2, v[0:1]
	scratch_load_b64 v[0:1], off, off
	s_waitcnt vmcnt(1) lgkmcnt(0)
	v_cmpx_ne_u32_e32 1, v2
	s_cbranch_execz .LBB61_504
; %bb.503:
	v_lshl_add_u32 v4, v2, 3, 0
	scratch_load_b64 v[2:3], v4, off offset:-8
	s_waitcnt vmcnt(0)
	scratch_store_b64 off, v[2:3], off
	scratch_store_b64 v4, v[0:1], off offset:-8
	scratch_load_b64 v[0:1], off, off
.LBB61_504:
	s_or_b32 exec_lo, exec_lo, s0
.LBB61_505:
	s_clause 0x9
	scratch_load_b128 v[2:5], off, off offset:8
	scratch_load_b128 v[130:133], off, off offset:24
	;; [unrolled: 1-line block ×10, first 2 shown]
	s_waitcnt vmcnt(10)
	global_store_b64 v[38:39], v[0:1], off
	s_clause 0x2
	scratch_load_b128 v[166:169], off, off offset:184
	scratch_load_b128 v[170:173], off, off offset:232
	;; [unrolled: 1-line block ×3, first 2 shown]
	s_waitcnt vmcnt(12)
	global_store_b64 v[34:35], v[2:3], off
	scratch_load_b128 v[0:3], off, off offset:168
	global_store_b64 v[26:27], v[4:5], off
	s_waitcnt vmcnt(12)
	global_store_b64 v[28:29], v[130:131], off
	scratch_load_b128 v[26:29], off, off offset:200
	global_store_b64 v[22:23], v[132:133], off
	s_waitcnt vmcnt(12)
	s_clause 0x1
	global_store_b64 v[18:19], v[134:135], off
	global_store_b64 v[24:25], v[136:137], off
	s_waitcnt vmcnt(11)
	s_clause 0x1
	global_store_b64 v[20:21], v[138:139], off
	;; [unrolled: 4-line block ×8, first 2 shown]
	global_store_b64 v[30:31], v[164:165], off
	s_clause 0xf
	scratch_load_b128 v[130:133], off, off offset:216
	scratch_load_b128 v[22:25], off, off offset:248
	;; [unrolled: 1-line block ×15, first 2 shown]
	scratch_load_b64 v[4:5], off, off offset:488
	s_waitcnt vmcnt(17)
	s_clause 0x3
	global_store_b64 v[14:15], v[0:1], off
	global_store_b64 v[32:33], v[2:3], off
	;; [unrolled: 1-line block ×4, first 2 shown]
	s_waitcnt vmcnt(16)
	s_clause 0x1
	global_store_b64 v[52:53], v[26:27], off
	global_store_b64 v[60:61], v[28:29], off
	s_waitcnt vmcnt(15)
	s_clause 0x3
	global_store_b64 v[62:63], v[130:131], off
	global_store_b64 v[64:65], v[132:133], off
	;; [unrolled: 1-line block ×4, first 2 shown]
	s_waitcnt vmcnt(14)
	s_clause 0x1
	global_store_b64 v[70:71], v[22:23], off
	global_store_b64 v[72:73], v[24:25], off
	s_waitcnt vmcnt(13)
	s_clause 0x1
	global_store_b64 v[74:75], v[18:19], off
	global_store_b64 v[76:77], v[20:21], off
	s_waitcnt vmcnt(12)
	s_clause 0x1
	global_store_b64 v[78:79], v[134:135], off
	global_store_b64 v[80:81], v[136:137], off
	s_waitcnt vmcnt(11)
	s_clause 0x1
	global_store_b64 v[82:83], v[138:139], off
	global_store_b64 v[84:85], v[140:141], off
	s_waitcnt vmcnt(10)
	s_clause 0x1
	global_store_b64 v[86:87], v[142:143], off
	global_store_b64 v[88:89], v[144:145], off
	s_waitcnt vmcnt(9)
	s_clause 0x1
	global_store_b64 v[90:91], v[8:9], off
	global_store_b64 v[92:93], v[10:11], off
	s_waitcnt vmcnt(8)
	s_clause 0x1
	global_store_b64 v[94:95], v[146:147], off
	global_store_b64 v[96:97], v[148:149], off
	s_waitcnt vmcnt(7)
	s_clause 0x1
	global_store_b64 v[98:99], v[56:57], off
	global_store_b64 v[100:101], v[58:59], off
	s_waitcnt vmcnt(6)
	s_clause 0x3
	global_store_b64 v[102:103], v[150:151], off
	global_store_b64 v[104:105], v[152:153], off
	global_store_b64 v[106:107], v[174:175], off
	global_store_b64 v[108:109], v[176:177], off
	s_waitcnt vmcnt(5)
	s_clause 0x1
	global_store_b64 v[110:111], v[154:155], off
	global_store_b64 v[112:113], v[156:157], off
	s_waitcnt vmcnt(4)
	s_clause 0x1
	;; [unrolled: 4-line block ×5, first 2 shown]
	global_store_b64 v[126:127], v[162:163], off
	global_store_b64 v[128:129], v[164:165], off
	s_waitcnt vmcnt(0)
	global_store_b64 v[6:7], v[4:5], off
	s_endpgm
	.section	.rodata,"a",@progbits
	.p2align	6, 0x0
	.amdhsa_kernel _ZN9rocsolver6v33100L18getri_kernel_smallILi62EdPdEEvT1_iilPiilS4_bb
		.amdhsa_group_segment_fixed_size 1000
		.amdhsa_private_segment_fixed_size 512
		.amdhsa_kernarg_size 60
		.amdhsa_user_sgpr_count 15
		.amdhsa_user_sgpr_dispatch_ptr 0
		.amdhsa_user_sgpr_queue_ptr 0
		.amdhsa_user_sgpr_kernarg_segment_ptr 1
		.amdhsa_user_sgpr_dispatch_id 0
		.amdhsa_user_sgpr_private_segment_size 0
		.amdhsa_wavefront_size32 1
		.amdhsa_uses_dynamic_stack 0
		.amdhsa_enable_private_segment 1
		.amdhsa_system_sgpr_workgroup_id_x 1
		.amdhsa_system_sgpr_workgroup_id_y 0
		.amdhsa_system_sgpr_workgroup_id_z 0
		.amdhsa_system_sgpr_workgroup_info 0
		.amdhsa_system_vgpr_workitem_id 0
		.amdhsa_next_free_vgpr 178
		.amdhsa_next_free_sgpr 18
		.amdhsa_reserve_vcc 1
		.amdhsa_float_round_mode_32 0
		.amdhsa_float_round_mode_16_64 0
		.amdhsa_float_denorm_mode_32 3
		.amdhsa_float_denorm_mode_16_64 3
		.amdhsa_dx10_clamp 1
		.amdhsa_ieee_mode 1
		.amdhsa_fp16_overflow 0
		.amdhsa_workgroup_processor_mode 1
		.amdhsa_memory_ordered 1
		.amdhsa_forward_progress 0
		.amdhsa_shared_vgpr_count 0
		.amdhsa_exception_fp_ieee_invalid_op 0
		.amdhsa_exception_fp_denorm_src 0
		.amdhsa_exception_fp_ieee_div_zero 0
		.amdhsa_exception_fp_ieee_overflow 0
		.amdhsa_exception_fp_ieee_underflow 0
		.amdhsa_exception_fp_ieee_inexact 0
		.amdhsa_exception_int_div_zero 0
	.end_amdhsa_kernel
	.section	.text._ZN9rocsolver6v33100L18getri_kernel_smallILi62EdPdEEvT1_iilPiilS4_bb,"axG",@progbits,_ZN9rocsolver6v33100L18getri_kernel_smallILi62EdPdEEvT1_iilPiilS4_bb,comdat
.Lfunc_end61:
	.size	_ZN9rocsolver6v33100L18getri_kernel_smallILi62EdPdEEvT1_iilPiilS4_bb, .Lfunc_end61-_ZN9rocsolver6v33100L18getri_kernel_smallILi62EdPdEEvT1_iilPiilS4_bb
                                        ; -- End function
	.section	.AMDGPU.csdata,"",@progbits
; Kernel info:
; codeLenInByte = 67580
; NumSgprs: 20
; NumVgprs: 178
; ScratchSize: 512
; MemoryBound: 0
; FloatMode: 240
; IeeeMode: 1
; LDSByteSize: 1000 bytes/workgroup (compile time only)
; SGPRBlocks: 2
; VGPRBlocks: 22
; NumSGPRsForWavesPerEU: 20
; NumVGPRsForWavesPerEU: 178
; Occupancy: 8
; WaveLimiterHint : 1
; COMPUTE_PGM_RSRC2:SCRATCH_EN: 1
; COMPUTE_PGM_RSRC2:USER_SGPR: 15
; COMPUTE_PGM_RSRC2:TRAP_HANDLER: 0
; COMPUTE_PGM_RSRC2:TGID_X_EN: 1
; COMPUTE_PGM_RSRC2:TGID_Y_EN: 0
; COMPUTE_PGM_RSRC2:TGID_Z_EN: 0
; COMPUTE_PGM_RSRC2:TIDIG_COMP_CNT: 0
	.section	.text._ZN9rocsolver6v33100L18getri_kernel_smallILi63EdPdEEvT1_iilPiilS4_bb,"axG",@progbits,_ZN9rocsolver6v33100L18getri_kernel_smallILi63EdPdEEvT1_iilPiilS4_bb,comdat
	.globl	_ZN9rocsolver6v33100L18getri_kernel_smallILi63EdPdEEvT1_iilPiilS4_bb ; -- Begin function _ZN9rocsolver6v33100L18getri_kernel_smallILi63EdPdEEvT1_iilPiilS4_bb
	.p2align	8
	.type	_ZN9rocsolver6v33100L18getri_kernel_smallILi63EdPdEEvT1_iilPiilS4_bb,@function
_ZN9rocsolver6v33100L18getri_kernel_smallILi63EdPdEEvT1_iilPiilS4_bb: ; @_ZN9rocsolver6v33100L18getri_kernel_smallILi63EdPdEEvT1_iilPiilS4_bb
; %bb.0:
	s_mov_b32 s2, exec_lo
	v_cmpx_gt_u32_e32 63, v0
	s_cbranch_execz .LBB62_262
; %bb.1:
	s_clause 0x2
	s_load_b32 s17, s[0:1], 0x38
	s_load_b128 s[8:11], s[0:1], 0x10
	s_load_b128 s[4:7], s[0:1], 0x28
	s_mov_b32 s14, s15
                                        ; implicit-def: $sgpr12_sgpr13
	s_waitcnt lgkmcnt(0)
	s_bitcmp1_b32 s17, 8
	s_cselect_b32 s16, -1, 0
	s_bfe_u32 s2, s17, 0x10008
	s_ashr_i32 s15, s15, 31
	s_cmp_eq_u32 s2, 0
	s_cbranch_scc1 .LBB62_3
; %bb.2:
	s_load_b32 s2, s[0:1], 0x20
	s_mul_i32 s3, s14, s5
	s_mul_hi_u32 s5, s14, s4
	s_mul_i32 s12, s15, s4
	s_add_i32 s3, s5, s3
	s_mul_i32 s4, s14, s4
	s_add_i32 s5, s3, s12
	s_delay_alu instid0(SALU_CYCLE_1)
	s_lshl_b64 s[4:5], s[4:5], 2
	s_waitcnt lgkmcnt(0)
	s_ashr_i32 s3, s2, 31
	s_add_u32 s4, s10, s4
	s_addc_u32 s5, s11, s5
	s_lshl_b64 s[2:3], s[2:3], 2
	s_delay_alu instid0(SALU_CYCLE_1)
	s_add_u32 s12, s4, s2
	s_addc_u32 s13, s5, s3
.LBB62_3:
	s_load_b128 s[0:3], s[0:1], 0x0
	s_mul_i32 s4, s14, s9
	s_mul_hi_u32 s5, s14, s8
	s_mul_i32 s9, s15, s8
	s_add_i32 s5, s5, s4
	s_mul_i32 s4, s14, s8
	s_add_i32 s5, s5, s9
	v_lshlrev_b32_e32 v3, 3, v0
	s_lshl_b64 s[4:5], s[4:5], 3
	s_waitcnt lgkmcnt(0)
	v_add3_u32 v1, s3, s3, v0
	s_ashr_i32 s9, s2, 31
	s_mov_b32 s8, s2
	s_add_u32 s2, s0, s4
	s_addc_u32 s4, s1, s5
	v_add_nc_u32_e32 v4, s3, v1
	s_lshl_b64 s[0:1], s[8:9], 3
	s_mov_b32 s10, s3
	s_add_u32 s0, s2, s0
	s_addc_u32 s1, s4, s1
	v_add_nc_u32_e32 v6, s3, v4
	v_add_co_u32 v34, s2, s0, v3
	v_ashrrev_i32_e32 v2, 31, v1
	s_ashr_i32 s11, s3, 31
	s_delay_alu instid0(VALU_DEP_3) | instskip(SKIP_3) | instid1(VALU_DEP_3)
	v_add_nc_u32_e32 v8, s3, v6
	v_add_co_ci_u32_e64 v35, null, s1, 0, s2
	s_lshl_b64 s[4:5], s[10:11], 3
	v_ashrrev_i32_e32 v5, 31, v4
	v_add_nc_u32_e32 v10, s3, v8
	v_add_co_u32 v28, vcc_lo, v34, s4
	v_lshlrev_b64 v[1:2], 3, v[1:2]
	v_add_co_ci_u32_e32 v29, vcc_lo, s5, v35, vcc_lo
	s_delay_alu instid0(VALU_DEP_4)
	v_add_nc_u32_e32 v12, s3, v10
	v_ashrrev_i32_e32 v7, 31, v6
	v_lshlrev_b64 v[4:5], 3, v[4:5]
	s_clause 0x1
	global_load_b64 v[40:41], v3, s[0:1]
	global_load_b64 v[42:43], v[28:29], off
	v_add_nc_u32_e32 v14, s3, v12
	v_add_co_u32 v38, vcc_lo, s0, v1
	v_add_co_ci_u32_e32 v39, vcc_lo, s1, v2, vcc_lo
	v_lshlrev_b64 v[1:2], 3, v[6:7]
	v_ashrrev_i32_e32 v9, 31, v8
	v_add_nc_u32_e32 v20, s3, v14
	v_add_co_u32 v26, vcc_lo, s0, v4
	v_ashrrev_i32_e32 v11, 31, v10
	v_add_co_ci_u32_e32 v27, vcc_lo, s1, v5, vcc_lo
	v_lshlrev_b64 v[4:5], 3, v[8:9]
	v_add_co_u32 v32, vcc_lo, s0, v1
	v_ashrrev_i32_e32 v13, 31, v12
	v_add_nc_u32_e32 v6, s3, v20
	v_add_co_ci_u32_e32 v33, vcc_lo, s1, v2, vcc_lo
	v_lshlrev_b64 v[1:2], 3, v[10:11]
	v_add_co_u32 v16, vcc_lo, s0, v4
	v_lshlrev_b64 v[9:10], 3, v[12:13]
	v_ashrrev_i32_e32 v15, 31, v14
	v_add_nc_u32_e32 v8, s3, v6
	v_add_co_ci_u32_e32 v17, vcc_lo, s1, v5, vcc_lo
	v_add_co_u32 v30, vcc_lo, s0, v1
	v_ashrrev_i32_e32 v21, 31, v20
	v_add_co_ci_u32_e32 v31, vcc_lo, s1, v2, vcc_lo
	v_lshlrev_b64 v[1:2], 3, v[14:15]
	v_add_co_u32 v18, vcc_lo, s0, v9
	v_ashrrev_i32_e32 v7, 31, v6
	v_add_nc_u32_e32 v22, s3, v8
	v_add_co_ci_u32_e32 v19, vcc_lo, s1, v10, vcc_lo
	v_lshlrev_b64 v[10:11], 3, v[20:21]
	v_add_co_u32 v20, vcc_lo, s0, v1
	v_ashrrev_i32_e32 v9, 31, v8
	v_lshlrev_b64 v[5:6], 3, v[6:7]
	v_add_nc_u32_e32 v4, s3, v22
	v_add_co_ci_u32_e32 v21, vcc_lo, s1, v2, vcc_lo
	v_add_co_u32 v10, vcc_lo, s0, v10
	v_ashrrev_i32_e32 v23, 31, v22
	s_clause 0x2
	global_load_b64 v[60:61], v[38:39], off
	global_load_b64 v[62:63], v[26:27], off
	;; [unrolled: 1-line block ×3, first 2 shown]
	v_add_co_ci_u32_e32 v11, vcc_lo, s1, v11, vcc_lo
	v_lshlrev_b64 v[7:8], 3, v[8:9]
	global_load_b64 v[66:67], v[16:17], off
	v_add_co_u32 v24, vcc_lo, s0, v5
	v_ashrrev_i32_e32 v5, 31, v4
	v_lshlrev_b64 v[14:15], 3, v[22:23]
	v_add_co_ci_u32_e32 v25, vcc_lo, s1, v6, vcc_lo
	v_add_nc_u32_e32 v36, s3, v4
	v_add_co_u32 v12, vcc_lo, s0, v7
	v_lshlrev_b64 v[4:5], 3, v[4:5]
	v_add_co_ci_u32_e32 v13, vcc_lo, s1, v8, vcc_lo
	v_add_co_u32 v14, vcc_lo, s0, v14
	v_add_co_ci_u32_e32 v15, vcc_lo, s1, v15, vcc_lo
	s_delay_alu instid0(VALU_DEP_4)
	v_add_co_u32 v8, vcc_lo, s0, v4
	v_add_co_ci_u32_e32 v9, vcc_lo, s1, v5, vcc_lo
	s_clause 0x7
	global_load_b64 v[68:69], v[30:31], off
	global_load_b64 v[70:71], v[18:19], off
	;; [unrolled: 1-line block ×8, first 2 shown]
	v_add_nc_u32_e32 v44, s3, v36
	v_ashrrev_i32_e32 v37, 31, v36
	s_bitcmp0_b32 s17, 0
	s_delay_alu instid0(VALU_DEP_2) | instskip(SKIP_1) | instid1(VALU_DEP_3)
	v_add_nc_u32_e32 v46, s3, v44
	v_ashrrev_i32_e32 v45, 31, v44
	v_lshlrev_b64 v[5:6], 3, v[36:37]
	s_delay_alu instid0(VALU_DEP_3) | instskip(NEXT) | instid1(VALU_DEP_3)
	v_add_nc_u32_e32 v1, s3, v46
	v_lshlrev_b64 v[36:37], 3, v[44:45]
	v_ashrrev_i32_e32 v47, 31, v46
	s_delay_alu instid0(VALU_DEP_4) | instskip(NEXT) | instid1(VALU_DEP_4)
	v_add_co_u32 v58, vcc_lo, s0, v5
	v_add_nc_u32_e32 v48, s3, v1
	v_add_co_ci_u32_e32 v59, vcc_lo, s1, v6, vcc_lo
	s_delay_alu instid0(VALU_DEP_4) | instskip(SKIP_1) | instid1(VALU_DEP_4)
	v_lshlrev_b64 v[5:6], 3, v[46:47]
	v_ashrrev_i32_e32 v2, 31, v1
	v_add_nc_u32_e32 v52, s3, v48
	v_add_co_u32 v50, vcc_lo, s0, v36
	v_add_co_ci_u32_e32 v51, vcc_lo, s1, v37, vcc_lo
	s_delay_alu instid0(VALU_DEP_3) | instskip(SKIP_3) | instid1(VALU_DEP_4)
	v_add_nc_u32_e32 v92, s3, v52
	v_ashrrev_i32_e32 v49, 31, v48
	v_lshlrev_b64 v[1:2], 3, v[1:2]
	v_add_co_u32 v54, vcc_lo, s0, v5
	v_add_nc_u32_e32 v22, s3, v92
	v_ashrrev_i32_e32 v53, 31, v52
	v_add_co_ci_u32_e32 v55, vcc_lo, s1, v6, vcc_lo
	v_ashrrev_i32_e32 v93, 31, v92
	s_delay_alu instid0(VALU_DEP_4) | instskip(SKIP_1) | instid1(VALU_DEP_2)
	v_add_nc_u32_e32 v4, s3, v22
	v_ashrrev_i32_e32 v23, 31, v22
	v_add_nc_u32_e32 v100, s3, v4
	v_ashrrev_i32_e32 v5, 31, v4
	s_delay_alu instid0(VALU_DEP_3) | instskip(NEXT) | instid1(VALU_DEP_3)
	v_lshlrev_b64 v[22:23], 3, v[22:23]
	v_add_nc_u32_e32 v102, s3, v100
	s_delay_alu instid0(VALU_DEP_3) | instskip(SKIP_1) | instid1(VALU_DEP_3)
	v_lshlrev_b64 v[4:5], 3, v[4:5]
	v_ashrrev_i32_e32 v101, 31, v100
	v_add_nc_u32_e32 v104, s3, v102
	v_ashrrev_i32_e32 v103, 31, v102
	s_delay_alu instid0(VALU_DEP_2) | instskip(SKIP_1) | instid1(VALU_DEP_2)
	v_add_nc_u32_e32 v108, s3, v104
	v_ashrrev_i32_e32 v105, 31, v104
	v_add_nc_u32_e32 v110, s3, v108
	v_ashrrev_i32_e32 v109, 31, v108
	s_delay_alu instid0(VALU_DEP_2) | instskip(SKIP_1) | instid1(VALU_DEP_2)
	v_add_nc_u32_e32 v112, s3, v110
	;; [unrolled: 5-line block ×19, first 2 shown]
	v_ashrrev_i32_e32 v179, 31, v178
	v_ashrrev_i32_e32 v45, 31, v44
	s_waitcnt vmcnt(12)
	scratch_store_b128 off, v[40:43], off
	v_lshlrev_b64 v[40:41], 3, v[52:53]
	v_lshlrev_b64 v[42:43], 3, v[92:93]
	;; [unrolled: 1-line block ×5, first 2 shown]
	s_delay_alu instid0(VALU_DEP_2) | instskip(NEXT) | instid1(VALU_DEP_3)
	v_add_co_u32 v6, vcc_lo, s0, v36
	v_add_co_ci_u32_e32 v7, vcc_lo, s1, v37, vcc_lo
	v_add_co_u32 v36, vcc_lo, s0, v1
	v_add_co_ci_u32_e32 v37, vcc_lo, s1, v2, vcc_lo
	;; [unrolled: 2-line block ×6, first 2 shown]
	v_lshlrev_b64 v[42:43], 3, v[100:101]
	s_clause 0x4
	global_load_b64 v[1:2], v[6:7], off
	global_load_b64 v[84:85], v[58:59], off
	global_load_b64 v[86:87], v[50:51], off
	global_load_b64 v[88:89], v[54:55], off
	global_load_b64 v[90:91], v[36:37], off
	v_add_co_u32 v44, vcc_lo, s0, v4
	v_add_co_ci_u32_e32 v45, vcc_lo, s1, v5, vcc_lo
	v_lshlrev_b64 v[4:5], 3, v[102:103]
	v_add_co_u32 v42, vcc_lo, s0, v42
	v_add_co_ci_u32_e32 v43, vcc_lo, s1, v43, vcc_lo
	s_waitcnt vmcnt(15)
	scratch_store_b128 off, v[60:63], off offset:16
	s_waitcnt vmcnt(13)
	scratch_store_b128 off, v[64:67], off offset:32
	v_add_co_u32 v48, vcc_lo, s0, v4
	v_add_co_ci_u32_e32 v49, vcc_lo, s1, v5, vcc_lo
	v_lshlrev_b64 v[4:5], 3, v[108:109]
	v_add_co_u32 v52, vcc_lo, s0, v52
	s_clause 0x3
	global_load_b64 v[92:93], v[56:57], off
	global_load_b64 v[94:95], v[40:41], off
	;; [unrolled: 1-line block ×4, first 2 shown]
	v_add_co_ci_u32_e32 v53, vcc_lo, s1, v53, vcc_lo
	v_lshlrev_b64 v[62:63], 3, v[110:111]
	v_add_co_u32 v60, vcc_lo, s0, v4
	v_add_co_ci_u32_e32 v61, vcc_lo, s1, v5, vcc_lo
	v_lshlrev_b64 v[4:5], 3, v[112:113]
	s_delay_alu instid0(VALU_DEP_4) | instskip(SKIP_2) | instid1(VALU_DEP_4)
	v_add_co_u32 v62, vcc_lo, s0, v62
	v_lshlrev_b64 v[66:67], 3, v[114:115]
	v_add_co_ci_u32_e32 v63, vcc_lo, s1, v63, vcc_lo
	v_add_co_u32 v64, vcc_lo, s0, v4
	v_add_co_ci_u32_e32 v65, vcc_lo, s1, v5, vcc_lo
	s_delay_alu instid0(VALU_DEP_4)
	v_add_co_u32 v66, vcc_lo, s0, v66
	s_waitcnt vmcnt(15)
	scratch_store_b128 off, v[68:71], off offset:48
	s_waitcnt vmcnt(13)
	scratch_store_b128 off, v[72:75], off offset:64
	v_add_co_ci_u32_e32 v67, vcc_lo, s1, v67, vcc_lo
	s_clause 0x3
	global_load_b64 v[100:101], v[44:45], off
	global_load_b64 v[102:103], v[42:43], off
	;; [unrolled: 1-line block ×4, first 2 shown]
	s_waitcnt vmcnt(15)
	scratch_store_b128 off, v[76:79], off offset:80
	s_waitcnt vmcnt(13)
	scratch_store_b128 off, v[80:83], off offset:96
	s_clause 0x3
	global_load_b64 v[108:109], v[60:61], off
	global_load_b64 v[110:111], v[62:63], off
	;; [unrolled: 1-line block ×4, first 2 shown]
	v_lshlrev_b64 v[4:5], 3, v[116:117]
	v_lshlrev_b64 v[70:71], 3, v[118:119]
	;; [unrolled: 1-line block ×5, first 2 shown]
	s_waitcnt vmcnt(14)
	scratch_store_b128 off, v[84:87], off offset:112
	s_waitcnt vmcnt(12)
	scratch_store_b128 off, v[88:91], off offset:128
	v_add_co_u32 v68, vcc_lo, s0, v4
	v_add_co_ci_u32_e32 v69, vcc_lo, s1, v5, vcc_lo
	v_lshlrev_b64 v[4:5], 3, v[120:121]
	v_add_co_u32 v70, vcc_lo, s0, v70
	v_add_co_ci_u32_e32 v71, vcc_lo, s1, v71, vcc_lo
	v_lshlrev_b64 v[86:87], 3, v[134:135]
	s_delay_alu instid0(VALU_DEP_4)
	v_add_co_u32 v72, vcc_lo, s0, v4
	v_add_co_ci_u32_e32 v73, vcc_lo, s1, v5, vcc_lo
	v_lshlrev_b64 v[4:5], 3, v[124:125]
	v_add_co_u32 v74, vcc_lo, s0, v74
	v_add_co_ci_u32_e32 v75, vcc_lo, s1, v75, vcc_lo
	s_clause 0x2
	global_load_b64 v[116:117], v[68:69], off
	global_load_b64 v[118:119], v[70:71], off
	;; [unrolled: 1-line block ×3, first 2 shown]
	v_add_co_u32 v76, vcc_lo, s0, v4
	v_add_co_ci_u32_e32 v77, vcc_lo, s1, v5, vcc_lo
	v_lshlrev_b64 v[4:5], 3, v[128:129]
	v_add_co_u32 v78, vcc_lo, s0, v78
	v_add_co_ci_u32_e32 v79, vcc_lo, s1, v79, vcc_lo
	global_load_b64 v[122:123], v[74:75], off
	v_add_co_u32 v80, vcc_lo, s0, v4
	v_add_co_ci_u32_e32 v81, vcc_lo, s1, v5, vcc_lo
	v_lshlrev_b64 v[4:5], 3, v[132:133]
	v_add_co_u32 v82, vcc_lo, s0, v82
	v_add_co_ci_u32_e32 v83, vcc_lo, s1, v83, vcc_lo
	v_lshlrev_b64 v[90:91], 3, v[138:139]
	s_delay_alu instid0(VALU_DEP_4)
	v_add_co_u32 v84, vcc_lo, s0, v4
	v_add_co_ci_u32_e32 v85, vcc_lo, s1, v5, vcc_lo
	v_lshlrev_b64 v[4:5], 3, v[136:137]
	v_add_co_u32 v86, vcc_lo, s0, v86
	v_add_co_ci_u32_e32 v87, vcc_lo, s1, v87, vcc_lo
	s_waitcnt vmcnt(14)
	scratch_store_b128 off, v[92:95], off offset:144
	s_waitcnt vmcnt(12)
	scratch_store_b128 off, v[96:99], off offset:160
	v_add_co_u32 v88, vcc_lo, s0, v4
	v_add_co_ci_u32_e32 v89, vcc_lo, s1, v5, vcc_lo
	v_lshlrev_b64 v[4:5], 3, v[140:141]
	v_add_co_u32 v90, vcc_lo, s0, v90
	s_clause 0x3
	global_load_b64 v[124:125], v[76:77], off
	global_load_b64 v[126:127], v[78:79], off
	;; [unrolled: 1-line block ×4, first 2 shown]
	v_add_co_ci_u32_e32 v91, vcc_lo, s1, v91, vcc_lo
	v_lshlrev_b64 v[94:95], 3, v[142:143]
	v_add_co_u32 v92, vcc_lo, s0, v4
	v_add_co_ci_u32_e32 v93, vcc_lo, s1, v5, vcc_lo
	v_lshlrev_b64 v[4:5], 3, v[144:145]
	s_delay_alu instid0(VALU_DEP_4) | instskip(SKIP_2) | instid1(VALU_DEP_4)
	v_add_co_u32 v94, vcc_lo, s0, v94
	v_lshlrev_b64 v[98:99], 3, v[146:147]
	v_add_co_ci_u32_e32 v95, vcc_lo, s1, v95, vcc_lo
	v_add_co_u32 v96, vcc_lo, s0, v4
	v_add_co_ci_u32_e32 v97, vcc_lo, s1, v5, vcc_lo
	s_delay_alu instid0(VALU_DEP_4)
	v_add_co_u32 v98, vcc_lo, s0, v98
	s_waitcnt vmcnt(14)
	scratch_store_b128 off, v[100:103], off offset:176
	s_waitcnt vmcnt(12)
	scratch_store_b128 off, v[104:107], off offset:192
	v_add_co_ci_u32_e32 v99, vcc_lo, s1, v99, vcc_lo
	s_clause 0x3
	global_load_b64 v[132:133], v[84:85], off
	global_load_b64 v[134:135], v[86:87], off
	;; [unrolled: 1-line block ×4, first 2 shown]
	s_waitcnt vmcnt(14)
	scratch_store_b128 off, v[108:111], off offset:208
	s_waitcnt vmcnt(12)
	scratch_store_b128 off, v[112:115], off offset:224
	s_clause 0x3
	global_load_b64 v[140:141], v[92:93], off
	global_load_b64 v[142:143], v[94:95], off
	;; [unrolled: 1-line block ×4, first 2 shown]
	v_lshlrev_b64 v[4:5], 3, v[148:149]
	v_lshlrev_b64 v[102:103], 3, v[150:151]
	;; [unrolled: 1-line block ×5, first 2 shown]
	s_waitcnt vmcnt(14)
	scratch_store_b128 off, v[116:119], off offset:240
	s_waitcnt vmcnt(12)
	scratch_store_b128 off, v[120:123], off offset:256
	v_add_co_u32 v100, vcc_lo, s0, v4
	v_add_co_ci_u32_e32 v101, vcc_lo, s1, v5, vcc_lo
	v_lshlrev_b64 v[4:5], 3, v[152:153]
	v_add_co_u32 v102, vcc_lo, s0, v102
	v_add_co_ci_u32_e32 v103, vcc_lo, s1, v103, vcc_lo
	v_lshlrev_b64 v[118:119], 3, v[166:167]
	s_delay_alu instid0(VALU_DEP_4)
	v_add_co_u32 v104, vcc_lo, s0, v4
	v_add_co_ci_u32_e32 v105, vcc_lo, s1, v5, vcc_lo
	v_lshlrev_b64 v[4:5], 3, v[156:157]
	v_add_co_u32 v106, vcc_lo, s0, v106
	v_add_co_ci_u32_e32 v107, vcc_lo, s1, v107, vcc_lo
	v_lshlrev_b64 v[122:123], 3, v[170:171]
	s_delay_alu instid0(VALU_DEP_4)
	v_add_co_u32 v108, vcc_lo, s0, v4
	v_add_co_ci_u32_e32 v109, vcc_lo, s1, v5, vcc_lo
	v_lshlrev_b64 v[4:5], 3, v[160:161]
	v_add_co_u32 v110, vcc_lo, s0, v110
	v_add_co_ci_u32_e32 v111, vcc_lo, s1, v111, vcc_lo
	s_clause 0x2
	global_load_b64 v[148:149], v[100:101], off
	global_load_b64 v[150:151], v[102:103], off
	;; [unrolled: 1-line block ×3, first 2 shown]
	v_add_co_u32 v112, vcc_lo, s0, v4
	v_add_co_ci_u32_e32 v113, vcc_lo, s1, v5, vcc_lo
	v_lshlrev_b64 v[4:5], 3, v[164:165]
	v_add_co_u32 v114, vcc_lo, s0, v114
	v_add_co_ci_u32_e32 v115, vcc_lo, s1, v115, vcc_lo
	s_waitcnt vmcnt(13)
	scratch_store_b128 off, v[124:127], off offset:272
	s_waitcnt vmcnt(11)
	scratch_store_b128 off, v[128:131], off offset:288
	v_add_co_u32 v116, vcc_lo, s0, v4
	v_add_co_ci_u32_e32 v117, vcc_lo, s1, v5, vcc_lo
	v_lshlrev_b64 v[4:5], 3, v[168:169]
	v_add_co_u32 v118, vcc_lo, s0, v118
	v_add_co_ci_u32_e32 v119, vcc_lo, s1, v119, vcc_lo
	v_lshlrev_b64 v[126:127], 3, v[174:175]
	s_delay_alu instid0(VALU_DEP_4)
	v_add_co_u32 v120, vcc_lo, s0, v4
	v_add_co_ci_u32_e32 v121, vcc_lo, s1, v5, vcc_lo
	v_lshlrev_b64 v[4:5], 3, v[172:173]
	v_add_co_u32 v122, vcc_lo, s0, v122
	v_add_co_ci_u32_e32 v123, vcc_lo, s1, v123, vcc_lo
	s_clause 0x3
	global_load_b64 v[154:155], v[106:107], off
	global_load_b64 v[156:157], v[108:109], off
	;; [unrolled: 1-line block ×4, first 2 shown]
	v_add_co_u32 v124, vcc_lo, s0, v4
	v_add_co_ci_u32_e32 v125, vcc_lo, s1, v5, vcc_lo
	v_lshlrev_b64 v[4:5], 3, v[176:177]
	v_add_co_u32 v128, vcc_lo, s0, v126
	v_add_co_ci_u32_e32 v129, vcc_lo, s1, v127, vcc_lo
	v_lshlrev_b64 v[126:127], 3, v[178:179]
	s_delay_alu instid0(VALU_DEP_4)
	v_add_co_u32 v130, vcc_lo, s0, v4
	v_add_co_ci_u32_e32 v131, vcc_lo, s1, v5, vcc_lo
	s_waitcnt vmcnt(13)
	scratch_store_b128 off, v[132:135], off offset:304
	s_waitcnt vmcnt(11)
	scratch_store_b128 off, v[136:139], off offset:320
	v_add_co_u32 v126, vcc_lo, s0, v126
	s_clause 0x3
	global_load_b64 v[162:163], v[114:115], off
	global_load_b64 v[132:133], v[116:117], off
	;; [unrolled: 1-line block ×4, first 2 shown]
	v_add_co_ci_u32_e32 v127, vcc_lo, s1, v127, vcc_lo
	s_waitcnt vmcnt(13)
	scratch_store_b128 off, v[140:143], off offset:336
	s_waitcnt vmcnt(11)
	scratch_store_b128 off, v[144:147], off offset:352
	s_clause 0x4
	global_load_b64 v[138:139], v[122:123], off
	global_load_b64 v[140:141], v[124:125], off
	;; [unrolled: 1-line block ×5, first 2 shown]
	s_mov_b32 s1, -1
	s_waitcnt vmcnt(14)
	scratch_store_b128 off, v[148:151], off offset:368
	s_waitcnt vmcnt(12)
	scratch_store_b128 off, v[152:155], off offset:384
	;; [unrolled: 2-line block ×7, first 2 shown]
	s_waitcnt vmcnt(0)
	s_clause 0x1
	scratch_store_b128 off, v[144:147], off offset:480
	scratch_store_b64 off, v[1:2], off offset:496
	s_cbranch_scc1 .LBB62_260
; %bb.4:
	v_cmp_eq_u32_e64 s0, 0, v0
	s_delay_alu instid0(VALU_DEP_1)
	s_and_saveexec_b32 s1, s0
	s_cbranch_execz .LBB62_6
; %bb.5:
	v_mov_b32_e32 v1, 0
	ds_store_b32 v1, v1 offset:504
.LBB62_6:
	s_or_b32 exec_lo, exec_lo, s1
	s_waitcnt lgkmcnt(0)
	s_waitcnt_vscnt null, 0x0
	s_barrier
	buffer_gl0_inv
	scratch_load_b64 v[1:2], v3, off
	s_mov_b32 s2, exec_lo
	s_waitcnt vmcnt(0)
	v_cmpx_eq_f64_e32 0, v[1:2]
	s_cbranch_execz .LBB62_10
; %bb.7:
	v_mov_b32_e32 v1, 0
	s_mov_b32 s3, 0
	ds_load_b32 v2, v1 offset:504
	s_waitcnt lgkmcnt(0)
	v_readfirstlane_b32 s1, v2
	v_add_nc_u32_e32 v2, 1, v0
	s_delay_alu instid0(VALU_DEP_2) | instskip(NEXT) | instid1(VALU_DEP_1)
	s_cmp_eq_u32 s1, 0
	v_cmp_gt_i32_e32 vcc_lo, s1, v2
	s_cselect_b32 s4, -1, 0
	s_delay_alu instid0(SALU_CYCLE_1) | instskip(NEXT) | instid1(SALU_CYCLE_1)
	s_or_b32 s4, s4, vcc_lo
	s_and_b32 exec_lo, exec_lo, s4
	s_cbranch_execz .LBB62_10
; %bb.8:
	v_mov_b32_e32 v4, s1
.LBB62_9:                               ; =>This Inner Loop Header: Depth=1
	ds_cmpstore_rtn_b32 v4, v1, v2, v4 offset:504
	s_waitcnt lgkmcnt(0)
	v_cmp_ne_u32_e32 vcc_lo, 0, v4
	v_cmp_le_i32_e64 s1, v4, v2
	s_delay_alu instid0(VALU_DEP_1) | instskip(NEXT) | instid1(SALU_CYCLE_1)
	s_and_b32 s1, vcc_lo, s1
	s_and_b32 s1, exec_lo, s1
	s_delay_alu instid0(SALU_CYCLE_1) | instskip(NEXT) | instid1(SALU_CYCLE_1)
	s_or_b32 s3, s1, s3
	s_and_not1_b32 exec_lo, exec_lo, s3
	s_cbranch_execnz .LBB62_9
.LBB62_10:
	s_or_b32 exec_lo, exec_lo, s2
	v_mov_b32_e32 v1, 0
	s_barrier
	buffer_gl0_inv
	ds_load_b32 v2, v1 offset:504
	s_and_saveexec_b32 s1, s0
	s_cbranch_execz .LBB62_12
; %bb.11:
	s_lshl_b64 s[2:3], s[14:15], 2
	s_delay_alu instid0(SALU_CYCLE_1)
	s_add_u32 s2, s6, s2
	s_addc_u32 s3, s7, s3
	s_waitcnt lgkmcnt(0)
	global_store_b32 v1, v2, s[2:3]
.LBB62_12:
	s_or_b32 exec_lo, exec_lo, s1
	s_waitcnt lgkmcnt(0)
	v_cmp_ne_u32_e32 vcc_lo, 0, v2
	s_mov_b32 s1, 0
	s_cbranch_vccnz .LBB62_260
; %bb.13:
	v_add_nc_u32_e32 v4, 0, v3
	v_or_b32_e32 v5, 0x200, v3
	scratch_load_b64 v[1:2], v4, off
	s_waitcnt vmcnt(0)
	v_div_scale_f64 v[132:133], null, v[1:2], v[1:2], 1.0
	v_div_scale_f64 v[138:139], vcc_lo, 1.0, v[1:2], 1.0
	s_delay_alu instid0(VALU_DEP_2) | instskip(SKIP_2) | instid1(VALU_DEP_1)
	v_rcp_f64_e32 v[134:135], v[132:133]
	s_waitcnt_depctr 0xfff
	v_fma_f64 v[136:137], -v[132:133], v[134:135], 1.0
	v_fma_f64 v[134:135], v[134:135], v[136:137], v[134:135]
	s_delay_alu instid0(VALU_DEP_1) | instskip(NEXT) | instid1(VALU_DEP_1)
	v_fma_f64 v[136:137], -v[132:133], v[134:135], 1.0
	v_fma_f64 v[134:135], v[134:135], v[136:137], v[134:135]
	s_delay_alu instid0(VALU_DEP_1) | instskip(NEXT) | instid1(VALU_DEP_1)
	v_mul_f64 v[136:137], v[138:139], v[134:135]
	v_fma_f64 v[132:133], -v[132:133], v[136:137], v[138:139]
	s_delay_alu instid0(VALU_DEP_1) | instskip(NEXT) | instid1(VALU_DEP_1)
	v_div_fmas_f64 v[132:133], v[132:133], v[134:135], v[136:137]
	v_div_fixup_f64 v[1:2], v[132:133], v[1:2], 1.0
	scratch_store_b64 v4, v[1:2], off
	scratch_load_b64 v[132:133], off, off offset:8
	v_xor_b32_e32 v2, 0x80000000, v2
	s_waitcnt vmcnt(0)
	ds_store_2addr_stride64_b64 v3, v[1:2], v[132:133] offset1:1
	s_waitcnt lgkmcnt(0)
	s_waitcnt_vscnt null, 0x0
	s_barrier
	buffer_gl0_inv
	s_and_saveexec_b32 s1, s0
	s_cbranch_execz .LBB62_15
; %bb.14:
	scratch_load_b64 v[1:2], v4, off
	ds_load_b64 v[132:133], v5
	s_waitcnt vmcnt(0) lgkmcnt(0)
	v_fma_f64 v[1:2], v[1:2], v[132:133], 0
	v_mov_b32_e32 v132, 0
	ds_load_b64 v[132:133], v132 offset:8
	s_waitcnt lgkmcnt(0)
	v_mul_f64 v[1:2], v[1:2], v[132:133]
	scratch_store_b64 off, v[1:2], off offset:8
.LBB62_15:
	s_or_b32 exec_lo, exec_lo, s1
	s_waitcnt_vscnt null, 0x0
	s_barrier
	buffer_gl0_inv
	scratch_load_b64 v[1:2], off, off offset:16
	s_mov_b32 s1, exec_lo
	s_waitcnt vmcnt(0)
	ds_store_b64 v5, v[1:2]
	s_waitcnt lgkmcnt(0)
	s_barrier
	buffer_gl0_inv
	v_cmpx_gt_u32_e32 2, v0
	s_cbranch_execz .LBB62_19
; %bb.16:
	scratch_load_b64 v[1:2], v4, off
	ds_load_b64 v[132:133], v5
	s_waitcnt vmcnt(0) lgkmcnt(0)
	v_fma_f64 v[1:2], v[1:2], v[132:133], 0
	s_and_saveexec_b32 s2, s0
	s_cbranch_execz .LBB62_18
; %bb.17:
	scratch_load_b64 v[132:133], off, off offset:8
	v_mov_b32_e32 v134, 0
	ds_load_b64 v[134:135], v134 offset:520
	s_waitcnt vmcnt(0) lgkmcnt(0)
	v_fma_f64 v[1:2], v[132:133], v[134:135], v[1:2]
.LBB62_18:
	s_or_b32 exec_lo, exec_lo, s2
	v_mov_b32_e32 v132, 0
	ds_load_b64 v[132:133], v132 offset:16
	s_waitcnt lgkmcnt(0)
	v_mul_f64 v[1:2], v[1:2], v[132:133]
	scratch_store_b64 off, v[1:2], off offset:16
.LBB62_19:
	s_or_b32 exec_lo, exec_lo, s1
	s_waitcnt_vscnt null, 0x0
	s_barrier
	buffer_gl0_inv
	scratch_load_b64 v[1:2], off, off offset:24
	v_add_nc_u32_e32 v132, -1, v0
	s_mov_b32 s0, exec_lo
	s_waitcnt vmcnt(0)
	ds_store_b64 v5, v[1:2]
	s_waitcnt lgkmcnt(0)
	s_barrier
	buffer_gl0_inv
	v_cmpx_gt_u32_e32 3, v0
	s_cbranch_execz .LBB62_23
; %bb.20:
	v_mov_b32_e32 v1, 0
	v_dual_mov_b32 v2, 0 :: v_dual_add_nc_u32 v133, -1, v0
	v_or_b32_e32 v134, 0x200, v3
	v_add_nc_u32_e32 v135, 0, v3
	s_mov_b32 s1, 0
.LBB62_21:                              ; =>This Inner Loop Header: Depth=1
	scratch_load_b64 v[136:137], v135, off
	ds_load_b64 v[138:139], v134
	v_add_nc_u32_e32 v133, 1, v133
	v_add_nc_u32_e32 v134, 8, v134
	v_add_nc_u32_e32 v135, 8, v135
	s_delay_alu instid0(VALU_DEP_3)
	v_cmp_lt_u32_e32 vcc_lo, 1, v133
	s_or_b32 s1, vcc_lo, s1
	s_waitcnt vmcnt(0) lgkmcnt(0)
	v_fma_f64 v[1:2], v[136:137], v[138:139], v[1:2]
	s_and_not1_b32 exec_lo, exec_lo, s1
	s_cbranch_execnz .LBB62_21
; %bb.22:
	s_or_b32 exec_lo, exec_lo, s1
	v_mov_b32_e32 v133, 0
	ds_load_b64 v[133:134], v133 offset:24
	s_waitcnt lgkmcnt(0)
	v_mul_f64 v[1:2], v[1:2], v[133:134]
	scratch_store_b64 off, v[1:2], off offset:24
.LBB62_23:
	s_or_b32 exec_lo, exec_lo, s0
	s_waitcnt_vscnt null, 0x0
	s_barrier
	buffer_gl0_inv
	scratch_load_b64 v[1:2], off, off offset:32
	s_mov_b32 s0, exec_lo
	s_waitcnt vmcnt(0)
	ds_store_b64 v5, v[1:2]
	s_waitcnt lgkmcnt(0)
	s_barrier
	buffer_gl0_inv
	v_cmpx_gt_u32_e32 4, v0
	s_cbranch_execz .LBB62_27
; %bb.24:
	v_mov_b32_e32 v1, 0
	v_dual_mov_b32 v2, 0 :: v_dual_add_nc_u32 v133, -1, v0
	v_or_b32_e32 v134, 0x200, v3
	v_add_nc_u32_e32 v135, 0, v3
	s_mov_b32 s1, 0
.LBB62_25:                              ; =>This Inner Loop Header: Depth=1
	scratch_load_b64 v[136:137], v135, off
	ds_load_b64 v[138:139], v134
	v_add_nc_u32_e32 v133, 1, v133
	v_add_nc_u32_e32 v134, 8, v134
	v_add_nc_u32_e32 v135, 8, v135
	s_delay_alu instid0(VALU_DEP_3)
	v_cmp_lt_u32_e32 vcc_lo, 2, v133
	s_or_b32 s1, vcc_lo, s1
	s_waitcnt vmcnt(0) lgkmcnt(0)
	v_fma_f64 v[1:2], v[136:137], v[138:139], v[1:2]
	s_and_not1_b32 exec_lo, exec_lo, s1
	s_cbranch_execnz .LBB62_25
; %bb.26:
	s_or_b32 exec_lo, exec_lo, s1
	v_mov_b32_e32 v133, 0
	ds_load_b64 v[133:134], v133 offset:32
	s_waitcnt lgkmcnt(0)
	v_mul_f64 v[1:2], v[1:2], v[133:134]
	scratch_store_b64 off, v[1:2], off offset:32
.LBB62_27:
	s_or_b32 exec_lo, exec_lo, s0
	s_waitcnt_vscnt null, 0x0
	s_barrier
	buffer_gl0_inv
	scratch_load_b64 v[1:2], off, off offset:40
	;; [unrolled: 40-line block ×20, first 2 shown]
	s_mov_b32 s0, exec_lo
	s_waitcnt vmcnt(0)
	ds_store_b64 v5, v[1:2]
	s_waitcnt lgkmcnt(0)
	s_barrier
	buffer_gl0_inv
	v_cmpx_gt_u32_e32 23, v0
	s_cbranch_execz .LBB62_103
; %bb.100:
	v_mov_b32_e32 v1, 0
	v_dual_mov_b32 v2, 0 :: v_dual_add_nc_u32 v133, -1, v0
	v_or_b32_e32 v134, 0x200, v3
	v_add_nc_u32_e32 v135, 0, v3
	s_mov_b32 s1, 0
.LBB62_101:                             ; =>This Inner Loop Header: Depth=1
	scratch_load_b64 v[136:137], v135, off
	ds_load_b64 v[138:139], v134
	v_add_nc_u32_e32 v133, 1, v133
	v_add_nc_u32_e32 v134, 8, v134
	v_add_nc_u32_e32 v135, 8, v135
	s_delay_alu instid0(VALU_DEP_3)
	v_cmp_lt_u32_e32 vcc_lo, 21, v133
	s_or_b32 s1, vcc_lo, s1
	s_waitcnt vmcnt(0) lgkmcnt(0)
	v_fma_f64 v[1:2], v[136:137], v[138:139], v[1:2]
	s_and_not1_b32 exec_lo, exec_lo, s1
	s_cbranch_execnz .LBB62_101
; %bb.102:
	s_or_b32 exec_lo, exec_lo, s1
	v_mov_b32_e32 v133, 0
	ds_load_b64 v[133:134], v133 offset:184
	s_waitcnt lgkmcnt(0)
	v_mul_f64 v[1:2], v[1:2], v[133:134]
	scratch_store_b64 off, v[1:2], off offset:184
.LBB62_103:
	s_or_b32 exec_lo, exec_lo, s0
	s_waitcnt_vscnt null, 0x0
	s_barrier
	buffer_gl0_inv
	scratch_load_b64 v[1:2], off, off offset:192
	s_mov_b32 s0, exec_lo
	s_waitcnt vmcnt(0)
	ds_store_b64 v5, v[1:2]
	s_waitcnt lgkmcnt(0)
	s_barrier
	buffer_gl0_inv
	v_cmpx_gt_u32_e32 24, v0
	s_cbranch_execz .LBB62_107
; %bb.104:
	v_mov_b32_e32 v1, 0
	v_dual_mov_b32 v2, 0 :: v_dual_add_nc_u32 v133, -1, v0
	v_or_b32_e32 v134, 0x200, v3
	v_add_nc_u32_e32 v135, 0, v3
	s_mov_b32 s1, 0
.LBB62_105:                             ; =>This Inner Loop Header: Depth=1
	scratch_load_b64 v[136:137], v135, off
	ds_load_b64 v[138:139], v134
	v_add_nc_u32_e32 v133, 1, v133
	v_add_nc_u32_e32 v134, 8, v134
	v_add_nc_u32_e32 v135, 8, v135
	s_delay_alu instid0(VALU_DEP_3)
	v_cmp_lt_u32_e32 vcc_lo, 22, v133
	s_or_b32 s1, vcc_lo, s1
	s_waitcnt vmcnt(0) lgkmcnt(0)
	v_fma_f64 v[1:2], v[136:137], v[138:139], v[1:2]
	s_and_not1_b32 exec_lo, exec_lo, s1
	s_cbranch_execnz .LBB62_105
; %bb.106:
	s_or_b32 exec_lo, exec_lo, s1
	v_mov_b32_e32 v133, 0
	ds_load_b64 v[133:134], v133 offset:192
	s_waitcnt lgkmcnt(0)
	v_mul_f64 v[1:2], v[1:2], v[133:134]
	scratch_store_b64 off, v[1:2], off offset:192
.LBB62_107:
	s_or_b32 exec_lo, exec_lo, s0
	s_waitcnt_vscnt null, 0x0
	s_barrier
	buffer_gl0_inv
	scratch_load_b64 v[1:2], off, off offset:200
	;; [unrolled: 40-line block ×39, first 2 shown]
	s_mov_b32 s0, exec_lo
	s_waitcnt vmcnt(0)
	ds_store_b64 v5, v[1:2]
	s_waitcnt lgkmcnt(0)
	s_barrier
	buffer_gl0_inv
	v_cmpx_ne_u32_e32 62, v0
	s_cbranch_execz .LBB62_259
; %bb.256:
	v_mov_b32_e32 v1, 0
	v_mov_b32_e32 v2, 0
	s_mov_b32 s1, 0
.LBB62_257:                             ; =>This Inner Loop Header: Depth=1
	scratch_load_b64 v[133:134], v4, off
	ds_load_b64 v[135:136], v5
	v_add_nc_u32_e32 v132, 1, v132
	v_add_nc_u32_e32 v5, 8, v5
	;; [unrolled: 1-line block ×3, first 2 shown]
	s_delay_alu instid0(VALU_DEP_3)
	v_cmp_lt_u32_e32 vcc_lo, 60, v132
	s_or_b32 s1, vcc_lo, s1
	s_waitcnt vmcnt(0) lgkmcnt(0)
	v_fma_f64 v[1:2], v[133:134], v[135:136], v[1:2]
	s_and_not1_b32 exec_lo, exec_lo, s1
	s_cbranch_execnz .LBB62_257
; %bb.258:
	s_or_b32 exec_lo, exec_lo, s1
	v_mov_b32_e32 v3, 0
	ds_load_b64 v[3:4], v3 offset:496
	s_waitcnt lgkmcnt(0)
	v_mul_f64 v[1:2], v[1:2], v[3:4]
	scratch_store_b64 off, v[1:2], off offset:496
.LBB62_259:
	s_or_b32 exec_lo, exec_lo, s0
	s_mov_b32 s1, -1
	s_waitcnt_vscnt null, 0x0
	s_barrier
	buffer_gl0_inv
.LBB62_260:
	s_and_b32 vcc_lo, exec_lo, s1
	s_cbranch_vccz .LBB62_262
; %bb.261:
	s_lshl_b64 s[0:1], s[14:15], 2
	v_mov_b32_e32 v1, 0
	s_add_u32 s0, s6, s0
	s_addc_u32 s1, s7, s1
	global_load_b32 v1, v1, s[0:1]
	s_waitcnt vmcnt(0)
	v_cmp_ne_u32_e32 vcc_lo, 0, v1
	s_cbranch_vccz .LBB62_263
.LBB62_262:
	s_endpgm
.LBB62_263:
	v_lshl_or_b32 v5, v0, 3, 0x200
	s_mov_b32 s0, exec_lo
	v_cmpx_eq_u32_e32 62, v0
	s_cbranch_execz .LBB62_265
; %bb.264:
	scratch_load_b64 v[1:2], off, off offset:488
	v_mov_b32_e32 v3, 0
	s_delay_alu instid0(VALU_DEP_1)
	v_mov_b32_e32 v4, v3
	scratch_store_b64 off, v[3:4], off offset:488
	s_waitcnt vmcnt(0)
	ds_store_b64 v5, v[1:2]
.LBB62_265:
	s_or_b32 exec_lo, exec_lo, s0
	s_waitcnt lgkmcnt(0)
	s_waitcnt_vscnt null, 0x0
	s_barrier
	buffer_gl0_inv
	scratch_load_b128 v[132:135], off, off offset:488
	v_mov_b32_e32 v1, 0
	s_mov_b32 s0, exec_lo
	ds_load_b64 v[2:3], v1 offset:1008
	s_waitcnt vmcnt(0) lgkmcnt(0)
	v_fma_f64 v[2:3], v[134:135], v[2:3], 0
	s_delay_alu instid0(VALU_DEP_1)
	v_add_f64 v[2:3], v[132:133], -v[2:3]
	scratch_store_b64 off, v[2:3], off offset:488
	v_cmpx_lt_u32_e32 60, v0
	s_cbranch_execz .LBB62_267
; %bb.266:
	scratch_load_b64 v[3:4], off, off offset:480
	v_mov_b32_e32 v2, v1
	scratch_store_b64 off, v[1:2], off offset:480
	s_waitcnt vmcnt(0)
	ds_store_b64 v5, v[3:4]
.LBB62_267:
	s_or_b32 exec_lo, exec_lo, s0
	s_waitcnt lgkmcnt(0)
	s_waitcnt_vscnt null, 0x0
	s_barrier
	buffer_gl0_inv
	s_clause 0x1
	scratch_load_b128 v[132:135], off, off offset:480
	scratch_load_b64 v[136:137], off, off offset:496
	ds_load_2addr_b64 v[1:4], v1 offset0:125 offset1:126
	s_mov_b32 s0, exec_lo
	s_waitcnt vmcnt(1) lgkmcnt(0)
	v_fma_f64 v[1:2], v[134:135], v[1:2], 0
	s_waitcnt vmcnt(0)
	s_delay_alu instid0(VALU_DEP_1) | instskip(NEXT) | instid1(VALU_DEP_1)
	v_fma_f64 v[1:2], v[136:137], v[3:4], v[1:2]
	v_add_f64 v[1:2], v[132:133], -v[1:2]
	scratch_store_b64 off, v[1:2], off offset:480
	v_cmpx_lt_u32_e32 59, v0
	s_cbranch_execz .LBB62_269
; %bb.268:
	scratch_load_b64 v[1:2], off, off offset:472
	v_mov_b32_e32 v3, 0
	s_delay_alu instid0(VALU_DEP_1)
	v_mov_b32_e32 v4, v3
	scratch_store_b64 off, v[3:4], off offset:472
	s_waitcnt vmcnt(0)
	ds_store_b64 v5, v[1:2]
.LBB62_269:
	s_or_b32 exec_lo, exec_lo, s0
	s_waitcnt lgkmcnt(0)
	s_waitcnt_vscnt null, 0x0
	s_barrier
	buffer_gl0_inv
	s_clause 0x1
	scratch_load_b128 v[132:135], off, off offset:472
	scratch_load_b128 v[136:139], off, off offset:488
	v_mov_b32_e32 v1, 0
	s_mov_b32 s0, exec_lo
	ds_load_b128 v[140:143], v1 offset:992
	s_waitcnt vmcnt(1) lgkmcnt(0)
	v_fma_f64 v[2:3], v[134:135], v[140:141], 0
	ds_load_b64 v[134:135], v1 offset:1008
	s_waitcnt vmcnt(0)
	v_fma_f64 v[2:3], v[136:137], v[142:143], v[2:3]
	s_waitcnt lgkmcnt(0)
	s_delay_alu instid0(VALU_DEP_1) | instskip(NEXT) | instid1(VALU_DEP_1)
	v_fma_f64 v[2:3], v[138:139], v[134:135], v[2:3]
	v_add_f64 v[2:3], v[132:133], -v[2:3]
	scratch_store_b64 off, v[2:3], off offset:472
	v_cmpx_lt_u32_e32 58, v0
	s_cbranch_execz .LBB62_271
; %bb.270:
	scratch_load_b64 v[3:4], off, off offset:464
	v_mov_b32_e32 v2, v1
	scratch_store_b64 off, v[1:2], off offset:464
	s_waitcnt vmcnt(0)
	ds_store_b64 v5, v[3:4]
.LBB62_271:
	s_or_b32 exec_lo, exec_lo, s0
	s_waitcnt lgkmcnt(0)
	s_waitcnt_vscnt null, 0x0
	s_barrier
	buffer_gl0_inv
	s_clause 0x2
	scratch_load_b128 v[132:135], off, off offset:464
	scratch_load_b128 v[136:139], off, off offset:480
	scratch_load_b64 v[144:145], off, off offset:496
	ds_load_2addr_b64 v[140:143], v1 offset0:123 offset1:124
	s_mov_b32 s0, exec_lo
	s_waitcnt vmcnt(2) lgkmcnt(0)
	v_fma_f64 v[2:3], v[134:135], v[140:141], 0
	s_waitcnt vmcnt(1)
	s_delay_alu instid0(VALU_DEP_1) | instskip(SKIP_4) | instid1(VALU_DEP_1)
	v_fma_f64 v[134:135], v[136:137], v[142:143], v[2:3]
	ds_load_2addr_b64 v[1:4], v1 offset0:125 offset1:126
	s_waitcnt lgkmcnt(0)
	v_fma_f64 v[1:2], v[138:139], v[1:2], v[134:135]
	s_waitcnt vmcnt(0)
	v_fma_f64 v[1:2], v[144:145], v[3:4], v[1:2]
	s_delay_alu instid0(VALU_DEP_1)
	v_add_f64 v[1:2], v[132:133], -v[1:2]
	scratch_store_b64 off, v[1:2], off offset:464
	v_cmpx_lt_u32_e32 57, v0
	s_cbranch_execz .LBB62_273
; %bb.272:
	scratch_load_b64 v[1:2], off, off offset:456
	v_mov_b32_e32 v3, 0
	s_delay_alu instid0(VALU_DEP_1)
	v_mov_b32_e32 v4, v3
	scratch_store_b64 off, v[3:4], off offset:456
	s_waitcnt vmcnt(0)
	ds_store_b64 v5, v[1:2]
.LBB62_273:
	s_or_b32 exec_lo, exec_lo, s0
	s_waitcnt lgkmcnt(0)
	s_waitcnt_vscnt null, 0x0
	s_barrier
	buffer_gl0_inv
	s_clause 0x2
	scratch_load_b128 v[132:135], off, off offset:456
	scratch_load_b128 v[136:139], off, off offset:472
	;; [unrolled: 1-line block ×3, first 2 shown]
	v_mov_b32_e32 v1, 0
	ds_load_b128 v[144:147], v1 offset:976
	ds_load_b128 v[148:151], v1 offset:992
	s_mov_b32 s0, exec_lo
	s_waitcnt vmcnt(2) lgkmcnt(1)
	v_fma_f64 v[2:3], v[134:135], v[144:145], 0
	ds_load_b64 v[134:135], v1 offset:1008
	s_waitcnt vmcnt(1)
	v_fma_f64 v[2:3], v[136:137], v[146:147], v[2:3]
	s_waitcnt lgkmcnt(1)
	s_delay_alu instid0(VALU_DEP_1) | instskip(SKIP_1) | instid1(VALU_DEP_1)
	v_fma_f64 v[2:3], v[138:139], v[148:149], v[2:3]
	s_waitcnt vmcnt(0)
	v_fma_f64 v[2:3], v[140:141], v[150:151], v[2:3]
	s_waitcnt lgkmcnt(0)
	s_delay_alu instid0(VALU_DEP_1) | instskip(NEXT) | instid1(VALU_DEP_1)
	v_fma_f64 v[2:3], v[142:143], v[134:135], v[2:3]
	v_add_f64 v[2:3], v[132:133], -v[2:3]
	scratch_store_b64 off, v[2:3], off offset:456
	v_cmpx_lt_u32_e32 56, v0
	s_cbranch_execz .LBB62_275
; %bb.274:
	scratch_load_b64 v[3:4], off, off offset:448
	v_mov_b32_e32 v2, v1
	scratch_store_b64 off, v[1:2], off offset:448
	s_waitcnt vmcnt(0)
	ds_store_b64 v5, v[3:4]
.LBB62_275:
	s_or_b32 exec_lo, exec_lo, s0
	s_waitcnt lgkmcnt(0)
	s_waitcnt_vscnt null, 0x0
	s_barrier
	buffer_gl0_inv
	s_clause 0x3
	scratch_load_b128 v[132:135], off, off offset:448
	scratch_load_b128 v[136:139], off, off offset:464
	;; [unrolled: 1-line block ×3, first 2 shown]
	scratch_load_b64 v[152:153], off, off offset:496
	ds_load_2addr_b64 v[144:147], v1 offset0:121 offset1:122
	ds_load_2addr_b64 v[148:151], v1 offset0:123 offset1:124
	s_mov_b32 s0, exec_lo
	s_waitcnt vmcnt(3) lgkmcnt(1)
	v_fma_f64 v[2:3], v[134:135], v[144:145], 0
	s_waitcnt vmcnt(2)
	s_delay_alu instid0(VALU_DEP_1) | instskip(SKIP_1) | instid1(VALU_DEP_1)
	v_fma_f64 v[2:3], v[136:137], v[146:147], v[2:3]
	s_waitcnt lgkmcnt(0)
	v_fma_f64 v[2:3], v[138:139], v[148:149], v[2:3]
	s_waitcnt vmcnt(1)
	s_delay_alu instid0(VALU_DEP_1) | instskip(SKIP_4) | instid1(VALU_DEP_1)
	v_fma_f64 v[134:135], v[140:141], v[150:151], v[2:3]
	ds_load_2addr_b64 v[1:4], v1 offset0:125 offset1:126
	s_waitcnt lgkmcnt(0)
	v_fma_f64 v[1:2], v[142:143], v[1:2], v[134:135]
	s_waitcnt vmcnt(0)
	v_fma_f64 v[1:2], v[152:153], v[3:4], v[1:2]
	s_delay_alu instid0(VALU_DEP_1)
	v_add_f64 v[1:2], v[132:133], -v[1:2]
	scratch_store_b64 off, v[1:2], off offset:448
	v_cmpx_lt_u32_e32 55, v0
	s_cbranch_execz .LBB62_277
; %bb.276:
	scratch_load_b64 v[1:2], off, off offset:440
	v_mov_b32_e32 v3, 0
	s_delay_alu instid0(VALU_DEP_1)
	v_mov_b32_e32 v4, v3
	scratch_store_b64 off, v[3:4], off offset:440
	s_waitcnt vmcnt(0)
	ds_store_b64 v5, v[1:2]
.LBB62_277:
	s_or_b32 exec_lo, exec_lo, s0
	s_waitcnt lgkmcnt(0)
	s_waitcnt_vscnt null, 0x0
	s_barrier
	buffer_gl0_inv
	s_clause 0x3
	scratch_load_b128 v[132:135], off, off offset:440
	scratch_load_b128 v[136:139], off, off offset:456
	;; [unrolled: 1-line block ×4, first 2 shown]
	v_mov_b32_e32 v1, 0
	ds_load_b128 v[148:151], v1 offset:960
	ds_load_b128 v[152:155], v1 offset:976
	s_mov_b32 s0, exec_lo
	s_waitcnt vmcnt(3) lgkmcnt(1)
	v_fma_f64 v[2:3], v[134:135], v[148:149], 0
	s_waitcnt vmcnt(2)
	s_delay_alu instid0(VALU_DEP_1) | instskip(SKIP_1) | instid1(VALU_DEP_1)
	v_fma_f64 v[2:3], v[136:137], v[150:151], v[2:3]
	s_waitcnt lgkmcnt(0)
	v_fma_f64 v[2:3], v[138:139], v[152:153], v[2:3]
	ds_load_b128 v[134:137], v1 offset:992
	ds_load_b64 v[138:139], v1 offset:1008
	s_waitcnt vmcnt(1)
	v_fma_f64 v[2:3], v[140:141], v[154:155], v[2:3]
	s_waitcnt lgkmcnt(1)
	s_delay_alu instid0(VALU_DEP_1) | instskip(SKIP_1) | instid1(VALU_DEP_1)
	v_fma_f64 v[2:3], v[142:143], v[134:135], v[2:3]
	s_waitcnt vmcnt(0)
	v_fma_f64 v[2:3], v[144:145], v[136:137], v[2:3]
	s_waitcnt lgkmcnt(0)
	s_delay_alu instid0(VALU_DEP_1) | instskip(NEXT) | instid1(VALU_DEP_1)
	v_fma_f64 v[2:3], v[146:147], v[138:139], v[2:3]
	v_add_f64 v[2:3], v[132:133], -v[2:3]
	scratch_store_b64 off, v[2:3], off offset:440
	v_cmpx_lt_u32_e32 54, v0
	s_cbranch_execz .LBB62_279
; %bb.278:
	scratch_load_b64 v[3:4], off, off offset:432
	v_mov_b32_e32 v2, v1
	scratch_store_b64 off, v[1:2], off offset:432
	s_waitcnt vmcnt(0)
	ds_store_b64 v5, v[3:4]
.LBB62_279:
	s_or_b32 exec_lo, exec_lo, s0
	s_waitcnt lgkmcnt(0)
	s_waitcnt_vscnt null, 0x0
	s_barrier
	buffer_gl0_inv
	s_clause 0x4
	scratch_load_b128 v[132:135], off, off offset:432
	scratch_load_b128 v[136:139], off, off offset:448
	;; [unrolled: 1-line block ×4, first 2 shown]
	scratch_load_b64 v[156:157], off, off offset:496
	ds_load_2addr_b64 v[148:151], v1 offset0:119 offset1:120
	ds_load_2addr_b64 v[152:155], v1 offset0:121 offset1:122
	s_mov_b32 s0, exec_lo
	s_waitcnt vmcnt(4) lgkmcnt(1)
	v_fma_f64 v[2:3], v[134:135], v[148:149], 0
	s_waitcnt vmcnt(3)
	s_delay_alu instid0(VALU_DEP_1) | instskip(SKIP_1) | instid1(VALU_DEP_1)
	v_fma_f64 v[2:3], v[136:137], v[150:151], v[2:3]
	s_waitcnt lgkmcnt(0)
	v_fma_f64 v[2:3], v[138:139], v[152:153], v[2:3]
	s_waitcnt vmcnt(2)
	s_delay_alu instid0(VALU_DEP_1)
	v_fma_f64 v[138:139], v[140:141], v[154:155], v[2:3]
	ds_load_2addr_b64 v[134:137], v1 offset0:123 offset1:124
	ds_load_2addr_b64 v[1:4], v1 offset0:125 offset1:126
	s_waitcnt lgkmcnt(1)
	v_fma_f64 v[134:135], v[142:143], v[134:135], v[138:139]
	s_waitcnt vmcnt(1)
	s_delay_alu instid0(VALU_DEP_1) | instskip(SKIP_1) | instid1(VALU_DEP_1)
	v_fma_f64 v[134:135], v[144:145], v[136:137], v[134:135]
	s_waitcnt lgkmcnt(0)
	v_fma_f64 v[1:2], v[146:147], v[1:2], v[134:135]
	s_waitcnt vmcnt(0)
	s_delay_alu instid0(VALU_DEP_1) | instskip(NEXT) | instid1(VALU_DEP_1)
	v_fma_f64 v[1:2], v[156:157], v[3:4], v[1:2]
	v_add_f64 v[1:2], v[132:133], -v[1:2]
	scratch_store_b64 off, v[1:2], off offset:432
	v_cmpx_lt_u32_e32 53, v0
	s_cbranch_execz .LBB62_281
; %bb.280:
	scratch_load_b64 v[1:2], off, off offset:424
	v_mov_b32_e32 v3, 0
	s_delay_alu instid0(VALU_DEP_1)
	v_mov_b32_e32 v4, v3
	scratch_store_b64 off, v[3:4], off offset:424
	s_waitcnt vmcnt(0)
	ds_store_b64 v5, v[1:2]
.LBB62_281:
	s_or_b32 exec_lo, exec_lo, s0
	s_waitcnt lgkmcnt(0)
	s_waitcnt_vscnt null, 0x0
	s_barrier
	buffer_gl0_inv
	s_clause 0x4
	scratch_load_b128 v[132:135], off, off offset:424
	scratch_load_b128 v[136:139], off, off offset:440
	;; [unrolled: 1-line block ×5, first 2 shown]
	v_mov_b32_e32 v1, 0
	ds_load_b128 v[152:155], v1 offset:944
	ds_load_b128 v[156:159], v1 offset:960
	s_mov_b32 s0, exec_lo
	s_waitcnt vmcnt(4) lgkmcnt(1)
	v_fma_f64 v[2:3], v[134:135], v[152:153], 0
	s_waitcnt vmcnt(3)
	s_delay_alu instid0(VALU_DEP_1) | instskip(SKIP_1) | instid1(VALU_DEP_1)
	v_fma_f64 v[2:3], v[136:137], v[154:155], v[2:3]
	s_waitcnt lgkmcnt(0)
	v_fma_f64 v[2:3], v[138:139], v[156:157], v[2:3]
	s_waitcnt vmcnt(2)
	s_delay_alu instid0(VALU_DEP_1)
	v_fma_f64 v[2:3], v[140:141], v[158:159], v[2:3]
	ds_load_b128 v[134:137], v1 offset:976
	ds_load_b128 v[138:141], v1 offset:992
	s_waitcnt lgkmcnt(1)
	v_fma_f64 v[2:3], v[142:143], v[134:135], v[2:3]
	ds_load_b64 v[134:135], v1 offset:1008
	s_waitcnt vmcnt(1)
	v_fma_f64 v[2:3], v[144:145], v[136:137], v[2:3]
	s_waitcnt lgkmcnt(1)
	s_delay_alu instid0(VALU_DEP_1) | instskip(SKIP_1) | instid1(VALU_DEP_1)
	v_fma_f64 v[2:3], v[146:147], v[138:139], v[2:3]
	s_waitcnt vmcnt(0)
	v_fma_f64 v[2:3], v[148:149], v[140:141], v[2:3]
	s_waitcnt lgkmcnt(0)
	s_delay_alu instid0(VALU_DEP_1) | instskip(NEXT) | instid1(VALU_DEP_1)
	v_fma_f64 v[2:3], v[150:151], v[134:135], v[2:3]
	v_add_f64 v[2:3], v[132:133], -v[2:3]
	scratch_store_b64 off, v[2:3], off offset:424
	v_cmpx_lt_u32_e32 52, v0
	s_cbranch_execz .LBB62_283
; %bb.282:
	scratch_load_b64 v[3:4], off, off offset:416
	v_mov_b32_e32 v2, v1
	scratch_store_b64 off, v[1:2], off offset:416
	s_waitcnt vmcnt(0)
	ds_store_b64 v5, v[3:4]
.LBB62_283:
	s_or_b32 exec_lo, exec_lo, s0
	s_waitcnt lgkmcnt(0)
	s_waitcnt_vscnt null, 0x0
	s_barrier
	buffer_gl0_inv
	s_clause 0x4
	scratch_load_b128 v[132:135], off, off offset:416
	scratch_load_b128 v[136:139], off, off offset:432
	scratch_load_b128 v[140:143], off, off offset:448
	scratch_load_b128 v[144:147], off, off offset:464
	scratch_load_b128 v[148:151], off, off offset:480
	ds_load_2addr_b64 v[152:155], v1 offset0:117 offset1:118
	ds_load_2addr_b64 v[156:159], v1 offset0:119 offset1:120
	s_mov_b32 s0, exec_lo
	s_waitcnt vmcnt(4) lgkmcnt(1)
	v_fma_f64 v[2:3], v[134:135], v[152:153], 0
	scratch_load_b64 v[152:153], off, off offset:496
	s_waitcnt vmcnt(4)
	v_fma_f64 v[2:3], v[136:137], v[154:155], v[2:3]
	s_waitcnt lgkmcnt(0)
	s_delay_alu instid0(VALU_DEP_1) | instskip(SKIP_1) | instid1(VALU_DEP_1)
	v_fma_f64 v[2:3], v[138:139], v[156:157], v[2:3]
	s_waitcnt vmcnt(3)
	v_fma_f64 v[2:3], v[140:141], v[158:159], v[2:3]
	ds_load_2addr_b64 v[134:137], v1 offset0:121 offset1:122
	ds_load_2addr_b64 v[138:141], v1 offset0:123 offset1:124
	s_waitcnt lgkmcnt(1)
	v_fma_f64 v[2:3], v[142:143], v[134:135], v[2:3]
	s_waitcnt vmcnt(2)
	s_delay_alu instid0(VALU_DEP_1) | instskip(SKIP_1) | instid1(VALU_DEP_1)
	v_fma_f64 v[2:3], v[144:145], v[136:137], v[2:3]
	s_waitcnt lgkmcnt(0)
	v_fma_f64 v[2:3], v[146:147], v[138:139], v[2:3]
	s_waitcnt vmcnt(1)
	s_delay_alu instid0(VALU_DEP_1) | instskip(SKIP_4) | instid1(VALU_DEP_1)
	v_fma_f64 v[134:135], v[148:149], v[140:141], v[2:3]
	ds_load_2addr_b64 v[1:4], v1 offset0:125 offset1:126
	s_waitcnt lgkmcnt(0)
	v_fma_f64 v[1:2], v[150:151], v[1:2], v[134:135]
	s_waitcnt vmcnt(0)
	v_fma_f64 v[1:2], v[152:153], v[3:4], v[1:2]
	s_delay_alu instid0(VALU_DEP_1)
	v_add_f64 v[1:2], v[132:133], -v[1:2]
	scratch_store_b64 off, v[1:2], off offset:416
	v_cmpx_lt_u32_e32 51, v0
	s_cbranch_execz .LBB62_285
; %bb.284:
	scratch_load_b64 v[1:2], off, off offset:408
	v_mov_b32_e32 v3, 0
	s_delay_alu instid0(VALU_DEP_1)
	v_mov_b32_e32 v4, v3
	scratch_store_b64 off, v[3:4], off offset:408
	s_waitcnt vmcnt(0)
	ds_store_b64 v5, v[1:2]
.LBB62_285:
	s_or_b32 exec_lo, exec_lo, s0
	s_waitcnt lgkmcnt(0)
	s_waitcnt_vscnt null, 0x0
	s_barrier
	buffer_gl0_inv
	s_clause 0x4
	scratch_load_b128 v[132:135], off, off offset:408
	scratch_load_b128 v[136:139], off, off offset:424
	scratch_load_b128 v[140:143], off, off offset:440
	scratch_load_b128 v[144:147], off, off offset:456
	scratch_load_b128 v[148:151], off, off offset:472
	v_mov_b32_e32 v1, 0
	ds_load_b128 v[152:155], v1 offset:928
	ds_load_b128 v[156:159], v1 offset:944
	scratch_load_b128 v[160:163], off, off offset:488
	s_mov_b32 s0, exec_lo
	s_waitcnt vmcnt(5) lgkmcnt(1)
	v_fma_f64 v[2:3], v[134:135], v[152:153], 0
	s_waitcnt vmcnt(4)
	s_delay_alu instid0(VALU_DEP_1) | instskip(SKIP_1) | instid1(VALU_DEP_1)
	v_fma_f64 v[2:3], v[136:137], v[154:155], v[2:3]
	s_waitcnt lgkmcnt(0)
	v_fma_f64 v[2:3], v[138:139], v[156:157], v[2:3]
	s_waitcnt vmcnt(3)
	s_delay_alu instid0(VALU_DEP_1)
	v_fma_f64 v[2:3], v[140:141], v[158:159], v[2:3]
	ds_load_b128 v[134:137], v1 offset:960
	ds_load_b128 v[138:141], v1 offset:976
	s_waitcnt lgkmcnt(1)
	v_fma_f64 v[2:3], v[142:143], v[134:135], v[2:3]
	s_waitcnt vmcnt(2)
	s_delay_alu instid0(VALU_DEP_1) | instskip(SKIP_1) | instid1(VALU_DEP_1)
	v_fma_f64 v[2:3], v[144:145], v[136:137], v[2:3]
	s_waitcnt lgkmcnt(0)
	v_fma_f64 v[2:3], v[146:147], v[138:139], v[2:3]
	ds_load_b128 v[134:137], v1 offset:992
	ds_load_b64 v[138:139], v1 offset:1008
	s_waitcnt vmcnt(1)
	v_fma_f64 v[2:3], v[148:149], v[140:141], v[2:3]
	s_waitcnt lgkmcnt(1)
	s_delay_alu instid0(VALU_DEP_1) | instskip(SKIP_1) | instid1(VALU_DEP_1)
	v_fma_f64 v[2:3], v[150:151], v[134:135], v[2:3]
	s_waitcnt vmcnt(0)
	v_fma_f64 v[2:3], v[160:161], v[136:137], v[2:3]
	s_waitcnt lgkmcnt(0)
	s_delay_alu instid0(VALU_DEP_1) | instskip(NEXT) | instid1(VALU_DEP_1)
	v_fma_f64 v[2:3], v[162:163], v[138:139], v[2:3]
	v_add_f64 v[2:3], v[132:133], -v[2:3]
	scratch_store_b64 off, v[2:3], off offset:408
	v_cmpx_lt_u32_e32 50, v0
	s_cbranch_execz .LBB62_287
; %bb.286:
	scratch_load_b64 v[3:4], off, off offset:400
	v_mov_b32_e32 v2, v1
	scratch_store_b64 off, v[1:2], off offset:400
	s_waitcnt vmcnt(0)
	ds_store_b64 v5, v[3:4]
.LBB62_287:
	s_or_b32 exec_lo, exec_lo, s0
	s_waitcnt lgkmcnt(0)
	s_waitcnt_vscnt null, 0x0
	s_barrier
	buffer_gl0_inv
	s_clause 0x4
	scratch_load_b128 v[132:135], off, off offset:400
	scratch_load_b128 v[136:139], off, off offset:416
	;; [unrolled: 1-line block ×5, first 2 shown]
	ds_load_2addr_b64 v[152:155], v1 offset0:115 offset1:116
	ds_load_2addr_b64 v[156:159], v1 offset0:117 offset1:118
	scratch_load_b128 v[160:163], off, off offset:480
	s_mov_b32 s0, exec_lo
	s_waitcnt vmcnt(5) lgkmcnt(1)
	v_fma_f64 v[2:3], v[134:135], v[152:153], 0
	scratch_load_b64 v[152:153], off, off offset:496
	s_waitcnt vmcnt(5)
	v_fma_f64 v[2:3], v[136:137], v[154:155], v[2:3]
	s_waitcnt lgkmcnt(0)
	s_delay_alu instid0(VALU_DEP_1) | instskip(SKIP_1) | instid1(VALU_DEP_1)
	v_fma_f64 v[2:3], v[138:139], v[156:157], v[2:3]
	s_waitcnt vmcnt(4)
	v_fma_f64 v[2:3], v[140:141], v[158:159], v[2:3]
	ds_load_2addr_b64 v[134:137], v1 offset0:119 offset1:120
	ds_load_2addr_b64 v[138:141], v1 offset0:121 offset1:122
	s_waitcnt lgkmcnt(1)
	v_fma_f64 v[2:3], v[142:143], v[134:135], v[2:3]
	s_waitcnt vmcnt(3)
	s_delay_alu instid0(VALU_DEP_1) | instskip(SKIP_1) | instid1(VALU_DEP_1)
	v_fma_f64 v[2:3], v[144:145], v[136:137], v[2:3]
	s_waitcnt lgkmcnt(0)
	v_fma_f64 v[2:3], v[146:147], v[138:139], v[2:3]
	s_waitcnt vmcnt(2)
	s_delay_alu instid0(VALU_DEP_1)
	v_fma_f64 v[138:139], v[148:149], v[140:141], v[2:3]
	ds_load_2addr_b64 v[134:137], v1 offset0:123 offset1:124
	ds_load_2addr_b64 v[1:4], v1 offset0:125 offset1:126
	s_waitcnt lgkmcnt(1)
	v_fma_f64 v[134:135], v[150:151], v[134:135], v[138:139]
	s_waitcnt vmcnt(1)
	s_delay_alu instid0(VALU_DEP_1) | instskip(SKIP_1) | instid1(VALU_DEP_1)
	v_fma_f64 v[134:135], v[160:161], v[136:137], v[134:135]
	s_waitcnt lgkmcnt(0)
	v_fma_f64 v[1:2], v[162:163], v[1:2], v[134:135]
	s_waitcnt vmcnt(0)
	s_delay_alu instid0(VALU_DEP_1) | instskip(NEXT) | instid1(VALU_DEP_1)
	v_fma_f64 v[1:2], v[152:153], v[3:4], v[1:2]
	v_add_f64 v[1:2], v[132:133], -v[1:2]
	scratch_store_b64 off, v[1:2], off offset:400
	v_cmpx_lt_u32_e32 49, v0
	s_cbranch_execz .LBB62_289
; %bb.288:
	scratch_load_b64 v[1:2], off, off offset:392
	v_mov_b32_e32 v3, 0
	s_delay_alu instid0(VALU_DEP_1)
	v_mov_b32_e32 v4, v3
	scratch_store_b64 off, v[3:4], off offset:392
	s_waitcnt vmcnt(0)
	ds_store_b64 v5, v[1:2]
.LBB62_289:
	s_or_b32 exec_lo, exec_lo, s0
	s_waitcnt lgkmcnt(0)
	s_waitcnt_vscnt null, 0x0
	s_barrier
	buffer_gl0_inv
	s_clause 0x4
	scratch_load_b128 v[132:135], off, off offset:392
	scratch_load_b128 v[136:139], off, off offset:408
	;; [unrolled: 1-line block ×5, first 2 shown]
	v_mov_b32_e32 v1, 0
	ds_load_b128 v[152:155], v1 offset:912
	ds_load_b128 v[156:159], v1 offset:928
	scratch_load_b128 v[160:163], off, off offset:472
	s_mov_b32 s0, exec_lo
	s_waitcnt vmcnt(5) lgkmcnt(1)
	v_fma_f64 v[2:3], v[134:135], v[152:153], 0
	s_waitcnt vmcnt(4)
	s_delay_alu instid0(VALU_DEP_1) | instskip(SKIP_4) | instid1(VALU_DEP_1)
	v_fma_f64 v[2:3], v[136:137], v[154:155], v[2:3]
	scratch_load_b128 v[134:137], off, off offset:488
	s_waitcnt lgkmcnt(0)
	v_fma_f64 v[2:3], v[138:139], v[156:157], v[2:3]
	s_waitcnt vmcnt(4)
	v_fma_f64 v[2:3], v[140:141], v[158:159], v[2:3]
	ds_load_b128 v[138:141], v1 offset:944
	ds_load_b128 v[152:155], v1 offset:960
	s_waitcnt lgkmcnt(1)
	v_fma_f64 v[2:3], v[142:143], v[138:139], v[2:3]
	s_waitcnt vmcnt(3)
	s_delay_alu instid0(VALU_DEP_1)
	v_fma_f64 v[2:3], v[144:145], v[140:141], v[2:3]
	ds_load_b128 v[138:141], v1 offset:976
	ds_load_b128 v[142:145], v1 offset:992
	s_waitcnt lgkmcnt(2)
	v_fma_f64 v[2:3], v[146:147], v[152:153], v[2:3]
	s_waitcnt vmcnt(2)
	s_delay_alu instid0(VALU_DEP_1) | instskip(SKIP_1) | instid1(VALU_DEP_1)
	v_fma_f64 v[2:3], v[148:149], v[154:155], v[2:3]
	s_waitcnt lgkmcnt(1)
	v_fma_f64 v[2:3], v[150:151], v[138:139], v[2:3]
	s_waitcnt vmcnt(1)
	s_delay_alu instid0(VALU_DEP_1) | instskip(SKIP_1) | instid1(VALU_DEP_1)
	v_fma_f64 v[2:3], v[160:161], v[140:141], v[2:3]
	s_waitcnt lgkmcnt(0)
	v_fma_f64 v[2:3], v[162:163], v[142:143], v[2:3]
	s_waitcnt vmcnt(0)
	s_delay_alu instid0(VALU_DEP_1) | instskip(SKIP_3) | instid1(VALU_DEP_1)
	v_fma_f64 v[2:3], v[134:135], v[144:145], v[2:3]
	ds_load_b64 v[134:135], v1 offset:1008
	s_waitcnt lgkmcnt(0)
	v_fma_f64 v[2:3], v[136:137], v[134:135], v[2:3]
	v_add_f64 v[2:3], v[132:133], -v[2:3]
	scratch_store_b64 off, v[2:3], off offset:392
	v_cmpx_lt_u32_e32 48, v0
	s_cbranch_execz .LBB62_291
; %bb.290:
	scratch_load_b64 v[3:4], off, off offset:384
	v_mov_b32_e32 v2, v1
	scratch_store_b64 off, v[1:2], off offset:384
	s_waitcnt vmcnt(0)
	ds_store_b64 v5, v[3:4]
.LBB62_291:
	s_or_b32 exec_lo, exec_lo, s0
	s_waitcnt lgkmcnt(0)
	s_waitcnt_vscnt null, 0x0
	s_barrier
	buffer_gl0_inv
	s_clause 0x4
	scratch_load_b128 v[132:135], off, off offset:384
	scratch_load_b128 v[136:139], off, off offset:400
	;; [unrolled: 1-line block ×5, first 2 shown]
	ds_load_2addr_b64 v[152:155], v1 offset0:113 offset1:114
	ds_load_2addr_b64 v[156:159], v1 offset0:115 offset1:116
	scratch_load_b128 v[160:163], off, off offset:464
	s_mov_b32 s0, exec_lo
	s_waitcnt vmcnt(5) lgkmcnt(1)
	v_fma_f64 v[2:3], v[134:135], v[152:153], 0
	s_waitcnt vmcnt(4)
	s_delay_alu instid0(VALU_DEP_1) | instskip(SKIP_4) | instid1(VALU_DEP_1)
	v_fma_f64 v[2:3], v[136:137], v[154:155], v[2:3]
	scratch_load_b128 v[134:137], off, off offset:480
	s_waitcnt lgkmcnt(0)
	v_fma_f64 v[2:3], v[138:139], v[156:157], v[2:3]
	s_waitcnt vmcnt(4)
	v_fma_f64 v[2:3], v[140:141], v[158:159], v[2:3]
	ds_load_2addr_b64 v[138:141], v1 offset0:117 offset1:118
	ds_load_2addr_b64 v[152:155], v1 offset0:119 offset1:120
	scratch_load_b64 v[156:157], off, off offset:496
	s_waitcnt lgkmcnt(1)
	v_fma_f64 v[2:3], v[142:143], v[138:139], v[2:3]
	s_waitcnt vmcnt(4)
	s_delay_alu instid0(VALU_DEP_1)
	v_fma_f64 v[2:3], v[144:145], v[140:141], v[2:3]
	ds_load_2addr_b64 v[138:141], v1 offset0:121 offset1:122
	ds_load_2addr_b64 v[142:145], v1 offset0:123 offset1:124
	s_waitcnt lgkmcnt(2)
	v_fma_f64 v[2:3], v[146:147], v[152:153], v[2:3]
	s_waitcnt vmcnt(3)
	s_delay_alu instid0(VALU_DEP_1) | instskip(SKIP_1) | instid1(VALU_DEP_1)
	v_fma_f64 v[2:3], v[148:149], v[154:155], v[2:3]
	s_waitcnt lgkmcnt(1)
	v_fma_f64 v[2:3], v[150:151], v[138:139], v[2:3]
	s_waitcnt vmcnt(2)
	s_delay_alu instid0(VALU_DEP_1) | instskip(SKIP_1) | instid1(VALU_DEP_1)
	v_fma_f64 v[2:3], v[160:161], v[140:141], v[2:3]
	s_waitcnt lgkmcnt(0)
	v_fma_f64 v[2:3], v[162:163], v[142:143], v[2:3]
	s_waitcnt vmcnt(1)
	s_delay_alu instid0(VALU_DEP_1) | instskip(SKIP_4) | instid1(VALU_DEP_1)
	v_fma_f64 v[134:135], v[134:135], v[144:145], v[2:3]
	ds_load_2addr_b64 v[1:4], v1 offset0:125 offset1:126
	s_waitcnt lgkmcnt(0)
	v_fma_f64 v[1:2], v[136:137], v[1:2], v[134:135]
	s_waitcnt vmcnt(0)
	v_fma_f64 v[1:2], v[156:157], v[3:4], v[1:2]
	s_delay_alu instid0(VALU_DEP_1)
	v_add_f64 v[1:2], v[132:133], -v[1:2]
	scratch_store_b64 off, v[1:2], off offset:384
	v_cmpx_lt_u32_e32 47, v0
	s_cbranch_execz .LBB62_293
; %bb.292:
	scratch_load_b64 v[1:2], off, off offset:376
	v_mov_b32_e32 v3, 0
	s_delay_alu instid0(VALU_DEP_1)
	v_mov_b32_e32 v4, v3
	scratch_store_b64 off, v[3:4], off offset:376
	s_waitcnt vmcnt(0)
	ds_store_b64 v5, v[1:2]
.LBB62_293:
	s_or_b32 exec_lo, exec_lo, s0
	s_waitcnt lgkmcnt(0)
	s_waitcnt_vscnt null, 0x0
	s_barrier
	buffer_gl0_inv
	s_clause 0x4
	scratch_load_b128 v[132:135], off, off offset:376
	scratch_load_b128 v[136:139], off, off offset:392
	;; [unrolled: 1-line block ×5, first 2 shown]
	v_mov_b32_e32 v1, 0
	ds_load_b128 v[152:155], v1 offset:896
	ds_load_b128 v[156:159], v1 offset:912
	scratch_load_b128 v[160:163], off, off offset:456
	s_mov_b32 s0, exec_lo
	s_waitcnt vmcnt(5) lgkmcnt(1)
	v_fma_f64 v[2:3], v[134:135], v[152:153], 0
	s_waitcnt vmcnt(4)
	s_delay_alu instid0(VALU_DEP_1) | instskip(SKIP_4) | instid1(VALU_DEP_1)
	v_fma_f64 v[2:3], v[136:137], v[154:155], v[2:3]
	scratch_load_b128 v[134:137], off, off offset:472
	s_waitcnt lgkmcnt(0)
	v_fma_f64 v[2:3], v[138:139], v[156:157], v[2:3]
	s_waitcnt vmcnt(4)
	v_fma_f64 v[2:3], v[140:141], v[158:159], v[2:3]
	ds_load_b128 v[138:141], v1 offset:928
	ds_load_b128 v[152:155], v1 offset:944
	scratch_load_b128 v[156:159], off, off offset:488
	s_waitcnt lgkmcnt(1)
	v_fma_f64 v[2:3], v[142:143], v[138:139], v[2:3]
	s_waitcnt vmcnt(4)
	s_delay_alu instid0(VALU_DEP_1)
	v_fma_f64 v[2:3], v[144:145], v[140:141], v[2:3]
	ds_load_b128 v[138:141], v1 offset:960
	ds_load_b128 v[142:145], v1 offset:976
	s_waitcnt lgkmcnt(2)
	v_fma_f64 v[2:3], v[146:147], v[152:153], v[2:3]
	s_waitcnt vmcnt(3)
	s_delay_alu instid0(VALU_DEP_1) | instskip(SKIP_1) | instid1(VALU_DEP_1)
	v_fma_f64 v[2:3], v[148:149], v[154:155], v[2:3]
	s_waitcnt lgkmcnt(1)
	v_fma_f64 v[2:3], v[150:151], v[138:139], v[2:3]
	s_waitcnt vmcnt(2)
	s_delay_alu instid0(VALU_DEP_1) | instskip(SKIP_1) | instid1(VALU_DEP_1)
	v_fma_f64 v[2:3], v[160:161], v[140:141], v[2:3]
	s_waitcnt lgkmcnt(0)
	v_fma_f64 v[2:3], v[162:163], v[142:143], v[2:3]
	s_waitcnt vmcnt(1)
	s_delay_alu instid0(VALU_DEP_1)
	v_fma_f64 v[2:3], v[134:135], v[144:145], v[2:3]
	ds_load_b128 v[138:141], v1 offset:992
	ds_load_b64 v[134:135], v1 offset:1008
	s_waitcnt lgkmcnt(1)
	v_fma_f64 v[2:3], v[136:137], v[138:139], v[2:3]
	s_waitcnt vmcnt(0)
	s_delay_alu instid0(VALU_DEP_1) | instskip(SKIP_1) | instid1(VALU_DEP_1)
	v_fma_f64 v[2:3], v[156:157], v[140:141], v[2:3]
	s_waitcnt lgkmcnt(0)
	v_fma_f64 v[2:3], v[158:159], v[134:135], v[2:3]
	s_delay_alu instid0(VALU_DEP_1)
	v_add_f64 v[2:3], v[132:133], -v[2:3]
	scratch_store_b64 off, v[2:3], off offset:376
	v_cmpx_lt_u32_e32 46, v0
	s_cbranch_execz .LBB62_295
; %bb.294:
	scratch_load_b64 v[3:4], off, off offset:368
	v_mov_b32_e32 v2, v1
	scratch_store_b64 off, v[1:2], off offset:368
	s_waitcnt vmcnt(0)
	ds_store_b64 v5, v[3:4]
.LBB62_295:
	s_or_b32 exec_lo, exec_lo, s0
	s_waitcnt lgkmcnt(0)
	s_waitcnt_vscnt null, 0x0
	s_barrier
	buffer_gl0_inv
	s_clause 0x4
	scratch_load_b128 v[132:135], off, off offset:368
	scratch_load_b128 v[136:139], off, off offset:384
	;; [unrolled: 1-line block ×5, first 2 shown]
	ds_load_2addr_b64 v[152:155], v1 offset0:111 offset1:112
	ds_load_2addr_b64 v[156:159], v1 offset0:113 offset1:114
	scratch_load_b128 v[160:163], off, off offset:448
	s_mov_b32 s0, exec_lo
	s_waitcnt vmcnt(5) lgkmcnt(1)
	v_fma_f64 v[2:3], v[134:135], v[152:153], 0
	s_waitcnt vmcnt(4)
	s_delay_alu instid0(VALU_DEP_1) | instskip(SKIP_4) | instid1(VALU_DEP_1)
	v_fma_f64 v[2:3], v[136:137], v[154:155], v[2:3]
	scratch_load_b128 v[134:137], off, off offset:464
	s_waitcnt lgkmcnt(0)
	v_fma_f64 v[2:3], v[138:139], v[156:157], v[2:3]
	s_waitcnt vmcnt(4)
	v_fma_f64 v[2:3], v[140:141], v[158:159], v[2:3]
	ds_load_2addr_b64 v[138:141], v1 offset0:115 offset1:116
	ds_load_2addr_b64 v[152:155], v1 offset0:117 offset1:118
	scratch_load_b128 v[156:159], off, off offset:480
	s_waitcnt lgkmcnt(1)
	v_fma_f64 v[2:3], v[142:143], v[138:139], v[2:3]
	s_waitcnt vmcnt(4)
	s_delay_alu instid0(VALU_DEP_1) | instskip(SKIP_1) | instid1(VALU_DEP_1)
	v_fma_f64 v[2:3], v[144:145], v[140:141], v[2:3]
	s_waitcnt lgkmcnt(0)
	v_fma_f64 v[2:3], v[146:147], v[152:153], v[2:3]
	scratch_load_b64 v[146:147], off, off offset:496
	ds_load_2addr_b64 v[138:141], v1 offset0:119 offset1:120
	ds_load_2addr_b64 v[142:145], v1 offset0:121 offset1:122
	s_waitcnt vmcnt(4)
	v_fma_f64 v[2:3], v[148:149], v[154:155], v[2:3]
	s_waitcnt lgkmcnt(1)
	s_delay_alu instid0(VALU_DEP_1) | instskip(SKIP_1) | instid1(VALU_DEP_1)
	v_fma_f64 v[2:3], v[150:151], v[138:139], v[2:3]
	s_waitcnt vmcnt(3)
	v_fma_f64 v[2:3], v[160:161], v[140:141], v[2:3]
	s_waitcnt lgkmcnt(0)
	s_delay_alu instid0(VALU_DEP_1) | instskip(SKIP_1) | instid1(VALU_DEP_1)
	v_fma_f64 v[2:3], v[162:163], v[142:143], v[2:3]
	s_waitcnt vmcnt(2)
	v_fma_f64 v[134:135], v[134:135], v[144:145], v[2:3]
	ds_load_2addr_b64 v[138:141], v1 offset0:123 offset1:124
	ds_load_2addr_b64 v[1:4], v1 offset0:125 offset1:126
	s_waitcnt lgkmcnt(1)
	v_fma_f64 v[134:135], v[136:137], v[138:139], v[134:135]
	s_waitcnt vmcnt(1)
	s_delay_alu instid0(VALU_DEP_1) | instskip(SKIP_1) | instid1(VALU_DEP_1)
	v_fma_f64 v[134:135], v[156:157], v[140:141], v[134:135]
	s_waitcnt lgkmcnt(0)
	v_fma_f64 v[1:2], v[158:159], v[1:2], v[134:135]
	s_waitcnt vmcnt(0)
	s_delay_alu instid0(VALU_DEP_1) | instskip(NEXT) | instid1(VALU_DEP_1)
	v_fma_f64 v[1:2], v[146:147], v[3:4], v[1:2]
	v_add_f64 v[1:2], v[132:133], -v[1:2]
	scratch_store_b64 off, v[1:2], off offset:368
	v_cmpx_lt_u32_e32 45, v0
	s_cbranch_execz .LBB62_297
; %bb.296:
	scratch_load_b64 v[1:2], off, off offset:360
	v_mov_b32_e32 v3, 0
	s_delay_alu instid0(VALU_DEP_1)
	v_mov_b32_e32 v4, v3
	scratch_store_b64 off, v[3:4], off offset:360
	s_waitcnt vmcnt(0)
	ds_store_b64 v5, v[1:2]
.LBB62_297:
	s_or_b32 exec_lo, exec_lo, s0
	s_waitcnt lgkmcnt(0)
	s_waitcnt_vscnt null, 0x0
	s_barrier
	buffer_gl0_inv
	s_clause 0x4
	scratch_load_b128 v[132:135], off, off offset:360
	scratch_load_b128 v[136:139], off, off offset:376
	;; [unrolled: 1-line block ×5, first 2 shown]
	v_mov_b32_e32 v1, 0
	ds_load_b128 v[152:155], v1 offset:880
	ds_load_b128 v[156:159], v1 offset:896
	scratch_load_b128 v[160:163], off, off offset:440
	s_mov_b32 s0, exec_lo
	s_waitcnt vmcnt(5) lgkmcnt(1)
	v_fma_f64 v[2:3], v[134:135], v[152:153], 0
	s_waitcnt vmcnt(4)
	s_delay_alu instid0(VALU_DEP_1) | instskip(SKIP_4) | instid1(VALU_DEP_1)
	v_fma_f64 v[2:3], v[136:137], v[154:155], v[2:3]
	scratch_load_b128 v[134:137], off, off offset:456
	s_waitcnt lgkmcnt(0)
	v_fma_f64 v[2:3], v[138:139], v[156:157], v[2:3]
	s_waitcnt vmcnt(4)
	v_fma_f64 v[2:3], v[140:141], v[158:159], v[2:3]
	ds_load_b128 v[138:141], v1 offset:912
	ds_load_b128 v[152:155], v1 offset:928
	scratch_load_b128 v[156:159], off, off offset:472
	s_waitcnt lgkmcnt(1)
	v_fma_f64 v[2:3], v[142:143], v[138:139], v[2:3]
	s_waitcnt vmcnt(4)
	s_delay_alu instid0(VALU_DEP_1) | instskip(SKIP_4) | instid1(VALU_DEP_1)
	v_fma_f64 v[2:3], v[144:145], v[140:141], v[2:3]
	scratch_load_b128 v[138:141], off, off offset:488
	s_waitcnt lgkmcnt(0)
	v_fma_f64 v[2:3], v[146:147], v[152:153], v[2:3]
	s_waitcnt vmcnt(4)
	v_fma_f64 v[2:3], v[148:149], v[154:155], v[2:3]
	ds_load_b128 v[142:145], v1 offset:944
	ds_load_b128 v[146:149], v1 offset:960
	s_waitcnt lgkmcnt(1)
	v_fma_f64 v[2:3], v[150:151], v[142:143], v[2:3]
	s_waitcnt vmcnt(3)
	s_delay_alu instid0(VALU_DEP_1) | instskip(SKIP_1) | instid1(VALU_DEP_1)
	v_fma_f64 v[2:3], v[160:161], v[144:145], v[2:3]
	s_waitcnt lgkmcnt(0)
	v_fma_f64 v[2:3], v[162:163], v[146:147], v[2:3]
	s_waitcnt vmcnt(2)
	s_delay_alu instid0(VALU_DEP_1)
	v_fma_f64 v[2:3], v[134:135], v[148:149], v[2:3]
	ds_load_b128 v[142:145], v1 offset:976
	ds_load_b128 v[146:149], v1 offset:992
	ds_load_b64 v[134:135], v1 offset:1008
	s_waitcnt lgkmcnt(2)
	v_fma_f64 v[2:3], v[136:137], v[142:143], v[2:3]
	s_waitcnt vmcnt(1)
	s_delay_alu instid0(VALU_DEP_1) | instskip(SKIP_1) | instid1(VALU_DEP_1)
	v_fma_f64 v[2:3], v[156:157], v[144:145], v[2:3]
	s_waitcnt lgkmcnt(1)
	v_fma_f64 v[2:3], v[158:159], v[146:147], v[2:3]
	s_waitcnt vmcnt(0)
	s_delay_alu instid0(VALU_DEP_1) | instskip(SKIP_1) | instid1(VALU_DEP_1)
	v_fma_f64 v[2:3], v[138:139], v[148:149], v[2:3]
	s_waitcnt lgkmcnt(0)
	v_fma_f64 v[2:3], v[140:141], v[134:135], v[2:3]
	s_delay_alu instid0(VALU_DEP_1)
	v_add_f64 v[2:3], v[132:133], -v[2:3]
	scratch_store_b64 off, v[2:3], off offset:360
	v_cmpx_lt_u32_e32 44, v0
	s_cbranch_execz .LBB62_299
; %bb.298:
	scratch_load_b64 v[3:4], off, off offset:352
	v_mov_b32_e32 v2, v1
	scratch_store_b64 off, v[1:2], off offset:352
	s_waitcnt vmcnt(0)
	ds_store_b64 v5, v[3:4]
.LBB62_299:
	s_or_b32 exec_lo, exec_lo, s0
	s_waitcnt lgkmcnt(0)
	s_waitcnt_vscnt null, 0x0
	s_barrier
	buffer_gl0_inv
	s_clause 0x4
	scratch_load_b128 v[132:135], off, off offset:352
	scratch_load_b128 v[136:139], off, off offset:368
	scratch_load_b128 v[140:143], off, off offset:384
	scratch_load_b128 v[144:147], off, off offset:400
	scratch_load_b128 v[148:151], off, off offset:416
	ds_load_2addr_b64 v[152:155], v1 offset0:109 offset1:110
	ds_load_2addr_b64 v[156:159], v1 offset0:111 offset1:112
	scratch_load_b128 v[160:163], off, off offset:432
	s_mov_b32 s0, exec_lo
	s_waitcnt vmcnt(5) lgkmcnt(1)
	v_fma_f64 v[2:3], v[134:135], v[152:153], 0
	s_waitcnt vmcnt(4)
	s_delay_alu instid0(VALU_DEP_1) | instskip(SKIP_4) | instid1(VALU_DEP_1)
	v_fma_f64 v[2:3], v[136:137], v[154:155], v[2:3]
	scratch_load_b128 v[134:137], off, off offset:448
	s_waitcnt lgkmcnt(0)
	v_fma_f64 v[2:3], v[138:139], v[156:157], v[2:3]
	s_waitcnt vmcnt(4)
	v_fma_f64 v[2:3], v[140:141], v[158:159], v[2:3]
	ds_load_2addr_b64 v[138:141], v1 offset0:113 offset1:114
	ds_load_2addr_b64 v[152:155], v1 offset0:115 offset1:116
	scratch_load_b128 v[156:159], off, off offset:464
	s_waitcnt lgkmcnt(1)
	v_fma_f64 v[2:3], v[142:143], v[138:139], v[2:3]
	s_waitcnt vmcnt(4)
	s_delay_alu instid0(VALU_DEP_1) | instskip(SKIP_4) | instid1(VALU_DEP_1)
	v_fma_f64 v[2:3], v[144:145], v[140:141], v[2:3]
	scratch_load_b128 v[138:141], off, off offset:480
	s_waitcnt lgkmcnt(0)
	v_fma_f64 v[2:3], v[146:147], v[152:153], v[2:3]
	s_waitcnt vmcnt(4)
	v_fma_f64 v[2:3], v[148:149], v[154:155], v[2:3]
	ds_load_2addr_b64 v[142:145], v1 offset0:117 offset1:118
	ds_load_2addr_b64 v[146:149], v1 offset0:119 offset1:120
	s_waitcnt lgkmcnt(1)
	v_fma_f64 v[2:3], v[150:151], v[142:143], v[2:3]
	scratch_load_b64 v[150:151], off, off offset:496
	s_waitcnt vmcnt(4)
	v_fma_f64 v[2:3], v[160:161], v[144:145], v[2:3]
	s_waitcnt lgkmcnt(0)
	s_delay_alu instid0(VALU_DEP_1) | instskip(SKIP_1) | instid1(VALU_DEP_1)
	v_fma_f64 v[2:3], v[162:163], v[146:147], v[2:3]
	s_waitcnt vmcnt(3)
	v_fma_f64 v[2:3], v[134:135], v[148:149], v[2:3]
	ds_load_2addr_b64 v[142:145], v1 offset0:121 offset1:122
	ds_load_2addr_b64 v[146:149], v1 offset0:123 offset1:124
	s_waitcnt lgkmcnt(1)
	v_fma_f64 v[2:3], v[136:137], v[142:143], v[2:3]
	s_waitcnt vmcnt(2)
	s_delay_alu instid0(VALU_DEP_1) | instskip(SKIP_1) | instid1(VALU_DEP_1)
	v_fma_f64 v[2:3], v[156:157], v[144:145], v[2:3]
	s_waitcnt lgkmcnt(0)
	v_fma_f64 v[2:3], v[158:159], v[146:147], v[2:3]
	s_waitcnt vmcnt(1)
	s_delay_alu instid0(VALU_DEP_1) | instskip(SKIP_4) | instid1(VALU_DEP_1)
	v_fma_f64 v[134:135], v[138:139], v[148:149], v[2:3]
	ds_load_2addr_b64 v[1:4], v1 offset0:125 offset1:126
	s_waitcnt lgkmcnt(0)
	v_fma_f64 v[1:2], v[140:141], v[1:2], v[134:135]
	s_waitcnt vmcnt(0)
	v_fma_f64 v[1:2], v[150:151], v[3:4], v[1:2]
	s_delay_alu instid0(VALU_DEP_1)
	v_add_f64 v[1:2], v[132:133], -v[1:2]
	scratch_store_b64 off, v[1:2], off offset:352
	v_cmpx_lt_u32_e32 43, v0
	s_cbranch_execz .LBB62_301
; %bb.300:
	scratch_load_b64 v[1:2], off, off offset:344
	v_mov_b32_e32 v3, 0
	s_delay_alu instid0(VALU_DEP_1)
	v_mov_b32_e32 v4, v3
	scratch_store_b64 off, v[3:4], off offset:344
	s_waitcnt vmcnt(0)
	ds_store_b64 v5, v[1:2]
.LBB62_301:
	s_or_b32 exec_lo, exec_lo, s0
	s_waitcnt lgkmcnt(0)
	s_waitcnt_vscnt null, 0x0
	s_barrier
	buffer_gl0_inv
	s_clause 0x4
	scratch_load_b128 v[132:135], off, off offset:344
	scratch_load_b128 v[136:139], off, off offset:360
	;; [unrolled: 1-line block ×5, first 2 shown]
	v_mov_b32_e32 v1, 0
	ds_load_b128 v[152:155], v1 offset:864
	ds_load_b128 v[156:159], v1 offset:880
	scratch_load_b128 v[160:163], off, off offset:424
	s_mov_b32 s0, exec_lo
	s_waitcnt vmcnt(5) lgkmcnt(1)
	v_fma_f64 v[2:3], v[134:135], v[152:153], 0
	s_waitcnt vmcnt(4)
	s_delay_alu instid0(VALU_DEP_1) | instskip(SKIP_4) | instid1(VALU_DEP_1)
	v_fma_f64 v[2:3], v[136:137], v[154:155], v[2:3]
	scratch_load_b128 v[134:137], off, off offset:440
	s_waitcnt lgkmcnt(0)
	v_fma_f64 v[2:3], v[138:139], v[156:157], v[2:3]
	s_waitcnt vmcnt(4)
	v_fma_f64 v[2:3], v[140:141], v[158:159], v[2:3]
	ds_load_b128 v[138:141], v1 offset:896
	ds_load_b128 v[152:155], v1 offset:912
	scratch_load_b128 v[156:159], off, off offset:456
	s_waitcnt lgkmcnt(1)
	v_fma_f64 v[2:3], v[142:143], v[138:139], v[2:3]
	s_waitcnt vmcnt(4)
	s_delay_alu instid0(VALU_DEP_1) | instskip(SKIP_4) | instid1(VALU_DEP_1)
	v_fma_f64 v[2:3], v[144:145], v[140:141], v[2:3]
	scratch_load_b128 v[138:141], off, off offset:472
	s_waitcnt lgkmcnt(0)
	v_fma_f64 v[2:3], v[146:147], v[152:153], v[2:3]
	s_waitcnt vmcnt(4)
	v_fma_f64 v[2:3], v[148:149], v[154:155], v[2:3]
	ds_load_b128 v[142:145], v1 offset:928
	ds_load_b128 v[146:149], v1 offset:944
	s_waitcnt lgkmcnt(1)
	v_fma_f64 v[2:3], v[150:151], v[142:143], v[2:3]
	scratch_load_b128 v[150:153], off, off offset:488
	s_waitcnt vmcnt(4)
	v_fma_f64 v[2:3], v[160:161], v[144:145], v[2:3]
	s_waitcnt lgkmcnt(0)
	s_delay_alu instid0(VALU_DEP_1) | instskip(SKIP_1) | instid1(VALU_DEP_1)
	v_fma_f64 v[2:3], v[162:163], v[146:147], v[2:3]
	s_waitcnt vmcnt(3)
	v_fma_f64 v[2:3], v[134:135], v[148:149], v[2:3]
	ds_load_b128 v[142:145], v1 offset:960
	ds_load_b128 v[146:149], v1 offset:976
	s_waitcnt lgkmcnt(1)
	v_fma_f64 v[2:3], v[136:137], v[142:143], v[2:3]
	s_waitcnt vmcnt(2)
	s_delay_alu instid0(VALU_DEP_1) | instskip(SKIP_1) | instid1(VALU_DEP_1)
	v_fma_f64 v[2:3], v[156:157], v[144:145], v[2:3]
	s_waitcnt lgkmcnt(0)
	v_fma_f64 v[2:3], v[158:159], v[146:147], v[2:3]
	s_waitcnt vmcnt(1)
	s_delay_alu instid0(VALU_DEP_1)
	v_fma_f64 v[2:3], v[138:139], v[148:149], v[2:3]
	ds_load_b128 v[134:137], v1 offset:992
	ds_load_b64 v[138:139], v1 offset:1008
	s_waitcnt lgkmcnt(1)
	v_fma_f64 v[2:3], v[140:141], v[134:135], v[2:3]
	s_waitcnt vmcnt(0)
	s_delay_alu instid0(VALU_DEP_1) | instskip(SKIP_1) | instid1(VALU_DEP_1)
	v_fma_f64 v[2:3], v[150:151], v[136:137], v[2:3]
	s_waitcnt lgkmcnt(0)
	v_fma_f64 v[2:3], v[152:153], v[138:139], v[2:3]
	s_delay_alu instid0(VALU_DEP_1)
	v_add_f64 v[2:3], v[132:133], -v[2:3]
	scratch_store_b64 off, v[2:3], off offset:344
	v_cmpx_lt_u32_e32 42, v0
	s_cbranch_execz .LBB62_303
; %bb.302:
	scratch_load_b64 v[3:4], off, off offset:336
	v_mov_b32_e32 v2, v1
	scratch_store_b64 off, v[1:2], off offset:336
	s_waitcnt vmcnt(0)
	ds_store_b64 v5, v[3:4]
.LBB62_303:
	s_or_b32 exec_lo, exec_lo, s0
	s_waitcnt lgkmcnt(0)
	s_waitcnt_vscnt null, 0x0
	s_barrier
	buffer_gl0_inv
	s_clause 0x4
	scratch_load_b128 v[132:135], off, off offset:336
	scratch_load_b128 v[136:139], off, off offset:352
	;; [unrolled: 1-line block ×5, first 2 shown]
	ds_load_2addr_b64 v[152:155], v1 offset0:107 offset1:108
	ds_load_2addr_b64 v[156:159], v1 offset0:109 offset1:110
	scratch_load_b128 v[160:163], off, off offset:416
	s_mov_b32 s0, exec_lo
	s_waitcnt vmcnt(5) lgkmcnt(1)
	v_fma_f64 v[2:3], v[134:135], v[152:153], 0
	s_waitcnt vmcnt(4)
	s_delay_alu instid0(VALU_DEP_1) | instskip(SKIP_4) | instid1(VALU_DEP_1)
	v_fma_f64 v[2:3], v[136:137], v[154:155], v[2:3]
	scratch_load_b128 v[134:137], off, off offset:432
	s_waitcnt lgkmcnt(0)
	v_fma_f64 v[2:3], v[138:139], v[156:157], v[2:3]
	s_waitcnt vmcnt(4)
	v_fma_f64 v[2:3], v[140:141], v[158:159], v[2:3]
	ds_load_2addr_b64 v[138:141], v1 offset0:111 offset1:112
	ds_load_2addr_b64 v[152:155], v1 offset0:113 offset1:114
	scratch_load_b128 v[156:159], off, off offset:448
	s_waitcnt lgkmcnt(1)
	v_fma_f64 v[2:3], v[142:143], v[138:139], v[2:3]
	s_waitcnt vmcnt(4)
	s_delay_alu instid0(VALU_DEP_1) | instskip(SKIP_4) | instid1(VALU_DEP_1)
	v_fma_f64 v[2:3], v[144:145], v[140:141], v[2:3]
	scratch_load_b128 v[138:141], off, off offset:464
	s_waitcnt lgkmcnt(0)
	v_fma_f64 v[2:3], v[146:147], v[152:153], v[2:3]
	s_waitcnt vmcnt(4)
	v_fma_f64 v[2:3], v[148:149], v[154:155], v[2:3]
	ds_load_2addr_b64 v[142:145], v1 offset0:115 offset1:116
	ds_load_2addr_b64 v[146:149], v1 offset0:117 offset1:118
	scratch_load_b64 v[154:155], off, off offset:496
	s_waitcnt lgkmcnt(1)
	v_fma_f64 v[2:3], v[150:151], v[142:143], v[2:3]
	scratch_load_b128 v[150:153], off, off offset:480
	s_waitcnt vmcnt(5)
	v_fma_f64 v[2:3], v[160:161], v[144:145], v[2:3]
	s_waitcnt lgkmcnt(0)
	s_delay_alu instid0(VALU_DEP_1) | instskip(SKIP_1) | instid1(VALU_DEP_1)
	v_fma_f64 v[2:3], v[162:163], v[146:147], v[2:3]
	s_waitcnt vmcnt(4)
	v_fma_f64 v[2:3], v[134:135], v[148:149], v[2:3]
	ds_load_2addr_b64 v[142:145], v1 offset0:119 offset1:120
	ds_load_2addr_b64 v[146:149], v1 offset0:121 offset1:122
	s_waitcnt lgkmcnt(1)
	v_fma_f64 v[2:3], v[136:137], v[142:143], v[2:3]
	s_waitcnt vmcnt(3)
	s_delay_alu instid0(VALU_DEP_1) | instskip(SKIP_1) | instid1(VALU_DEP_1)
	v_fma_f64 v[2:3], v[156:157], v[144:145], v[2:3]
	s_waitcnt lgkmcnt(0)
	v_fma_f64 v[2:3], v[158:159], v[146:147], v[2:3]
	s_waitcnt vmcnt(2)
	s_delay_alu instid0(VALU_DEP_1)
	v_fma_f64 v[138:139], v[138:139], v[148:149], v[2:3]
	ds_load_2addr_b64 v[134:137], v1 offset0:123 offset1:124
	ds_load_2addr_b64 v[1:4], v1 offset0:125 offset1:126
	s_waitcnt lgkmcnt(1)
	v_fma_f64 v[134:135], v[140:141], v[134:135], v[138:139]
	s_waitcnt vmcnt(0)
	s_delay_alu instid0(VALU_DEP_1) | instskip(SKIP_1) | instid1(VALU_DEP_1)
	v_fma_f64 v[134:135], v[150:151], v[136:137], v[134:135]
	s_waitcnt lgkmcnt(0)
	v_fma_f64 v[1:2], v[152:153], v[1:2], v[134:135]
	s_delay_alu instid0(VALU_DEP_1) | instskip(NEXT) | instid1(VALU_DEP_1)
	v_fma_f64 v[1:2], v[154:155], v[3:4], v[1:2]
	v_add_f64 v[1:2], v[132:133], -v[1:2]
	scratch_store_b64 off, v[1:2], off offset:336
	v_cmpx_lt_u32_e32 41, v0
	s_cbranch_execz .LBB62_305
; %bb.304:
	scratch_load_b64 v[1:2], off, off offset:328
	v_mov_b32_e32 v3, 0
	s_delay_alu instid0(VALU_DEP_1)
	v_mov_b32_e32 v4, v3
	scratch_store_b64 off, v[3:4], off offset:328
	s_waitcnt vmcnt(0)
	ds_store_b64 v5, v[1:2]
.LBB62_305:
	s_or_b32 exec_lo, exec_lo, s0
	s_waitcnt lgkmcnt(0)
	s_waitcnt_vscnt null, 0x0
	s_barrier
	buffer_gl0_inv
	s_clause 0x4
	scratch_load_b128 v[132:135], off, off offset:328
	scratch_load_b128 v[136:139], off, off offset:344
	;; [unrolled: 1-line block ×5, first 2 shown]
	v_mov_b32_e32 v1, 0
	ds_load_b128 v[152:155], v1 offset:848
	ds_load_b128 v[156:159], v1 offset:864
	scratch_load_b128 v[160:163], off, off offset:408
	s_mov_b32 s0, exec_lo
	s_waitcnt vmcnt(5) lgkmcnt(1)
	v_fma_f64 v[2:3], v[134:135], v[152:153], 0
	s_waitcnt vmcnt(4)
	s_delay_alu instid0(VALU_DEP_1) | instskip(SKIP_4) | instid1(VALU_DEP_1)
	v_fma_f64 v[2:3], v[136:137], v[154:155], v[2:3]
	scratch_load_b128 v[134:137], off, off offset:424
	s_waitcnt lgkmcnt(0)
	v_fma_f64 v[2:3], v[138:139], v[156:157], v[2:3]
	s_waitcnt vmcnt(4)
	v_fma_f64 v[2:3], v[140:141], v[158:159], v[2:3]
	ds_load_b128 v[138:141], v1 offset:880
	ds_load_b128 v[152:155], v1 offset:896
	scratch_load_b128 v[156:159], off, off offset:440
	s_waitcnt lgkmcnt(1)
	v_fma_f64 v[2:3], v[142:143], v[138:139], v[2:3]
	s_waitcnt vmcnt(4)
	s_delay_alu instid0(VALU_DEP_1) | instskip(SKIP_4) | instid1(VALU_DEP_1)
	v_fma_f64 v[2:3], v[144:145], v[140:141], v[2:3]
	scratch_load_b128 v[138:141], off, off offset:456
	s_waitcnt lgkmcnt(0)
	v_fma_f64 v[2:3], v[146:147], v[152:153], v[2:3]
	s_waitcnt vmcnt(4)
	v_fma_f64 v[2:3], v[148:149], v[154:155], v[2:3]
	ds_load_b128 v[142:145], v1 offset:912
	ds_load_b128 v[146:149], v1 offset:928
	s_waitcnt lgkmcnt(1)
	v_fma_f64 v[2:3], v[150:151], v[142:143], v[2:3]
	scratch_load_b128 v[150:153], off, off offset:472
	s_waitcnt vmcnt(4)
	v_fma_f64 v[2:3], v[160:161], v[144:145], v[2:3]
	scratch_load_b128 v[142:145], off, off offset:488
	s_waitcnt lgkmcnt(0)
	v_fma_f64 v[2:3], v[162:163], v[146:147], v[2:3]
	s_waitcnt vmcnt(4)
	s_delay_alu instid0(VALU_DEP_1)
	v_fma_f64 v[2:3], v[134:135], v[148:149], v[2:3]
	ds_load_b128 v[146:149], v1 offset:944
	ds_load_b128 v[160:163], v1 offset:960
	s_waitcnt lgkmcnt(1)
	v_fma_f64 v[2:3], v[136:137], v[146:147], v[2:3]
	s_waitcnt vmcnt(3)
	s_delay_alu instid0(VALU_DEP_1)
	v_fma_f64 v[2:3], v[156:157], v[148:149], v[2:3]
	ds_load_b128 v[134:137], v1 offset:976
	ds_load_b128 v[146:149], v1 offset:992
	s_waitcnt lgkmcnt(2)
	v_fma_f64 v[2:3], v[158:159], v[160:161], v[2:3]
	s_waitcnt vmcnt(2)
	s_delay_alu instid0(VALU_DEP_1) | instskip(SKIP_1) | instid1(VALU_DEP_1)
	v_fma_f64 v[2:3], v[138:139], v[162:163], v[2:3]
	s_waitcnt lgkmcnt(1)
	v_fma_f64 v[2:3], v[140:141], v[134:135], v[2:3]
	ds_load_b64 v[134:135], v1 offset:1008
	s_waitcnt vmcnt(1)
	v_fma_f64 v[2:3], v[150:151], v[136:137], v[2:3]
	s_waitcnt lgkmcnt(1)
	s_delay_alu instid0(VALU_DEP_1) | instskip(SKIP_1) | instid1(VALU_DEP_1)
	v_fma_f64 v[2:3], v[152:153], v[146:147], v[2:3]
	s_waitcnt vmcnt(0)
	v_fma_f64 v[2:3], v[142:143], v[148:149], v[2:3]
	s_waitcnt lgkmcnt(0)
	s_delay_alu instid0(VALU_DEP_1) | instskip(NEXT) | instid1(VALU_DEP_1)
	v_fma_f64 v[2:3], v[144:145], v[134:135], v[2:3]
	v_add_f64 v[2:3], v[132:133], -v[2:3]
	scratch_store_b64 off, v[2:3], off offset:328
	v_cmpx_lt_u32_e32 40, v0
	s_cbranch_execz .LBB62_307
; %bb.306:
	scratch_load_b64 v[3:4], off, off offset:320
	v_mov_b32_e32 v2, v1
	scratch_store_b64 off, v[1:2], off offset:320
	s_waitcnt vmcnt(0)
	ds_store_b64 v5, v[3:4]
.LBB62_307:
	s_or_b32 exec_lo, exec_lo, s0
	s_waitcnt lgkmcnt(0)
	s_waitcnt_vscnt null, 0x0
	s_barrier
	buffer_gl0_inv
	s_clause 0x4
	scratch_load_b128 v[132:135], off, off offset:320
	scratch_load_b128 v[136:139], off, off offset:336
	scratch_load_b128 v[140:143], off, off offset:352
	scratch_load_b128 v[144:147], off, off offset:368
	scratch_load_b128 v[148:151], off, off offset:384
	ds_load_2addr_b64 v[152:155], v1 offset0:105 offset1:106
	ds_load_2addr_b64 v[156:159], v1 offset0:107 offset1:108
	scratch_load_b128 v[160:163], off, off offset:400
	s_mov_b32 s0, exec_lo
	s_waitcnt vmcnt(5) lgkmcnt(1)
	v_fma_f64 v[2:3], v[134:135], v[152:153], 0
	s_waitcnt vmcnt(4)
	s_delay_alu instid0(VALU_DEP_1) | instskip(SKIP_4) | instid1(VALU_DEP_1)
	v_fma_f64 v[2:3], v[136:137], v[154:155], v[2:3]
	scratch_load_b128 v[134:137], off, off offset:416
	s_waitcnt lgkmcnt(0)
	v_fma_f64 v[2:3], v[138:139], v[156:157], v[2:3]
	s_waitcnt vmcnt(4)
	v_fma_f64 v[2:3], v[140:141], v[158:159], v[2:3]
	ds_load_2addr_b64 v[138:141], v1 offset0:109 offset1:110
	ds_load_2addr_b64 v[152:155], v1 offset0:111 offset1:112
	scratch_load_b128 v[156:159], off, off offset:432
	s_waitcnt lgkmcnt(1)
	v_fma_f64 v[2:3], v[142:143], v[138:139], v[2:3]
	s_waitcnt vmcnt(4)
	s_delay_alu instid0(VALU_DEP_1) | instskip(SKIP_4) | instid1(VALU_DEP_1)
	v_fma_f64 v[2:3], v[144:145], v[140:141], v[2:3]
	scratch_load_b128 v[138:141], off, off offset:448
	s_waitcnt lgkmcnt(0)
	v_fma_f64 v[2:3], v[146:147], v[152:153], v[2:3]
	s_waitcnt vmcnt(4)
	v_fma_f64 v[2:3], v[148:149], v[154:155], v[2:3]
	ds_load_2addr_b64 v[142:145], v1 offset0:113 offset1:114
	ds_load_2addr_b64 v[146:149], v1 offset0:115 offset1:116
	s_waitcnt lgkmcnt(1)
	v_fma_f64 v[2:3], v[150:151], v[142:143], v[2:3]
	scratch_load_b128 v[150:153], off, off offset:464
	s_waitcnt vmcnt(4)
	v_fma_f64 v[2:3], v[160:161], v[144:145], v[2:3]
	scratch_load_b128 v[142:145], off, off offset:480
	s_waitcnt lgkmcnt(0)
	v_fma_f64 v[2:3], v[162:163], v[146:147], v[2:3]
	s_waitcnt vmcnt(4)
	s_delay_alu instid0(VALU_DEP_1)
	v_fma_f64 v[2:3], v[134:135], v[148:149], v[2:3]
	ds_load_2addr_b64 v[146:149], v1 offset0:117 offset1:118
	ds_load_2addr_b64 v[160:163], v1 offset0:119 offset1:120
	scratch_load_b64 v[154:155], off, off offset:496
	s_waitcnt lgkmcnt(1)
	v_fma_f64 v[2:3], v[136:137], v[146:147], v[2:3]
	s_waitcnt vmcnt(4)
	s_delay_alu instid0(VALU_DEP_1)
	v_fma_f64 v[2:3], v[156:157], v[148:149], v[2:3]
	ds_load_2addr_b64 v[134:137], v1 offset0:121 offset1:122
	ds_load_2addr_b64 v[146:149], v1 offset0:123 offset1:124
	s_waitcnt lgkmcnt(2)
	v_fma_f64 v[2:3], v[158:159], v[160:161], v[2:3]
	s_waitcnt vmcnt(3)
	s_delay_alu instid0(VALU_DEP_1) | instskip(SKIP_1) | instid1(VALU_DEP_1)
	v_fma_f64 v[2:3], v[138:139], v[162:163], v[2:3]
	s_waitcnt lgkmcnt(1)
	v_fma_f64 v[2:3], v[140:141], v[134:135], v[2:3]
	s_waitcnt vmcnt(2)
	s_delay_alu instid0(VALU_DEP_1) | instskip(SKIP_1) | instid1(VALU_DEP_1)
	v_fma_f64 v[2:3], v[150:151], v[136:137], v[2:3]
	s_waitcnt lgkmcnt(0)
	v_fma_f64 v[2:3], v[152:153], v[146:147], v[2:3]
	s_waitcnt vmcnt(1)
	s_delay_alu instid0(VALU_DEP_1) | instskip(SKIP_4) | instid1(VALU_DEP_1)
	v_fma_f64 v[134:135], v[142:143], v[148:149], v[2:3]
	ds_load_2addr_b64 v[1:4], v1 offset0:125 offset1:126
	s_waitcnt lgkmcnt(0)
	v_fma_f64 v[1:2], v[144:145], v[1:2], v[134:135]
	s_waitcnt vmcnt(0)
	v_fma_f64 v[1:2], v[154:155], v[3:4], v[1:2]
	s_delay_alu instid0(VALU_DEP_1)
	v_add_f64 v[1:2], v[132:133], -v[1:2]
	scratch_store_b64 off, v[1:2], off offset:320
	v_cmpx_lt_u32_e32 39, v0
	s_cbranch_execz .LBB62_309
; %bb.308:
	scratch_load_b64 v[1:2], off, off offset:312
	v_mov_b32_e32 v3, 0
	s_delay_alu instid0(VALU_DEP_1)
	v_mov_b32_e32 v4, v3
	scratch_store_b64 off, v[3:4], off offset:312
	s_waitcnt vmcnt(0)
	ds_store_b64 v5, v[1:2]
.LBB62_309:
	s_or_b32 exec_lo, exec_lo, s0
	s_waitcnt lgkmcnt(0)
	s_waitcnt_vscnt null, 0x0
	s_barrier
	buffer_gl0_inv
	s_clause 0x4
	scratch_load_b128 v[132:135], off, off offset:312
	scratch_load_b128 v[136:139], off, off offset:328
	;; [unrolled: 1-line block ×5, first 2 shown]
	v_mov_b32_e32 v1, 0
	ds_load_b128 v[152:155], v1 offset:832
	ds_load_b128 v[156:159], v1 offset:848
	scratch_load_b128 v[160:163], off, off offset:392
	s_mov_b32 s0, exec_lo
	s_waitcnt vmcnt(5) lgkmcnt(1)
	v_fma_f64 v[2:3], v[134:135], v[152:153], 0
	s_waitcnt vmcnt(4)
	s_delay_alu instid0(VALU_DEP_1) | instskip(SKIP_4) | instid1(VALU_DEP_1)
	v_fma_f64 v[2:3], v[136:137], v[154:155], v[2:3]
	scratch_load_b128 v[134:137], off, off offset:408
	s_waitcnt lgkmcnt(0)
	v_fma_f64 v[2:3], v[138:139], v[156:157], v[2:3]
	s_waitcnt vmcnt(4)
	v_fma_f64 v[2:3], v[140:141], v[158:159], v[2:3]
	ds_load_b128 v[138:141], v1 offset:864
	ds_load_b128 v[152:155], v1 offset:880
	scratch_load_b128 v[156:159], off, off offset:424
	s_waitcnt lgkmcnt(1)
	v_fma_f64 v[2:3], v[142:143], v[138:139], v[2:3]
	s_waitcnt vmcnt(4)
	s_delay_alu instid0(VALU_DEP_1) | instskip(SKIP_4) | instid1(VALU_DEP_1)
	v_fma_f64 v[2:3], v[144:145], v[140:141], v[2:3]
	scratch_load_b128 v[138:141], off, off offset:440
	s_waitcnt lgkmcnt(0)
	v_fma_f64 v[2:3], v[146:147], v[152:153], v[2:3]
	s_waitcnt vmcnt(4)
	v_fma_f64 v[2:3], v[148:149], v[154:155], v[2:3]
	ds_load_b128 v[142:145], v1 offset:896
	ds_load_b128 v[146:149], v1 offset:912
	s_waitcnt lgkmcnt(1)
	v_fma_f64 v[2:3], v[150:151], v[142:143], v[2:3]
	scratch_load_b128 v[150:153], off, off offset:456
	s_waitcnt vmcnt(4)
	v_fma_f64 v[2:3], v[160:161], v[144:145], v[2:3]
	scratch_load_b128 v[142:145], off, off offset:472
	s_waitcnt lgkmcnt(0)
	v_fma_f64 v[2:3], v[162:163], v[146:147], v[2:3]
	s_waitcnt vmcnt(4)
	s_delay_alu instid0(VALU_DEP_1)
	v_fma_f64 v[2:3], v[134:135], v[148:149], v[2:3]
	ds_load_b128 v[146:149], v1 offset:928
	ds_load_b128 v[160:163], v1 offset:944
	s_waitcnt lgkmcnt(1)
	v_fma_f64 v[2:3], v[136:137], v[146:147], v[2:3]
	scratch_load_b128 v[134:137], off, off offset:488
	s_waitcnt vmcnt(4)
	v_fma_f64 v[2:3], v[156:157], v[148:149], v[2:3]
	ds_load_b128 v[146:149], v1 offset:960
	ds_load_b128 v[154:157], v1 offset:976
	s_waitcnt lgkmcnt(2)
	v_fma_f64 v[2:3], v[158:159], v[160:161], v[2:3]
	s_waitcnt vmcnt(3)
	s_delay_alu instid0(VALU_DEP_1) | instskip(SKIP_1) | instid1(VALU_DEP_1)
	v_fma_f64 v[2:3], v[138:139], v[162:163], v[2:3]
	s_waitcnt lgkmcnt(1)
	v_fma_f64 v[2:3], v[140:141], v[146:147], v[2:3]
	s_waitcnt vmcnt(2)
	s_delay_alu instid0(VALU_DEP_1) | instskip(SKIP_1) | instid1(VALU_DEP_1)
	v_fma_f64 v[2:3], v[150:151], v[148:149], v[2:3]
	s_waitcnt lgkmcnt(0)
	v_fma_f64 v[2:3], v[152:153], v[154:155], v[2:3]
	s_waitcnt vmcnt(1)
	s_delay_alu instid0(VALU_DEP_1)
	v_fma_f64 v[2:3], v[142:143], v[156:157], v[2:3]
	ds_load_b128 v[138:141], v1 offset:992
	ds_load_b64 v[142:143], v1 offset:1008
	s_waitcnt lgkmcnt(1)
	v_fma_f64 v[2:3], v[144:145], v[138:139], v[2:3]
	s_waitcnt vmcnt(0)
	s_delay_alu instid0(VALU_DEP_1) | instskip(SKIP_1) | instid1(VALU_DEP_1)
	v_fma_f64 v[2:3], v[134:135], v[140:141], v[2:3]
	s_waitcnt lgkmcnt(0)
	v_fma_f64 v[2:3], v[136:137], v[142:143], v[2:3]
	s_delay_alu instid0(VALU_DEP_1)
	v_add_f64 v[2:3], v[132:133], -v[2:3]
	scratch_store_b64 off, v[2:3], off offset:312
	v_cmpx_lt_u32_e32 38, v0
	s_cbranch_execz .LBB62_311
; %bb.310:
	scratch_load_b64 v[3:4], off, off offset:304
	v_mov_b32_e32 v2, v1
	scratch_store_b64 off, v[1:2], off offset:304
	s_waitcnt vmcnt(0)
	ds_store_b64 v5, v[3:4]
.LBB62_311:
	s_or_b32 exec_lo, exec_lo, s0
	s_waitcnt lgkmcnt(0)
	s_waitcnt_vscnt null, 0x0
	s_barrier
	buffer_gl0_inv
	s_clause 0x4
	scratch_load_b128 v[132:135], off, off offset:304
	scratch_load_b128 v[136:139], off, off offset:320
	;; [unrolled: 1-line block ×5, first 2 shown]
	ds_load_2addr_b64 v[152:155], v1 offset0:103 offset1:104
	ds_load_2addr_b64 v[156:159], v1 offset0:105 offset1:106
	scratch_load_b128 v[160:163], off, off offset:384
	s_mov_b32 s0, exec_lo
	s_waitcnt vmcnt(5) lgkmcnt(1)
	v_fma_f64 v[2:3], v[134:135], v[152:153], 0
	s_waitcnt vmcnt(4)
	s_delay_alu instid0(VALU_DEP_1) | instskip(SKIP_4) | instid1(VALU_DEP_1)
	v_fma_f64 v[2:3], v[136:137], v[154:155], v[2:3]
	scratch_load_b128 v[134:137], off, off offset:400
	s_waitcnt lgkmcnt(0)
	v_fma_f64 v[2:3], v[138:139], v[156:157], v[2:3]
	s_waitcnt vmcnt(4)
	v_fma_f64 v[2:3], v[140:141], v[158:159], v[2:3]
	ds_load_2addr_b64 v[138:141], v1 offset0:107 offset1:108
	ds_load_2addr_b64 v[152:155], v1 offset0:109 offset1:110
	scratch_load_b128 v[156:159], off, off offset:416
	s_waitcnt lgkmcnt(1)
	v_fma_f64 v[2:3], v[142:143], v[138:139], v[2:3]
	s_waitcnt vmcnt(4)
	s_delay_alu instid0(VALU_DEP_1) | instskip(SKIP_4) | instid1(VALU_DEP_1)
	v_fma_f64 v[2:3], v[144:145], v[140:141], v[2:3]
	scratch_load_b128 v[138:141], off, off offset:432
	s_waitcnt lgkmcnt(0)
	v_fma_f64 v[2:3], v[146:147], v[152:153], v[2:3]
	s_waitcnt vmcnt(4)
	v_fma_f64 v[2:3], v[148:149], v[154:155], v[2:3]
	ds_load_2addr_b64 v[142:145], v1 offset0:111 offset1:112
	ds_load_2addr_b64 v[146:149], v1 offset0:113 offset1:114
	s_waitcnt lgkmcnt(1)
	v_fma_f64 v[2:3], v[150:151], v[142:143], v[2:3]
	scratch_load_b128 v[150:153], off, off offset:448
	s_waitcnt vmcnt(4)
	v_fma_f64 v[2:3], v[160:161], v[144:145], v[2:3]
	scratch_load_b128 v[142:145], off, off offset:464
	s_waitcnt lgkmcnt(0)
	v_fma_f64 v[2:3], v[162:163], v[146:147], v[2:3]
	s_waitcnt vmcnt(4)
	s_delay_alu instid0(VALU_DEP_1)
	v_fma_f64 v[2:3], v[134:135], v[148:149], v[2:3]
	ds_load_2addr_b64 v[146:149], v1 offset0:115 offset1:116
	ds_load_2addr_b64 v[160:163], v1 offset0:117 offset1:118
	s_waitcnt lgkmcnt(1)
	v_fma_f64 v[2:3], v[136:137], v[146:147], v[2:3]
	scratch_load_b128 v[134:137], off, off offset:480
	s_waitcnt vmcnt(4)
	v_fma_f64 v[2:3], v[156:157], v[148:149], v[2:3]
	s_waitcnt lgkmcnt(0)
	s_delay_alu instid0(VALU_DEP_1)
	v_fma_f64 v[2:3], v[158:159], v[160:161], v[2:3]
	scratch_load_b64 v[158:159], off, off offset:496
	ds_load_2addr_b64 v[146:149], v1 offset0:119 offset1:120
	ds_load_2addr_b64 v[154:157], v1 offset0:121 offset1:122
	s_waitcnt vmcnt(4)
	v_fma_f64 v[2:3], v[138:139], v[162:163], v[2:3]
	s_waitcnt lgkmcnt(1)
	s_delay_alu instid0(VALU_DEP_1) | instskip(SKIP_1) | instid1(VALU_DEP_1)
	v_fma_f64 v[2:3], v[140:141], v[146:147], v[2:3]
	s_waitcnt vmcnt(3)
	v_fma_f64 v[2:3], v[150:151], v[148:149], v[2:3]
	s_waitcnt lgkmcnt(0)
	s_delay_alu instid0(VALU_DEP_1) | instskip(SKIP_1) | instid1(VALU_DEP_1)
	v_fma_f64 v[2:3], v[152:153], v[154:155], v[2:3]
	s_waitcnt vmcnt(2)
	v_fma_f64 v[142:143], v[142:143], v[156:157], v[2:3]
	ds_load_2addr_b64 v[138:141], v1 offset0:123 offset1:124
	ds_load_2addr_b64 v[1:4], v1 offset0:125 offset1:126
	s_waitcnt lgkmcnt(1)
	v_fma_f64 v[138:139], v[144:145], v[138:139], v[142:143]
	s_waitcnt vmcnt(1)
	s_delay_alu instid0(VALU_DEP_1) | instskip(SKIP_1) | instid1(VALU_DEP_1)
	v_fma_f64 v[134:135], v[134:135], v[140:141], v[138:139]
	s_waitcnt lgkmcnt(0)
	v_fma_f64 v[1:2], v[136:137], v[1:2], v[134:135]
	s_waitcnt vmcnt(0)
	s_delay_alu instid0(VALU_DEP_1) | instskip(NEXT) | instid1(VALU_DEP_1)
	v_fma_f64 v[1:2], v[158:159], v[3:4], v[1:2]
	v_add_f64 v[1:2], v[132:133], -v[1:2]
	scratch_store_b64 off, v[1:2], off offset:304
	v_cmpx_lt_u32_e32 37, v0
	s_cbranch_execz .LBB62_313
; %bb.312:
	scratch_load_b64 v[1:2], off, off offset:296
	v_mov_b32_e32 v3, 0
	s_delay_alu instid0(VALU_DEP_1)
	v_mov_b32_e32 v4, v3
	scratch_store_b64 off, v[3:4], off offset:296
	s_waitcnt vmcnt(0)
	ds_store_b64 v5, v[1:2]
.LBB62_313:
	s_or_b32 exec_lo, exec_lo, s0
	s_waitcnt lgkmcnt(0)
	s_waitcnt_vscnt null, 0x0
	s_barrier
	buffer_gl0_inv
	s_clause 0x4
	scratch_load_b128 v[132:135], off, off offset:296
	scratch_load_b128 v[136:139], off, off offset:312
	scratch_load_b128 v[140:143], off, off offset:328
	scratch_load_b128 v[144:147], off, off offset:344
	scratch_load_b128 v[148:151], off, off offset:360
	v_mov_b32_e32 v1, 0
	ds_load_b128 v[152:155], v1 offset:816
	ds_load_b128 v[156:159], v1 offset:832
	scratch_load_b128 v[160:163], off, off offset:376
	s_mov_b32 s0, exec_lo
	s_waitcnt vmcnt(5) lgkmcnt(1)
	v_fma_f64 v[2:3], v[134:135], v[152:153], 0
	s_waitcnt vmcnt(4)
	s_delay_alu instid0(VALU_DEP_1) | instskip(SKIP_4) | instid1(VALU_DEP_1)
	v_fma_f64 v[2:3], v[136:137], v[154:155], v[2:3]
	scratch_load_b128 v[134:137], off, off offset:392
	s_waitcnt lgkmcnt(0)
	v_fma_f64 v[2:3], v[138:139], v[156:157], v[2:3]
	s_waitcnt vmcnt(4)
	v_fma_f64 v[2:3], v[140:141], v[158:159], v[2:3]
	ds_load_b128 v[138:141], v1 offset:848
	ds_load_b128 v[152:155], v1 offset:864
	scratch_load_b128 v[156:159], off, off offset:408
	s_waitcnt lgkmcnt(1)
	v_fma_f64 v[2:3], v[142:143], v[138:139], v[2:3]
	s_waitcnt vmcnt(4)
	s_delay_alu instid0(VALU_DEP_1) | instskip(SKIP_4) | instid1(VALU_DEP_1)
	v_fma_f64 v[2:3], v[144:145], v[140:141], v[2:3]
	scratch_load_b128 v[138:141], off, off offset:424
	s_waitcnt lgkmcnt(0)
	v_fma_f64 v[2:3], v[146:147], v[152:153], v[2:3]
	s_waitcnt vmcnt(4)
	v_fma_f64 v[2:3], v[148:149], v[154:155], v[2:3]
	ds_load_b128 v[142:145], v1 offset:880
	ds_load_b128 v[146:149], v1 offset:896
	s_waitcnt lgkmcnt(1)
	v_fma_f64 v[2:3], v[150:151], v[142:143], v[2:3]
	scratch_load_b128 v[150:153], off, off offset:440
	s_waitcnt vmcnt(4)
	v_fma_f64 v[2:3], v[160:161], v[144:145], v[2:3]
	scratch_load_b128 v[142:145], off, off offset:456
	s_waitcnt lgkmcnt(0)
	v_fma_f64 v[2:3], v[162:163], v[146:147], v[2:3]
	s_waitcnt vmcnt(4)
	s_delay_alu instid0(VALU_DEP_1)
	v_fma_f64 v[2:3], v[134:135], v[148:149], v[2:3]
	ds_load_b128 v[146:149], v1 offset:912
	ds_load_b128 v[160:163], v1 offset:928
	s_waitcnt lgkmcnt(1)
	v_fma_f64 v[2:3], v[136:137], v[146:147], v[2:3]
	scratch_load_b128 v[134:137], off, off offset:472
	s_waitcnt vmcnt(4)
	v_fma_f64 v[2:3], v[156:157], v[148:149], v[2:3]
	scratch_load_b128 v[146:149], off, off offset:488
	s_waitcnt lgkmcnt(0)
	v_fma_f64 v[2:3], v[158:159], v[160:161], v[2:3]
	ds_load_b128 v[154:157], v1 offset:944
	ds_load_b128 v[158:161], v1 offset:960
	s_waitcnt vmcnt(4)
	v_fma_f64 v[2:3], v[138:139], v[162:163], v[2:3]
	s_waitcnt lgkmcnt(1)
	s_delay_alu instid0(VALU_DEP_1) | instskip(SKIP_1) | instid1(VALU_DEP_1)
	v_fma_f64 v[2:3], v[140:141], v[154:155], v[2:3]
	s_waitcnt vmcnt(3)
	v_fma_f64 v[2:3], v[150:151], v[156:157], v[2:3]
	s_waitcnt lgkmcnt(0)
	s_delay_alu instid0(VALU_DEP_1)
	v_fma_f64 v[2:3], v[152:153], v[158:159], v[2:3]
	ds_load_b128 v[138:141], v1 offset:976
	ds_load_b128 v[150:153], v1 offset:992
	s_waitcnt vmcnt(2)
	v_fma_f64 v[2:3], v[142:143], v[160:161], v[2:3]
	s_waitcnt lgkmcnt(1)
	s_delay_alu instid0(VALU_DEP_1) | instskip(SKIP_1) | instid1(VALU_DEP_1)
	v_fma_f64 v[2:3], v[144:145], v[138:139], v[2:3]
	s_waitcnt vmcnt(1)
	v_fma_f64 v[2:3], v[134:135], v[140:141], v[2:3]
	ds_load_b64 v[134:135], v1 offset:1008
	s_waitcnt lgkmcnt(1)
	v_fma_f64 v[2:3], v[136:137], v[150:151], v[2:3]
	s_waitcnt vmcnt(0)
	s_delay_alu instid0(VALU_DEP_1) | instskip(SKIP_1) | instid1(VALU_DEP_1)
	v_fma_f64 v[2:3], v[146:147], v[152:153], v[2:3]
	s_waitcnt lgkmcnt(0)
	v_fma_f64 v[2:3], v[148:149], v[134:135], v[2:3]
	s_delay_alu instid0(VALU_DEP_1)
	v_add_f64 v[2:3], v[132:133], -v[2:3]
	scratch_store_b64 off, v[2:3], off offset:296
	v_cmpx_lt_u32_e32 36, v0
	s_cbranch_execz .LBB62_315
; %bb.314:
	scratch_load_b64 v[3:4], off, off offset:288
	v_mov_b32_e32 v2, v1
	scratch_store_b64 off, v[1:2], off offset:288
	s_waitcnt vmcnt(0)
	ds_store_b64 v5, v[3:4]
.LBB62_315:
	s_or_b32 exec_lo, exec_lo, s0
	s_waitcnt lgkmcnt(0)
	s_waitcnt_vscnt null, 0x0
	s_barrier
	buffer_gl0_inv
	s_clause 0x4
	scratch_load_b128 v[132:135], off, off offset:288
	scratch_load_b128 v[136:139], off, off offset:304
	;; [unrolled: 1-line block ×5, first 2 shown]
	ds_load_2addr_b64 v[152:155], v1 offset0:101 offset1:102
	ds_load_2addr_b64 v[156:159], v1 offset0:103 offset1:104
	scratch_load_b128 v[160:163], off, off offset:368
	s_mov_b32 s0, exec_lo
	s_waitcnt vmcnt(5) lgkmcnt(1)
	v_fma_f64 v[2:3], v[134:135], v[152:153], 0
	s_waitcnt vmcnt(4)
	s_delay_alu instid0(VALU_DEP_1) | instskip(SKIP_4) | instid1(VALU_DEP_1)
	v_fma_f64 v[2:3], v[136:137], v[154:155], v[2:3]
	scratch_load_b128 v[134:137], off, off offset:384
	s_waitcnt lgkmcnt(0)
	v_fma_f64 v[2:3], v[138:139], v[156:157], v[2:3]
	s_waitcnt vmcnt(4)
	v_fma_f64 v[2:3], v[140:141], v[158:159], v[2:3]
	ds_load_2addr_b64 v[138:141], v1 offset0:105 offset1:106
	ds_load_2addr_b64 v[152:155], v1 offset0:107 offset1:108
	scratch_load_b128 v[156:159], off, off offset:400
	s_waitcnt lgkmcnt(1)
	v_fma_f64 v[2:3], v[142:143], v[138:139], v[2:3]
	s_waitcnt vmcnt(4)
	s_delay_alu instid0(VALU_DEP_1) | instskip(SKIP_4) | instid1(VALU_DEP_1)
	v_fma_f64 v[2:3], v[144:145], v[140:141], v[2:3]
	scratch_load_b128 v[138:141], off, off offset:416
	s_waitcnt lgkmcnt(0)
	v_fma_f64 v[2:3], v[146:147], v[152:153], v[2:3]
	s_waitcnt vmcnt(4)
	v_fma_f64 v[2:3], v[148:149], v[154:155], v[2:3]
	ds_load_2addr_b64 v[142:145], v1 offset0:109 offset1:110
	ds_load_2addr_b64 v[146:149], v1 offset0:111 offset1:112
	s_waitcnt lgkmcnt(1)
	v_fma_f64 v[2:3], v[150:151], v[142:143], v[2:3]
	scratch_load_b128 v[150:153], off, off offset:432
	s_waitcnt vmcnt(4)
	v_fma_f64 v[2:3], v[160:161], v[144:145], v[2:3]
	scratch_load_b128 v[142:145], off, off offset:448
	s_waitcnt lgkmcnt(0)
	v_fma_f64 v[2:3], v[162:163], v[146:147], v[2:3]
	s_waitcnt vmcnt(4)
	s_delay_alu instid0(VALU_DEP_1)
	v_fma_f64 v[2:3], v[134:135], v[148:149], v[2:3]
	ds_load_2addr_b64 v[146:149], v1 offset0:113 offset1:114
	ds_load_2addr_b64 v[160:163], v1 offset0:115 offset1:116
	s_waitcnt lgkmcnt(1)
	v_fma_f64 v[2:3], v[136:137], v[146:147], v[2:3]
	scratch_load_b128 v[134:137], off, off offset:464
	s_waitcnt vmcnt(4)
	v_fma_f64 v[2:3], v[156:157], v[148:149], v[2:3]
	scratch_load_b128 v[146:149], off, off offset:480
	s_waitcnt lgkmcnt(0)
	v_fma_f64 v[2:3], v[158:159], v[160:161], v[2:3]
	ds_load_2addr_b64 v[154:157], v1 offset0:117 offset1:118
	ds_load_2addr_b64 v[158:161], v1 offset0:119 offset1:120
	s_waitcnt vmcnt(4)
	v_fma_f64 v[2:3], v[138:139], v[162:163], v[2:3]
	s_waitcnt lgkmcnt(1)
	s_delay_alu instid0(VALU_DEP_1) | instskip(SKIP_4) | instid1(VALU_DEP_1)
	v_fma_f64 v[2:3], v[140:141], v[154:155], v[2:3]
	scratch_load_b64 v[154:155], off, off offset:496
	s_waitcnt vmcnt(4)
	v_fma_f64 v[2:3], v[150:151], v[156:157], v[2:3]
	s_waitcnt lgkmcnt(0)
	v_fma_f64 v[2:3], v[152:153], v[158:159], v[2:3]
	ds_load_2addr_b64 v[138:141], v1 offset0:121 offset1:122
	ds_load_2addr_b64 v[150:153], v1 offset0:123 offset1:124
	s_waitcnt vmcnt(3)
	v_fma_f64 v[2:3], v[142:143], v[160:161], v[2:3]
	s_waitcnt lgkmcnt(1)
	s_delay_alu instid0(VALU_DEP_1) | instskip(SKIP_1) | instid1(VALU_DEP_1)
	v_fma_f64 v[2:3], v[144:145], v[138:139], v[2:3]
	s_waitcnt vmcnt(2)
	v_fma_f64 v[2:3], v[134:135], v[140:141], v[2:3]
	s_waitcnt lgkmcnt(0)
	s_delay_alu instid0(VALU_DEP_1) | instskip(SKIP_1) | instid1(VALU_DEP_1)
	v_fma_f64 v[2:3], v[136:137], v[150:151], v[2:3]
	s_waitcnt vmcnt(1)
	v_fma_f64 v[134:135], v[146:147], v[152:153], v[2:3]
	ds_load_2addr_b64 v[1:4], v1 offset0:125 offset1:126
	s_waitcnt lgkmcnt(0)
	v_fma_f64 v[1:2], v[148:149], v[1:2], v[134:135]
	s_waitcnt vmcnt(0)
	s_delay_alu instid0(VALU_DEP_1) | instskip(NEXT) | instid1(VALU_DEP_1)
	v_fma_f64 v[1:2], v[154:155], v[3:4], v[1:2]
	v_add_f64 v[1:2], v[132:133], -v[1:2]
	scratch_store_b64 off, v[1:2], off offset:288
	v_cmpx_lt_u32_e32 35, v0
	s_cbranch_execz .LBB62_317
; %bb.316:
	scratch_load_b64 v[1:2], off, off offset:280
	v_mov_b32_e32 v3, 0
	s_delay_alu instid0(VALU_DEP_1)
	v_mov_b32_e32 v4, v3
	scratch_store_b64 off, v[3:4], off offset:280
	s_waitcnt vmcnt(0)
	ds_store_b64 v5, v[1:2]
.LBB62_317:
	s_or_b32 exec_lo, exec_lo, s0
	s_waitcnt lgkmcnt(0)
	s_waitcnt_vscnt null, 0x0
	s_barrier
	buffer_gl0_inv
	s_clause 0x4
	scratch_load_b128 v[132:135], off, off offset:280
	scratch_load_b128 v[136:139], off, off offset:296
	;; [unrolled: 1-line block ×5, first 2 shown]
	v_mov_b32_e32 v1, 0
	ds_load_b128 v[152:155], v1 offset:800
	ds_load_b128 v[156:159], v1 offset:816
	scratch_load_b128 v[160:163], off, off offset:360
	s_mov_b32 s0, exec_lo
	s_waitcnt vmcnt(5) lgkmcnt(1)
	v_fma_f64 v[2:3], v[134:135], v[152:153], 0
	s_waitcnt vmcnt(4)
	s_delay_alu instid0(VALU_DEP_1) | instskip(SKIP_4) | instid1(VALU_DEP_1)
	v_fma_f64 v[2:3], v[136:137], v[154:155], v[2:3]
	scratch_load_b128 v[134:137], off, off offset:376
	s_waitcnt lgkmcnt(0)
	v_fma_f64 v[2:3], v[138:139], v[156:157], v[2:3]
	s_waitcnt vmcnt(4)
	v_fma_f64 v[2:3], v[140:141], v[158:159], v[2:3]
	ds_load_b128 v[138:141], v1 offset:832
	ds_load_b128 v[152:155], v1 offset:848
	scratch_load_b128 v[156:159], off, off offset:392
	s_waitcnt lgkmcnt(1)
	v_fma_f64 v[2:3], v[142:143], v[138:139], v[2:3]
	s_waitcnt vmcnt(4)
	s_delay_alu instid0(VALU_DEP_1) | instskip(SKIP_4) | instid1(VALU_DEP_1)
	v_fma_f64 v[2:3], v[144:145], v[140:141], v[2:3]
	scratch_load_b128 v[138:141], off, off offset:408
	s_waitcnt lgkmcnt(0)
	v_fma_f64 v[2:3], v[146:147], v[152:153], v[2:3]
	s_waitcnt vmcnt(4)
	v_fma_f64 v[2:3], v[148:149], v[154:155], v[2:3]
	ds_load_b128 v[142:145], v1 offset:864
	ds_load_b128 v[146:149], v1 offset:880
	s_waitcnt lgkmcnt(1)
	v_fma_f64 v[2:3], v[150:151], v[142:143], v[2:3]
	scratch_load_b128 v[150:153], off, off offset:424
	s_waitcnt vmcnt(4)
	v_fma_f64 v[2:3], v[160:161], v[144:145], v[2:3]
	scratch_load_b128 v[142:145], off, off offset:440
	s_waitcnt lgkmcnt(0)
	v_fma_f64 v[2:3], v[162:163], v[146:147], v[2:3]
	s_waitcnt vmcnt(4)
	s_delay_alu instid0(VALU_DEP_1)
	v_fma_f64 v[2:3], v[134:135], v[148:149], v[2:3]
	ds_load_b128 v[146:149], v1 offset:896
	ds_load_b128 v[160:163], v1 offset:912
	s_waitcnt lgkmcnt(1)
	v_fma_f64 v[2:3], v[136:137], v[146:147], v[2:3]
	scratch_load_b128 v[134:137], off, off offset:456
	s_waitcnt vmcnt(4)
	v_fma_f64 v[2:3], v[156:157], v[148:149], v[2:3]
	scratch_load_b128 v[146:149], off, off offset:472
	s_waitcnt lgkmcnt(0)
	v_fma_f64 v[2:3], v[158:159], v[160:161], v[2:3]
	ds_load_b128 v[154:157], v1 offset:928
	ds_load_b128 v[158:161], v1 offset:944
	s_waitcnt vmcnt(4)
	v_fma_f64 v[2:3], v[138:139], v[162:163], v[2:3]
	s_waitcnt lgkmcnt(1)
	s_delay_alu instid0(VALU_DEP_1) | instskip(SKIP_4) | instid1(VALU_DEP_1)
	v_fma_f64 v[2:3], v[140:141], v[154:155], v[2:3]
	scratch_load_b128 v[138:141], off, off offset:488
	s_waitcnt vmcnt(4)
	v_fma_f64 v[2:3], v[150:151], v[156:157], v[2:3]
	s_waitcnt lgkmcnt(0)
	v_fma_f64 v[2:3], v[152:153], v[158:159], v[2:3]
	ds_load_b128 v[150:153], v1 offset:960
	ds_load_b128 v[154:157], v1 offset:976
	s_waitcnt vmcnt(3)
	v_fma_f64 v[2:3], v[142:143], v[160:161], v[2:3]
	s_waitcnt lgkmcnt(1)
	s_delay_alu instid0(VALU_DEP_1) | instskip(SKIP_1) | instid1(VALU_DEP_1)
	v_fma_f64 v[2:3], v[144:145], v[150:151], v[2:3]
	s_waitcnt vmcnt(2)
	v_fma_f64 v[2:3], v[134:135], v[152:153], v[2:3]
	s_waitcnt lgkmcnt(0)
	s_delay_alu instid0(VALU_DEP_1)
	v_fma_f64 v[2:3], v[136:137], v[154:155], v[2:3]
	ds_load_b128 v[134:137], v1 offset:992
	ds_load_b64 v[142:143], v1 offset:1008
	s_waitcnt vmcnt(1)
	v_fma_f64 v[2:3], v[146:147], v[156:157], v[2:3]
	s_waitcnt lgkmcnt(1)
	s_delay_alu instid0(VALU_DEP_1) | instskip(SKIP_1) | instid1(VALU_DEP_1)
	v_fma_f64 v[2:3], v[148:149], v[134:135], v[2:3]
	s_waitcnt vmcnt(0)
	v_fma_f64 v[2:3], v[138:139], v[136:137], v[2:3]
	s_waitcnt lgkmcnt(0)
	s_delay_alu instid0(VALU_DEP_1) | instskip(NEXT) | instid1(VALU_DEP_1)
	v_fma_f64 v[2:3], v[140:141], v[142:143], v[2:3]
	v_add_f64 v[2:3], v[132:133], -v[2:3]
	scratch_store_b64 off, v[2:3], off offset:280
	v_cmpx_lt_u32_e32 34, v0
	s_cbranch_execz .LBB62_319
; %bb.318:
	scratch_load_b64 v[3:4], off, off offset:272
	v_mov_b32_e32 v2, v1
	scratch_store_b64 off, v[1:2], off offset:272
	s_waitcnt vmcnt(0)
	ds_store_b64 v5, v[3:4]
.LBB62_319:
	s_or_b32 exec_lo, exec_lo, s0
	s_waitcnt lgkmcnt(0)
	s_waitcnt_vscnt null, 0x0
	s_barrier
	buffer_gl0_inv
	s_clause 0x4
	scratch_load_b128 v[132:135], off, off offset:272
	scratch_load_b128 v[136:139], off, off offset:288
	;; [unrolled: 1-line block ×5, first 2 shown]
	ds_load_2addr_b64 v[152:155], v1 offset0:99 offset1:100
	ds_load_2addr_b64 v[156:159], v1 offset0:101 offset1:102
	scratch_load_b128 v[160:163], off, off offset:352
	s_mov_b32 s0, exec_lo
	s_waitcnt vmcnt(5) lgkmcnt(1)
	v_fma_f64 v[2:3], v[134:135], v[152:153], 0
	s_waitcnt vmcnt(4)
	s_delay_alu instid0(VALU_DEP_1) | instskip(SKIP_4) | instid1(VALU_DEP_1)
	v_fma_f64 v[2:3], v[136:137], v[154:155], v[2:3]
	scratch_load_b128 v[134:137], off, off offset:368
	s_waitcnt lgkmcnt(0)
	v_fma_f64 v[2:3], v[138:139], v[156:157], v[2:3]
	s_waitcnt vmcnt(4)
	v_fma_f64 v[2:3], v[140:141], v[158:159], v[2:3]
	ds_load_2addr_b64 v[138:141], v1 offset0:103 offset1:104
	ds_load_2addr_b64 v[152:155], v1 offset0:105 offset1:106
	scratch_load_b128 v[156:159], off, off offset:384
	s_waitcnt lgkmcnt(1)
	v_fma_f64 v[2:3], v[142:143], v[138:139], v[2:3]
	s_waitcnt vmcnt(4)
	s_delay_alu instid0(VALU_DEP_1) | instskip(SKIP_4) | instid1(VALU_DEP_1)
	v_fma_f64 v[2:3], v[144:145], v[140:141], v[2:3]
	scratch_load_b128 v[138:141], off, off offset:400
	s_waitcnt lgkmcnt(0)
	v_fma_f64 v[2:3], v[146:147], v[152:153], v[2:3]
	s_waitcnt vmcnt(4)
	v_fma_f64 v[2:3], v[148:149], v[154:155], v[2:3]
	ds_load_2addr_b64 v[142:145], v1 offset0:107 offset1:108
	ds_load_2addr_b64 v[146:149], v1 offset0:109 offset1:110
	s_waitcnt lgkmcnt(1)
	v_fma_f64 v[2:3], v[150:151], v[142:143], v[2:3]
	scratch_load_b128 v[150:153], off, off offset:416
	s_waitcnt vmcnt(4)
	v_fma_f64 v[2:3], v[160:161], v[144:145], v[2:3]
	scratch_load_b128 v[142:145], off, off offset:432
	s_waitcnt lgkmcnt(0)
	v_fma_f64 v[2:3], v[162:163], v[146:147], v[2:3]
	s_waitcnt vmcnt(4)
	s_delay_alu instid0(VALU_DEP_1)
	v_fma_f64 v[2:3], v[134:135], v[148:149], v[2:3]
	ds_load_2addr_b64 v[146:149], v1 offset0:111 offset1:112
	ds_load_2addr_b64 v[160:163], v1 offset0:113 offset1:114
	s_waitcnt lgkmcnt(1)
	v_fma_f64 v[2:3], v[136:137], v[146:147], v[2:3]
	scratch_load_b128 v[134:137], off, off offset:448
	s_waitcnt vmcnt(4)
	v_fma_f64 v[2:3], v[156:157], v[148:149], v[2:3]
	scratch_load_b128 v[146:149], off, off offset:464
	s_waitcnt lgkmcnt(0)
	v_fma_f64 v[2:3], v[158:159], v[160:161], v[2:3]
	ds_load_2addr_b64 v[154:157], v1 offset0:115 offset1:116
	ds_load_2addr_b64 v[158:161], v1 offset0:117 offset1:118
	s_waitcnt vmcnt(4)
	v_fma_f64 v[2:3], v[138:139], v[162:163], v[2:3]
	s_waitcnt lgkmcnt(1)
	s_delay_alu instid0(VALU_DEP_1) | instskip(SKIP_4) | instid1(VALU_DEP_1)
	v_fma_f64 v[2:3], v[140:141], v[154:155], v[2:3]
	scratch_load_b128 v[138:141], off, off offset:480
	s_waitcnt vmcnt(4)
	v_fma_f64 v[2:3], v[150:151], v[156:157], v[2:3]
	s_waitcnt lgkmcnt(0)
	v_fma_f64 v[2:3], v[152:153], v[158:159], v[2:3]
	scratch_load_b64 v[158:159], off, off offset:496
	ds_load_2addr_b64 v[150:153], v1 offset0:119 offset1:120
	ds_load_2addr_b64 v[154:157], v1 offset0:121 offset1:122
	s_waitcnt vmcnt(4)
	v_fma_f64 v[2:3], v[142:143], v[160:161], v[2:3]
	s_waitcnt lgkmcnt(1)
	s_delay_alu instid0(VALU_DEP_1) | instskip(SKIP_1) | instid1(VALU_DEP_1)
	v_fma_f64 v[2:3], v[144:145], v[150:151], v[2:3]
	s_waitcnt vmcnt(3)
	v_fma_f64 v[2:3], v[134:135], v[152:153], v[2:3]
	s_waitcnt lgkmcnt(0)
	s_delay_alu instid0(VALU_DEP_1) | instskip(SKIP_1) | instid1(VALU_DEP_1)
	v_fma_f64 v[2:3], v[136:137], v[154:155], v[2:3]
	s_waitcnt vmcnt(2)
	v_fma_f64 v[142:143], v[146:147], v[156:157], v[2:3]
	ds_load_2addr_b64 v[134:137], v1 offset0:123 offset1:124
	ds_load_2addr_b64 v[1:4], v1 offset0:125 offset1:126
	s_waitcnt lgkmcnt(1)
	v_fma_f64 v[134:135], v[148:149], v[134:135], v[142:143]
	s_waitcnt vmcnt(1)
	s_delay_alu instid0(VALU_DEP_1) | instskip(SKIP_1) | instid1(VALU_DEP_1)
	v_fma_f64 v[134:135], v[138:139], v[136:137], v[134:135]
	s_waitcnt lgkmcnt(0)
	v_fma_f64 v[1:2], v[140:141], v[1:2], v[134:135]
	s_waitcnt vmcnt(0)
	s_delay_alu instid0(VALU_DEP_1) | instskip(NEXT) | instid1(VALU_DEP_1)
	v_fma_f64 v[1:2], v[158:159], v[3:4], v[1:2]
	v_add_f64 v[1:2], v[132:133], -v[1:2]
	scratch_store_b64 off, v[1:2], off offset:272
	v_cmpx_lt_u32_e32 33, v0
	s_cbranch_execz .LBB62_321
; %bb.320:
	scratch_load_b64 v[1:2], off, off offset:264
	v_mov_b32_e32 v3, 0
	s_delay_alu instid0(VALU_DEP_1)
	v_mov_b32_e32 v4, v3
	scratch_store_b64 off, v[3:4], off offset:264
	s_waitcnt vmcnt(0)
	ds_store_b64 v5, v[1:2]
.LBB62_321:
	s_or_b32 exec_lo, exec_lo, s0
	s_waitcnt lgkmcnt(0)
	s_waitcnt_vscnt null, 0x0
	s_barrier
	buffer_gl0_inv
	s_clause 0x4
	scratch_load_b128 v[132:135], off, off offset:264
	scratch_load_b128 v[136:139], off, off offset:280
	;; [unrolled: 1-line block ×5, first 2 shown]
	v_mov_b32_e32 v1, 0
	ds_load_b128 v[152:155], v1 offset:784
	ds_load_b128 v[156:159], v1 offset:800
	scratch_load_b128 v[160:163], off, off offset:344
	s_mov_b32 s0, exec_lo
	s_waitcnt vmcnt(5) lgkmcnt(1)
	v_fma_f64 v[2:3], v[134:135], v[152:153], 0
	s_waitcnt vmcnt(4)
	s_delay_alu instid0(VALU_DEP_1) | instskip(SKIP_4) | instid1(VALU_DEP_1)
	v_fma_f64 v[2:3], v[136:137], v[154:155], v[2:3]
	scratch_load_b128 v[134:137], off, off offset:360
	s_waitcnt lgkmcnt(0)
	v_fma_f64 v[2:3], v[138:139], v[156:157], v[2:3]
	s_waitcnt vmcnt(4)
	v_fma_f64 v[2:3], v[140:141], v[158:159], v[2:3]
	ds_load_b128 v[138:141], v1 offset:816
	ds_load_b128 v[152:155], v1 offset:832
	scratch_load_b128 v[156:159], off, off offset:376
	s_waitcnt lgkmcnt(1)
	v_fma_f64 v[2:3], v[142:143], v[138:139], v[2:3]
	s_waitcnt vmcnt(4)
	s_delay_alu instid0(VALU_DEP_1) | instskip(SKIP_4) | instid1(VALU_DEP_1)
	v_fma_f64 v[2:3], v[144:145], v[140:141], v[2:3]
	scratch_load_b128 v[138:141], off, off offset:392
	s_waitcnt lgkmcnt(0)
	v_fma_f64 v[2:3], v[146:147], v[152:153], v[2:3]
	s_waitcnt vmcnt(4)
	v_fma_f64 v[2:3], v[148:149], v[154:155], v[2:3]
	ds_load_b128 v[142:145], v1 offset:848
	ds_load_b128 v[146:149], v1 offset:864
	s_waitcnt lgkmcnt(1)
	v_fma_f64 v[2:3], v[150:151], v[142:143], v[2:3]
	scratch_load_b128 v[150:153], off, off offset:408
	s_waitcnt vmcnt(4)
	v_fma_f64 v[2:3], v[160:161], v[144:145], v[2:3]
	scratch_load_b128 v[142:145], off, off offset:424
	s_waitcnt lgkmcnt(0)
	v_fma_f64 v[2:3], v[162:163], v[146:147], v[2:3]
	s_waitcnt vmcnt(4)
	s_delay_alu instid0(VALU_DEP_1)
	v_fma_f64 v[2:3], v[134:135], v[148:149], v[2:3]
	ds_load_b128 v[146:149], v1 offset:880
	ds_load_b128 v[160:163], v1 offset:896
	s_waitcnt lgkmcnt(1)
	v_fma_f64 v[2:3], v[136:137], v[146:147], v[2:3]
	scratch_load_b128 v[134:137], off, off offset:440
	s_waitcnt vmcnt(4)
	v_fma_f64 v[2:3], v[156:157], v[148:149], v[2:3]
	scratch_load_b128 v[146:149], off, off offset:456
	s_waitcnt lgkmcnt(0)
	v_fma_f64 v[2:3], v[158:159], v[160:161], v[2:3]
	ds_load_b128 v[154:157], v1 offset:912
	ds_load_b128 v[158:161], v1 offset:928
	s_waitcnt vmcnt(4)
	v_fma_f64 v[2:3], v[138:139], v[162:163], v[2:3]
	s_waitcnt lgkmcnt(1)
	s_delay_alu instid0(VALU_DEP_1) | instskip(SKIP_4) | instid1(VALU_DEP_1)
	v_fma_f64 v[2:3], v[140:141], v[154:155], v[2:3]
	scratch_load_b128 v[138:141], off, off offset:472
	s_waitcnt vmcnt(4)
	v_fma_f64 v[2:3], v[150:151], v[156:157], v[2:3]
	s_waitcnt lgkmcnt(0)
	v_fma_f64 v[2:3], v[152:153], v[158:159], v[2:3]
	scratch_load_b128 v[150:153], off, off offset:488
	s_waitcnt vmcnt(4)
	v_fma_f64 v[2:3], v[142:143], v[160:161], v[2:3]
	ds_load_b128 v[154:157], v1 offset:944
	ds_load_b128 v[158:161], v1 offset:960
	s_waitcnt lgkmcnt(1)
	v_fma_f64 v[2:3], v[144:145], v[154:155], v[2:3]
	s_waitcnt vmcnt(3)
	s_delay_alu instid0(VALU_DEP_1) | instskip(SKIP_1) | instid1(VALU_DEP_1)
	v_fma_f64 v[2:3], v[134:135], v[156:157], v[2:3]
	s_waitcnt lgkmcnt(0)
	v_fma_f64 v[2:3], v[136:137], v[158:159], v[2:3]
	ds_load_b128 v[134:137], v1 offset:976
	ds_load_b128 v[142:145], v1 offset:992
	s_waitcnt vmcnt(2)
	v_fma_f64 v[2:3], v[146:147], v[160:161], v[2:3]
	s_waitcnt lgkmcnt(1)
	s_delay_alu instid0(VALU_DEP_1) | instskip(SKIP_4) | instid1(VALU_DEP_1)
	v_fma_f64 v[2:3], v[148:149], v[134:135], v[2:3]
	ds_load_b64 v[134:135], v1 offset:1008
	s_waitcnt vmcnt(1)
	v_fma_f64 v[2:3], v[138:139], v[136:137], v[2:3]
	s_waitcnt lgkmcnt(1)
	v_fma_f64 v[2:3], v[140:141], v[142:143], v[2:3]
	s_waitcnt vmcnt(0)
	s_delay_alu instid0(VALU_DEP_1) | instskip(SKIP_1) | instid1(VALU_DEP_1)
	v_fma_f64 v[2:3], v[150:151], v[144:145], v[2:3]
	s_waitcnt lgkmcnt(0)
	v_fma_f64 v[2:3], v[152:153], v[134:135], v[2:3]
	s_delay_alu instid0(VALU_DEP_1)
	v_add_f64 v[2:3], v[132:133], -v[2:3]
	scratch_store_b64 off, v[2:3], off offset:264
	v_cmpx_lt_u32_e32 32, v0
	s_cbranch_execz .LBB62_323
; %bb.322:
	scratch_load_b64 v[3:4], off, off offset:256
	v_mov_b32_e32 v2, v1
	scratch_store_b64 off, v[1:2], off offset:256
	s_waitcnt vmcnt(0)
	ds_store_b64 v5, v[3:4]
.LBB62_323:
	s_or_b32 exec_lo, exec_lo, s0
	s_waitcnt lgkmcnt(0)
	s_waitcnt_vscnt null, 0x0
	s_barrier
	buffer_gl0_inv
	s_clause 0x4
	scratch_load_b128 v[132:135], off, off offset:256
	scratch_load_b128 v[136:139], off, off offset:272
	;; [unrolled: 1-line block ×5, first 2 shown]
	ds_load_2addr_b64 v[152:155], v1 offset0:97 offset1:98
	ds_load_2addr_b64 v[156:159], v1 offset0:99 offset1:100
	scratch_load_b128 v[160:163], off, off offset:336
	s_mov_b32 s0, exec_lo
	s_waitcnt vmcnt(5) lgkmcnt(1)
	v_fma_f64 v[2:3], v[134:135], v[152:153], 0
	s_waitcnt vmcnt(4)
	s_delay_alu instid0(VALU_DEP_1) | instskip(SKIP_4) | instid1(VALU_DEP_1)
	v_fma_f64 v[2:3], v[136:137], v[154:155], v[2:3]
	scratch_load_b128 v[134:137], off, off offset:352
	s_waitcnt lgkmcnt(0)
	v_fma_f64 v[2:3], v[138:139], v[156:157], v[2:3]
	s_waitcnt vmcnt(4)
	v_fma_f64 v[2:3], v[140:141], v[158:159], v[2:3]
	ds_load_2addr_b64 v[138:141], v1 offset0:101 offset1:102
	ds_load_2addr_b64 v[152:155], v1 offset0:103 offset1:104
	scratch_load_b128 v[156:159], off, off offset:368
	s_waitcnt lgkmcnt(1)
	v_fma_f64 v[2:3], v[142:143], v[138:139], v[2:3]
	s_waitcnt vmcnt(4)
	s_delay_alu instid0(VALU_DEP_1) | instskip(SKIP_4) | instid1(VALU_DEP_1)
	v_fma_f64 v[2:3], v[144:145], v[140:141], v[2:3]
	scratch_load_b128 v[138:141], off, off offset:384
	s_waitcnt lgkmcnt(0)
	v_fma_f64 v[2:3], v[146:147], v[152:153], v[2:3]
	s_waitcnt vmcnt(4)
	v_fma_f64 v[2:3], v[148:149], v[154:155], v[2:3]
	ds_load_2addr_b64 v[142:145], v1 offset0:105 offset1:106
	ds_load_2addr_b64 v[146:149], v1 offset0:107 offset1:108
	s_waitcnt lgkmcnt(1)
	v_fma_f64 v[2:3], v[150:151], v[142:143], v[2:3]
	scratch_load_b128 v[150:153], off, off offset:400
	s_waitcnt vmcnt(4)
	v_fma_f64 v[2:3], v[160:161], v[144:145], v[2:3]
	scratch_load_b128 v[142:145], off, off offset:416
	s_waitcnt lgkmcnt(0)
	v_fma_f64 v[2:3], v[162:163], v[146:147], v[2:3]
	s_waitcnt vmcnt(4)
	s_delay_alu instid0(VALU_DEP_1)
	v_fma_f64 v[2:3], v[134:135], v[148:149], v[2:3]
	ds_load_2addr_b64 v[146:149], v1 offset0:109 offset1:110
	ds_load_2addr_b64 v[160:163], v1 offset0:111 offset1:112
	s_waitcnt lgkmcnt(1)
	v_fma_f64 v[2:3], v[136:137], v[146:147], v[2:3]
	scratch_load_b128 v[134:137], off, off offset:432
	s_waitcnt vmcnt(4)
	v_fma_f64 v[2:3], v[156:157], v[148:149], v[2:3]
	scratch_load_b128 v[146:149], off, off offset:448
	s_waitcnt lgkmcnt(0)
	v_fma_f64 v[2:3], v[158:159], v[160:161], v[2:3]
	ds_load_2addr_b64 v[154:157], v1 offset0:113 offset1:114
	ds_load_2addr_b64 v[158:161], v1 offset0:115 offset1:116
	s_waitcnt vmcnt(4)
	v_fma_f64 v[2:3], v[138:139], v[162:163], v[2:3]
	s_waitcnt lgkmcnt(1)
	s_delay_alu instid0(VALU_DEP_1) | instskip(SKIP_4) | instid1(VALU_DEP_1)
	v_fma_f64 v[2:3], v[140:141], v[154:155], v[2:3]
	scratch_load_b128 v[138:141], off, off offset:464
	s_waitcnt vmcnt(4)
	v_fma_f64 v[2:3], v[150:151], v[156:157], v[2:3]
	s_waitcnt lgkmcnt(0)
	v_fma_f64 v[2:3], v[152:153], v[158:159], v[2:3]
	scratch_load_b128 v[150:153], off, off offset:480
	s_waitcnt vmcnt(4)
	v_fma_f64 v[2:3], v[142:143], v[160:161], v[2:3]
	ds_load_2addr_b64 v[154:157], v1 offset0:117 offset1:118
	ds_load_2addr_b64 v[158:161], v1 offset0:119 offset1:120
	s_waitcnt lgkmcnt(1)
	v_fma_f64 v[2:3], v[144:145], v[154:155], v[2:3]
	scratch_load_b64 v[154:155], off, off offset:496
	s_waitcnt vmcnt(4)
	v_fma_f64 v[2:3], v[134:135], v[156:157], v[2:3]
	s_waitcnt lgkmcnt(0)
	s_delay_alu instid0(VALU_DEP_1)
	v_fma_f64 v[2:3], v[136:137], v[158:159], v[2:3]
	ds_load_2addr_b64 v[134:137], v1 offset0:121 offset1:122
	ds_load_2addr_b64 v[142:145], v1 offset0:123 offset1:124
	s_waitcnt vmcnt(3)
	v_fma_f64 v[2:3], v[146:147], v[160:161], v[2:3]
	s_waitcnt lgkmcnt(1)
	s_delay_alu instid0(VALU_DEP_1) | instskip(SKIP_1) | instid1(VALU_DEP_1)
	v_fma_f64 v[2:3], v[148:149], v[134:135], v[2:3]
	s_waitcnt vmcnt(2)
	v_fma_f64 v[2:3], v[138:139], v[136:137], v[2:3]
	s_waitcnt lgkmcnt(0)
	s_delay_alu instid0(VALU_DEP_1) | instskip(SKIP_1) | instid1(VALU_DEP_1)
	v_fma_f64 v[2:3], v[140:141], v[142:143], v[2:3]
	s_waitcnt vmcnt(1)
	v_fma_f64 v[134:135], v[150:151], v[144:145], v[2:3]
	ds_load_2addr_b64 v[1:4], v1 offset0:125 offset1:126
	s_waitcnt lgkmcnt(0)
	v_fma_f64 v[1:2], v[152:153], v[1:2], v[134:135]
	s_waitcnt vmcnt(0)
	s_delay_alu instid0(VALU_DEP_1) | instskip(NEXT) | instid1(VALU_DEP_1)
	v_fma_f64 v[1:2], v[154:155], v[3:4], v[1:2]
	v_add_f64 v[1:2], v[132:133], -v[1:2]
	scratch_store_b64 off, v[1:2], off offset:256
	v_cmpx_lt_u32_e32 31, v0
	s_cbranch_execz .LBB62_325
; %bb.324:
	scratch_load_b64 v[1:2], off, off offset:248
	v_mov_b32_e32 v3, 0
	s_delay_alu instid0(VALU_DEP_1)
	v_mov_b32_e32 v4, v3
	scratch_store_b64 off, v[3:4], off offset:248
	s_waitcnt vmcnt(0)
	ds_store_b64 v5, v[1:2]
.LBB62_325:
	s_or_b32 exec_lo, exec_lo, s0
	s_waitcnt lgkmcnt(0)
	s_waitcnt_vscnt null, 0x0
	s_barrier
	buffer_gl0_inv
	s_clause 0x4
	scratch_load_b128 v[132:135], off, off offset:248
	scratch_load_b128 v[136:139], off, off offset:264
	;; [unrolled: 1-line block ×5, first 2 shown]
	v_mov_b32_e32 v1, 0
	ds_load_b128 v[152:155], v1 offset:768
	ds_load_b128 v[156:159], v1 offset:784
	scratch_load_b128 v[160:163], off, off offset:328
	s_mov_b32 s0, exec_lo
	s_waitcnt vmcnt(5) lgkmcnt(1)
	v_fma_f64 v[2:3], v[134:135], v[152:153], 0
	s_waitcnt vmcnt(4)
	s_delay_alu instid0(VALU_DEP_1) | instskip(SKIP_4) | instid1(VALU_DEP_1)
	v_fma_f64 v[2:3], v[136:137], v[154:155], v[2:3]
	scratch_load_b128 v[134:137], off, off offset:344
	s_waitcnt lgkmcnt(0)
	v_fma_f64 v[2:3], v[138:139], v[156:157], v[2:3]
	s_waitcnt vmcnt(4)
	v_fma_f64 v[2:3], v[140:141], v[158:159], v[2:3]
	ds_load_b128 v[138:141], v1 offset:800
	ds_load_b128 v[152:155], v1 offset:816
	scratch_load_b128 v[156:159], off, off offset:360
	s_waitcnt lgkmcnt(1)
	v_fma_f64 v[2:3], v[142:143], v[138:139], v[2:3]
	s_waitcnt vmcnt(4)
	s_delay_alu instid0(VALU_DEP_1) | instskip(SKIP_4) | instid1(VALU_DEP_1)
	v_fma_f64 v[2:3], v[144:145], v[140:141], v[2:3]
	scratch_load_b128 v[138:141], off, off offset:376
	s_waitcnt lgkmcnt(0)
	v_fma_f64 v[2:3], v[146:147], v[152:153], v[2:3]
	s_waitcnt vmcnt(4)
	v_fma_f64 v[2:3], v[148:149], v[154:155], v[2:3]
	ds_load_b128 v[142:145], v1 offset:832
	ds_load_b128 v[146:149], v1 offset:848
	s_waitcnt lgkmcnt(1)
	v_fma_f64 v[2:3], v[150:151], v[142:143], v[2:3]
	scratch_load_b128 v[150:153], off, off offset:392
	s_waitcnt vmcnt(4)
	v_fma_f64 v[2:3], v[160:161], v[144:145], v[2:3]
	scratch_load_b128 v[142:145], off, off offset:408
	s_waitcnt lgkmcnt(0)
	v_fma_f64 v[2:3], v[162:163], v[146:147], v[2:3]
	s_waitcnt vmcnt(4)
	s_delay_alu instid0(VALU_DEP_1)
	v_fma_f64 v[2:3], v[134:135], v[148:149], v[2:3]
	ds_load_b128 v[146:149], v1 offset:864
	ds_load_b128 v[160:163], v1 offset:880
	s_waitcnt lgkmcnt(1)
	v_fma_f64 v[2:3], v[136:137], v[146:147], v[2:3]
	scratch_load_b128 v[134:137], off, off offset:424
	s_waitcnt vmcnt(4)
	v_fma_f64 v[2:3], v[156:157], v[148:149], v[2:3]
	scratch_load_b128 v[146:149], off, off offset:440
	s_waitcnt lgkmcnt(0)
	v_fma_f64 v[2:3], v[158:159], v[160:161], v[2:3]
	ds_load_b128 v[154:157], v1 offset:896
	ds_load_b128 v[158:161], v1 offset:912
	s_waitcnt vmcnt(4)
	v_fma_f64 v[2:3], v[138:139], v[162:163], v[2:3]
	s_waitcnt lgkmcnt(1)
	s_delay_alu instid0(VALU_DEP_1) | instskip(SKIP_4) | instid1(VALU_DEP_1)
	v_fma_f64 v[2:3], v[140:141], v[154:155], v[2:3]
	scratch_load_b128 v[138:141], off, off offset:456
	s_waitcnt vmcnt(4)
	v_fma_f64 v[2:3], v[150:151], v[156:157], v[2:3]
	s_waitcnt lgkmcnt(0)
	v_fma_f64 v[2:3], v[152:153], v[158:159], v[2:3]
	scratch_load_b128 v[150:153], off, off offset:472
	s_waitcnt vmcnt(4)
	v_fma_f64 v[2:3], v[142:143], v[160:161], v[2:3]
	ds_load_b128 v[154:157], v1 offset:928
	ds_load_b128 v[158:161], v1 offset:944
	s_waitcnt lgkmcnt(1)
	v_fma_f64 v[2:3], v[144:145], v[154:155], v[2:3]
	scratch_load_b128 v[142:145], off, off offset:488
	s_waitcnt vmcnt(4)
	v_fma_f64 v[2:3], v[134:135], v[156:157], v[2:3]
	s_waitcnt lgkmcnt(0)
	s_delay_alu instid0(VALU_DEP_1)
	v_fma_f64 v[2:3], v[136:137], v[158:159], v[2:3]
	ds_load_b128 v[134:137], v1 offset:960
	ds_load_b128 v[154:157], v1 offset:976
	s_waitcnt vmcnt(3)
	v_fma_f64 v[2:3], v[146:147], v[160:161], v[2:3]
	s_waitcnt lgkmcnt(1)
	s_delay_alu instid0(VALU_DEP_1) | instskip(SKIP_1) | instid1(VALU_DEP_1)
	v_fma_f64 v[2:3], v[148:149], v[134:135], v[2:3]
	s_waitcnt vmcnt(2)
	v_fma_f64 v[2:3], v[138:139], v[136:137], v[2:3]
	ds_load_b128 v[134:137], v1 offset:992
	ds_load_b64 v[138:139], v1 offset:1008
	s_waitcnt lgkmcnt(2)
	v_fma_f64 v[2:3], v[140:141], v[154:155], v[2:3]
	s_waitcnt vmcnt(1)
	s_delay_alu instid0(VALU_DEP_1) | instskip(SKIP_1) | instid1(VALU_DEP_1)
	v_fma_f64 v[2:3], v[150:151], v[156:157], v[2:3]
	s_waitcnt lgkmcnt(1)
	v_fma_f64 v[2:3], v[152:153], v[134:135], v[2:3]
	s_waitcnt vmcnt(0)
	s_delay_alu instid0(VALU_DEP_1) | instskip(SKIP_1) | instid1(VALU_DEP_1)
	v_fma_f64 v[2:3], v[142:143], v[136:137], v[2:3]
	s_waitcnt lgkmcnt(0)
	v_fma_f64 v[2:3], v[144:145], v[138:139], v[2:3]
	s_delay_alu instid0(VALU_DEP_1)
	v_add_f64 v[2:3], v[132:133], -v[2:3]
	scratch_store_b64 off, v[2:3], off offset:248
	v_cmpx_lt_u32_e32 30, v0
	s_cbranch_execz .LBB62_327
; %bb.326:
	scratch_load_b64 v[3:4], off, off offset:240
	v_mov_b32_e32 v2, v1
	scratch_store_b64 off, v[1:2], off offset:240
	s_waitcnt vmcnt(0)
	ds_store_b64 v5, v[3:4]
.LBB62_327:
	s_or_b32 exec_lo, exec_lo, s0
	s_waitcnt lgkmcnt(0)
	s_waitcnt_vscnt null, 0x0
	s_barrier
	buffer_gl0_inv
	s_clause 0x4
	scratch_load_b128 v[132:135], off, off offset:240
	scratch_load_b128 v[136:139], off, off offset:256
	scratch_load_b128 v[140:143], off, off offset:272
	scratch_load_b128 v[144:147], off, off offset:288
	scratch_load_b128 v[148:151], off, off offset:304
	ds_load_2addr_b64 v[152:155], v1 offset0:95 offset1:96
	ds_load_2addr_b64 v[156:159], v1 offset0:97 offset1:98
	scratch_load_b128 v[160:163], off, off offset:320
	s_mov_b32 s0, exec_lo
	s_waitcnt vmcnt(5) lgkmcnt(1)
	v_fma_f64 v[2:3], v[134:135], v[152:153], 0
	s_waitcnt vmcnt(4)
	s_delay_alu instid0(VALU_DEP_1) | instskip(SKIP_4) | instid1(VALU_DEP_1)
	v_fma_f64 v[2:3], v[136:137], v[154:155], v[2:3]
	scratch_load_b128 v[134:137], off, off offset:336
	s_waitcnt lgkmcnt(0)
	v_fma_f64 v[2:3], v[138:139], v[156:157], v[2:3]
	s_waitcnt vmcnt(4)
	v_fma_f64 v[2:3], v[140:141], v[158:159], v[2:3]
	ds_load_2addr_b64 v[138:141], v1 offset0:99 offset1:100
	ds_load_2addr_b64 v[152:155], v1 offset0:101 offset1:102
	scratch_load_b128 v[156:159], off, off offset:352
	s_waitcnt lgkmcnt(1)
	v_fma_f64 v[2:3], v[142:143], v[138:139], v[2:3]
	s_waitcnt vmcnt(4)
	s_delay_alu instid0(VALU_DEP_1) | instskip(SKIP_4) | instid1(VALU_DEP_1)
	v_fma_f64 v[2:3], v[144:145], v[140:141], v[2:3]
	scratch_load_b128 v[138:141], off, off offset:368
	s_waitcnt lgkmcnt(0)
	v_fma_f64 v[2:3], v[146:147], v[152:153], v[2:3]
	s_waitcnt vmcnt(4)
	v_fma_f64 v[2:3], v[148:149], v[154:155], v[2:3]
	ds_load_2addr_b64 v[142:145], v1 offset0:103 offset1:104
	ds_load_2addr_b64 v[146:149], v1 offset0:105 offset1:106
	s_waitcnt lgkmcnt(1)
	v_fma_f64 v[2:3], v[150:151], v[142:143], v[2:3]
	scratch_load_b128 v[150:153], off, off offset:384
	s_waitcnt vmcnt(4)
	v_fma_f64 v[2:3], v[160:161], v[144:145], v[2:3]
	scratch_load_b128 v[142:145], off, off offset:400
	s_waitcnt lgkmcnt(0)
	v_fma_f64 v[2:3], v[162:163], v[146:147], v[2:3]
	s_waitcnt vmcnt(4)
	s_delay_alu instid0(VALU_DEP_1)
	v_fma_f64 v[2:3], v[134:135], v[148:149], v[2:3]
	ds_load_2addr_b64 v[146:149], v1 offset0:107 offset1:108
	ds_load_2addr_b64 v[160:163], v1 offset0:109 offset1:110
	s_waitcnt lgkmcnt(1)
	v_fma_f64 v[2:3], v[136:137], v[146:147], v[2:3]
	scratch_load_b128 v[134:137], off, off offset:416
	s_waitcnt vmcnt(4)
	v_fma_f64 v[2:3], v[156:157], v[148:149], v[2:3]
	scratch_load_b128 v[146:149], off, off offset:432
	s_waitcnt lgkmcnt(0)
	v_fma_f64 v[2:3], v[158:159], v[160:161], v[2:3]
	ds_load_2addr_b64 v[154:157], v1 offset0:111 offset1:112
	ds_load_2addr_b64 v[158:161], v1 offset0:113 offset1:114
	s_waitcnt vmcnt(4)
	v_fma_f64 v[2:3], v[138:139], v[162:163], v[2:3]
	s_waitcnt lgkmcnt(1)
	s_delay_alu instid0(VALU_DEP_1) | instskip(SKIP_4) | instid1(VALU_DEP_1)
	v_fma_f64 v[2:3], v[140:141], v[154:155], v[2:3]
	scratch_load_b128 v[138:141], off, off offset:448
	s_waitcnt vmcnt(4)
	v_fma_f64 v[2:3], v[150:151], v[156:157], v[2:3]
	s_waitcnt lgkmcnt(0)
	v_fma_f64 v[2:3], v[152:153], v[158:159], v[2:3]
	scratch_load_b128 v[150:153], off, off offset:464
	s_waitcnt vmcnt(4)
	v_fma_f64 v[2:3], v[142:143], v[160:161], v[2:3]
	ds_load_2addr_b64 v[154:157], v1 offset0:115 offset1:116
	ds_load_2addr_b64 v[158:161], v1 offset0:117 offset1:118
	s_waitcnt lgkmcnt(1)
	v_fma_f64 v[2:3], v[144:145], v[154:155], v[2:3]
	scratch_load_b128 v[142:145], off, off offset:480
	s_waitcnt vmcnt(4)
	v_fma_f64 v[2:3], v[134:135], v[156:157], v[2:3]
	s_waitcnt lgkmcnt(0)
	s_delay_alu instid0(VALU_DEP_1)
	v_fma_f64 v[2:3], v[136:137], v[158:159], v[2:3]
	scratch_load_b64 v[158:159], off, off offset:496
	ds_load_2addr_b64 v[134:137], v1 offset0:119 offset1:120
	ds_load_2addr_b64 v[154:157], v1 offset0:121 offset1:122
	s_waitcnt vmcnt(4)
	v_fma_f64 v[2:3], v[146:147], v[160:161], v[2:3]
	s_waitcnt lgkmcnt(1)
	s_delay_alu instid0(VALU_DEP_1) | instskip(SKIP_1) | instid1(VALU_DEP_1)
	v_fma_f64 v[2:3], v[148:149], v[134:135], v[2:3]
	s_waitcnt vmcnt(3)
	v_fma_f64 v[2:3], v[138:139], v[136:137], v[2:3]
	s_waitcnt lgkmcnt(0)
	s_delay_alu instid0(VALU_DEP_1) | instskip(SKIP_1) | instid1(VALU_DEP_1)
	v_fma_f64 v[2:3], v[140:141], v[154:155], v[2:3]
	s_waitcnt vmcnt(2)
	v_fma_f64 v[138:139], v[150:151], v[156:157], v[2:3]
	ds_load_2addr_b64 v[134:137], v1 offset0:123 offset1:124
	ds_load_2addr_b64 v[1:4], v1 offset0:125 offset1:126
	s_waitcnt lgkmcnt(1)
	v_fma_f64 v[134:135], v[152:153], v[134:135], v[138:139]
	s_waitcnt vmcnt(1)
	s_delay_alu instid0(VALU_DEP_1) | instskip(SKIP_1) | instid1(VALU_DEP_1)
	v_fma_f64 v[134:135], v[142:143], v[136:137], v[134:135]
	s_waitcnt lgkmcnt(0)
	v_fma_f64 v[1:2], v[144:145], v[1:2], v[134:135]
	s_waitcnt vmcnt(0)
	s_delay_alu instid0(VALU_DEP_1) | instskip(NEXT) | instid1(VALU_DEP_1)
	v_fma_f64 v[1:2], v[158:159], v[3:4], v[1:2]
	v_add_f64 v[1:2], v[132:133], -v[1:2]
	scratch_store_b64 off, v[1:2], off offset:240
	v_cmpx_lt_u32_e32 29, v0
	s_cbranch_execz .LBB62_329
; %bb.328:
	scratch_load_b64 v[1:2], off, off offset:232
	v_mov_b32_e32 v3, 0
	s_delay_alu instid0(VALU_DEP_1)
	v_mov_b32_e32 v4, v3
	scratch_store_b64 off, v[3:4], off offset:232
	s_waitcnt vmcnt(0)
	ds_store_b64 v5, v[1:2]
.LBB62_329:
	s_or_b32 exec_lo, exec_lo, s0
	s_waitcnt lgkmcnt(0)
	s_waitcnt_vscnt null, 0x0
	s_barrier
	buffer_gl0_inv
	s_clause 0x4
	scratch_load_b128 v[132:135], off, off offset:232
	scratch_load_b128 v[136:139], off, off offset:248
	;; [unrolled: 1-line block ×5, first 2 shown]
	v_mov_b32_e32 v1, 0
	ds_load_b128 v[152:155], v1 offset:752
	ds_load_b128 v[156:159], v1 offset:768
	scratch_load_b128 v[160:163], off, off offset:312
	s_mov_b32 s0, exec_lo
	s_waitcnt vmcnt(5) lgkmcnt(1)
	v_fma_f64 v[2:3], v[134:135], v[152:153], 0
	s_waitcnt vmcnt(4)
	s_delay_alu instid0(VALU_DEP_1) | instskip(SKIP_4) | instid1(VALU_DEP_1)
	v_fma_f64 v[2:3], v[136:137], v[154:155], v[2:3]
	scratch_load_b128 v[134:137], off, off offset:328
	s_waitcnt lgkmcnt(0)
	v_fma_f64 v[2:3], v[138:139], v[156:157], v[2:3]
	s_waitcnt vmcnt(4)
	v_fma_f64 v[2:3], v[140:141], v[158:159], v[2:3]
	ds_load_b128 v[138:141], v1 offset:784
	ds_load_b128 v[152:155], v1 offset:800
	scratch_load_b128 v[156:159], off, off offset:344
	s_waitcnt lgkmcnt(1)
	v_fma_f64 v[2:3], v[142:143], v[138:139], v[2:3]
	s_waitcnt vmcnt(4)
	s_delay_alu instid0(VALU_DEP_1) | instskip(SKIP_4) | instid1(VALU_DEP_1)
	v_fma_f64 v[2:3], v[144:145], v[140:141], v[2:3]
	scratch_load_b128 v[138:141], off, off offset:360
	s_waitcnt lgkmcnt(0)
	v_fma_f64 v[2:3], v[146:147], v[152:153], v[2:3]
	s_waitcnt vmcnt(4)
	v_fma_f64 v[2:3], v[148:149], v[154:155], v[2:3]
	ds_load_b128 v[142:145], v1 offset:816
	ds_load_b128 v[146:149], v1 offset:832
	s_waitcnt lgkmcnt(1)
	v_fma_f64 v[2:3], v[150:151], v[142:143], v[2:3]
	scratch_load_b128 v[150:153], off, off offset:376
	s_waitcnt vmcnt(4)
	v_fma_f64 v[2:3], v[160:161], v[144:145], v[2:3]
	scratch_load_b128 v[142:145], off, off offset:392
	s_waitcnt lgkmcnt(0)
	v_fma_f64 v[2:3], v[162:163], v[146:147], v[2:3]
	s_waitcnt vmcnt(4)
	s_delay_alu instid0(VALU_DEP_1)
	v_fma_f64 v[2:3], v[134:135], v[148:149], v[2:3]
	ds_load_b128 v[146:149], v1 offset:848
	ds_load_b128 v[160:163], v1 offset:864
	s_waitcnt lgkmcnt(1)
	v_fma_f64 v[2:3], v[136:137], v[146:147], v[2:3]
	scratch_load_b128 v[134:137], off, off offset:408
	s_waitcnt vmcnt(4)
	v_fma_f64 v[2:3], v[156:157], v[148:149], v[2:3]
	scratch_load_b128 v[146:149], off, off offset:424
	s_waitcnt lgkmcnt(0)
	v_fma_f64 v[2:3], v[158:159], v[160:161], v[2:3]
	ds_load_b128 v[154:157], v1 offset:880
	ds_load_b128 v[158:161], v1 offset:896
	s_waitcnt vmcnt(4)
	v_fma_f64 v[2:3], v[138:139], v[162:163], v[2:3]
	s_waitcnt lgkmcnt(1)
	s_delay_alu instid0(VALU_DEP_1) | instskip(SKIP_4) | instid1(VALU_DEP_1)
	v_fma_f64 v[2:3], v[140:141], v[154:155], v[2:3]
	scratch_load_b128 v[138:141], off, off offset:440
	s_waitcnt vmcnt(4)
	v_fma_f64 v[2:3], v[150:151], v[156:157], v[2:3]
	s_waitcnt lgkmcnt(0)
	v_fma_f64 v[2:3], v[152:153], v[158:159], v[2:3]
	scratch_load_b128 v[150:153], off, off offset:456
	s_waitcnt vmcnt(4)
	v_fma_f64 v[2:3], v[142:143], v[160:161], v[2:3]
	ds_load_b128 v[154:157], v1 offset:912
	ds_load_b128 v[158:161], v1 offset:928
	s_waitcnt lgkmcnt(1)
	v_fma_f64 v[2:3], v[144:145], v[154:155], v[2:3]
	scratch_load_b128 v[142:145], off, off offset:472
	s_waitcnt vmcnt(4)
	v_fma_f64 v[2:3], v[134:135], v[156:157], v[2:3]
	s_waitcnt lgkmcnt(0)
	s_delay_alu instid0(VALU_DEP_1)
	v_fma_f64 v[2:3], v[136:137], v[158:159], v[2:3]
	scratch_load_b128 v[134:137], off, off offset:488
	s_waitcnt vmcnt(4)
	v_fma_f64 v[2:3], v[146:147], v[160:161], v[2:3]
	ds_load_b128 v[154:157], v1 offset:944
	ds_load_b128 v[158:161], v1 offset:960
	s_waitcnt lgkmcnt(1)
	v_fma_f64 v[2:3], v[148:149], v[154:155], v[2:3]
	s_waitcnt vmcnt(3)
	s_delay_alu instid0(VALU_DEP_1) | instskip(SKIP_1) | instid1(VALU_DEP_1)
	v_fma_f64 v[2:3], v[138:139], v[156:157], v[2:3]
	s_waitcnt lgkmcnt(0)
	v_fma_f64 v[2:3], v[140:141], v[158:159], v[2:3]
	ds_load_b128 v[138:141], v1 offset:976
	ds_load_b128 v[146:149], v1 offset:992
	s_waitcnt vmcnt(2)
	v_fma_f64 v[2:3], v[150:151], v[160:161], v[2:3]
	s_waitcnt lgkmcnt(1)
	s_delay_alu instid0(VALU_DEP_1) | instskip(SKIP_1) | instid1(VALU_DEP_1)
	v_fma_f64 v[2:3], v[152:153], v[138:139], v[2:3]
	s_waitcnt vmcnt(1)
	v_fma_f64 v[2:3], v[142:143], v[140:141], v[2:3]
	s_waitcnt lgkmcnt(0)
	s_delay_alu instid0(VALU_DEP_1) | instskip(SKIP_1) | instid1(VALU_DEP_1)
	v_fma_f64 v[2:3], v[144:145], v[146:147], v[2:3]
	s_waitcnt vmcnt(0)
	v_fma_f64 v[2:3], v[134:135], v[148:149], v[2:3]
	ds_load_b64 v[134:135], v1 offset:1008
	s_waitcnt lgkmcnt(0)
	v_fma_f64 v[2:3], v[136:137], v[134:135], v[2:3]
	s_delay_alu instid0(VALU_DEP_1)
	v_add_f64 v[2:3], v[132:133], -v[2:3]
	scratch_store_b64 off, v[2:3], off offset:232
	v_cmpx_lt_u32_e32 28, v0
	s_cbranch_execz .LBB62_331
; %bb.330:
	scratch_load_b64 v[3:4], off, off offset:224
	v_mov_b32_e32 v2, v1
	scratch_store_b64 off, v[1:2], off offset:224
	s_waitcnt vmcnt(0)
	ds_store_b64 v5, v[3:4]
.LBB62_331:
	s_or_b32 exec_lo, exec_lo, s0
	s_waitcnt lgkmcnt(0)
	s_waitcnt_vscnt null, 0x0
	s_barrier
	buffer_gl0_inv
	s_clause 0x4
	scratch_load_b128 v[132:135], off, off offset:224
	scratch_load_b128 v[136:139], off, off offset:240
	;; [unrolled: 1-line block ×5, first 2 shown]
	ds_load_2addr_b64 v[152:155], v1 offset0:93 offset1:94
	ds_load_2addr_b64 v[156:159], v1 offset0:95 offset1:96
	scratch_load_b128 v[160:163], off, off offset:304
	s_mov_b32 s0, exec_lo
	s_waitcnt vmcnt(5) lgkmcnt(1)
	v_fma_f64 v[2:3], v[134:135], v[152:153], 0
	s_waitcnt vmcnt(4)
	s_delay_alu instid0(VALU_DEP_1) | instskip(SKIP_4) | instid1(VALU_DEP_1)
	v_fma_f64 v[2:3], v[136:137], v[154:155], v[2:3]
	scratch_load_b128 v[134:137], off, off offset:320
	s_waitcnt lgkmcnt(0)
	v_fma_f64 v[2:3], v[138:139], v[156:157], v[2:3]
	s_waitcnt vmcnt(4)
	v_fma_f64 v[2:3], v[140:141], v[158:159], v[2:3]
	ds_load_2addr_b64 v[138:141], v1 offset0:97 offset1:98
	ds_load_2addr_b64 v[152:155], v1 offset0:99 offset1:100
	scratch_load_b128 v[156:159], off, off offset:336
	s_waitcnt lgkmcnt(1)
	v_fma_f64 v[2:3], v[142:143], v[138:139], v[2:3]
	s_waitcnt vmcnt(4)
	s_delay_alu instid0(VALU_DEP_1) | instskip(SKIP_4) | instid1(VALU_DEP_1)
	v_fma_f64 v[2:3], v[144:145], v[140:141], v[2:3]
	scratch_load_b128 v[138:141], off, off offset:352
	s_waitcnt lgkmcnt(0)
	v_fma_f64 v[2:3], v[146:147], v[152:153], v[2:3]
	s_waitcnt vmcnt(4)
	v_fma_f64 v[2:3], v[148:149], v[154:155], v[2:3]
	ds_load_2addr_b64 v[142:145], v1 offset0:101 offset1:102
	ds_load_2addr_b64 v[146:149], v1 offset0:103 offset1:104
	s_waitcnt lgkmcnt(1)
	v_fma_f64 v[2:3], v[150:151], v[142:143], v[2:3]
	scratch_load_b128 v[150:153], off, off offset:368
	s_waitcnt vmcnt(4)
	v_fma_f64 v[2:3], v[160:161], v[144:145], v[2:3]
	scratch_load_b128 v[142:145], off, off offset:384
	s_waitcnt lgkmcnt(0)
	v_fma_f64 v[2:3], v[162:163], v[146:147], v[2:3]
	s_waitcnt vmcnt(4)
	s_delay_alu instid0(VALU_DEP_1)
	v_fma_f64 v[2:3], v[134:135], v[148:149], v[2:3]
	ds_load_2addr_b64 v[146:149], v1 offset0:105 offset1:106
	ds_load_2addr_b64 v[160:163], v1 offset0:107 offset1:108
	s_waitcnt lgkmcnt(1)
	v_fma_f64 v[2:3], v[136:137], v[146:147], v[2:3]
	scratch_load_b128 v[134:137], off, off offset:400
	s_waitcnt vmcnt(4)
	v_fma_f64 v[2:3], v[156:157], v[148:149], v[2:3]
	scratch_load_b128 v[146:149], off, off offset:416
	s_waitcnt lgkmcnt(0)
	v_fma_f64 v[2:3], v[158:159], v[160:161], v[2:3]
	ds_load_2addr_b64 v[154:157], v1 offset0:109 offset1:110
	ds_load_2addr_b64 v[158:161], v1 offset0:111 offset1:112
	s_waitcnt vmcnt(4)
	v_fma_f64 v[2:3], v[138:139], v[162:163], v[2:3]
	s_waitcnt lgkmcnt(1)
	s_delay_alu instid0(VALU_DEP_1) | instskip(SKIP_4) | instid1(VALU_DEP_1)
	v_fma_f64 v[2:3], v[140:141], v[154:155], v[2:3]
	scratch_load_b128 v[138:141], off, off offset:432
	s_waitcnt vmcnt(4)
	v_fma_f64 v[2:3], v[150:151], v[156:157], v[2:3]
	s_waitcnt lgkmcnt(0)
	v_fma_f64 v[2:3], v[152:153], v[158:159], v[2:3]
	scratch_load_b128 v[150:153], off, off offset:448
	s_waitcnt vmcnt(4)
	v_fma_f64 v[2:3], v[142:143], v[160:161], v[2:3]
	ds_load_2addr_b64 v[154:157], v1 offset0:113 offset1:114
	ds_load_2addr_b64 v[158:161], v1 offset0:115 offset1:116
	s_waitcnt lgkmcnt(1)
	v_fma_f64 v[2:3], v[144:145], v[154:155], v[2:3]
	scratch_load_b128 v[142:145], off, off offset:464
	s_waitcnt vmcnt(4)
	v_fma_f64 v[2:3], v[134:135], v[156:157], v[2:3]
	s_waitcnt lgkmcnt(0)
	s_delay_alu instid0(VALU_DEP_1)
	v_fma_f64 v[2:3], v[136:137], v[158:159], v[2:3]
	scratch_load_b128 v[134:137], off, off offset:480
	s_waitcnt vmcnt(4)
	v_fma_f64 v[2:3], v[146:147], v[160:161], v[2:3]
	ds_load_2addr_b64 v[154:157], v1 offset0:117 offset1:118
	ds_load_2addr_b64 v[158:161], v1 offset0:119 offset1:120
	s_waitcnt lgkmcnt(1)
	v_fma_f64 v[2:3], v[148:149], v[154:155], v[2:3]
	scratch_load_b64 v[154:155], off, off offset:496
	s_waitcnt vmcnt(4)
	v_fma_f64 v[2:3], v[138:139], v[156:157], v[2:3]
	s_waitcnt lgkmcnt(0)
	s_delay_alu instid0(VALU_DEP_1)
	v_fma_f64 v[2:3], v[140:141], v[158:159], v[2:3]
	ds_load_2addr_b64 v[138:141], v1 offset0:121 offset1:122
	ds_load_2addr_b64 v[146:149], v1 offset0:123 offset1:124
	s_waitcnt vmcnt(3)
	v_fma_f64 v[2:3], v[150:151], v[160:161], v[2:3]
	s_waitcnt lgkmcnt(1)
	s_delay_alu instid0(VALU_DEP_1) | instskip(SKIP_1) | instid1(VALU_DEP_1)
	v_fma_f64 v[2:3], v[152:153], v[138:139], v[2:3]
	s_waitcnt vmcnt(2)
	v_fma_f64 v[2:3], v[142:143], v[140:141], v[2:3]
	s_waitcnt lgkmcnt(0)
	s_delay_alu instid0(VALU_DEP_1) | instskip(SKIP_1) | instid1(VALU_DEP_1)
	v_fma_f64 v[2:3], v[144:145], v[146:147], v[2:3]
	s_waitcnt vmcnt(1)
	v_fma_f64 v[134:135], v[134:135], v[148:149], v[2:3]
	ds_load_2addr_b64 v[1:4], v1 offset0:125 offset1:126
	s_waitcnt lgkmcnt(0)
	v_fma_f64 v[1:2], v[136:137], v[1:2], v[134:135]
	s_waitcnt vmcnt(0)
	s_delay_alu instid0(VALU_DEP_1) | instskip(NEXT) | instid1(VALU_DEP_1)
	v_fma_f64 v[1:2], v[154:155], v[3:4], v[1:2]
	v_add_f64 v[1:2], v[132:133], -v[1:2]
	scratch_store_b64 off, v[1:2], off offset:224
	v_cmpx_lt_u32_e32 27, v0
	s_cbranch_execz .LBB62_333
; %bb.332:
	scratch_load_b64 v[1:2], off, off offset:216
	v_mov_b32_e32 v3, 0
	s_delay_alu instid0(VALU_DEP_1)
	v_mov_b32_e32 v4, v3
	scratch_store_b64 off, v[3:4], off offset:216
	s_waitcnt vmcnt(0)
	ds_store_b64 v5, v[1:2]
.LBB62_333:
	s_or_b32 exec_lo, exec_lo, s0
	s_waitcnt lgkmcnt(0)
	s_waitcnt_vscnt null, 0x0
	s_barrier
	buffer_gl0_inv
	s_clause 0x4
	scratch_load_b128 v[132:135], off, off offset:216
	scratch_load_b128 v[136:139], off, off offset:232
	;; [unrolled: 1-line block ×5, first 2 shown]
	v_mov_b32_e32 v1, 0
	ds_load_b128 v[152:155], v1 offset:736
	ds_load_b128 v[156:159], v1 offset:752
	scratch_load_b128 v[160:163], off, off offset:296
	s_mov_b32 s0, exec_lo
	s_waitcnt vmcnt(5) lgkmcnt(1)
	v_fma_f64 v[2:3], v[134:135], v[152:153], 0
	s_waitcnt vmcnt(4)
	s_delay_alu instid0(VALU_DEP_1) | instskip(SKIP_4) | instid1(VALU_DEP_1)
	v_fma_f64 v[2:3], v[136:137], v[154:155], v[2:3]
	scratch_load_b128 v[134:137], off, off offset:312
	s_waitcnt lgkmcnt(0)
	v_fma_f64 v[2:3], v[138:139], v[156:157], v[2:3]
	s_waitcnt vmcnt(4)
	v_fma_f64 v[2:3], v[140:141], v[158:159], v[2:3]
	ds_load_b128 v[138:141], v1 offset:768
	ds_load_b128 v[152:155], v1 offset:784
	scratch_load_b128 v[156:159], off, off offset:328
	s_waitcnt lgkmcnt(1)
	v_fma_f64 v[2:3], v[142:143], v[138:139], v[2:3]
	s_waitcnt vmcnt(4)
	s_delay_alu instid0(VALU_DEP_1) | instskip(SKIP_4) | instid1(VALU_DEP_1)
	v_fma_f64 v[2:3], v[144:145], v[140:141], v[2:3]
	scratch_load_b128 v[138:141], off, off offset:344
	s_waitcnt lgkmcnt(0)
	v_fma_f64 v[2:3], v[146:147], v[152:153], v[2:3]
	s_waitcnt vmcnt(4)
	v_fma_f64 v[2:3], v[148:149], v[154:155], v[2:3]
	ds_load_b128 v[142:145], v1 offset:800
	ds_load_b128 v[146:149], v1 offset:816
	s_waitcnt lgkmcnt(1)
	v_fma_f64 v[2:3], v[150:151], v[142:143], v[2:3]
	scratch_load_b128 v[150:153], off, off offset:360
	s_waitcnt vmcnt(4)
	v_fma_f64 v[2:3], v[160:161], v[144:145], v[2:3]
	scratch_load_b128 v[142:145], off, off offset:376
	s_waitcnt lgkmcnt(0)
	v_fma_f64 v[2:3], v[162:163], v[146:147], v[2:3]
	s_waitcnt vmcnt(4)
	s_delay_alu instid0(VALU_DEP_1)
	v_fma_f64 v[2:3], v[134:135], v[148:149], v[2:3]
	ds_load_b128 v[146:149], v1 offset:832
	ds_load_b128 v[160:163], v1 offset:848
	s_waitcnt lgkmcnt(1)
	v_fma_f64 v[2:3], v[136:137], v[146:147], v[2:3]
	scratch_load_b128 v[134:137], off, off offset:392
	s_waitcnt vmcnt(4)
	v_fma_f64 v[2:3], v[156:157], v[148:149], v[2:3]
	scratch_load_b128 v[146:149], off, off offset:408
	s_waitcnt lgkmcnt(0)
	v_fma_f64 v[2:3], v[158:159], v[160:161], v[2:3]
	ds_load_b128 v[154:157], v1 offset:864
	ds_load_b128 v[158:161], v1 offset:880
	s_waitcnt vmcnt(4)
	v_fma_f64 v[2:3], v[138:139], v[162:163], v[2:3]
	s_waitcnt lgkmcnt(1)
	s_delay_alu instid0(VALU_DEP_1) | instskip(SKIP_4) | instid1(VALU_DEP_1)
	v_fma_f64 v[2:3], v[140:141], v[154:155], v[2:3]
	scratch_load_b128 v[138:141], off, off offset:424
	s_waitcnt vmcnt(4)
	v_fma_f64 v[2:3], v[150:151], v[156:157], v[2:3]
	s_waitcnt lgkmcnt(0)
	v_fma_f64 v[2:3], v[152:153], v[158:159], v[2:3]
	scratch_load_b128 v[150:153], off, off offset:440
	s_waitcnt vmcnt(4)
	v_fma_f64 v[2:3], v[142:143], v[160:161], v[2:3]
	ds_load_b128 v[154:157], v1 offset:896
	ds_load_b128 v[158:161], v1 offset:912
	s_waitcnt lgkmcnt(1)
	v_fma_f64 v[2:3], v[144:145], v[154:155], v[2:3]
	scratch_load_b128 v[142:145], off, off offset:456
	s_waitcnt vmcnt(4)
	v_fma_f64 v[2:3], v[134:135], v[156:157], v[2:3]
	s_waitcnt lgkmcnt(0)
	s_delay_alu instid0(VALU_DEP_1)
	v_fma_f64 v[2:3], v[136:137], v[158:159], v[2:3]
	scratch_load_b128 v[134:137], off, off offset:472
	s_waitcnt vmcnt(4)
	v_fma_f64 v[2:3], v[146:147], v[160:161], v[2:3]
	ds_load_b128 v[154:157], v1 offset:928
	ds_load_b128 v[158:161], v1 offset:944
	s_waitcnt lgkmcnt(1)
	v_fma_f64 v[2:3], v[148:149], v[154:155], v[2:3]
	scratch_load_b128 v[146:149], off, off offset:488
	s_waitcnt vmcnt(4)
	v_fma_f64 v[2:3], v[138:139], v[156:157], v[2:3]
	s_waitcnt lgkmcnt(0)
	s_delay_alu instid0(VALU_DEP_1)
	v_fma_f64 v[2:3], v[140:141], v[158:159], v[2:3]
	ds_load_b128 v[138:141], v1 offset:960
	ds_load_b128 v[154:157], v1 offset:976
	s_waitcnt vmcnt(3)
	v_fma_f64 v[2:3], v[150:151], v[160:161], v[2:3]
	s_waitcnt lgkmcnt(1)
	s_delay_alu instid0(VALU_DEP_1) | instskip(SKIP_1) | instid1(VALU_DEP_1)
	v_fma_f64 v[2:3], v[152:153], v[138:139], v[2:3]
	s_waitcnt vmcnt(2)
	v_fma_f64 v[2:3], v[142:143], v[140:141], v[2:3]
	s_waitcnt lgkmcnt(0)
	s_delay_alu instid0(VALU_DEP_1) | instskip(SKIP_1) | instid1(VALU_DEP_1)
	v_fma_f64 v[2:3], v[144:145], v[154:155], v[2:3]
	s_waitcnt vmcnt(1)
	v_fma_f64 v[2:3], v[134:135], v[156:157], v[2:3]
	ds_load_b128 v[138:141], v1 offset:992
	ds_load_b64 v[134:135], v1 offset:1008
	s_waitcnt lgkmcnt(1)
	v_fma_f64 v[2:3], v[136:137], v[138:139], v[2:3]
	s_waitcnt vmcnt(0)
	s_delay_alu instid0(VALU_DEP_1) | instskip(SKIP_1) | instid1(VALU_DEP_1)
	v_fma_f64 v[2:3], v[146:147], v[140:141], v[2:3]
	s_waitcnt lgkmcnt(0)
	v_fma_f64 v[2:3], v[148:149], v[134:135], v[2:3]
	s_delay_alu instid0(VALU_DEP_1)
	v_add_f64 v[2:3], v[132:133], -v[2:3]
	scratch_store_b64 off, v[2:3], off offset:216
	v_cmpx_lt_u32_e32 26, v0
	s_cbranch_execz .LBB62_335
; %bb.334:
	scratch_load_b64 v[3:4], off, off offset:208
	v_mov_b32_e32 v2, v1
	scratch_store_b64 off, v[1:2], off offset:208
	s_waitcnt vmcnt(0)
	ds_store_b64 v5, v[3:4]
.LBB62_335:
	s_or_b32 exec_lo, exec_lo, s0
	s_waitcnt lgkmcnt(0)
	s_waitcnt_vscnt null, 0x0
	s_barrier
	buffer_gl0_inv
	s_clause 0x4
	scratch_load_b128 v[132:135], off, off offset:208
	scratch_load_b128 v[136:139], off, off offset:224
	;; [unrolled: 1-line block ×5, first 2 shown]
	ds_load_2addr_b64 v[152:155], v1 offset0:91 offset1:92
	ds_load_2addr_b64 v[156:159], v1 offset0:93 offset1:94
	scratch_load_b128 v[160:163], off, off offset:288
	s_mov_b32 s0, exec_lo
	s_waitcnt vmcnt(5) lgkmcnt(1)
	v_fma_f64 v[2:3], v[134:135], v[152:153], 0
	s_waitcnt vmcnt(4)
	s_delay_alu instid0(VALU_DEP_1) | instskip(SKIP_4) | instid1(VALU_DEP_1)
	v_fma_f64 v[2:3], v[136:137], v[154:155], v[2:3]
	scratch_load_b128 v[134:137], off, off offset:304
	s_waitcnt lgkmcnt(0)
	v_fma_f64 v[2:3], v[138:139], v[156:157], v[2:3]
	s_waitcnt vmcnt(4)
	v_fma_f64 v[2:3], v[140:141], v[158:159], v[2:3]
	ds_load_2addr_b64 v[138:141], v1 offset0:95 offset1:96
	ds_load_2addr_b64 v[152:155], v1 offset0:97 offset1:98
	scratch_load_b128 v[156:159], off, off offset:320
	s_waitcnt lgkmcnt(1)
	v_fma_f64 v[2:3], v[142:143], v[138:139], v[2:3]
	s_waitcnt vmcnt(4)
	s_delay_alu instid0(VALU_DEP_1) | instskip(SKIP_4) | instid1(VALU_DEP_1)
	v_fma_f64 v[2:3], v[144:145], v[140:141], v[2:3]
	scratch_load_b128 v[138:141], off, off offset:336
	s_waitcnt lgkmcnt(0)
	v_fma_f64 v[2:3], v[146:147], v[152:153], v[2:3]
	s_waitcnt vmcnt(4)
	v_fma_f64 v[2:3], v[148:149], v[154:155], v[2:3]
	ds_load_2addr_b64 v[142:145], v1 offset0:99 offset1:100
	ds_load_2addr_b64 v[146:149], v1 offset0:101 offset1:102
	s_waitcnt lgkmcnt(1)
	v_fma_f64 v[2:3], v[150:151], v[142:143], v[2:3]
	scratch_load_b128 v[150:153], off, off offset:352
	s_waitcnt vmcnt(4)
	v_fma_f64 v[2:3], v[160:161], v[144:145], v[2:3]
	scratch_load_b128 v[142:145], off, off offset:368
	s_waitcnt lgkmcnt(0)
	v_fma_f64 v[2:3], v[162:163], v[146:147], v[2:3]
	s_waitcnt vmcnt(4)
	s_delay_alu instid0(VALU_DEP_1)
	v_fma_f64 v[2:3], v[134:135], v[148:149], v[2:3]
	ds_load_2addr_b64 v[146:149], v1 offset0:103 offset1:104
	ds_load_2addr_b64 v[160:163], v1 offset0:105 offset1:106
	s_waitcnt lgkmcnt(1)
	v_fma_f64 v[2:3], v[136:137], v[146:147], v[2:3]
	scratch_load_b128 v[134:137], off, off offset:384
	s_waitcnt vmcnt(4)
	v_fma_f64 v[2:3], v[156:157], v[148:149], v[2:3]
	scratch_load_b128 v[146:149], off, off offset:400
	s_waitcnt lgkmcnt(0)
	v_fma_f64 v[2:3], v[158:159], v[160:161], v[2:3]
	ds_load_2addr_b64 v[154:157], v1 offset0:107 offset1:108
	ds_load_2addr_b64 v[158:161], v1 offset0:109 offset1:110
	s_waitcnt vmcnt(4)
	v_fma_f64 v[2:3], v[138:139], v[162:163], v[2:3]
	s_waitcnt lgkmcnt(1)
	s_delay_alu instid0(VALU_DEP_1) | instskip(SKIP_4) | instid1(VALU_DEP_1)
	v_fma_f64 v[2:3], v[140:141], v[154:155], v[2:3]
	scratch_load_b128 v[138:141], off, off offset:416
	s_waitcnt vmcnt(4)
	v_fma_f64 v[2:3], v[150:151], v[156:157], v[2:3]
	s_waitcnt lgkmcnt(0)
	v_fma_f64 v[2:3], v[152:153], v[158:159], v[2:3]
	scratch_load_b128 v[150:153], off, off offset:432
	s_waitcnt vmcnt(4)
	v_fma_f64 v[2:3], v[142:143], v[160:161], v[2:3]
	ds_load_2addr_b64 v[154:157], v1 offset0:111 offset1:112
	ds_load_2addr_b64 v[158:161], v1 offset0:113 offset1:114
	s_waitcnt lgkmcnt(1)
	v_fma_f64 v[2:3], v[144:145], v[154:155], v[2:3]
	scratch_load_b128 v[142:145], off, off offset:448
	s_waitcnt vmcnt(4)
	v_fma_f64 v[2:3], v[134:135], v[156:157], v[2:3]
	s_waitcnt lgkmcnt(0)
	s_delay_alu instid0(VALU_DEP_1)
	v_fma_f64 v[2:3], v[136:137], v[158:159], v[2:3]
	scratch_load_b128 v[134:137], off, off offset:464
	s_waitcnt vmcnt(4)
	v_fma_f64 v[2:3], v[146:147], v[160:161], v[2:3]
	ds_load_2addr_b64 v[154:157], v1 offset0:115 offset1:116
	ds_load_2addr_b64 v[158:161], v1 offset0:117 offset1:118
	s_waitcnt lgkmcnt(1)
	v_fma_f64 v[2:3], v[148:149], v[154:155], v[2:3]
	scratch_load_b128 v[146:149], off, off offset:480
	s_waitcnt vmcnt(4)
	v_fma_f64 v[2:3], v[138:139], v[156:157], v[2:3]
	s_waitcnt lgkmcnt(0)
	s_delay_alu instid0(VALU_DEP_1)
	v_fma_f64 v[2:3], v[140:141], v[158:159], v[2:3]
	scratch_load_b64 v[158:159], off, off offset:496
	ds_load_2addr_b64 v[138:141], v1 offset0:119 offset1:120
	ds_load_2addr_b64 v[154:157], v1 offset0:121 offset1:122
	s_waitcnt vmcnt(4)
	v_fma_f64 v[2:3], v[150:151], v[160:161], v[2:3]
	s_waitcnt lgkmcnt(1)
	s_delay_alu instid0(VALU_DEP_1) | instskip(SKIP_1) | instid1(VALU_DEP_1)
	v_fma_f64 v[2:3], v[152:153], v[138:139], v[2:3]
	s_waitcnt vmcnt(3)
	v_fma_f64 v[2:3], v[142:143], v[140:141], v[2:3]
	s_waitcnt lgkmcnt(0)
	s_delay_alu instid0(VALU_DEP_1) | instskip(SKIP_1) | instid1(VALU_DEP_1)
	v_fma_f64 v[2:3], v[144:145], v[154:155], v[2:3]
	s_waitcnt vmcnt(2)
	v_fma_f64 v[134:135], v[134:135], v[156:157], v[2:3]
	ds_load_2addr_b64 v[138:141], v1 offset0:123 offset1:124
	ds_load_2addr_b64 v[1:4], v1 offset0:125 offset1:126
	s_waitcnt lgkmcnt(1)
	v_fma_f64 v[134:135], v[136:137], v[138:139], v[134:135]
	s_waitcnt vmcnt(1)
	s_delay_alu instid0(VALU_DEP_1) | instskip(SKIP_1) | instid1(VALU_DEP_1)
	v_fma_f64 v[134:135], v[146:147], v[140:141], v[134:135]
	s_waitcnt lgkmcnt(0)
	v_fma_f64 v[1:2], v[148:149], v[1:2], v[134:135]
	s_waitcnt vmcnt(0)
	s_delay_alu instid0(VALU_DEP_1) | instskip(NEXT) | instid1(VALU_DEP_1)
	v_fma_f64 v[1:2], v[158:159], v[3:4], v[1:2]
	v_add_f64 v[1:2], v[132:133], -v[1:2]
	scratch_store_b64 off, v[1:2], off offset:208
	v_cmpx_lt_u32_e32 25, v0
	s_cbranch_execz .LBB62_337
; %bb.336:
	scratch_load_b64 v[1:2], off, off offset:200
	v_mov_b32_e32 v3, 0
	s_delay_alu instid0(VALU_DEP_1)
	v_mov_b32_e32 v4, v3
	scratch_store_b64 off, v[3:4], off offset:200
	s_waitcnt vmcnt(0)
	ds_store_b64 v5, v[1:2]
.LBB62_337:
	s_or_b32 exec_lo, exec_lo, s0
	s_waitcnt lgkmcnt(0)
	s_waitcnt_vscnt null, 0x0
	s_barrier
	buffer_gl0_inv
	s_clause 0x4
	scratch_load_b128 v[132:135], off, off offset:200
	scratch_load_b128 v[136:139], off, off offset:216
	;; [unrolled: 1-line block ×5, first 2 shown]
	v_mov_b32_e32 v1, 0
	ds_load_b128 v[152:155], v1 offset:720
	ds_load_b128 v[156:159], v1 offset:736
	scratch_load_b128 v[160:163], off, off offset:280
	s_mov_b32 s0, exec_lo
	s_waitcnt vmcnt(5) lgkmcnt(1)
	v_fma_f64 v[2:3], v[134:135], v[152:153], 0
	s_waitcnt vmcnt(4)
	s_delay_alu instid0(VALU_DEP_1) | instskip(SKIP_4) | instid1(VALU_DEP_1)
	v_fma_f64 v[2:3], v[136:137], v[154:155], v[2:3]
	scratch_load_b128 v[134:137], off, off offset:296
	s_waitcnt lgkmcnt(0)
	v_fma_f64 v[2:3], v[138:139], v[156:157], v[2:3]
	s_waitcnt vmcnt(4)
	v_fma_f64 v[2:3], v[140:141], v[158:159], v[2:3]
	ds_load_b128 v[138:141], v1 offset:752
	ds_load_b128 v[152:155], v1 offset:768
	scratch_load_b128 v[156:159], off, off offset:312
	s_waitcnt lgkmcnt(1)
	v_fma_f64 v[2:3], v[142:143], v[138:139], v[2:3]
	s_waitcnt vmcnt(4)
	s_delay_alu instid0(VALU_DEP_1) | instskip(SKIP_4) | instid1(VALU_DEP_1)
	v_fma_f64 v[2:3], v[144:145], v[140:141], v[2:3]
	scratch_load_b128 v[138:141], off, off offset:328
	s_waitcnt lgkmcnt(0)
	v_fma_f64 v[2:3], v[146:147], v[152:153], v[2:3]
	s_waitcnt vmcnt(4)
	v_fma_f64 v[2:3], v[148:149], v[154:155], v[2:3]
	ds_load_b128 v[142:145], v1 offset:784
	ds_load_b128 v[146:149], v1 offset:800
	s_waitcnt lgkmcnt(1)
	v_fma_f64 v[2:3], v[150:151], v[142:143], v[2:3]
	scratch_load_b128 v[150:153], off, off offset:344
	s_waitcnt vmcnt(4)
	v_fma_f64 v[2:3], v[160:161], v[144:145], v[2:3]
	scratch_load_b128 v[142:145], off, off offset:360
	s_waitcnt lgkmcnt(0)
	v_fma_f64 v[2:3], v[162:163], v[146:147], v[2:3]
	s_waitcnt vmcnt(4)
	s_delay_alu instid0(VALU_DEP_1)
	v_fma_f64 v[2:3], v[134:135], v[148:149], v[2:3]
	ds_load_b128 v[146:149], v1 offset:816
	ds_load_b128 v[160:163], v1 offset:832
	s_waitcnt lgkmcnt(1)
	v_fma_f64 v[2:3], v[136:137], v[146:147], v[2:3]
	scratch_load_b128 v[134:137], off, off offset:376
	s_waitcnt vmcnt(4)
	v_fma_f64 v[2:3], v[156:157], v[148:149], v[2:3]
	scratch_load_b128 v[146:149], off, off offset:392
	s_waitcnt lgkmcnt(0)
	v_fma_f64 v[2:3], v[158:159], v[160:161], v[2:3]
	ds_load_b128 v[154:157], v1 offset:848
	ds_load_b128 v[158:161], v1 offset:864
	s_waitcnt vmcnt(4)
	v_fma_f64 v[2:3], v[138:139], v[162:163], v[2:3]
	s_waitcnt lgkmcnt(1)
	s_delay_alu instid0(VALU_DEP_1) | instskip(SKIP_4) | instid1(VALU_DEP_1)
	v_fma_f64 v[2:3], v[140:141], v[154:155], v[2:3]
	scratch_load_b128 v[138:141], off, off offset:408
	s_waitcnt vmcnt(4)
	v_fma_f64 v[2:3], v[150:151], v[156:157], v[2:3]
	s_waitcnt lgkmcnt(0)
	v_fma_f64 v[2:3], v[152:153], v[158:159], v[2:3]
	scratch_load_b128 v[150:153], off, off offset:424
	s_waitcnt vmcnt(4)
	v_fma_f64 v[2:3], v[142:143], v[160:161], v[2:3]
	ds_load_b128 v[154:157], v1 offset:880
	ds_load_b128 v[158:161], v1 offset:896
	s_waitcnt lgkmcnt(1)
	v_fma_f64 v[2:3], v[144:145], v[154:155], v[2:3]
	scratch_load_b128 v[142:145], off, off offset:440
	s_waitcnt vmcnt(4)
	v_fma_f64 v[2:3], v[134:135], v[156:157], v[2:3]
	s_waitcnt lgkmcnt(0)
	s_delay_alu instid0(VALU_DEP_1)
	v_fma_f64 v[2:3], v[136:137], v[158:159], v[2:3]
	scratch_load_b128 v[134:137], off, off offset:456
	s_waitcnt vmcnt(4)
	v_fma_f64 v[2:3], v[146:147], v[160:161], v[2:3]
	ds_load_b128 v[154:157], v1 offset:912
	ds_load_b128 v[158:161], v1 offset:928
	s_waitcnt lgkmcnt(1)
	v_fma_f64 v[2:3], v[148:149], v[154:155], v[2:3]
	scratch_load_b128 v[146:149], off, off offset:472
	s_waitcnt vmcnt(4)
	v_fma_f64 v[2:3], v[138:139], v[156:157], v[2:3]
	s_waitcnt lgkmcnt(0)
	s_delay_alu instid0(VALU_DEP_1)
	v_fma_f64 v[2:3], v[140:141], v[158:159], v[2:3]
	scratch_load_b128 v[138:141], off, off offset:488
	s_waitcnt vmcnt(4)
	v_fma_f64 v[2:3], v[150:151], v[160:161], v[2:3]
	ds_load_b128 v[154:157], v1 offset:944
	ds_load_b128 v[158:161], v1 offset:960
	s_waitcnt lgkmcnt(1)
	v_fma_f64 v[2:3], v[152:153], v[154:155], v[2:3]
	s_waitcnt vmcnt(3)
	s_delay_alu instid0(VALU_DEP_1) | instskip(SKIP_1) | instid1(VALU_DEP_1)
	v_fma_f64 v[2:3], v[142:143], v[156:157], v[2:3]
	s_waitcnt lgkmcnt(0)
	v_fma_f64 v[2:3], v[144:145], v[158:159], v[2:3]
	ds_load_b128 v[142:145], v1 offset:976
	ds_load_b128 v[150:153], v1 offset:992
	s_waitcnt vmcnt(2)
	v_fma_f64 v[2:3], v[134:135], v[160:161], v[2:3]
	ds_load_b64 v[134:135], v1 offset:1008
	s_waitcnt lgkmcnt(2)
	v_fma_f64 v[2:3], v[136:137], v[142:143], v[2:3]
	s_waitcnt vmcnt(1)
	s_delay_alu instid0(VALU_DEP_1) | instskip(SKIP_1) | instid1(VALU_DEP_1)
	v_fma_f64 v[2:3], v[146:147], v[144:145], v[2:3]
	s_waitcnt lgkmcnt(1)
	v_fma_f64 v[2:3], v[148:149], v[150:151], v[2:3]
	s_waitcnt vmcnt(0)
	s_delay_alu instid0(VALU_DEP_1) | instskip(SKIP_1) | instid1(VALU_DEP_1)
	v_fma_f64 v[2:3], v[138:139], v[152:153], v[2:3]
	s_waitcnt lgkmcnt(0)
	v_fma_f64 v[2:3], v[140:141], v[134:135], v[2:3]
	s_delay_alu instid0(VALU_DEP_1)
	v_add_f64 v[2:3], v[132:133], -v[2:3]
	scratch_store_b64 off, v[2:3], off offset:200
	v_cmpx_lt_u32_e32 24, v0
	s_cbranch_execz .LBB62_339
; %bb.338:
	scratch_load_b64 v[3:4], off, off offset:192
	v_mov_b32_e32 v2, v1
	scratch_store_b64 off, v[1:2], off offset:192
	s_waitcnt vmcnt(0)
	ds_store_b64 v5, v[3:4]
.LBB62_339:
	s_or_b32 exec_lo, exec_lo, s0
	s_waitcnt lgkmcnt(0)
	s_waitcnt_vscnt null, 0x0
	s_barrier
	buffer_gl0_inv
	s_clause 0x4
	scratch_load_b128 v[132:135], off, off offset:192
	scratch_load_b128 v[136:139], off, off offset:208
	;; [unrolled: 1-line block ×5, first 2 shown]
	ds_load_2addr_b64 v[152:155], v1 offset0:89 offset1:90
	ds_load_2addr_b64 v[156:159], v1 offset0:91 offset1:92
	scratch_load_b128 v[160:163], off, off offset:272
	s_mov_b32 s0, exec_lo
	s_waitcnt vmcnt(5) lgkmcnt(1)
	v_fma_f64 v[2:3], v[134:135], v[152:153], 0
	s_waitcnt vmcnt(4)
	s_delay_alu instid0(VALU_DEP_1) | instskip(SKIP_4) | instid1(VALU_DEP_1)
	v_fma_f64 v[2:3], v[136:137], v[154:155], v[2:3]
	scratch_load_b128 v[134:137], off, off offset:288
	s_waitcnt lgkmcnt(0)
	v_fma_f64 v[2:3], v[138:139], v[156:157], v[2:3]
	s_waitcnt vmcnt(4)
	v_fma_f64 v[2:3], v[140:141], v[158:159], v[2:3]
	ds_load_2addr_b64 v[138:141], v1 offset0:93 offset1:94
	ds_load_2addr_b64 v[152:155], v1 offset0:95 offset1:96
	scratch_load_b128 v[156:159], off, off offset:304
	s_waitcnt lgkmcnt(1)
	v_fma_f64 v[2:3], v[142:143], v[138:139], v[2:3]
	s_waitcnt vmcnt(4)
	s_delay_alu instid0(VALU_DEP_1) | instskip(SKIP_4) | instid1(VALU_DEP_1)
	v_fma_f64 v[2:3], v[144:145], v[140:141], v[2:3]
	scratch_load_b128 v[138:141], off, off offset:320
	s_waitcnt lgkmcnt(0)
	v_fma_f64 v[2:3], v[146:147], v[152:153], v[2:3]
	s_waitcnt vmcnt(4)
	v_fma_f64 v[2:3], v[148:149], v[154:155], v[2:3]
	ds_load_2addr_b64 v[142:145], v1 offset0:97 offset1:98
	ds_load_2addr_b64 v[146:149], v1 offset0:99 offset1:100
	s_waitcnt lgkmcnt(1)
	v_fma_f64 v[2:3], v[150:151], v[142:143], v[2:3]
	scratch_load_b128 v[150:153], off, off offset:336
	s_waitcnt vmcnt(4)
	v_fma_f64 v[2:3], v[160:161], v[144:145], v[2:3]
	scratch_load_b128 v[142:145], off, off offset:352
	s_waitcnt lgkmcnt(0)
	v_fma_f64 v[2:3], v[162:163], v[146:147], v[2:3]
	s_waitcnt vmcnt(4)
	s_delay_alu instid0(VALU_DEP_1)
	v_fma_f64 v[2:3], v[134:135], v[148:149], v[2:3]
	ds_load_2addr_b64 v[146:149], v1 offset0:101 offset1:102
	ds_load_2addr_b64 v[160:163], v1 offset0:103 offset1:104
	s_waitcnt lgkmcnt(1)
	v_fma_f64 v[2:3], v[136:137], v[146:147], v[2:3]
	scratch_load_b128 v[134:137], off, off offset:368
	s_waitcnt vmcnt(4)
	v_fma_f64 v[2:3], v[156:157], v[148:149], v[2:3]
	scratch_load_b128 v[146:149], off, off offset:384
	s_waitcnt lgkmcnt(0)
	v_fma_f64 v[2:3], v[158:159], v[160:161], v[2:3]
	ds_load_2addr_b64 v[154:157], v1 offset0:105 offset1:106
	ds_load_2addr_b64 v[158:161], v1 offset0:107 offset1:108
	s_waitcnt vmcnt(4)
	v_fma_f64 v[2:3], v[138:139], v[162:163], v[2:3]
	s_waitcnt lgkmcnt(1)
	s_delay_alu instid0(VALU_DEP_1) | instskip(SKIP_4) | instid1(VALU_DEP_1)
	v_fma_f64 v[2:3], v[140:141], v[154:155], v[2:3]
	scratch_load_b128 v[138:141], off, off offset:400
	s_waitcnt vmcnt(4)
	v_fma_f64 v[2:3], v[150:151], v[156:157], v[2:3]
	s_waitcnt lgkmcnt(0)
	v_fma_f64 v[2:3], v[152:153], v[158:159], v[2:3]
	scratch_load_b128 v[150:153], off, off offset:416
	s_waitcnt vmcnt(4)
	v_fma_f64 v[2:3], v[142:143], v[160:161], v[2:3]
	ds_load_2addr_b64 v[154:157], v1 offset0:109 offset1:110
	ds_load_2addr_b64 v[158:161], v1 offset0:111 offset1:112
	s_waitcnt lgkmcnt(1)
	v_fma_f64 v[2:3], v[144:145], v[154:155], v[2:3]
	scratch_load_b128 v[142:145], off, off offset:432
	s_waitcnt vmcnt(4)
	v_fma_f64 v[2:3], v[134:135], v[156:157], v[2:3]
	s_waitcnt lgkmcnt(0)
	s_delay_alu instid0(VALU_DEP_1)
	v_fma_f64 v[2:3], v[136:137], v[158:159], v[2:3]
	scratch_load_b128 v[134:137], off, off offset:448
	s_waitcnt vmcnt(4)
	v_fma_f64 v[2:3], v[146:147], v[160:161], v[2:3]
	ds_load_2addr_b64 v[154:157], v1 offset0:113 offset1:114
	ds_load_2addr_b64 v[158:161], v1 offset0:115 offset1:116
	s_waitcnt lgkmcnt(1)
	v_fma_f64 v[2:3], v[148:149], v[154:155], v[2:3]
	scratch_load_b128 v[146:149], off, off offset:464
	s_waitcnt vmcnt(4)
	v_fma_f64 v[2:3], v[138:139], v[156:157], v[2:3]
	s_waitcnt lgkmcnt(0)
	s_delay_alu instid0(VALU_DEP_1)
	v_fma_f64 v[2:3], v[140:141], v[158:159], v[2:3]
	scratch_load_b128 v[138:141], off, off offset:480
	s_waitcnt vmcnt(4)
	v_fma_f64 v[2:3], v[150:151], v[160:161], v[2:3]
	ds_load_2addr_b64 v[154:157], v1 offset0:117 offset1:118
	ds_load_2addr_b64 v[158:161], v1 offset0:119 offset1:120
	s_waitcnt lgkmcnt(1)
	v_fma_f64 v[2:3], v[152:153], v[154:155], v[2:3]
	scratch_load_b64 v[154:155], off, off offset:496
	s_waitcnt vmcnt(4)
	v_fma_f64 v[2:3], v[142:143], v[156:157], v[2:3]
	s_waitcnt lgkmcnt(0)
	s_delay_alu instid0(VALU_DEP_1)
	v_fma_f64 v[2:3], v[144:145], v[158:159], v[2:3]
	ds_load_2addr_b64 v[142:145], v1 offset0:121 offset1:122
	ds_load_2addr_b64 v[150:153], v1 offset0:123 offset1:124
	s_waitcnt vmcnt(3)
	v_fma_f64 v[2:3], v[134:135], v[160:161], v[2:3]
	s_waitcnt lgkmcnt(1)
	s_delay_alu instid0(VALU_DEP_1) | instskip(SKIP_1) | instid1(VALU_DEP_1)
	v_fma_f64 v[2:3], v[136:137], v[142:143], v[2:3]
	s_waitcnt vmcnt(2)
	v_fma_f64 v[2:3], v[146:147], v[144:145], v[2:3]
	s_waitcnt lgkmcnt(0)
	s_delay_alu instid0(VALU_DEP_1) | instskip(SKIP_1) | instid1(VALU_DEP_1)
	v_fma_f64 v[2:3], v[148:149], v[150:151], v[2:3]
	s_waitcnt vmcnt(1)
	v_fma_f64 v[134:135], v[138:139], v[152:153], v[2:3]
	ds_load_2addr_b64 v[1:4], v1 offset0:125 offset1:126
	s_waitcnt lgkmcnt(0)
	v_fma_f64 v[1:2], v[140:141], v[1:2], v[134:135]
	s_waitcnt vmcnt(0)
	s_delay_alu instid0(VALU_DEP_1) | instskip(NEXT) | instid1(VALU_DEP_1)
	v_fma_f64 v[1:2], v[154:155], v[3:4], v[1:2]
	v_add_f64 v[1:2], v[132:133], -v[1:2]
	scratch_store_b64 off, v[1:2], off offset:192
	v_cmpx_lt_u32_e32 23, v0
	s_cbranch_execz .LBB62_341
; %bb.340:
	scratch_load_b64 v[1:2], off, off offset:184
	v_mov_b32_e32 v3, 0
	s_delay_alu instid0(VALU_DEP_1)
	v_mov_b32_e32 v4, v3
	scratch_store_b64 off, v[3:4], off offset:184
	s_waitcnt vmcnt(0)
	ds_store_b64 v5, v[1:2]
.LBB62_341:
	s_or_b32 exec_lo, exec_lo, s0
	s_waitcnt lgkmcnt(0)
	s_waitcnt_vscnt null, 0x0
	s_barrier
	buffer_gl0_inv
	s_clause 0x4
	scratch_load_b128 v[132:135], off, off offset:184
	scratch_load_b128 v[136:139], off, off offset:200
	;; [unrolled: 1-line block ×5, first 2 shown]
	v_mov_b32_e32 v1, 0
	ds_load_b128 v[152:155], v1 offset:704
	ds_load_b128 v[156:159], v1 offset:720
	scratch_load_b128 v[160:163], off, off offset:264
	s_mov_b32 s0, exec_lo
	s_waitcnt vmcnt(5) lgkmcnt(1)
	v_fma_f64 v[2:3], v[134:135], v[152:153], 0
	s_waitcnt vmcnt(4)
	s_delay_alu instid0(VALU_DEP_1) | instskip(SKIP_4) | instid1(VALU_DEP_1)
	v_fma_f64 v[2:3], v[136:137], v[154:155], v[2:3]
	scratch_load_b128 v[134:137], off, off offset:280
	s_waitcnt lgkmcnt(0)
	v_fma_f64 v[2:3], v[138:139], v[156:157], v[2:3]
	s_waitcnt vmcnt(4)
	v_fma_f64 v[2:3], v[140:141], v[158:159], v[2:3]
	ds_load_b128 v[138:141], v1 offset:736
	ds_load_b128 v[152:155], v1 offset:752
	scratch_load_b128 v[156:159], off, off offset:296
	s_waitcnt lgkmcnt(1)
	v_fma_f64 v[2:3], v[142:143], v[138:139], v[2:3]
	s_waitcnt vmcnt(4)
	s_delay_alu instid0(VALU_DEP_1) | instskip(SKIP_4) | instid1(VALU_DEP_1)
	v_fma_f64 v[2:3], v[144:145], v[140:141], v[2:3]
	scratch_load_b128 v[138:141], off, off offset:312
	s_waitcnt lgkmcnt(0)
	v_fma_f64 v[2:3], v[146:147], v[152:153], v[2:3]
	s_waitcnt vmcnt(4)
	v_fma_f64 v[2:3], v[148:149], v[154:155], v[2:3]
	ds_load_b128 v[142:145], v1 offset:768
	ds_load_b128 v[146:149], v1 offset:784
	s_waitcnt lgkmcnt(1)
	v_fma_f64 v[2:3], v[150:151], v[142:143], v[2:3]
	scratch_load_b128 v[150:153], off, off offset:328
	s_waitcnt vmcnt(4)
	v_fma_f64 v[2:3], v[160:161], v[144:145], v[2:3]
	scratch_load_b128 v[142:145], off, off offset:344
	s_waitcnt lgkmcnt(0)
	v_fma_f64 v[2:3], v[162:163], v[146:147], v[2:3]
	s_waitcnt vmcnt(4)
	s_delay_alu instid0(VALU_DEP_1)
	v_fma_f64 v[2:3], v[134:135], v[148:149], v[2:3]
	ds_load_b128 v[146:149], v1 offset:800
	ds_load_b128 v[160:163], v1 offset:816
	s_waitcnt lgkmcnt(1)
	v_fma_f64 v[2:3], v[136:137], v[146:147], v[2:3]
	scratch_load_b128 v[134:137], off, off offset:360
	s_waitcnt vmcnt(4)
	v_fma_f64 v[2:3], v[156:157], v[148:149], v[2:3]
	scratch_load_b128 v[146:149], off, off offset:376
	s_waitcnt lgkmcnt(0)
	v_fma_f64 v[2:3], v[158:159], v[160:161], v[2:3]
	ds_load_b128 v[154:157], v1 offset:832
	ds_load_b128 v[158:161], v1 offset:848
	s_waitcnt vmcnt(4)
	v_fma_f64 v[2:3], v[138:139], v[162:163], v[2:3]
	s_waitcnt lgkmcnt(1)
	s_delay_alu instid0(VALU_DEP_1) | instskip(SKIP_4) | instid1(VALU_DEP_1)
	v_fma_f64 v[2:3], v[140:141], v[154:155], v[2:3]
	scratch_load_b128 v[138:141], off, off offset:392
	s_waitcnt vmcnt(4)
	v_fma_f64 v[2:3], v[150:151], v[156:157], v[2:3]
	s_waitcnt lgkmcnt(0)
	v_fma_f64 v[2:3], v[152:153], v[158:159], v[2:3]
	scratch_load_b128 v[150:153], off, off offset:408
	s_waitcnt vmcnt(4)
	v_fma_f64 v[2:3], v[142:143], v[160:161], v[2:3]
	ds_load_b128 v[154:157], v1 offset:864
	ds_load_b128 v[158:161], v1 offset:880
	s_waitcnt lgkmcnt(1)
	v_fma_f64 v[2:3], v[144:145], v[154:155], v[2:3]
	scratch_load_b128 v[142:145], off, off offset:424
	s_waitcnt vmcnt(4)
	v_fma_f64 v[2:3], v[134:135], v[156:157], v[2:3]
	s_waitcnt lgkmcnt(0)
	s_delay_alu instid0(VALU_DEP_1)
	v_fma_f64 v[2:3], v[136:137], v[158:159], v[2:3]
	scratch_load_b128 v[134:137], off, off offset:440
	s_waitcnt vmcnt(4)
	v_fma_f64 v[2:3], v[146:147], v[160:161], v[2:3]
	ds_load_b128 v[154:157], v1 offset:896
	ds_load_b128 v[158:161], v1 offset:912
	s_waitcnt lgkmcnt(1)
	v_fma_f64 v[2:3], v[148:149], v[154:155], v[2:3]
	scratch_load_b128 v[146:149], off, off offset:456
	s_waitcnt vmcnt(4)
	v_fma_f64 v[2:3], v[138:139], v[156:157], v[2:3]
	s_waitcnt lgkmcnt(0)
	s_delay_alu instid0(VALU_DEP_1)
	v_fma_f64 v[2:3], v[140:141], v[158:159], v[2:3]
	scratch_load_b128 v[138:141], off, off offset:472
	s_waitcnt vmcnt(4)
	v_fma_f64 v[2:3], v[150:151], v[160:161], v[2:3]
	ds_load_b128 v[154:157], v1 offset:928
	ds_load_b128 v[158:161], v1 offset:944
	s_waitcnt lgkmcnt(1)
	v_fma_f64 v[2:3], v[152:153], v[154:155], v[2:3]
	scratch_load_b128 v[150:153], off, off offset:488
	s_waitcnt vmcnt(4)
	v_fma_f64 v[2:3], v[142:143], v[156:157], v[2:3]
	s_waitcnt lgkmcnt(0)
	s_delay_alu instid0(VALU_DEP_1)
	v_fma_f64 v[2:3], v[144:145], v[158:159], v[2:3]
	ds_load_b128 v[142:145], v1 offset:960
	ds_load_b128 v[154:157], v1 offset:976
	s_waitcnt vmcnt(3)
	v_fma_f64 v[2:3], v[134:135], v[160:161], v[2:3]
	s_waitcnt lgkmcnt(1)
	s_delay_alu instid0(VALU_DEP_1) | instskip(SKIP_1) | instid1(VALU_DEP_1)
	v_fma_f64 v[2:3], v[136:137], v[142:143], v[2:3]
	s_waitcnt vmcnt(2)
	v_fma_f64 v[2:3], v[146:147], v[144:145], v[2:3]
	s_waitcnt lgkmcnt(0)
	s_delay_alu instid0(VALU_DEP_1) | instskip(SKIP_1) | instid1(VALU_DEP_1)
	v_fma_f64 v[2:3], v[148:149], v[154:155], v[2:3]
	s_waitcnt vmcnt(1)
	v_fma_f64 v[2:3], v[138:139], v[156:157], v[2:3]
	ds_load_b128 v[134:137], v1 offset:992
	ds_load_b64 v[138:139], v1 offset:1008
	s_waitcnt lgkmcnt(1)
	v_fma_f64 v[2:3], v[140:141], v[134:135], v[2:3]
	s_waitcnt vmcnt(0)
	s_delay_alu instid0(VALU_DEP_1) | instskip(SKIP_1) | instid1(VALU_DEP_1)
	v_fma_f64 v[2:3], v[150:151], v[136:137], v[2:3]
	s_waitcnt lgkmcnt(0)
	v_fma_f64 v[2:3], v[152:153], v[138:139], v[2:3]
	s_delay_alu instid0(VALU_DEP_1)
	v_add_f64 v[2:3], v[132:133], -v[2:3]
	scratch_store_b64 off, v[2:3], off offset:184
	v_cmpx_lt_u32_e32 22, v0
	s_cbranch_execz .LBB62_343
; %bb.342:
	scratch_load_b64 v[3:4], off, off offset:176
	v_mov_b32_e32 v2, v1
	scratch_store_b64 off, v[1:2], off offset:176
	s_waitcnt vmcnt(0)
	ds_store_b64 v5, v[3:4]
.LBB62_343:
	s_or_b32 exec_lo, exec_lo, s0
	s_waitcnt lgkmcnt(0)
	s_waitcnt_vscnt null, 0x0
	s_barrier
	buffer_gl0_inv
	s_clause 0x4
	scratch_load_b128 v[132:135], off, off offset:176
	scratch_load_b128 v[136:139], off, off offset:192
	;; [unrolled: 1-line block ×5, first 2 shown]
	ds_load_2addr_b64 v[152:155], v1 offset0:87 offset1:88
	ds_load_2addr_b64 v[156:159], v1 offset0:89 offset1:90
	scratch_load_b128 v[160:163], off, off offset:256
	s_mov_b32 s0, exec_lo
	s_waitcnt vmcnt(5) lgkmcnt(1)
	v_fma_f64 v[2:3], v[134:135], v[152:153], 0
	s_waitcnt vmcnt(4)
	s_delay_alu instid0(VALU_DEP_1) | instskip(SKIP_4) | instid1(VALU_DEP_1)
	v_fma_f64 v[2:3], v[136:137], v[154:155], v[2:3]
	scratch_load_b128 v[134:137], off, off offset:272
	s_waitcnt lgkmcnt(0)
	v_fma_f64 v[2:3], v[138:139], v[156:157], v[2:3]
	s_waitcnt vmcnt(4)
	v_fma_f64 v[2:3], v[140:141], v[158:159], v[2:3]
	ds_load_2addr_b64 v[138:141], v1 offset0:91 offset1:92
	ds_load_2addr_b64 v[152:155], v1 offset0:93 offset1:94
	scratch_load_b128 v[156:159], off, off offset:288
	s_waitcnt lgkmcnt(1)
	v_fma_f64 v[2:3], v[142:143], v[138:139], v[2:3]
	s_waitcnt vmcnt(4)
	s_delay_alu instid0(VALU_DEP_1) | instskip(SKIP_4) | instid1(VALU_DEP_1)
	v_fma_f64 v[2:3], v[144:145], v[140:141], v[2:3]
	scratch_load_b128 v[138:141], off, off offset:304
	s_waitcnt lgkmcnt(0)
	v_fma_f64 v[2:3], v[146:147], v[152:153], v[2:3]
	s_waitcnt vmcnt(4)
	v_fma_f64 v[2:3], v[148:149], v[154:155], v[2:3]
	ds_load_2addr_b64 v[142:145], v1 offset0:95 offset1:96
	ds_load_2addr_b64 v[146:149], v1 offset0:97 offset1:98
	s_waitcnt lgkmcnt(1)
	v_fma_f64 v[2:3], v[150:151], v[142:143], v[2:3]
	scratch_load_b128 v[150:153], off, off offset:320
	s_waitcnt vmcnt(4)
	v_fma_f64 v[2:3], v[160:161], v[144:145], v[2:3]
	scratch_load_b128 v[142:145], off, off offset:336
	s_waitcnt lgkmcnt(0)
	v_fma_f64 v[2:3], v[162:163], v[146:147], v[2:3]
	s_waitcnt vmcnt(4)
	s_delay_alu instid0(VALU_DEP_1)
	v_fma_f64 v[2:3], v[134:135], v[148:149], v[2:3]
	ds_load_2addr_b64 v[146:149], v1 offset0:99 offset1:100
	ds_load_2addr_b64 v[160:163], v1 offset0:101 offset1:102
	s_waitcnt lgkmcnt(1)
	v_fma_f64 v[2:3], v[136:137], v[146:147], v[2:3]
	scratch_load_b128 v[134:137], off, off offset:352
	s_waitcnt vmcnt(4)
	v_fma_f64 v[2:3], v[156:157], v[148:149], v[2:3]
	scratch_load_b128 v[146:149], off, off offset:368
	s_waitcnt lgkmcnt(0)
	v_fma_f64 v[2:3], v[158:159], v[160:161], v[2:3]
	ds_load_2addr_b64 v[154:157], v1 offset0:103 offset1:104
	ds_load_2addr_b64 v[158:161], v1 offset0:105 offset1:106
	s_waitcnt vmcnt(4)
	v_fma_f64 v[2:3], v[138:139], v[162:163], v[2:3]
	s_waitcnt lgkmcnt(1)
	s_delay_alu instid0(VALU_DEP_1) | instskip(SKIP_4) | instid1(VALU_DEP_1)
	v_fma_f64 v[2:3], v[140:141], v[154:155], v[2:3]
	scratch_load_b128 v[138:141], off, off offset:384
	s_waitcnt vmcnt(4)
	v_fma_f64 v[2:3], v[150:151], v[156:157], v[2:3]
	s_waitcnt lgkmcnt(0)
	v_fma_f64 v[2:3], v[152:153], v[158:159], v[2:3]
	scratch_load_b128 v[150:153], off, off offset:400
	s_waitcnt vmcnt(4)
	v_fma_f64 v[2:3], v[142:143], v[160:161], v[2:3]
	ds_load_2addr_b64 v[154:157], v1 offset0:107 offset1:108
	ds_load_2addr_b64 v[158:161], v1 offset0:109 offset1:110
	s_waitcnt lgkmcnt(1)
	v_fma_f64 v[2:3], v[144:145], v[154:155], v[2:3]
	scratch_load_b128 v[142:145], off, off offset:416
	s_waitcnt vmcnt(4)
	v_fma_f64 v[2:3], v[134:135], v[156:157], v[2:3]
	s_waitcnt lgkmcnt(0)
	s_delay_alu instid0(VALU_DEP_1)
	v_fma_f64 v[2:3], v[136:137], v[158:159], v[2:3]
	scratch_load_b128 v[134:137], off, off offset:432
	s_waitcnt vmcnt(4)
	v_fma_f64 v[2:3], v[146:147], v[160:161], v[2:3]
	ds_load_2addr_b64 v[154:157], v1 offset0:111 offset1:112
	ds_load_2addr_b64 v[158:161], v1 offset0:113 offset1:114
	s_waitcnt lgkmcnt(1)
	v_fma_f64 v[2:3], v[148:149], v[154:155], v[2:3]
	scratch_load_b128 v[146:149], off, off offset:448
	s_waitcnt vmcnt(4)
	v_fma_f64 v[2:3], v[138:139], v[156:157], v[2:3]
	s_waitcnt lgkmcnt(0)
	s_delay_alu instid0(VALU_DEP_1)
	;; [unrolled: 13-line block ×3, first 2 shown]
	v_fma_f64 v[2:3], v[144:145], v[158:159], v[2:3]
	scratch_load_b64 v[158:159], off, off offset:496
	ds_load_2addr_b64 v[142:145], v1 offset0:119 offset1:120
	ds_load_2addr_b64 v[154:157], v1 offset0:121 offset1:122
	s_waitcnt vmcnt(4)
	v_fma_f64 v[2:3], v[134:135], v[160:161], v[2:3]
	s_waitcnt lgkmcnt(1)
	s_delay_alu instid0(VALU_DEP_1) | instskip(SKIP_1) | instid1(VALU_DEP_1)
	v_fma_f64 v[2:3], v[136:137], v[142:143], v[2:3]
	s_waitcnt vmcnt(3)
	v_fma_f64 v[2:3], v[146:147], v[144:145], v[2:3]
	s_waitcnt lgkmcnt(0)
	s_delay_alu instid0(VALU_DEP_1) | instskip(SKIP_1) | instid1(VALU_DEP_1)
	v_fma_f64 v[2:3], v[148:149], v[154:155], v[2:3]
	s_waitcnt vmcnt(2)
	v_fma_f64 v[138:139], v[138:139], v[156:157], v[2:3]
	ds_load_2addr_b64 v[134:137], v1 offset0:123 offset1:124
	ds_load_2addr_b64 v[1:4], v1 offset0:125 offset1:126
	s_waitcnt lgkmcnt(1)
	v_fma_f64 v[134:135], v[140:141], v[134:135], v[138:139]
	s_waitcnt vmcnt(1)
	s_delay_alu instid0(VALU_DEP_1) | instskip(SKIP_1) | instid1(VALU_DEP_1)
	v_fma_f64 v[134:135], v[150:151], v[136:137], v[134:135]
	s_waitcnt lgkmcnt(0)
	v_fma_f64 v[1:2], v[152:153], v[1:2], v[134:135]
	s_waitcnt vmcnt(0)
	s_delay_alu instid0(VALU_DEP_1) | instskip(NEXT) | instid1(VALU_DEP_1)
	v_fma_f64 v[1:2], v[158:159], v[3:4], v[1:2]
	v_add_f64 v[1:2], v[132:133], -v[1:2]
	scratch_store_b64 off, v[1:2], off offset:176
	v_cmpx_lt_u32_e32 21, v0
	s_cbranch_execz .LBB62_345
; %bb.344:
	scratch_load_b64 v[1:2], off, off offset:168
	v_mov_b32_e32 v3, 0
	s_delay_alu instid0(VALU_DEP_1)
	v_mov_b32_e32 v4, v3
	scratch_store_b64 off, v[3:4], off offset:168
	s_waitcnt vmcnt(0)
	ds_store_b64 v5, v[1:2]
.LBB62_345:
	s_or_b32 exec_lo, exec_lo, s0
	s_waitcnt lgkmcnt(0)
	s_waitcnt_vscnt null, 0x0
	s_barrier
	buffer_gl0_inv
	s_clause 0x4
	scratch_load_b128 v[132:135], off, off offset:168
	scratch_load_b128 v[136:139], off, off offset:184
	;; [unrolled: 1-line block ×5, first 2 shown]
	v_mov_b32_e32 v1, 0
	ds_load_b128 v[152:155], v1 offset:688
	ds_load_b128 v[156:159], v1 offset:704
	scratch_load_b128 v[160:163], off, off offset:248
	s_mov_b32 s0, exec_lo
	s_waitcnt vmcnt(5) lgkmcnt(1)
	v_fma_f64 v[2:3], v[134:135], v[152:153], 0
	s_waitcnt vmcnt(4)
	s_delay_alu instid0(VALU_DEP_1) | instskip(SKIP_4) | instid1(VALU_DEP_1)
	v_fma_f64 v[2:3], v[136:137], v[154:155], v[2:3]
	scratch_load_b128 v[134:137], off, off offset:264
	s_waitcnt lgkmcnt(0)
	v_fma_f64 v[2:3], v[138:139], v[156:157], v[2:3]
	s_waitcnt vmcnt(4)
	v_fma_f64 v[2:3], v[140:141], v[158:159], v[2:3]
	ds_load_b128 v[138:141], v1 offset:720
	ds_load_b128 v[152:155], v1 offset:736
	scratch_load_b128 v[156:159], off, off offset:280
	s_waitcnt lgkmcnt(1)
	v_fma_f64 v[2:3], v[142:143], v[138:139], v[2:3]
	s_waitcnt vmcnt(4)
	s_delay_alu instid0(VALU_DEP_1) | instskip(SKIP_4) | instid1(VALU_DEP_1)
	v_fma_f64 v[2:3], v[144:145], v[140:141], v[2:3]
	scratch_load_b128 v[138:141], off, off offset:296
	s_waitcnt lgkmcnt(0)
	v_fma_f64 v[2:3], v[146:147], v[152:153], v[2:3]
	s_waitcnt vmcnt(4)
	v_fma_f64 v[2:3], v[148:149], v[154:155], v[2:3]
	ds_load_b128 v[142:145], v1 offset:752
	ds_load_b128 v[146:149], v1 offset:768
	s_waitcnt lgkmcnt(1)
	v_fma_f64 v[2:3], v[150:151], v[142:143], v[2:3]
	scratch_load_b128 v[150:153], off, off offset:312
	s_waitcnt vmcnt(4)
	v_fma_f64 v[2:3], v[160:161], v[144:145], v[2:3]
	scratch_load_b128 v[142:145], off, off offset:328
	s_waitcnt lgkmcnt(0)
	v_fma_f64 v[2:3], v[162:163], v[146:147], v[2:3]
	s_waitcnt vmcnt(4)
	s_delay_alu instid0(VALU_DEP_1)
	v_fma_f64 v[2:3], v[134:135], v[148:149], v[2:3]
	ds_load_b128 v[146:149], v1 offset:784
	ds_load_b128 v[160:163], v1 offset:800
	s_waitcnt lgkmcnt(1)
	v_fma_f64 v[2:3], v[136:137], v[146:147], v[2:3]
	scratch_load_b128 v[134:137], off, off offset:344
	s_waitcnt vmcnt(4)
	v_fma_f64 v[2:3], v[156:157], v[148:149], v[2:3]
	scratch_load_b128 v[146:149], off, off offset:360
	s_waitcnt lgkmcnt(0)
	v_fma_f64 v[2:3], v[158:159], v[160:161], v[2:3]
	ds_load_b128 v[154:157], v1 offset:816
	ds_load_b128 v[158:161], v1 offset:832
	s_waitcnt vmcnt(4)
	v_fma_f64 v[2:3], v[138:139], v[162:163], v[2:3]
	s_waitcnt lgkmcnt(1)
	s_delay_alu instid0(VALU_DEP_1) | instskip(SKIP_4) | instid1(VALU_DEP_1)
	v_fma_f64 v[2:3], v[140:141], v[154:155], v[2:3]
	scratch_load_b128 v[138:141], off, off offset:376
	s_waitcnt vmcnt(4)
	v_fma_f64 v[2:3], v[150:151], v[156:157], v[2:3]
	s_waitcnt lgkmcnt(0)
	v_fma_f64 v[2:3], v[152:153], v[158:159], v[2:3]
	scratch_load_b128 v[150:153], off, off offset:392
	s_waitcnt vmcnt(4)
	v_fma_f64 v[2:3], v[142:143], v[160:161], v[2:3]
	ds_load_b128 v[154:157], v1 offset:848
	ds_load_b128 v[158:161], v1 offset:864
	s_waitcnt lgkmcnt(1)
	v_fma_f64 v[2:3], v[144:145], v[154:155], v[2:3]
	scratch_load_b128 v[142:145], off, off offset:408
	s_waitcnt vmcnt(4)
	v_fma_f64 v[2:3], v[134:135], v[156:157], v[2:3]
	s_waitcnt lgkmcnt(0)
	s_delay_alu instid0(VALU_DEP_1)
	v_fma_f64 v[2:3], v[136:137], v[158:159], v[2:3]
	scratch_load_b128 v[134:137], off, off offset:424
	s_waitcnt vmcnt(4)
	v_fma_f64 v[2:3], v[146:147], v[160:161], v[2:3]
	ds_load_b128 v[154:157], v1 offset:880
	ds_load_b128 v[158:161], v1 offset:896
	s_waitcnt lgkmcnt(1)
	v_fma_f64 v[2:3], v[148:149], v[154:155], v[2:3]
	scratch_load_b128 v[146:149], off, off offset:440
	s_waitcnt vmcnt(4)
	v_fma_f64 v[2:3], v[138:139], v[156:157], v[2:3]
	s_waitcnt lgkmcnt(0)
	s_delay_alu instid0(VALU_DEP_1)
	;; [unrolled: 13-line block ×3, first 2 shown]
	v_fma_f64 v[2:3], v[144:145], v[158:159], v[2:3]
	scratch_load_b128 v[142:145], off, off offset:488
	s_waitcnt vmcnt(4)
	v_fma_f64 v[2:3], v[134:135], v[160:161], v[2:3]
	ds_load_b128 v[154:157], v1 offset:944
	ds_load_b128 v[158:161], v1 offset:960
	s_waitcnt lgkmcnt(1)
	v_fma_f64 v[2:3], v[136:137], v[154:155], v[2:3]
	s_waitcnt vmcnt(3)
	s_delay_alu instid0(VALU_DEP_1) | instskip(SKIP_1) | instid1(VALU_DEP_1)
	v_fma_f64 v[2:3], v[146:147], v[156:157], v[2:3]
	s_waitcnt lgkmcnt(0)
	v_fma_f64 v[2:3], v[148:149], v[158:159], v[2:3]
	ds_load_b128 v[134:137], v1 offset:976
	ds_load_b128 v[146:149], v1 offset:992
	s_waitcnt vmcnt(2)
	v_fma_f64 v[2:3], v[138:139], v[160:161], v[2:3]
	s_waitcnt lgkmcnt(1)
	s_delay_alu instid0(VALU_DEP_1) | instskip(SKIP_4) | instid1(VALU_DEP_1)
	v_fma_f64 v[2:3], v[140:141], v[134:135], v[2:3]
	ds_load_b64 v[134:135], v1 offset:1008
	s_waitcnt vmcnt(1)
	v_fma_f64 v[2:3], v[150:151], v[136:137], v[2:3]
	s_waitcnt lgkmcnt(1)
	v_fma_f64 v[2:3], v[152:153], v[146:147], v[2:3]
	s_waitcnt vmcnt(0)
	s_delay_alu instid0(VALU_DEP_1) | instskip(SKIP_1) | instid1(VALU_DEP_1)
	v_fma_f64 v[2:3], v[142:143], v[148:149], v[2:3]
	s_waitcnt lgkmcnt(0)
	v_fma_f64 v[2:3], v[144:145], v[134:135], v[2:3]
	s_delay_alu instid0(VALU_DEP_1)
	v_add_f64 v[2:3], v[132:133], -v[2:3]
	scratch_store_b64 off, v[2:3], off offset:168
	v_cmpx_lt_u32_e32 20, v0
	s_cbranch_execz .LBB62_347
; %bb.346:
	scratch_load_b64 v[3:4], off, off offset:160
	v_mov_b32_e32 v2, v1
	scratch_store_b64 off, v[1:2], off offset:160
	s_waitcnt vmcnt(0)
	ds_store_b64 v5, v[3:4]
.LBB62_347:
	s_or_b32 exec_lo, exec_lo, s0
	s_waitcnt lgkmcnt(0)
	s_waitcnt_vscnt null, 0x0
	s_barrier
	buffer_gl0_inv
	s_clause 0x4
	scratch_load_b128 v[132:135], off, off offset:160
	scratch_load_b128 v[136:139], off, off offset:176
	;; [unrolled: 1-line block ×5, first 2 shown]
	ds_load_2addr_b64 v[152:155], v1 offset0:85 offset1:86
	ds_load_2addr_b64 v[156:159], v1 offset0:87 offset1:88
	scratch_load_b128 v[160:163], off, off offset:240
	s_mov_b32 s0, exec_lo
	s_waitcnt vmcnt(5) lgkmcnt(1)
	v_fma_f64 v[2:3], v[134:135], v[152:153], 0
	s_waitcnt vmcnt(4)
	s_delay_alu instid0(VALU_DEP_1) | instskip(SKIP_4) | instid1(VALU_DEP_1)
	v_fma_f64 v[2:3], v[136:137], v[154:155], v[2:3]
	scratch_load_b128 v[134:137], off, off offset:256
	s_waitcnt lgkmcnt(0)
	v_fma_f64 v[2:3], v[138:139], v[156:157], v[2:3]
	s_waitcnt vmcnt(4)
	v_fma_f64 v[2:3], v[140:141], v[158:159], v[2:3]
	ds_load_2addr_b64 v[138:141], v1 offset0:89 offset1:90
	ds_load_2addr_b64 v[152:155], v1 offset0:91 offset1:92
	scratch_load_b128 v[156:159], off, off offset:272
	s_waitcnt lgkmcnt(1)
	v_fma_f64 v[2:3], v[142:143], v[138:139], v[2:3]
	s_waitcnt vmcnt(4)
	s_delay_alu instid0(VALU_DEP_1) | instskip(SKIP_4) | instid1(VALU_DEP_1)
	v_fma_f64 v[2:3], v[144:145], v[140:141], v[2:3]
	scratch_load_b128 v[138:141], off, off offset:288
	s_waitcnt lgkmcnt(0)
	v_fma_f64 v[2:3], v[146:147], v[152:153], v[2:3]
	s_waitcnt vmcnt(4)
	v_fma_f64 v[2:3], v[148:149], v[154:155], v[2:3]
	ds_load_2addr_b64 v[142:145], v1 offset0:93 offset1:94
	ds_load_2addr_b64 v[146:149], v1 offset0:95 offset1:96
	s_waitcnt lgkmcnt(1)
	v_fma_f64 v[2:3], v[150:151], v[142:143], v[2:3]
	scratch_load_b128 v[150:153], off, off offset:304
	s_waitcnt vmcnt(4)
	v_fma_f64 v[2:3], v[160:161], v[144:145], v[2:3]
	scratch_load_b128 v[142:145], off, off offset:320
	s_waitcnt lgkmcnt(0)
	v_fma_f64 v[2:3], v[162:163], v[146:147], v[2:3]
	s_waitcnt vmcnt(4)
	s_delay_alu instid0(VALU_DEP_1)
	v_fma_f64 v[2:3], v[134:135], v[148:149], v[2:3]
	ds_load_2addr_b64 v[146:149], v1 offset0:97 offset1:98
	ds_load_2addr_b64 v[160:163], v1 offset0:99 offset1:100
	s_waitcnt lgkmcnt(1)
	v_fma_f64 v[2:3], v[136:137], v[146:147], v[2:3]
	scratch_load_b128 v[134:137], off, off offset:336
	s_waitcnt vmcnt(4)
	v_fma_f64 v[2:3], v[156:157], v[148:149], v[2:3]
	scratch_load_b128 v[146:149], off, off offset:352
	s_waitcnt lgkmcnt(0)
	v_fma_f64 v[2:3], v[158:159], v[160:161], v[2:3]
	ds_load_2addr_b64 v[154:157], v1 offset0:101 offset1:102
	ds_load_2addr_b64 v[158:161], v1 offset0:103 offset1:104
	s_waitcnt vmcnt(4)
	v_fma_f64 v[2:3], v[138:139], v[162:163], v[2:3]
	s_waitcnt lgkmcnt(1)
	s_delay_alu instid0(VALU_DEP_1) | instskip(SKIP_4) | instid1(VALU_DEP_1)
	v_fma_f64 v[2:3], v[140:141], v[154:155], v[2:3]
	scratch_load_b128 v[138:141], off, off offset:368
	s_waitcnt vmcnt(4)
	v_fma_f64 v[2:3], v[150:151], v[156:157], v[2:3]
	s_waitcnt lgkmcnt(0)
	v_fma_f64 v[2:3], v[152:153], v[158:159], v[2:3]
	scratch_load_b128 v[150:153], off, off offset:384
	s_waitcnt vmcnt(4)
	v_fma_f64 v[2:3], v[142:143], v[160:161], v[2:3]
	ds_load_2addr_b64 v[154:157], v1 offset0:105 offset1:106
	ds_load_2addr_b64 v[158:161], v1 offset0:107 offset1:108
	s_waitcnt lgkmcnt(1)
	v_fma_f64 v[2:3], v[144:145], v[154:155], v[2:3]
	scratch_load_b128 v[142:145], off, off offset:400
	s_waitcnt vmcnt(4)
	v_fma_f64 v[2:3], v[134:135], v[156:157], v[2:3]
	s_waitcnt lgkmcnt(0)
	s_delay_alu instid0(VALU_DEP_1)
	v_fma_f64 v[2:3], v[136:137], v[158:159], v[2:3]
	scratch_load_b128 v[134:137], off, off offset:416
	s_waitcnt vmcnt(4)
	v_fma_f64 v[2:3], v[146:147], v[160:161], v[2:3]
	ds_load_2addr_b64 v[154:157], v1 offset0:109 offset1:110
	ds_load_2addr_b64 v[158:161], v1 offset0:111 offset1:112
	s_waitcnt lgkmcnt(1)
	v_fma_f64 v[2:3], v[148:149], v[154:155], v[2:3]
	scratch_load_b128 v[146:149], off, off offset:432
	s_waitcnt vmcnt(4)
	v_fma_f64 v[2:3], v[138:139], v[156:157], v[2:3]
	s_waitcnt lgkmcnt(0)
	s_delay_alu instid0(VALU_DEP_1)
	v_fma_f64 v[2:3], v[140:141], v[158:159], v[2:3]
	scratch_load_b128 v[138:141], off, off offset:448
	s_waitcnt vmcnt(4)
	v_fma_f64 v[2:3], v[150:151], v[160:161], v[2:3]
	ds_load_2addr_b64 v[154:157], v1 offset0:113 offset1:114
	ds_load_2addr_b64 v[158:161], v1 offset0:115 offset1:116
	s_waitcnt lgkmcnt(1)
	v_fma_f64 v[2:3], v[152:153], v[154:155], v[2:3]
	scratch_load_b128 v[150:153], off, off offset:464
	s_waitcnt vmcnt(4)
	v_fma_f64 v[2:3], v[142:143], v[156:157], v[2:3]
	s_waitcnt lgkmcnt(0)
	s_delay_alu instid0(VALU_DEP_1)
	v_fma_f64 v[2:3], v[144:145], v[158:159], v[2:3]
	scratch_load_b128 v[142:145], off, off offset:480
	s_waitcnt vmcnt(4)
	v_fma_f64 v[2:3], v[134:135], v[160:161], v[2:3]
	ds_load_2addr_b64 v[154:157], v1 offset0:117 offset1:118
	ds_load_2addr_b64 v[158:161], v1 offset0:119 offset1:120
	s_waitcnt lgkmcnt(1)
	v_fma_f64 v[2:3], v[136:137], v[154:155], v[2:3]
	scratch_load_b64 v[154:155], off, off offset:496
	s_waitcnt vmcnt(4)
	v_fma_f64 v[2:3], v[146:147], v[156:157], v[2:3]
	s_waitcnt lgkmcnt(0)
	s_delay_alu instid0(VALU_DEP_1)
	v_fma_f64 v[2:3], v[148:149], v[158:159], v[2:3]
	ds_load_2addr_b64 v[134:137], v1 offset0:121 offset1:122
	ds_load_2addr_b64 v[146:149], v1 offset0:123 offset1:124
	s_waitcnt vmcnt(3)
	v_fma_f64 v[2:3], v[138:139], v[160:161], v[2:3]
	s_waitcnt lgkmcnt(1)
	s_delay_alu instid0(VALU_DEP_1) | instskip(SKIP_1) | instid1(VALU_DEP_1)
	v_fma_f64 v[2:3], v[140:141], v[134:135], v[2:3]
	s_waitcnt vmcnt(2)
	v_fma_f64 v[2:3], v[150:151], v[136:137], v[2:3]
	s_waitcnt lgkmcnt(0)
	s_delay_alu instid0(VALU_DEP_1) | instskip(SKIP_1) | instid1(VALU_DEP_1)
	v_fma_f64 v[2:3], v[152:153], v[146:147], v[2:3]
	s_waitcnt vmcnt(1)
	v_fma_f64 v[134:135], v[142:143], v[148:149], v[2:3]
	ds_load_2addr_b64 v[1:4], v1 offset0:125 offset1:126
	s_waitcnt lgkmcnt(0)
	v_fma_f64 v[1:2], v[144:145], v[1:2], v[134:135]
	s_waitcnt vmcnt(0)
	s_delay_alu instid0(VALU_DEP_1) | instskip(NEXT) | instid1(VALU_DEP_1)
	v_fma_f64 v[1:2], v[154:155], v[3:4], v[1:2]
	v_add_f64 v[1:2], v[132:133], -v[1:2]
	scratch_store_b64 off, v[1:2], off offset:160
	v_cmpx_lt_u32_e32 19, v0
	s_cbranch_execz .LBB62_349
; %bb.348:
	scratch_load_b64 v[1:2], off, off offset:152
	v_mov_b32_e32 v3, 0
	s_delay_alu instid0(VALU_DEP_1)
	v_mov_b32_e32 v4, v3
	scratch_store_b64 off, v[3:4], off offset:152
	s_waitcnt vmcnt(0)
	ds_store_b64 v5, v[1:2]
.LBB62_349:
	s_or_b32 exec_lo, exec_lo, s0
	s_waitcnt lgkmcnt(0)
	s_waitcnt_vscnt null, 0x0
	s_barrier
	buffer_gl0_inv
	s_clause 0x4
	scratch_load_b128 v[132:135], off, off offset:152
	scratch_load_b128 v[136:139], off, off offset:168
	;; [unrolled: 1-line block ×5, first 2 shown]
	v_mov_b32_e32 v1, 0
	ds_load_b128 v[152:155], v1 offset:672
	ds_load_b128 v[156:159], v1 offset:688
	scratch_load_b128 v[160:163], off, off offset:232
	s_mov_b32 s0, exec_lo
	s_waitcnt vmcnt(5) lgkmcnt(1)
	v_fma_f64 v[2:3], v[134:135], v[152:153], 0
	s_waitcnt vmcnt(4)
	s_delay_alu instid0(VALU_DEP_1) | instskip(SKIP_4) | instid1(VALU_DEP_1)
	v_fma_f64 v[2:3], v[136:137], v[154:155], v[2:3]
	scratch_load_b128 v[134:137], off, off offset:248
	s_waitcnt lgkmcnt(0)
	v_fma_f64 v[2:3], v[138:139], v[156:157], v[2:3]
	s_waitcnt vmcnt(4)
	v_fma_f64 v[2:3], v[140:141], v[158:159], v[2:3]
	ds_load_b128 v[138:141], v1 offset:704
	ds_load_b128 v[152:155], v1 offset:720
	scratch_load_b128 v[156:159], off, off offset:264
	s_waitcnt lgkmcnt(1)
	v_fma_f64 v[2:3], v[142:143], v[138:139], v[2:3]
	s_waitcnt vmcnt(4)
	s_delay_alu instid0(VALU_DEP_1) | instskip(SKIP_4) | instid1(VALU_DEP_1)
	v_fma_f64 v[2:3], v[144:145], v[140:141], v[2:3]
	scratch_load_b128 v[138:141], off, off offset:280
	s_waitcnt lgkmcnt(0)
	v_fma_f64 v[2:3], v[146:147], v[152:153], v[2:3]
	s_waitcnt vmcnt(4)
	v_fma_f64 v[2:3], v[148:149], v[154:155], v[2:3]
	ds_load_b128 v[142:145], v1 offset:736
	ds_load_b128 v[146:149], v1 offset:752
	s_waitcnt lgkmcnt(1)
	v_fma_f64 v[2:3], v[150:151], v[142:143], v[2:3]
	scratch_load_b128 v[150:153], off, off offset:296
	s_waitcnt vmcnt(4)
	v_fma_f64 v[2:3], v[160:161], v[144:145], v[2:3]
	scratch_load_b128 v[142:145], off, off offset:312
	s_waitcnt lgkmcnt(0)
	v_fma_f64 v[2:3], v[162:163], v[146:147], v[2:3]
	s_waitcnt vmcnt(4)
	s_delay_alu instid0(VALU_DEP_1)
	v_fma_f64 v[2:3], v[134:135], v[148:149], v[2:3]
	ds_load_b128 v[146:149], v1 offset:768
	ds_load_b128 v[160:163], v1 offset:784
	s_waitcnt lgkmcnt(1)
	v_fma_f64 v[2:3], v[136:137], v[146:147], v[2:3]
	scratch_load_b128 v[134:137], off, off offset:328
	s_waitcnt vmcnt(4)
	v_fma_f64 v[2:3], v[156:157], v[148:149], v[2:3]
	scratch_load_b128 v[146:149], off, off offset:344
	s_waitcnt lgkmcnt(0)
	v_fma_f64 v[2:3], v[158:159], v[160:161], v[2:3]
	ds_load_b128 v[154:157], v1 offset:800
	ds_load_b128 v[158:161], v1 offset:816
	s_waitcnt vmcnt(4)
	v_fma_f64 v[2:3], v[138:139], v[162:163], v[2:3]
	s_waitcnt lgkmcnt(1)
	s_delay_alu instid0(VALU_DEP_1) | instskip(SKIP_4) | instid1(VALU_DEP_1)
	v_fma_f64 v[2:3], v[140:141], v[154:155], v[2:3]
	scratch_load_b128 v[138:141], off, off offset:360
	s_waitcnt vmcnt(4)
	v_fma_f64 v[2:3], v[150:151], v[156:157], v[2:3]
	s_waitcnt lgkmcnt(0)
	v_fma_f64 v[2:3], v[152:153], v[158:159], v[2:3]
	scratch_load_b128 v[150:153], off, off offset:376
	s_waitcnt vmcnt(4)
	v_fma_f64 v[2:3], v[142:143], v[160:161], v[2:3]
	ds_load_b128 v[154:157], v1 offset:832
	ds_load_b128 v[158:161], v1 offset:848
	s_waitcnt lgkmcnt(1)
	v_fma_f64 v[2:3], v[144:145], v[154:155], v[2:3]
	scratch_load_b128 v[142:145], off, off offset:392
	s_waitcnt vmcnt(4)
	v_fma_f64 v[2:3], v[134:135], v[156:157], v[2:3]
	s_waitcnt lgkmcnt(0)
	s_delay_alu instid0(VALU_DEP_1)
	v_fma_f64 v[2:3], v[136:137], v[158:159], v[2:3]
	scratch_load_b128 v[134:137], off, off offset:408
	s_waitcnt vmcnt(4)
	v_fma_f64 v[2:3], v[146:147], v[160:161], v[2:3]
	ds_load_b128 v[154:157], v1 offset:864
	ds_load_b128 v[158:161], v1 offset:880
	s_waitcnt lgkmcnt(1)
	v_fma_f64 v[2:3], v[148:149], v[154:155], v[2:3]
	scratch_load_b128 v[146:149], off, off offset:424
	s_waitcnt vmcnt(4)
	v_fma_f64 v[2:3], v[138:139], v[156:157], v[2:3]
	s_waitcnt lgkmcnt(0)
	s_delay_alu instid0(VALU_DEP_1)
	;; [unrolled: 13-line block ×4, first 2 shown]
	v_fma_f64 v[2:3], v[148:149], v[158:159], v[2:3]
	ds_load_b128 v[146:149], v1 offset:960
	ds_load_b128 v[154:157], v1 offset:976
	s_waitcnt vmcnt(3)
	v_fma_f64 v[2:3], v[138:139], v[160:161], v[2:3]
	s_waitcnt lgkmcnt(1)
	s_delay_alu instid0(VALU_DEP_1) | instskip(SKIP_1) | instid1(VALU_DEP_1)
	v_fma_f64 v[2:3], v[140:141], v[146:147], v[2:3]
	s_waitcnt vmcnt(2)
	v_fma_f64 v[2:3], v[150:151], v[148:149], v[2:3]
	s_waitcnt lgkmcnt(0)
	s_delay_alu instid0(VALU_DEP_1) | instskip(SKIP_1) | instid1(VALU_DEP_1)
	v_fma_f64 v[2:3], v[152:153], v[154:155], v[2:3]
	s_waitcnt vmcnt(1)
	v_fma_f64 v[2:3], v[142:143], v[156:157], v[2:3]
	ds_load_b128 v[138:141], v1 offset:992
	ds_load_b64 v[142:143], v1 offset:1008
	s_waitcnt lgkmcnt(1)
	v_fma_f64 v[2:3], v[144:145], v[138:139], v[2:3]
	s_waitcnt vmcnt(0)
	s_delay_alu instid0(VALU_DEP_1) | instskip(SKIP_1) | instid1(VALU_DEP_1)
	v_fma_f64 v[2:3], v[134:135], v[140:141], v[2:3]
	s_waitcnt lgkmcnt(0)
	v_fma_f64 v[2:3], v[136:137], v[142:143], v[2:3]
	s_delay_alu instid0(VALU_DEP_1)
	v_add_f64 v[2:3], v[132:133], -v[2:3]
	scratch_store_b64 off, v[2:3], off offset:152
	v_cmpx_lt_u32_e32 18, v0
	s_cbranch_execz .LBB62_351
; %bb.350:
	scratch_load_b64 v[3:4], off, off offset:144
	v_mov_b32_e32 v2, v1
	scratch_store_b64 off, v[1:2], off offset:144
	s_waitcnt vmcnt(0)
	ds_store_b64 v5, v[3:4]
.LBB62_351:
	s_or_b32 exec_lo, exec_lo, s0
	s_waitcnt lgkmcnt(0)
	s_waitcnt_vscnt null, 0x0
	s_barrier
	buffer_gl0_inv
	s_clause 0x4
	scratch_load_b128 v[132:135], off, off offset:144
	scratch_load_b128 v[136:139], off, off offset:160
	;; [unrolled: 1-line block ×5, first 2 shown]
	ds_load_2addr_b64 v[152:155], v1 offset0:83 offset1:84
	ds_load_2addr_b64 v[156:159], v1 offset0:85 offset1:86
	scratch_load_b128 v[160:163], off, off offset:224
	s_mov_b32 s0, exec_lo
	s_waitcnt vmcnt(5) lgkmcnt(1)
	v_fma_f64 v[2:3], v[134:135], v[152:153], 0
	s_waitcnt vmcnt(4)
	s_delay_alu instid0(VALU_DEP_1) | instskip(SKIP_4) | instid1(VALU_DEP_1)
	v_fma_f64 v[2:3], v[136:137], v[154:155], v[2:3]
	scratch_load_b128 v[134:137], off, off offset:240
	s_waitcnt lgkmcnt(0)
	v_fma_f64 v[2:3], v[138:139], v[156:157], v[2:3]
	s_waitcnt vmcnt(4)
	v_fma_f64 v[2:3], v[140:141], v[158:159], v[2:3]
	ds_load_2addr_b64 v[138:141], v1 offset0:87 offset1:88
	ds_load_2addr_b64 v[152:155], v1 offset0:89 offset1:90
	scratch_load_b128 v[156:159], off, off offset:256
	s_waitcnt lgkmcnt(1)
	v_fma_f64 v[2:3], v[142:143], v[138:139], v[2:3]
	s_waitcnt vmcnt(4)
	s_delay_alu instid0(VALU_DEP_1) | instskip(SKIP_4) | instid1(VALU_DEP_1)
	v_fma_f64 v[2:3], v[144:145], v[140:141], v[2:3]
	scratch_load_b128 v[138:141], off, off offset:272
	s_waitcnt lgkmcnt(0)
	v_fma_f64 v[2:3], v[146:147], v[152:153], v[2:3]
	s_waitcnt vmcnt(4)
	v_fma_f64 v[2:3], v[148:149], v[154:155], v[2:3]
	ds_load_2addr_b64 v[142:145], v1 offset0:91 offset1:92
	ds_load_2addr_b64 v[146:149], v1 offset0:93 offset1:94
	s_waitcnt lgkmcnt(1)
	v_fma_f64 v[2:3], v[150:151], v[142:143], v[2:3]
	scratch_load_b128 v[150:153], off, off offset:288
	s_waitcnt vmcnt(4)
	v_fma_f64 v[2:3], v[160:161], v[144:145], v[2:3]
	scratch_load_b128 v[142:145], off, off offset:304
	s_waitcnt lgkmcnt(0)
	v_fma_f64 v[2:3], v[162:163], v[146:147], v[2:3]
	s_waitcnt vmcnt(4)
	s_delay_alu instid0(VALU_DEP_1)
	v_fma_f64 v[2:3], v[134:135], v[148:149], v[2:3]
	ds_load_2addr_b64 v[146:149], v1 offset0:95 offset1:96
	ds_load_2addr_b64 v[160:163], v1 offset0:97 offset1:98
	s_waitcnt lgkmcnt(1)
	v_fma_f64 v[2:3], v[136:137], v[146:147], v[2:3]
	scratch_load_b128 v[134:137], off, off offset:320
	s_waitcnt vmcnt(4)
	v_fma_f64 v[2:3], v[156:157], v[148:149], v[2:3]
	scratch_load_b128 v[146:149], off, off offset:336
	s_waitcnt lgkmcnt(0)
	v_fma_f64 v[2:3], v[158:159], v[160:161], v[2:3]
	ds_load_2addr_b64 v[154:157], v1 offset0:99 offset1:100
	ds_load_2addr_b64 v[158:161], v1 offset0:101 offset1:102
	s_waitcnt vmcnt(4)
	v_fma_f64 v[2:3], v[138:139], v[162:163], v[2:3]
	s_waitcnt lgkmcnt(1)
	s_delay_alu instid0(VALU_DEP_1) | instskip(SKIP_4) | instid1(VALU_DEP_1)
	v_fma_f64 v[2:3], v[140:141], v[154:155], v[2:3]
	scratch_load_b128 v[138:141], off, off offset:352
	s_waitcnt vmcnt(4)
	v_fma_f64 v[2:3], v[150:151], v[156:157], v[2:3]
	s_waitcnt lgkmcnt(0)
	v_fma_f64 v[2:3], v[152:153], v[158:159], v[2:3]
	scratch_load_b128 v[150:153], off, off offset:368
	s_waitcnt vmcnt(4)
	v_fma_f64 v[2:3], v[142:143], v[160:161], v[2:3]
	ds_load_2addr_b64 v[154:157], v1 offset0:103 offset1:104
	ds_load_2addr_b64 v[158:161], v1 offset0:105 offset1:106
	s_waitcnt lgkmcnt(1)
	v_fma_f64 v[2:3], v[144:145], v[154:155], v[2:3]
	scratch_load_b128 v[142:145], off, off offset:384
	s_waitcnt vmcnt(4)
	v_fma_f64 v[2:3], v[134:135], v[156:157], v[2:3]
	s_waitcnt lgkmcnt(0)
	s_delay_alu instid0(VALU_DEP_1)
	v_fma_f64 v[2:3], v[136:137], v[158:159], v[2:3]
	scratch_load_b128 v[134:137], off, off offset:400
	s_waitcnt vmcnt(4)
	v_fma_f64 v[2:3], v[146:147], v[160:161], v[2:3]
	ds_load_2addr_b64 v[154:157], v1 offset0:107 offset1:108
	ds_load_2addr_b64 v[158:161], v1 offset0:109 offset1:110
	s_waitcnt lgkmcnt(1)
	v_fma_f64 v[2:3], v[148:149], v[154:155], v[2:3]
	scratch_load_b128 v[146:149], off, off offset:416
	s_waitcnt vmcnt(4)
	v_fma_f64 v[2:3], v[138:139], v[156:157], v[2:3]
	s_waitcnt lgkmcnt(0)
	s_delay_alu instid0(VALU_DEP_1)
	;; [unrolled: 13-line block ×4, first 2 shown]
	v_fma_f64 v[2:3], v[148:149], v[158:159], v[2:3]
	scratch_load_b64 v[158:159], off, off offset:496
	ds_load_2addr_b64 v[146:149], v1 offset0:119 offset1:120
	ds_load_2addr_b64 v[154:157], v1 offset0:121 offset1:122
	s_waitcnt vmcnt(4)
	v_fma_f64 v[2:3], v[138:139], v[160:161], v[2:3]
	s_waitcnt lgkmcnt(1)
	s_delay_alu instid0(VALU_DEP_1) | instskip(SKIP_1) | instid1(VALU_DEP_1)
	v_fma_f64 v[2:3], v[140:141], v[146:147], v[2:3]
	s_waitcnt vmcnt(3)
	v_fma_f64 v[2:3], v[150:151], v[148:149], v[2:3]
	s_waitcnt lgkmcnt(0)
	s_delay_alu instid0(VALU_DEP_1) | instskip(SKIP_1) | instid1(VALU_DEP_1)
	v_fma_f64 v[2:3], v[152:153], v[154:155], v[2:3]
	s_waitcnt vmcnt(2)
	v_fma_f64 v[142:143], v[142:143], v[156:157], v[2:3]
	ds_load_2addr_b64 v[138:141], v1 offset0:123 offset1:124
	ds_load_2addr_b64 v[1:4], v1 offset0:125 offset1:126
	s_waitcnt lgkmcnt(1)
	v_fma_f64 v[138:139], v[144:145], v[138:139], v[142:143]
	s_waitcnt vmcnt(1)
	s_delay_alu instid0(VALU_DEP_1) | instskip(SKIP_1) | instid1(VALU_DEP_1)
	v_fma_f64 v[134:135], v[134:135], v[140:141], v[138:139]
	s_waitcnt lgkmcnt(0)
	v_fma_f64 v[1:2], v[136:137], v[1:2], v[134:135]
	s_waitcnt vmcnt(0)
	s_delay_alu instid0(VALU_DEP_1) | instskip(NEXT) | instid1(VALU_DEP_1)
	v_fma_f64 v[1:2], v[158:159], v[3:4], v[1:2]
	v_add_f64 v[1:2], v[132:133], -v[1:2]
	scratch_store_b64 off, v[1:2], off offset:144
	v_cmpx_lt_u32_e32 17, v0
	s_cbranch_execz .LBB62_353
; %bb.352:
	scratch_load_b64 v[1:2], off, off offset:136
	v_mov_b32_e32 v3, 0
	s_delay_alu instid0(VALU_DEP_1)
	v_mov_b32_e32 v4, v3
	scratch_store_b64 off, v[3:4], off offset:136
	s_waitcnt vmcnt(0)
	ds_store_b64 v5, v[1:2]
.LBB62_353:
	s_or_b32 exec_lo, exec_lo, s0
	s_waitcnt lgkmcnt(0)
	s_waitcnt_vscnt null, 0x0
	s_barrier
	buffer_gl0_inv
	s_clause 0x4
	scratch_load_b128 v[1:4], off, off offset:136
	scratch_load_b128 v[133:136], off, off offset:152
	;; [unrolled: 1-line block ×5, first 2 shown]
	v_mov_b32_e32 v132, 0
	ds_load_b128 v[149:152], v132 offset:656
	ds_load_b128 v[153:156], v132 offset:672
	scratch_load_b128 v[157:160], off, off offset:216
	s_mov_b32 s0, exec_lo
	s_waitcnt vmcnt(5) lgkmcnt(1)
	v_fma_f64 v[3:4], v[3:4], v[149:150], 0
	s_waitcnt vmcnt(4)
	s_delay_alu instid0(VALU_DEP_1) | instskip(SKIP_1) | instid1(VALU_DEP_1)
	v_fma_f64 v[3:4], v[133:134], v[151:152], v[3:4]
	s_waitcnt lgkmcnt(0)
	v_fma_f64 v[3:4], v[135:136], v[153:154], v[3:4]
	scratch_load_b128 v[133:136], off, off offset:232
	s_waitcnt vmcnt(4)
	v_fma_f64 v[3:4], v[137:138], v[155:156], v[3:4]
	ds_load_b128 v[149:152], v132 offset:688
	ds_load_b128 v[153:156], v132 offset:704
	s_waitcnt lgkmcnt(1)
	v_fma_f64 v[3:4], v[139:140], v[149:150], v[3:4]
	scratch_load_b128 v[137:140], off, off offset:248
	s_waitcnt vmcnt(4)
	v_fma_f64 v[3:4], v[141:142], v[151:152], v[3:4]
	s_waitcnt lgkmcnt(0)
	s_delay_alu instid0(VALU_DEP_1)
	v_fma_f64 v[3:4], v[143:144], v[153:154], v[3:4]
	scratch_load_b128 v[141:144], off, off offset:264
	s_waitcnt vmcnt(4)
	v_fma_f64 v[3:4], v[145:146], v[155:156], v[3:4]
	ds_load_b128 v[149:152], v132 offset:720
	ds_load_b128 v[153:156], v132 offset:736
	s_waitcnt lgkmcnt(1)
	v_fma_f64 v[3:4], v[147:148], v[149:150], v[3:4]
	scratch_load_b128 v[145:148], off, off offset:280
	s_waitcnt vmcnt(4)
	v_fma_f64 v[3:4], v[157:158], v[151:152], v[3:4]
	scratch_load_b128 v[149:152], off, off offset:296
	s_waitcnt lgkmcnt(0)
	v_fma_f64 v[3:4], v[159:160], v[153:154], v[3:4]
	s_waitcnt vmcnt(4)
	s_delay_alu instid0(VALU_DEP_1)
	v_fma_f64 v[3:4], v[133:134], v[155:156], v[3:4]
	ds_load_b128 v[153:156], v132 offset:752
	ds_load_b128 v[157:160], v132 offset:768
	s_waitcnt lgkmcnt(1)
	v_fma_f64 v[3:4], v[135:136], v[153:154], v[3:4]
	scratch_load_b128 v[133:136], off, off offset:312
	s_waitcnt vmcnt(4)
	v_fma_f64 v[3:4], v[137:138], v[155:156], v[3:4]
	s_waitcnt lgkmcnt(0)
	s_delay_alu instid0(VALU_DEP_1)
	v_fma_f64 v[3:4], v[139:140], v[157:158], v[3:4]
	scratch_load_b128 v[137:140], off, off offset:328
	s_waitcnt vmcnt(4)
	v_fma_f64 v[3:4], v[141:142], v[159:160], v[3:4]
	ds_load_b128 v[153:156], v132 offset:784
	ds_load_b128 v[157:160], v132 offset:800
	s_waitcnt lgkmcnt(1)
	v_fma_f64 v[3:4], v[143:144], v[153:154], v[3:4]
	scratch_load_b128 v[141:144], off, off offset:344
	s_waitcnt vmcnt(4)
	v_fma_f64 v[3:4], v[145:146], v[155:156], v[3:4]
	s_waitcnt lgkmcnt(0)
	s_delay_alu instid0(VALU_DEP_1)
	v_fma_f64 v[3:4], v[147:148], v[157:158], v[3:4]
	scratch_load_b128 v[145:148], off, off offset:360
	s_waitcnt vmcnt(4)
	;; [unrolled: 13-line block ×6, first 2 shown]
	v_fma_f64 v[3:4], v[141:142], v[159:160], v[3:4]
	ds_load_b128 v[153:156], v132 offset:944
	ds_load_b128 v[157:160], v132 offset:960
	s_waitcnt lgkmcnt(1)
	v_fma_f64 v[3:4], v[143:144], v[153:154], v[3:4]
	s_waitcnt vmcnt(3)
	s_delay_alu instid0(VALU_DEP_1) | instskip(SKIP_1) | instid1(VALU_DEP_1)
	v_fma_f64 v[3:4], v[145:146], v[155:156], v[3:4]
	s_waitcnt lgkmcnt(0)
	v_fma_f64 v[3:4], v[147:148], v[157:158], v[3:4]
	ds_load_b128 v[141:144], v132 offset:976
	ds_load_b128 v[145:148], v132 offset:992
	s_waitcnt vmcnt(2)
	v_fma_f64 v[3:4], v[149:150], v[159:160], v[3:4]
	s_waitcnt lgkmcnt(1)
	s_delay_alu instid0(VALU_DEP_1) | instskip(SKIP_1) | instid1(VALU_DEP_1)
	v_fma_f64 v[3:4], v[151:152], v[141:142], v[3:4]
	s_waitcnt vmcnt(1)
	v_fma_f64 v[3:4], v[133:134], v[143:144], v[3:4]
	ds_load_b64 v[133:134], v132 offset:1008
	s_waitcnt lgkmcnt(1)
	v_fma_f64 v[3:4], v[135:136], v[145:146], v[3:4]
	s_waitcnt vmcnt(0)
	s_delay_alu instid0(VALU_DEP_1) | instskip(SKIP_1) | instid1(VALU_DEP_1)
	v_fma_f64 v[3:4], v[137:138], v[147:148], v[3:4]
	s_waitcnt lgkmcnt(0)
	v_fma_f64 v[3:4], v[139:140], v[133:134], v[3:4]
	s_delay_alu instid0(VALU_DEP_1)
	v_add_f64 v[1:2], v[1:2], -v[3:4]
	scratch_store_b64 off, v[1:2], off offset:136
	v_cmpx_lt_u32_e32 16, v0
	s_cbranch_execz .LBB62_355
; %bb.354:
	scratch_load_b64 v[1:2], off, off offset:128
	v_mov_b32_e32 v133, v132
	scratch_store_b64 off, v[132:133], off offset:128
	s_waitcnt vmcnt(0)
	ds_store_b64 v5, v[1:2]
.LBB62_355:
	s_or_b32 exec_lo, exec_lo, s0
	s_waitcnt lgkmcnt(0)
	s_waitcnt_vscnt null, 0x0
	s_barrier
	buffer_gl0_inv
	s_clause 0x4
	scratch_load_b128 v[1:4], off, off offset:128
	scratch_load_b128 v[133:136], off, off offset:144
	;; [unrolled: 1-line block ×5, first 2 shown]
	ds_load_2addr_b64 v[149:152], v132 offset0:81 offset1:82
	ds_load_2addr_b64 v[153:156], v132 offset0:83 offset1:84
	scratch_load_b128 v[157:160], off, off offset:208
	s_mov_b32 s0, exec_lo
	s_waitcnt vmcnt(5) lgkmcnt(1)
	v_fma_f64 v[3:4], v[3:4], v[149:150], 0
	s_waitcnt vmcnt(4)
	s_delay_alu instid0(VALU_DEP_1) | instskip(SKIP_1) | instid1(VALU_DEP_1)
	v_fma_f64 v[3:4], v[133:134], v[151:152], v[3:4]
	s_waitcnt lgkmcnt(0)
	v_fma_f64 v[3:4], v[135:136], v[153:154], v[3:4]
	scratch_load_b128 v[133:136], off, off offset:224
	s_waitcnt vmcnt(4)
	v_fma_f64 v[3:4], v[137:138], v[155:156], v[3:4]
	ds_load_2addr_b64 v[149:152], v132 offset0:85 offset1:86
	ds_load_2addr_b64 v[153:156], v132 offset0:87 offset1:88
	s_waitcnt lgkmcnt(1)
	v_fma_f64 v[3:4], v[139:140], v[149:150], v[3:4]
	scratch_load_b128 v[137:140], off, off offset:240
	s_waitcnt vmcnt(4)
	v_fma_f64 v[3:4], v[141:142], v[151:152], v[3:4]
	s_waitcnt lgkmcnt(0)
	s_delay_alu instid0(VALU_DEP_1)
	v_fma_f64 v[3:4], v[143:144], v[153:154], v[3:4]
	scratch_load_b128 v[141:144], off, off offset:256
	s_waitcnt vmcnt(4)
	v_fma_f64 v[3:4], v[145:146], v[155:156], v[3:4]
	ds_load_2addr_b64 v[149:152], v132 offset0:89 offset1:90
	ds_load_2addr_b64 v[153:156], v132 offset0:91 offset1:92
	s_waitcnt lgkmcnt(1)
	v_fma_f64 v[3:4], v[147:148], v[149:150], v[3:4]
	scratch_load_b128 v[145:148], off, off offset:272
	s_waitcnt vmcnt(4)
	v_fma_f64 v[3:4], v[157:158], v[151:152], v[3:4]
	scratch_load_b128 v[149:152], off, off offset:288
	s_waitcnt lgkmcnt(0)
	v_fma_f64 v[3:4], v[159:160], v[153:154], v[3:4]
	s_waitcnt vmcnt(4)
	s_delay_alu instid0(VALU_DEP_1)
	v_fma_f64 v[3:4], v[133:134], v[155:156], v[3:4]
	ds_load_2addr_b64 v[153:156], v132 offset0:93 offset1:94
	ds_load_2addr_b64 v[157:160], v132 offset0:95 offset1:96
	s_waitcnt lgkmcnt(1)
	v_fma_f64 v[3:4], v[135:136], v[153:154], v[3:4]
	scratch_load_b128 v[133:136], off, off offset:304
	s_waitcnt vmcnt(4)
	v_fma_f64 v[3:4], v[137:138], v[155:156], v[3:4]
	s_waitcnt lgkmcnt(0)
	s_delay_alu instid0(VALU_DEP_1)
	v_fma_f64 v[3:4], v[139:140], v[157:158], v[3:4]
	scratch_load_b128 v[137:140], off, off offset:320
	s_waitcnt vmcnt(4)
	v_fma_f64 v[3:4], v[141:142], v[159:160], v[3:4]
	ds_load_2addr_b64 v[153:156], v132 offset0:97 offset1:98
	ds_load_2addr_b64 v[157:160], v132 offset0:99 offset1:100
	s_waitcnt lgkmcnt(1)
	v_fma_f64 v[3:4], v[143:144], v[153:154], v[3:4]
	scratch_load_b128 v[141:144], off, off offset:336
	s_waitcnt vmcnt(4)
	v_fma_f64 v[3:4], v[145:146], v[155:156], v[3:4]
	s_waitcnt lgkmcnt(0)
	s_delay_alu instid0(VALU_DEP_1)
	v_fma_f64 v[3:4], v[147:148], v[157:158], v[3:4]
	scratch_load_b128 v[145:148], off, off offset:352
	s_waitcnt vmcnt(4)
	;; [unrolled: 13-line block ×6, first 2 shown]
	v_fma_f64 v[3:4], v[141:142], v[159:160], v[3:4]
	ds_load_2addr_b64 v[153:156], v132 offset0:117 offset1:118
	ds_load_2addr_b64 v[157:160], v132 offset0:119 offset1:120
	s_waitcnt lgkmcnt(1)
	v_fma_f64 v[3:4], v[143:144], v[153:154], v[3:4]
	scratch_load_b64 v[153:154], off, off offset:496
	s_waitcnt vmcnt(4)
	v_fma_f64 v[3:4], v[145:146], v[155:156], v[3:4]
	s_waitcnt lgkmcnt(0)
	s_delay_alu instid0(VALU_DEP_1)
	v_fma_f64 v[3:4], v[147:148], v[157:158], v[3:4]
	ds_load_2addr_b64 v[141:144], v132 offset0:121 offset1:122
	ds_load_2addr_b64 v[145:148], v132 offset0:123 offset1:124
	s_waitcnt vmcnt(3)
	v_fma_f64 v[3:4], v[149:150], v[159:160], v[3:4]
	s_waitcnt lgkmcnt(1)
	s_delay_alu instid0(VALU_DEP_1) | instskip(SKIP_1) | instid1(VALU_DEP_1)
	v_fma_f64 v[3:4], v[151:152], v[141:142], v[3:4]
	s_waitcnt vmcnt(2)
	v_fma_f64 v[3:4], v[133:134], v[143:144], v[3:4]
	s_waitcnt lgkmcnt(0)
	s_delay_alu instid0(VALU_DEP_1) | instskip(SKIP_4) | instid1(VALU_DEP_1)
	v_fma_f64 v[3:4], v[135:136], v[145:146], v[3:4]
	ds_load_2addr_b64 v[132:135], v132 offset0:125 offset1:126
	s_waitcnt vmcnt(1)
	v_fma_f64 v[3:4], v[137:138], v[147:148], v[3:4]
	s_waitcnt lgkmcnt(0)
	v_fma_f64 v[3:4], v[139:140], v[132:133], v[3:4]
	s_waitcnt vmcnt(0)
	s_delay_alu instid0(VALU_DEP_1) | instskip(NEXT) | instid1(VALU_DEP_1)
	v_fma_f64 v[3:4], v[153:154], v[134:135], v[3:4]
	v_add_f64 v[1:2], v[1:2], -v[3:4]
	scratch_store_b64 off, v[1:2], off offset:128
	v_cmpx_lt_u32_e32 15, v0
	s_cbranch_execz .LBB62_357
; %bb.356:
	scratch_load_b64 v[1:2], off, off offset:120
	v_mov_b32_e32 v3, 0
	s_delay_alu instid0(VALU_DEP_1)
	v_mov_b32_e32 v4, v3
	scratch_store_b64 off, v[3:4], off offset:120
	s_waitcnt vmcnt(0)
	ds_store_b64 v5, v[1:2]
.LBB62_357:
	s_or_b32 exec_lo, exec_lo, s0
	s_waitcnt lgkmcnt(0)
	s_waitcnt_vscnt null, 0x0
	s_barrier
	buffer_gl0_inv
	s_clause 0x4
	scratch_load_b128 v[1:4], off, off offset:120
	scratch_load_b128 v[133:136], off, off offset:136
	;; [unrolled: 1-line block ×5, first 2 shown]
	v_mov_b32_e32 v132, 0
	ds_load_b128 v[149:152], v132 offset:640
	ds_load_b128 v[153:156], v132 offset:656
	scratch_load_b128 v[157:160], off, off offset:200
	s_mov_b32 s0, exec_lo
	s_waitcnt vmcnt(5) lgkmcnt(1)
	v_fma_f64 v[3:4], v[3:4], v[149:150], 0
	s_waitcnt vmcnt(4)
	s_delay_alu instid0(VALU_DEP_1) | instskip(SKIP_1) | instid1(VALU_DEP_1)
	v_fma_f64 v[3:4], v[133:134], v[151:152], v[3:4]
	s_waitcnt lgkmcnt(0)
	v_fma_f64 v[3:4], v[135:136], v[153:154], v[3:4]
	scratch_load_b128 v[133:136], off, off offset:216
	s_waitcnt vmcnt(4)
	v_fma_f64 v[3:4], v[137:138], v[155:156], v[3:4]
	ds_load_b128 v[149:152], v132 offset:672
	ds_load_b128 v[153:156], v132 offset:688
	s_waitcnt lgkmcnt(1)
	v_fma_f64 v[3:4], v[139:140], v[149:150], v[3:4]
	scratch_load_b128 v[137:140], off, off offset:232
	s_waitcnt vmcnt(4)
	v_fma_f64 v[3:4], v[141:142], v[151:152], v[3:4]
	s_waitcnt lgkmcnt(0)
	s_delay_alu instid0(VALU_DEP_1)
	v_fma_f64 v[3:4], v[143:144], v[153:154], v[3:4]
	scratch_load_b128 v[141:144], off, off offset:248
	s_waitcnt vmcnt(4)
	v_fma_f64 v[3:4], v[145:146], v[155:156], v[3:4]
	ds_load_b128 v[149:152], v132 offset:704
	ds_load_b128 v[153:156], v132 offset:720
	s_waitcnt lgkmcnt(1)
	v_fma_f64 v[3:4], v[147:148], v[149:150], v[3:4]
	scratch_load_b128 v[145:148], off, off offset:264
	s_waitcnt vmcnt(4)
	v_fma_f64 v[3:4], v[157:158], v[151:152], v[3:4]
	scratch_load_b128 v[149:152], off, off offset:280
	s_waitcnt lgkmcnt(0)
	v_fma_f64 v[3:4], v[159:160], v[153:154], v[3:4]
	s_waitcnt vmcnt(4)
	s_delay_alu instid0(VALU_DEP_1)
	v_fma_f64 v[3:4], v[133:134], v[155:156], v[3:4]
	ds_load_b128 v[153:156], v132 offset:736
	ds_load_b128 v[157:160], v132 offset:752
	s_waitcnt lgkmcnt(1)
	v_fma_f64 v[3:4], v[135:136], v[153:154], v[3:4]
	scratch_load_b128 v[133:136], off, off offset:296
	s_waitcnt vmcnt(4)
	v_fma_f64 v[3:4], v[137:138], v[155:156], v[3:4]
	s_waitcnt lgkmcnt(0)
	s_delay_alu instid0(VALU_DEP_1)
	v_fma_f64 v[3:4], v[139:140], v[157:158], v[3:4]
	scratch_load_b128 v[137:140], off, off offset:312
	s_waitcnt vmcnt(4)
	v_fma_f64 v[3:4], v[141:142], v[159:160], v[3:4]
	ds_load_b128 v[153:156], v132 offset:768
	ds_load_b128 v[157:160], v132 offset:784
	s_waitcnt lgkmcnt(1)
	v_fma_f64 v[3:4], v[143:144], v[153:154], v[3:4]
	scratch_load_b128 v[141:144], off, off offset:328
	s_waitcnt vmcnt(4)
	v_fma_f64 v[3:4], v[145:146], v[155:156], v[3:4]
	s_waitcnt lgkmcnt(0)
	s_delay_alu instid0(VALU_DEP_1)
	v_fma_f64 v[3:4], v[147:148], v[157:158], v[3:4]
	scratch_load_b128 v[145:148], off, off offset:344
	s_waitcnt vmcnt(4)
	;; [unrolled: 13-line block ×6, first 2 shown]
	v_fma_f64 v[3:4], v[141:142], v[159:160], v[3:4]
	ds_load_b128 v[153:156], v132 offset:928
	ds_load_b128 v[157:160], v132 offset:944
	s_waitcnt lgkmcnt(1)
	v_fma_f64 v[3:4], v[143:144], v[153:154], v[3:4]
	scratch_load_b128 v[141:144], off, off offset:488
	s_waitcnt vmcnt(4)
	v_fma_f64 v[3:4], v[145:146], v[155:156], v[3:4]
	s_waitcnt lgkmcnt(0)
	s_delay_alu instid0(VALU_DEP_1)
	v_fma_f64 v[3:4], v[147:148], v[157:158], v[3:4]
	ds_load_b128 v[145:148], v132 offset:960
	ds_load_b128 v[153:156], v132 offset:976
	s_waitcnt vmcnt(3)
	v_fma_f64 v[3:4], v[149:150], v[159:160], v[3:4]
	s_waitcnt lgkmcnt(1)
	s_delay_alu instid0(VALU_DEP_1) | instskip(SKIP_1) | instid1(VALU_DEP_1)
	v_fma_f64 v[3:4], v[151:152], v[145:146], v[3:4]
	s_waitcnt vmcnt(2)
	v_fma_f64 v[3:4], v[133:134], v[147:148], v[3:4]
	s_waitcnt lgkmcnt(0)
	s_delay_alu instid0(VALU_DEP_1) | instskip(SKIP_1) | instid1(VALU_DEP_1)
	v_fma_f64 v[3:4], v[135:136], v[153:154], v[3:4]
	s_waitcnt vmcnt(1)
	v_fma_f64 v[3:4], v[137:138], v[155:156], v[3:4]
	ds_load_b128 v[133:136], v132 offset:992
	ds_load_b64 v[137:138], v132 offset:1008
	s_waitcnt lgkmcnt(1)
	v_fma_f64 v[3:4], v[139:140], v[133:134], v[3:4]
	s_waitcnt vmcnt(0)
	s_delay_alu instid0(VALU_DEP_1) | instskip(SKIP_1) | instid1(VALU_DEP_1)
	v_fma_f64 v[3:4], v[141:142], v[135:136], v[3:4]
	s_waitcnt lgkmcnt(0)
	v_fma_f64 v[3:4], v[143:144], v[137:138], v[3:4]
	s_delay_alu instid0(VALU_DEP_1)
	v_add_f64 v[1:2], v[1:2], -v[3:4]
	scratch_store_b64 off, v[1:2], off offset:120
	v_cmpx_lt_u32_e32 14, v0
	s_cbranch_execz .LBB62_359
; %bb.358:
	scratch_load_b64 v[1:2], off, off offset:112
	v_mov_b32_e32 v133, v132
	scratch_store_b64 off, v[132:133], off offset:112
	s_waitcnt vmcnt(0)
	ds_store_b64 v5, v[1:2]
.LBB62_359:
	s_or_b32 exec_lo, exec_lo, s0
	s_waitcnt lgkmcnt(0)
	s_waitcnt_vscnt null, 0x0
	s_barrier
	buffer_gl0_inv
	s_clause 0x4
	scratch_load_b128 v[1:4], off, off offset:112
	scratch_load_b128 v[133:136], off, off offset:128
	;; [unrolled: 1-line block ×5, first 2 shown]
	ds_load_2addr_b64 v[149:152], v132 offset0:79 offset1:80
	ds_load_2addr_b64 v[153:156], v132 offset0:81 offset1:82
	scratch_load_b128 v[157:160], off, off offset:192
	s_mov_b32 s0, exec_lo
	s_waitcnt vmcnt(5) lgkmcnt(1)
	v_fma_f64 v[3:4], v[3:4], v[149:150], 0
	s_waitcnt vmcnt(4)
	s_delay_alu instid0(VALU_DEP_1) | instskip(SKIP_1) | instid1(VALU_DEP_1)
	v_fma_f64 v[3:4], v[133:134], v[151:152], v[3:4]
	s_waitcnt lgkmcnt(0)
	v_fma_f64 v[3:4], v[135:136], v[153:154], v[3:4]
	scratch_load_b128 v[133:136], off, off offset:208
	s_waitcnt vmcnt(4)
	v_fma_f64 v[3:4], v[137:138], v[155:156], v[3:4]
	ds_load_2addr_b64 v[149:152], v132 offset0:83 offset1:84
	ds_load_2addr_b64 v[153:156], v132 offset0:85 offset1:86
	s_waitcnt lgkmcnt(1)
	v_fma_f64 v[3:4], v[139:140], v[149:150], v[3:4]
	scratch_load_b128 v[137:140], off, off offset:224
	s_waitcnt vmcnt(4)
	v_fma_f64 v[3:4], v[141:142], v[151:152], v[3:4]
	s_waitcnt lgkmcnt(0)
	s_delay_alu instid0(VALU_DEP_1)
	v_fma_f64 v[3:4], v[143:144], v[153:154], v[3:4]
	scratch_load_b128 v[141:144], off, off offset:240
	s_waitcnt vmcnt(4)
	v_fma_f64 v[3:4], v[145:146], v[155:156], v[3:4]
	ds_load_2addr_b64 v[149:152], v132 offset0:87 offset1:88
	ds_load_2addr_b64 v[153:156], v132 offset0:89 offset1:90
	s_waitcnt lgkmcnt(1)
	v_fma_f64 v[3:4], v[147:148], v[149:150], v[3:4]
	scratch_load_b128 v[145:148], off, off offset:256
	s_waitcnt vmcnt(4)
	v_fma_f64 v[3:4], v[157:158], v[151:152], v[3:4]
	scratch_load_b128 v[149:152], off, off offset:272
	s_waitcnt lgkmcnt(0)
	v_fma_f64 v[3:4], v[159:160], v[153:154], v[3:4]
	s_waitcnt vmcnt(4)
	s_delay_alu instid0(VALU_DEP_1)
	v_fma_f64 v[3:4], v[133:134], v[155:156], v[3:4]
	ds_load_2addr_b64 v[153:156], v132 offset0:91 offset1:92
	ds_load_2addr_b64 v[157:160], v132 offset0:93 offset1:94
	s_waitcnt lgkmcnt(1)
	v_fma_f64 v[3:4], v[135:136], v[153:154], v[3:4]
	scratch_load_b128 v[133:136], off, off offset:288
	s_waitcnt vmcnt(4)
	v_fma_f64 v[3:4], v[137:138], v[155:156], v[3:4]
	s_waitcnt lgkmcnt(0)
	s_delay_alu instid0(VALU_DEP_1)
	v_fma_f64 v[3:4], v[139:140], v[157:158], v[3:4]
	scratch_load_b128 v[137:140], off, off offset:304
	s_waitcnt vmcnt(4)
	v_fma_f64 v[3:4], v[141:142], v[159:160], v[3:4]
	ds_load_2addr_b64 v[153:156], v132 offset0:95 offset1:96
	ds_load_2addr_b64 v[157:160], v132 offset0:97 offset1:98
	s_waitcnt lgkmcnt(1)
	v_fma_f64 v[3:4], v[143:144], v[153:154], v[3:4]
	scratch_load_b128 v[141:144], off, off offset:320
	s_waitcnt vmcnt(4)
	v_fma_f64 v[3:4], v[145:146], v[155:156], v[3:4]
	s_waitcnt lgkmcnt(0)
	s_delay_alu instid0(VALU_DEP_1)
	v_fma_f64 v[3:4], v[147:148], v[157:158], v[3:4]
	scratch_load_b128 v[145:148], off, off offset:336
	s_waitcnt vmcnt(4)
	;; [unrolled: 13-line block ×6, first 2 shown]
	v_fma_f64 v[3:4], v[141:142], v[159:160], v[3:4]
	ds_load_2addr_b64 v[153:156], v132 offset0:115 offset1:116
	ds_load_2addr_b64 v[157:160], v132 offset0:117 offset1:118
	s_waitcnt lgkmcnt(1)
	v_fma_f64 v[3:4], v[143:144], v[153:154], v[3:4]
	scratch_load_b128 v[141:144], off, off offset:480
	s_waitcnt vmcnt(4)
	v_fma_f64 v[3:4], v[145:146], v[155:156], v[3:4]
	s_waitcnt lgkmcnt(0)
	s_delay_alu instid0(VALU_DEP_1)
	v_fma_f64 v[3:4], v[147:148], v[157:158], v[3:4]
	scratch_load_b64 v[157:158], off, off offset:496
	ds_load_2addr_b64 v[145:148], v132 offset0:119 offset1:120
	ds_load_2addr_b64 v[153:156], v132 offset0:121 offset1:122
	s_waitcnt vmcnt(4)
	v_fma_f64 v[3:4], v[149:150], v[159:160], v[3:4]
	s_waitcnt lgkmcnt(1)
	s_delay_alu instid0(VALU_DEP_1) | instskip(SKIP_1) | instid1(VALU_DEP_1)
	v_fma_f64 v[3:4], v[151:152], v[145:146], v[3:4]
	s_waitcnt vmcnt(3)
	v_fma_f64 v[3:4], v[133:134], v[147:148], v[3:4]
	s_waitcnt lgkmcnt(0)
	s_delay_alu instid0(VALU_DEP_1)
	v_fma_f64 v[3:4], v[135:136], v[153:154], v[3:4]
	ds_load_2addr_b64 v[133:136], v132 offset0:123 offset1:124
	ds_load_2addr_b64 v[145:148], v132 offset0:125 offset1:126
	s_waitcnt vmcnt(2)
	v_fma_f64 v[3:4], v[137:138], v[155:156], v[3:4]
	s_waitcnt lgkmcnt(1)
	s_delay_alu instid0(VALU_DEP_1) | instskip(SKIP_1) | instid1(VALU_DEP_1)
	v_fma_f64 v[3:4], v[139:140], v[133:134], v[3:4]
	s_waitcnt vmcnt(1)
	v_fma_f64 v[3:4], v[141:142], v[135:136], v[3:4]
	s_waitcnt lgkmcnt(0)
	s_delay_alu instid0(VALU_DEP_1) | instskip(SKIP_1) | instid1(VALU_DEP_1)
	v_fma_f64 v[3:4], v[143:144], v[145:146], v[3:4]
	s_waitcnt vmcnt(0)
	v_fma_f64 v[3:4], v[157:158], v[147:148], v[3:4]
	s_delay_alu instid0(VALU_DEP_1)
	v_add_f64 v[1:2], v[1:2], -v[3:4]
	scratch_store_b64 off, v[1:2], off offset:112
	v_cmpx_lt_u32_e32 13, v0
	s_cbranch_execz .LBB62_361
; %bb.360:
	scratch_load_b64 v[1:2], off, off offset:104
	v_mov_b32_e32 v3, 0
	s_delay_alu instid0(VALU_DEP_1)
	v_mov_b32_e32 v4, v3
	scratch_store_b64 off, v[3:4], off offset:104
	s_waitcnt vmcnt(0)
	ds_store_b64 v5, v[1:2]
.LBB62_361:
	s_or_b32 exec_lo, exec_lo, s0
	s_waitcnt lgkmcnt(0)
	s_waitcnt_vscnt null, 0x0
	s_barrier
	buffer_gl0_inv
	s_clause 0x4
	scratch_load_b128 v[1:4], off, off offset:104
	scratch_load_b128 v[133:136], off, off offset:120
	;; [unrolled: 1-line block ×5, first 2 shown]
	v_mov_b32_e32 v132, 0
	ds_load_b128 v[149:152], v132 offset:624
	ds_load_b128 v[153:156], v132 offset:640
	scratch_load_b128 v[157:160], off, off offset:184
	s_mov_b32 s0, exec_lo
	s_waitcnt vmcnt(5) lgkmcnt(1)
	v_fma_f64 v[3:4], v[3:4], v[149:150], 0
	s_waitcnt vmcnt(4)
	s_delay_alu instid0(VALU_DEP_1) | instskip(SKIP_1) | instid1(VALU_DEP_1)
	v_fma_f64 v[3:4], v[133:134], v[151:152], v[3:4]
	s_waitcnt lgkmcnt(0)
	v_fma_f64 v[3:4], v[135:136], v[153:154], v[3:4]
	scratch_load_b128 v[133:136], off, off offset:200
	s_waitcnt vmcnt(4)
	v_fma_f64 v[3:4], v[137:138], v[155:156], v[3:4]
	ds_load_b128 v[149:152], v132 offset:656
	ds_load_b128 v[153:156], v132 offset:672
	s_waitcnt lgkmcnt(1)
	v_fma_f64 v[3:4], v[139:140], v[149:150], v[3:4]
	scratch_load_b128 v[137:140], off, off offset:216
	s_waitcnt vmcnt(4)
	v_fma_f64 v[3:4], v[141:142], v[151:152], v[3:4]
	s_waitcnt lgkmcnt(0)
	s_delay_alu instid0(VALU_DEP_1)
	v_fma_f64 v[3:4], v[143:144], v[153:154], v[3:4]
	scratch_load_b128 v[141:144], off, off offset:232
	s_waitcnt vmcnt(4)
	v_fma_f64 v[3:4], v[145:146], v[155:156], v[3:4]
	ds_load_b128 v[149:152], v132 offset:688
	ds_load_b128 v[153:156], v132 offset:704
	s_waitcnt lgkmcnt(1)
	v_fma_f64 v[3:4], v[147:148], v[149:150], v[3:4]
	scratch_load_b128 v[145:148], off, off offset:248
	s_waitcnt vmcnt(4)
	v_fma_f64 v[3:4], v[157:158], v[151:152], v[3:4]
	scratch_load_b128 v[149:152], off, off offset:264
	s_waitcnt lgkmcnt(0)
	v_fma_f64 v[3:4], v[159:160], v[153:154], v[3:4]
	s_waitcnt vmcnt(4)
	s_delay_alu instid0(VALU_DEP_1)
	v_fma_f64 v[3:4], v[133:134], v[155:156], v[3:4]
	ds_load_b128 v[153:156], v132 offset:720
	ds_load_b128 v[157:160], v132 offset:736
	s_waitcnt lgkmcnt(1)
	v_fma_f64 v[3:4], v[135:136], v[153:154], v[3:4]
	scratch_load_b128 v[133:136], off, off offset:280
	s_waitcnt vmcnt(4)
	v_fma_f64 v[3:4], v[137:138], v[155:156], v[3:4]
	s_waitcnt lgkmcnt(0)
	s_delay_alu instid0(VALU_DEP_1)
	v_fma_f64 v[3:4], v[139:140], v[157:158], v[3:4]
	scratch_load_b128 v[137:140], off, off offset:296
	s_waitcnt vmcnt(4)
	v_fma_f64 v[3:4], v[141:142], v[159:160], v[3:4]
	ds_load_b128 v[153:156], v132 offset:752
	ds_load_b128 v[157:160], v132 offset:768
	s_waitcnt lgkmcnt(1)
	v_fma_f64 v[3:4], v[143:144], v[153:154], v[3:4]
	scratch_load_b128 v[141:144], off, off offset:312
	s_waitcnt vmcnt(4)
	v_fma_f64 v[3:4], v[145:146], v[155:156], v[3:4]
	s_waitcnt lgkmcnt(0)
	s_delay_alu instid0(VALU_DEP_1)
	v_fma_f64 v[3:4], v[147:148], v[157:158], v[3:4]
	scratch_load_b128 v[145:148], off, off offset:328
	s_waitcnt vmcnt(4)
	;; [unrolled: 13-line block ×7, first 2 shown]
	v_fma_f64 v[3:4], v[149:150], v[159:160], v[3:4]
	ds_load_b128 v[153:156], v132 offset:944
	ds_load_b128 v[157:160], v132 offset:960
	s_waitcnt lgkmcnt(1)
	v_fma_f64 v[3:4], v[151:152], v[153:154], v[3:4]
	s_waitcnt vmcnt(3)
	s_delay_alu instid0(VALU_DEP_1) | instskip(SKIP_1) | instid1(VALU_DEP_1)
	v_fma_f64 v[3:4], v[133:134], v[155:156], v[3:4]
	s_waitcnt lgkmcnt(0)
	v_fma_f64 v[3:4], v[135:136], v[157:158], v[3:4]
	ds_load_b128 v[133:136], v132 offset:976
	ds_load_b128 v[149:152], v132 offset:992
	s_waitcnt vmcnt(2)
	v_fma_f64 v[3:4], v[137:138], v[159:160], v[3:4]
	s_waitcnt lgkmcnt(1)
	s_delay_alu instid0(VALU_DEP_1) | instskip(SKIP_4) | instid1(VALU_DEP_1)
	v_fma_f64 v[3:4], v[139:140], v[133:134], v[3:4]
	ds_load_b64 v[133:134], v132 offset:1008
	s_waitcnt vmcnt(1)
	v_fma_f64 v[3:4], v[141:142], v[135:136], v[3:4]
	s_waitcnt lgkmcnt(1)
	v_fma_f64 v[3:4], v[143:144], v[149:150], v[3:4]
	s_waitcnt vmcnt(0)
	s_delay_alu instid0(VALU_DEP_1) | instskip(SKIP_1) | instid1(VALU_DEP_1)
	v_fma_f64 v[3:4], v[145:146], v[151:152], v[3:4]
	s_waitcnt lgkmcnt(0)
	v_fma_f64 v[3:4], v[147:148], v[133:134], v[3:4]
	s_delay_alu instid0(VALU_DEP_1)
	v_add_f64 v[1:2], v[1:2], -v[3:4]
	scratch_store_b64 off, v[1:2], off offset:104
	v_cmpx_lt_u32_e32 12, v0
	s_cbranch_execz .LBB62_363
; %bb.362:
	scratch_load_b64 v[1:2], off, off offset:96
	v_mov_b32_e32 v133, v132
	scratch_store_b64 off, v[132:133], off offset:96
	s_waitcnt vmcnt(0)
	ds_store_b64 v5, v[1:2]
.LBB62_363:
	s_or_b32 exec_lo, exec_lo, s0
	s_waitcnt lgkmcnt(0)
	s_waitcnt_vscnt null, 0x0
	s_barrier
	buffer_gl0_inv
	s_clause 0x4
	scratch_load_b128 v[1:4], off, off offset:96
	scratch_load_b128 v[133:136], off, off offset:112
	;; [unrolled: 1-line block ×5, first 2 shown]
	ds_load_2addr_b64 v[149:152], v132 offset0:77 offset1:78
	ds_load_2addr_b64 v[153:156], v132 offset0:79 offset1:80
	scratch_load_b128 v[157:160], off, off offset:176
	s_mov_b32 s0, exec_lo
	s_waitcnt vmcnt(5) lgkmcnt(1)
	v_fma_f64 v[3:4], v[3:4], v[149:150], 0
	s_waitcnt vmcnt(4)
	s_delay_alu instid0(VALU_DEP_1) | instskip(SKIP_1) | instid1(VALU_DEP_1)
	v_fma_f64 v[3:4], v[133:134], v[151:152], v[3:4]
	s_waitcnt lgkmcnt(0)
	v_fma_f64 v[3:4], v[135:136], v[153:154], v[3:4]
	scratch_load_b128 v[133:136], off, off offset:192
	s_waitcnt vmcnt(4)
	v_fma_f64 v[3:4], v[137:138], v[155:156], v[3:4]
	ds_load_2addr_b64 v[149:152], v132 offset0:81 offset1:82
	ds_load_2addr_b64 v[153:156], v132 offset0:83 offset1:84
	s_waitcnt lgkmcnt(1)
	v_fma_f64 v[3:4], v[139:140], v[149:150], v[3:4]
	scratch_load_b128 v[137:140], off, off offset:208
	s_waitcnt vmcnt(4)
	v_fma_f64 v[3:4], v[141:142], v[151:152], v[3:4]
	s_waitcnt lgkmcnt(0)
	s_delay_alu instid0(VALU_DEP_1)
	v_fma_f64 v[3:4], v[143:144], v[153:154], v[3:4]
	scratch_load_b128 v[141:144], off, off offset:224
	s_waitcnt vmcnt(4)
	v_fma_f64 v[3:4], v[145:146], v[155:156], v[3:4]
	ds_load_2addr_b64 v[149:152], v132 offset0:85 offset1:86
	ds_load_2addr_b64 v[153:156], v132 offset0:87 offset1:88
	s_waitcnt lgkmcnt(1)
	v_fma_f64 v[3:4], v[147:148], v[149:150], v[3:4]
	scratch_load_b128 v[145:148], off, off offset:240
	s_waitcnt vmcnt(4)
	v_fma_f64 v[3:4], v[157:158], v[151:152], v[3:4]
	scratch_load_b128 v[149:152], off, off offset:256
	s_waitcnt lgkmcnt(0)
	v_fma_f64 v[3:4], v[159:160], v[153:154], v[3:4]
	s_waitcnt vmcnt(4)
	s_delay_alu instid0(VALU_DEP_1)
	v_fma_f64 v[3:4], v[133:134], v[155:156], v[3:4]
	ds_load_2addr_b64 v[153:156], v132 offset0:89 offset1:90
	ds_load_2addr_b64 v[157:160], v132 offset0:91 offset1:92
	s_waitcnt lgkmcnt(1)
	v_fma_f64 v[3:4], v[135:136], v[153:154], v[3:4]
	scratch_load_b128 v[133:136], off, off offset:272
	s_waitcnt vmcnt(4)
	v_fma_f64 v[3:4], v[137:138], v[155:156], v[3:4]
	s_waitcnt lgkmcnt(0)
	s_delay_alu instid0(VALU_DEP_1)
	v_fma_f64 v[3:4], v[139:140], v[157:158], v[3:4]
	scratch_load_b128 v[137:140], off, off offset:288
	s_waitcnt vmcnt(4)
	v_fma_f64 v[3:4], v[141:142], v[159:160], v[3:4]
	ds_load_2addr_b64 v[153:156], v132 offset0:93 offset1:94
	ds_load_2addr_b64 v[157:160], v132 offset0:95 offset1:96
	s_waitcnt lgkmcnt(1)
	v_fma_f64 v[3:4], v[143:144], v[153:154], v[3:4]
	scratch_load_b128 v[141:144], off, off offset:304
	s_waitcnt vmcnt(4)
	v_fma_f64 v[3:4], v[145:146], v[155:156], v[3:4]
	s_waitcnt lgkmcnt(0)
	s_delay_alu instid0(VALU_DEP_1)
	v_fma_f64 v[3:4], v[147:148], v[157:158], v[3:4]
	scratch_load_b128 v[145:148], off, off offset:320
	s_waitcnt vmcnt(4)
	;; [unrolled: 13-line block ×7, first 2 shown]
	v_fma_f64 v[3:4], v[149:150], v[159:160], v[3:4]
	ds_load_2addr_b64 v[153:156], v132 offset0:117 offset1:118
	ds_load_2addr_b64 v[157:160], v132 offset0:119 offset1:120
	s_waitcnt lgkmcnt(1)
	v_fma_f64 v[3:4], v[151:152], v[153:154], v[3:4]
	scratch_load_b64 v[153:154], off, off offset:496
	s_waitcnt vmcnt(4)
	v_fma_f64 v[3:4], v[133:134], v[155:156], v[3:4]
	s_waitcnt lgkmcnt(0)
	s_delay_alu instid0(VALU_DEP_1)
	v_fma_f64 v[3:4], v[135:136], v[157:158], v[3:4]
	ds_load_2addr_b64 v[133:136], v132 offset0:121 offset1:122
	ds_load_2addr_b64 v[149:152], v132 offset0:123 offset1:124
	s_waitcnt vmcnt(3)
	v_fma_f64 v[3:4], v[137:138], v[159:160], v[3:4]
	s_waitcnt lgkmcnt(1)
	s_delay_alu instid0(VALU_DEP_1) | instskip(SKIP_1) | instid1(VALU_DEP_1)
	v_fma_f64 v[3:4], v[139:140], v[133:134], v[3:4]
	s_waitcnt vmcnt(2)
	v_fma_f64 v[3:4], v[141:142], v[135:136], v[3:4]
	ds_load_2addr_b64 v[132:135], v132 offset0:125 offset1:126
	s_waitcnt lgkmcnt(1)
	v_fma_f64 v[3:4], v[143:144], v[149:150], v[3:4]
	s_waitcnt vmcnt(1)
	s_delay_alu instid0(VALU_DEP_1) | instskip(SKIP_1) | instid1(VALU_DEP_1)
	v_fma_f64 v[3:4], v[145:146], v[151:152], v[3:4]
	s_waitcnt lgkmcnt(0)
	v_fma_f64 v[3:4], v[147:148], v[132:133], v[3:4]
	s_waitcnt vmcnt(0)
	s_delay_alu instid0(VALU_DEP_1) | instskip(NEXT) | instid1(VALU_DEP_1)
	v_fma_f64 v[3:4], v[153:154], v[134:135], v[3:4]
	v_add_f64 v[1:2], v[1:2], -v[3:4]
	scratch_store_b64 off, v[1:2], off offset:96
	v_cmpx_lt_u32_e32 11, v0
	s_cbranch_execz .LBB62_365
; %bb.364:
	scratch_load_b64 v[1:2], off, off offset:88
	v_mov_b32_e32 v3, 0
	s_delay_alu instid0(VALU_DEP_1)
	v_mov_b32_e32 v4, v3
	scratch_store_b64 off, v[3:4], off offset:88
	s_waitcnt vmcnt(0)
	ds_store_b64 v5, v[1:2]
.LBB62_365:
	s_or_b32 exec_lo, exec_lo, s0
	s_waitcnt lgkmcnt(0)
	s_waitcnt_vscnt null, 0x0
	s_barrier
	buffer_gl0_inv
	s_clause 0x4
	scratch_load_b128 v[1:4], off, off offset:88
	scratch_load_b128 v[133:136], off, off offset:104
	;; [unrolled: 1-line block ×5, first 2 shown]
	v_mov_b32_e32 v132, 0
	ds_load_b128 v[149:152], v132 offset:608
	ds_load_b128 v[153:156], v132 offset:624
	scratch_load_b128 v[157:160], off, off offset:168
	s_mov_b32 s0, exec_lo
	s_waitcnt vmcnt(5) lgkmcnt(1)
	v_fma_f64 v[3:4], v[3:4], v[149:150], 0
	s_waitcnt vmcnt(4)
	s_delay_alu instid0(VALU_DEP_1) | instskip(SKIP_1) | instid1(VALU_DEP_1)
	v_fma_f64 v[3:4], v[133:134], v[151:152], v[3:4]
	s_waitcnt lgkmcnt(0)
	v_fma_f64 v[3:4], v[135:136], v[153:154], v[3:4]
	scratch_load_b128 v[133:136], off, off offset:184
	s_waitcnt vmcnt(4)
	v_fma_f64 v[3:4], v[137:138], v[155:156], v[3:4]
	ds_load_b128 v[149:152], v132 offset:640
	ds_load_b128 v[153:156], v132 offset:656
	s_waitcnt lgkmcnt(1)
	v_fma_f64 v[3:4], v[139:140], v[149:150], v[3:4]
	scratch_load_b128 v[137:140], off, off offset:200
	s_waitcnt vmcnt(4)
	v_fma_f64 v[3:4], v[141:142], v[151:152], v[3:4]
	s_waitcnt lgkmcnt(0)
	s_delay_alu instid0(VALU_DEP_1)
	v_fma_f64 v[3:4], v[143:144], v[153:154], v[3:4]
	scratch_load_b128 v[141:144], off, off offset:216
	s_waitcnt vmcnt(4)
	v_fma_f64 v[3:4], v[145:146], v[155:156], v[3:4]
	ds_load_b128 v[149:152], v132 offset:672
	ds_load_b128 v[153:156], v132 offset:688
	s_waitcnt lgkmcnt(1)
	v_fma_f64 v[3:4], v[147:148], v[149:150], v[3:4]
	scratch_load_b128 v[145:148], off, off offset:232
	s_waitcnt vmcnt(4)
	v_fma_f64 v[3:4], v[157:158], v[151:152], v[3:4]
	scratch_load_b128 v[149:152], off, off offset:248
	s_waitcnt lgkmcnt(0)
	v_fma_f64 v[3:4], v[159:160], v[153:154], v[3:4]
	s_waitcnt vmcnt(4)
	s_delay_alu instid0(VALU_DEP_1)
	v_fma_f64 v[3:4], v[133:134], v[155:156], v[3:4]
	ds_load_b128 v[153:156], v132 offset:704
	ds_load_b128 v[157:160], v132 offset:720
	s_waitcnt lgkmcnt(1)
	v_fma_f64 v[3:4], v[135:136], v[153:154], v[3:4]
	scratch_load_b128 v[133:136], off, off offset:264
	s_waitcnt vmcnt(4)
	v_fma_f64 v[3:4], v[137:138], v[155:156], v[3:4]
	s_waitcnt lgkmcnt(0)
	s_delay_alu instid0(VALU_DEP_1)
	v_fma_f64 v[3:4], v[139:140], v[157:158], v[3:4]
	scratch_load_b128 v[137:140], off, off offset:280
	s_waitcnt vmcnt(4)
	v_fma_f64 v[3:4], v[141:142], v[159:160], v[3:4]
	ds_load_b128 v[153:156], v132 offset:736
	ds_load_b128 v[157:160], v132 offset:752
	s_waitcnt lgkmcnt(1)
	v_fma_f64 v[3:4], v[143:144], v[153:154], v[3:4]
	scratch_load_b128 v[141:144], off, off offset:296
	s_waitcnt vmcnt(4)
	v_fma_f64 v[3:4], v[145:146], v[155:156], v[3:4]
	s_waitcnt lgkmcnt(0)
	s_delay_alu instid0(VALU_DEP_1)
	v_fma_f64 v[3:4], v[147:148], v[157:158], v[3:4]
	scratch_load_b128 v[145:148], off, off offset:312
	s_waitcnt vmcnt(4)
	;; [unrolled: 13-line block ×7, first 2 shown]
	v_fma_f64 v[3:4], v[149:150], v[159:160], v[3:4]
	ds_load_b128 v[153:156], v132 offset:928
	ds_load_b128 v[157:160], v132 offset:944
	s_waitcnt lgkmcnt(1)
	v_fma_f64 v[3:4], v[151:152], v[153:154], v[3:4]
	scratch_load_b128 v[149:152], off, off offset:488
	s_waitcnt vmcnt(4)
	v_fma_f64 v[3:4], v[133:134], v[155:156], v[3:4]
	s_waitcnt lgkmcnt(0)
	s_delay_alu instid0(VALU_DEP_1)
	v_fma_f64 v[3:4], v[135:136], v[157:158], v[3:4]
	ds_load_b128 v[133:136], v132 offset:960
	ds_load_b128 v[153:156], v132 offset:976
	s_waitcnt vmcnt(3)
	v_fma_f64 v[3:4], v[137:138], v[159:160], v[3:4]
	s_waitcnt lgkmcnt(1)
	s_delay_alu instid0(VALU_DEP_1) | instskip(SKIP_1) | instid1(VALU_DEP_1)
	v_fma_f64 v[3:4], v[139:140], v[133:134], v[3:4]
	s_waitcnt vmcnt(2)
	v_fma_f64 v[3:4], v[141:142], v[135:136], v[3:4]
	ds_load_b128 v[133:136], v132 offset:992
	ds_load_b64 v[137:138], v132 offset:1008
	s_waitcnt lgkmcnt(2)
	v_fma_f64 v[3:4], v[143:144], v[153:154], v[3:4]
	s_waitcnt vmcnt(1)
	s_delay_alu instid0(VALU_DEP_1) | instskip(SKIP_1) | instid1(VALU_DEP_1)
	v_fma_f64 v[3:4], v[145:146], v[155:156], v[3:4]
	s_waitcnt lgkmcnt(1)
	v_fma_f64 v[3:4], v[147:148], v[133:134], v[3:4]
	s_waitcnt vmcnt(0)
	s_delay_alu instid0(VALU_DEP_1) | instskip(SKIP_1) | instid1(VALU_DEP_1)
	v_fma_f64 v[3:4], v[149:150], v[135:136], v[3:4]
	s_waitcnt lgkmcnt(0)
	v_fma_f64 v[3:4], v[151:152], v[137:138], v[3:4]
	s_delay_alu instid0(VALU_DEP_1)
	v_add_f64 v[1:2], v[1:2], -v[3:4]
	scratch_store_b64 off, v[1:2], off offset:88
	v_cmpx_lt_u32_e32 10, v0
	s_cbranch_execz .LBB62_367
; %bb.366:
	scratch_load_b64 v[1:2], off, off offset:80
	v_mov_b32_e32 v133, v132
	scratch_store_b64 off, v[132:133], off offset:80
	s_waitcnt vmcnt(0)
	ds_store_b64 v5, v[1:2]
.LBB62_367:
	s_or_b32 exec_lo, exec_lo, s0
	s_waitcnt lgkmcnt(0)
	s_waitcnt_vscnt null, 0x0
	s_barrier
	buffer_gl0_inv
	s_clause 0x4
	scratch_load_b128 v[1:4], off, off offset:80
	scratch_load_b128 v[133:136], off, off offset:96
	;; [unrolled: 1-line block ×5, first 2 shown]
	ds_load_2addr_b64 v[149:152], v132 offset0:75 offset1:76
	ds_load_2addr_b64 v[153:156], v132 offset0:77 offset1:78
	scratch_load_b128 v[157:160], off, off offset:160
	s_mov_b32 s0, exec_lo
	s_waitcnt vmcnt(5) lgkmcnt(1)
	v_fma_f64 v[3:4], v[3:4], v[149:150], 0
	s_waitcnt vmcnt(4)
	s_delay_alu instid0(VALU_DEP_1) | instskip(SKIP_1) | instid1(VALU_DEP_1)
	v_fma_f64 v[3:4], v[133:134], v[151:152], v[3:4]
	s_waitcnt lgkmcnt(0)
	v_fma_f64 v[3:4], v[135:136], v[153:154], v[3:4]
	scratch_load_b128 v[133:136], off, off offset:176
	s_waitcnt vmcnt(4)
	v_fma_f64 v[3:4], v[137:138], v[155:156], v[3:4]
	ds_load_2addr_b64 v[149:152], v132 offset0:79 offset1:80
	ds_load_2addr_b64 v[153:156], v132 offset0:81 offset1:82
	s_waitcnt lgkmcnt(1)
	v_fma_f64 v[3:4], v[139:140], v[149:150], v[3:4]
	scratch_load_b128 v[137:140], off, off offset:192
	s_waitcnt vmcnt(4)
	v_fma_f64 v[3:4], v[141:142], v[151:152], v[3:4]
	s_waitcnt lgkmcnt(0)
	s_delay_alu instid0(VALU_DEP_1)
	v_fma_f64 v[3:4], v[143:144], v[153:154], v[3:4]
	scratch_load_b128 v[141:144], off, off offset:208
	s_waitcnt vmcnt(4)
	v_fma_f64 v[3:4], v[145:146], v[155:156], v[3:4]
	ds_load_2addr_b64 v[149:152], v132 offset0:83 offset1:84
	ds_load_2addr_b64 v[153:156], v132 offset0:85 offset1:86
	s_waitcnt lgkmcnt(1)
	v_fma_f64 v[3:4], v[147:148], v[149:150], v[3:4]
	scratch_load_b128 v[145:148], off, off offset:224
	s_waitcnt vmcnt(4)
	v_fma_f64 v[3:4], v[157:158], v[151:152], v[3:4]
	scratch_load_b128 v[149:152], off, off offset:240
	s_waitcnt lgkmcnt(0)
	v_fma_f64 v[3:4], v[159:160], v[153:154], v[3:4]
	s_waitcnt vmcnt(4)
	s_delay_alu instid0(VALU_DEP_1)
	v_fma_f64 v[3:4], v[133:134], v[155:156], v[3:4]
	ds_load_2addr_b64 v[153:156], v132 offset0:87 offset1:88
	ds_load_2addr_b64 v[157:160], v132 offset0:89 offset1:90
	s_waitcnt lgkmcnt(1)
	v_fma_f64 v[3:4], v[135:136], v[153:154], v[3:4]
	scratch_load_b128 v[133:136], off, off offset:256
	s_waitcnt vmcnt(4)
	v_fma_f64 v[3:4], v[137:138], v[155:156], v[3:4]
	s_waitcnt lgkmcnt(0)
	s_delay_alu instid0(VALU_DEP_1)
	v_fma_f64 v[3:4], v[139:140], v[157:158], v[3:4]
	scratch_load_b128 v[137:140], off, off offset:272
	s_waitcnt vmcnt(4)
	v_fma_f64 v[3:4], v[141:142], v[159:160], v[3:4]
	ds_load_2addr_b64 v[153:156], v132 offset0:91 offset1:92
	ds_load_2addr_b64 v[157:160], v132 offset0:93 offset1:94
	s_waitcnt lgkmcnt(1)
	v_fma_f64 v[3:4], v[143:144], v[153:154], v[3:4]
	scratch_load_b128 v[141:144], off, off offset:288
	s_waitcnt vmcnt(4)
	v_fma_f64 v[3:4], v[145:146], v[155:156], v[3:4]
	s_waitcnt lgkmcnt(0)
	s_delay_alu instid0(VALU_DEP_1)
	v_fma_f64 v[3:4], v[147:148], v[157:158], v[3:4]
	scratch_load_b128 v[145:148], off, off offset:304
	s_waitcnt vmcnt(4)
	;; [unrolled: 13-line block ×7, first 2 shown]
	v_fma_f64 v[3:4], v[149:150], v[159:160], v[3:4]
	ds_load_2addr_b64 v[153:156], v132 offset0:115 offset1:116
	ds_load_2addr_b64 v[157:160], v132 offset0:117 offset1:118
	s_waitcnt lgkmcnt(1)
	v_fma_f64 v[3:4], v[151:152], v[153:154], v[3:4]
	scratch_load_b128 v[149:152], off, off offset:480
	s_waitcnt vmcnt(4)
	v_fma_f64 v[3:4], v[133:134], v[155:156], v[3:4]
	s_waitcnt lgkmcnt(0)
	s_delay_alu instid0(VALU_DEP_1)
	v_fma_f64 v[3:4], v[135:136], v[157:158], v[3:4]
	scratch_load_b64 v[157:158], off, off offset:496
	ds_load_2addr_b64 v[133:136], v132 offset0:119 offset1:120
	ds_load_2addr_b64 v[153:156], v132 offset0:121 offset1:122
	s_waitcnt vmcnt(4)
	v_fma_f64 v[3:4], v[137:138], v[159:160], v[3:4]
	s_waitcnt lgkmcnt(1)
	s_delay_alu instid0(VALU_DEP_1) | instskip(SKIP_1) | instid1(VALU_DEP_1)
	v_fma_f64 v[3:4], v[139:140], v[133:134], v[3:4]
	s_waitcnt vmcnt(3)
	v_fma_f64 v[3:4], v[141:142], v[135:136], v[3:4]
	ds_load_2addr_b64 v[133:136], v132 offset0:123 offset1:124
	ds_load_2addr_b64 v[137:140], v132 offset0:125 offset1:126
	s_waitcnt lgkmcnt(2)
	v_fma_f64 v[3:4], v[143:144], v[153:154], v[3:4]
	s_waitcnt vmcnt(2)
	s_delay_alu instid0(VALU_DEP_1) | instskip(SKIP_1) | instid1(VALU_DEP_1)
	v_fma_f64 v[3:4], v[145:146], v[155:156], v[3:4]
	s_waitcnt lgkmcnt(1)
	v_fma_f64 v[3:4], v[147:148], v[133:134], v[3:4]
	s_waitcnt vmcnt(1)
	s_delay_alu instid0(VALU_DEP_1) | instskip(SKIP_1) | instid1(VALU_DEP_1)
	v_fma_f64 v[3:4], v[149:150], v[135:136], v[3:4]
	s_waitcnt lgkmcnt(0)
	v_fma_f64 v[3:4], v[151:152], v[137:138], v[3:4]
	s_waitcnt vmcnt(0)
	s_delay_alu instid0(VALU_DEP_1) | instskip(NEXT) | instid1(VALU_DEP_1)
	v_fma_f64 v[3:4], v[157:158], v[139:140], v[3:4]
	v_add_f64 v[1:2], v[1:2], -v[3:4]
	scratch_store_b64 off, v[1:2], off offset:80
	v_cmpx_lt_u32_e32 9, v0
	s_cbranch_execz .LBB62_369
; %bb.368:
	scratch_load_b64 v[1:2], off, off offset:72
	v_mov_b32_e32 v3, 0
	s_delay_alu instid0(VALU_DEP_1)
	v_mov_b32_e32 v4, v3
	scratch_store_b64 off, v[3:4], off offset:72
	s_waitcnt vmcnt(0)
	ds_store_b64 v5, v[1:2]
.LBB62_369:
	s_or_b32 exec_lo, exec_lo, s0
	s_waitcnt lgkmcnt(0)
	s_waitcnt_vscnt null, 0x0
	s_barrier
	buffer_gl0_inv
	s_clause 0x4
	scratch_load_b128 v[1:4], off, off offset:72
	scratch_load_b128 v[133:136], off, off offset:88
	;; [unrolled: 1-line block ×5, first 2 shown]
	v_mov_b32_e32 v132, 0
	ds_load_b128 v[149:152], v132 offset:592
	ds_load_b128 v[153:156], v132 offset:608
	scratch_load_b128 v[157:160], off, off offset:152
	s_mov_b32 s0, exec_lo
	s_waitcnt vmcnt(5) lgkmcnt(1)
	v_fma_f64 v[3:4], v[3:4], v[149:150], 0
	s_waitcnt vmcnt(4)
	s_delay_alu instid0(VALU_DEP_1) | instskip(SKIP_1) | instid1(VALU_DEP_1)
	v_fma_f64 v[3:4], v[133:134], v[151:152], v[3:4]
	s_waitcnt lgkmcnt(0)
	v_fma_f64 v[3:4], v[135:136], v[153:154], v[3:4]
	scratch_load_b128 v[133:136], off, off offset:168
	s_waitcnt vmcnt(4)
	v_fma_f64 v[3:4], v[137:138], v[155:156], v[3:4]
	ds_load_b128 v[149:152], v132 offset:624
	ds_load_b128 v[153:156], v132 offset:640
	s_waitcnt lgkmcnt(1)
	v_fma_f64 v[3:4], v[139:140], v[149:150], v[3:4]
	scratch_load_b128 v[137:140], off, off offset:184
	s_waitcnt vmcnt(4)
	v_fma_f64 v[3:4], v[141:142], v[151:152], v[3:4]
	s_waitcnt lgkmcnt(0)
	s_delay_alu instid0(VALU_DEP_1)
	v_fma_f64 v[3:4], v[143:144], v[153:154], v[3:4]
	scratch_load_b128 v[141:144], off, off offset:200
	s_waitcnt vmcnt(4)
	v_fma_f64 v[3:4], v[145:146], v[155:156], v[3:4]
	ds_load_b128 v[149:152], v132 offset:656
	ds_load_b128 v[153:156], v132 offset:672
	s_waitcnt lgkmcnt(1)
	v_fma_f64 v[3:4], v[147:148], v[149:150], v[3:4]
	scratch_load_b128 v[145:148], off, off offset:216
	s_waitcnt vmcnt(4)
	v_fma_f64 v[3:4], v[157:158], v[151:152], v[3:4]
	scratch_load_b128 v[149:152], off, off offset:232
	s_waitcnt lgkmcnt(0)
	v_fma_f64 v[3:4], v[159:160], v[153:154], v[3:4]
	s_waitcnt vmcnt(4)
	s_delay_alu instid0(VALU_DEP_1)
	v_fma_f64 v[3:4], v[133:134], v[155:156], v[3:4]
	ds_load_b128 v[153:156], v132 offset:688
	ds_load_b128 v[157:160], v132 offset:704
	s_waitcnt lgkmcnt(1)
	v_fma_f64 v[3:4], v[135:136], v[153:154], v[3:4]
	scratch_load_b128 v[133:136], off, off offset:248
	s_waitcnt vmcnt(4)
	v_fma_f64 v[3:4], v[137:138], v[155:156], v[3:4]
	s_waitcnt lgkmcnt(0)
	s_delay_alu instid0(VALU_DEP_1)
	v_fma_f64 v[3:4], v[139:140], v[157:158], v[3:4]
	scratch_load_b128 v[137:140], off, off offset:264
	s_waitcnt vmcnt(4)
	v_fma_f64 v[3:4], v[141:142], v[159:160], v[3:4]
	ds_load_b128 v[153:156], v132 offset:720
	ds_load_b128 v[157:160], v132 offset:736
	s_waitcnt lgkmcnt(1)
	v_fma_f64 v[3:4], v[143:144], v[153:154], v[3:4]
	scratch_load_b128 v[141:144], off, off offset:280
	s_waitcnt vmcnt(4)
	v_fma_f64 v[3:4], v[145:146], v[155:156], v[3:4]
	s_waitcnt lgkmcnt(0)
	s_delay_alu instid0(VALU_DEP_1)
	v_fma_f64 v[3:4], v[147:148], v[157:158], v[3:4]
	scratch_load_b128 v[145:148], off, off offset:296
	s_waitcnt vmcnt(4)
	;; [unrolled: 13-line block ×8, first 2 shown]
	v_fma_f64 v[3:4], v[137:138], v[159:160], v[3:4]
	ds_load_b128 v[153:156], v132 offset:944
	ds_load_b128 v[157:160], v132 offset:960
	s_waitcnt lgkmcnt(1)
	v_fma_f64 v[3:4], v[139:140], v[153:154], v[3:4]
	s_waitcnt vmcnt(3)
	s_delay_alu instid0(VALU_DEP_1) | instskip(SKIP_1) | instid1(VALU_DEP_1)
	v_fma_f64 v[3:4], v[141:142], v[155:156], v[3:4]
	s_waitcnt lgkmcnt(0)
	v_fma_f64 v[3:4], v[143:144], v[157:158], v[3:4]
	ds_load_b128 v[137:140], v132 offset:976
	ds_load_b128 v[141:144], v132 offset:992
	s_waitcnt vmcnt(2)
	v_fma_f64 v[3:4], v[145:146], v[159:160], v[3:4]
	s_waitcnt lgkmcnt(1)
	s_delay_alu instid0(VALU_DEP_1) | instskip(SKIP_1) | instid1(VALU_DEP_1)
	v_fma_f64 v[3:4], v[147:148], v[137:138], v[3:4]
	s_waitcnt vmcnt(1)
	v_fma_f64 v[3:4], v[149:150], v[139:140], v[3:4]
	s_waitcnt lgkmcnt(0)
	s_delay_alu instid0(VALU_DEP_1) | instskip(SKIP_1) | instid1(VALU_DEP_1)
	v_fma_f64 v[3:4], v[151:152], v[141:142], v[3:4]
	s_waitcnt vmcnt(0)
	v_fma_f64 v[3:4], v[133:134], v[143:144], v[3:4]
	ds_load_b64 v[133:134], v132 offset:1008
	s_waitcnt lgkmcnt(0)
	v_fma_f64 v[3:4], v[135:136], v[133:134], v[3:4]
	s_delay_alu instid0(VALU_DEP_1)
	v_add_f64 v[1:2], v[1:2], -v[3:4]
	scratch_store_b64 off, v[1:2], off offset:72
	v_cmpx_lt_u32_e32 8, v0
	s_cbranch_execz .LBB62_371
; %bb.370:
	scratch_load_b64 v[1:2], off, off offset:64
	v_mov_b32_e32 v133, v132
	scratch_store_b64 off, v[132:133], off offset:64
	s_waitcnt vmcnt(0)
	ds_store_b64 v5, v[1:2]
.LBB62_371:
	s_or_b32 exec_lo, exec_lo, s0
	s_waitcnt lgkmcnt(0)
	s_waitcnt_vscnt null, 0x0
	s_barrier
	buffer_gl0_inv
	s_clause 0x4
	scratch_load_b128 v[1:4], off, off offset:64
	scratch_load_b128 v[133:136], off, off offset:80
	;; [unrolled: 1-line block ×5, first 2 shown]
	ds_load_2addr_b64 v[149:152], v132 offset0:73 offset1:74
	ds_load_2addr_b64 v[153:156], v132 offset0:75 offset1:76
	scratch_load_b128 v[157:160], off, off offset:144
	s_mov_b32 s0, exec_lo
	s_waitcnt vmcnt(5) lgkmcnt(1)
	v_fma_f64 v[3:4], v[3:4], v[149:150], 0
	s_waitcnt vmcnt(4)
	s_delay_alu instid0(VALU_DEP_1) | instskip(SKIP_1) | instid1(VALU_DEP_1)
	v_fma_f64 v[3:4], v[133:134], v[151:152], v[3:4]
	s_waitcnt lgkmcnt(0)
	v_fma_f64 v[3:4], v[135:136], v[153:154], v[3:4]
	scratch_load_b128 v[133:136], off, off offset:160
	s_waitcnt vmcnt(4)
	v_fma_f64 v[3:4], v[137:138], v[155:156], v[3:4]
	ds_load_2addr_b64 v[149:152], v132 offset0:77 offset1:78
	ds_load_2addr_b64 v[153:156], v132 offset0:79 offset1:80
	s_waitcnt lgkmcnt(1)
	v_fma_f64 v[3:4], v[139:140], v[149:150], v[3:4]
	scratch_load_b128 v[137:140], off, off offset:176
	s_waitcnt vmcnt(4)
	v_fma_f64 v[3:4], v[141:142], v[151:152], v[3:4]
	s_waitcnt lgkmcnt(0)
	s_delay_alu instid0(VALU_DEP_1)
	v_fma_f64 v[3:4], v[143:144], v[153:154], v[3:4]
	scratch_load_b128 v[141:144], off, off offset:192
	s_waitcnt vmcnt(4)
	v_fma_f64 v[3:4], v[145:146], v[155:156], v[3:4]
	ds_load_2addr_b64 v[149:152], v132 offset0:81 offset1:82
	ds_load_2addr_b64 v[153:156], v132 offset0:83 offset1:84
	s_waitcnt lgkmcnt(1)
	v_fma_f64 v[3:4], v[147:148], v[149:150], v[3:4]
	scratch_load_b128 v[145:148], off, off offset:208
	s_waitcnt vmcnt(4)
	v_fma_f64 v[3:4], v[157:158], v[151:152], v[3:4]
	scratch_load_b128 v[149:152], off, off offset:224
	s_waitcnt lgkmcnt(0)
	v_fma_f64 v[3:4], v[159:160], v[153:154], v[3:4]
	s_waitcnt vmcnt(4)
	s_delay_alu instid0(VALU_DEP_1)
	v_fma_f64 v[3:4], v[133:134], v[155:156], v[3:4]
	ds_load_2addr_b64 v[153:156], v132 offset0:85 offset1:86
	ds_load_2addr_b64 v[157:160], v132 offset0:87 offset1:88
	s_waitcnt lgkmcnt(1)
	v_fma_f64 v[3:4], v[135:136], v[153:154], v[3:4]
	scratch_load_b128 v[133:136], off, off offset:240
	s_waitcnt vmcnt(4)
	v_fma_f64 v[3:4], v[137:138], v[155:156], v[3:4]
	s_waitcnt lgkmcnt(0)
	s_delay_alu instid0(VALU_DEP_1)
	v_fma_f64 v[3:4], v[139:140], v[157:158], v[3:4]
	scratch_load_b128 v[137:140], off, off offset:256
	s_waitcnt vmcnt(4)
	v_fma_f64 v[3:4], v[141:142], v[159:160], v[3:4]
	ds_load_2addr_b64 v[153:156], v132 offset0:89 offset1:90
	ds_load_2addr_b64 v[157:160], v132 offset0:91 offset1:92
	s_waitcnt lgkmcnt(1)
	v_fma_f64 v[3:4], v[143:144], v[153:154], v[3:4]
	scratch_load_b128 v[141:144], off, off offset:272
	s_waitcnt vmcnt(4)
	v_fma_f64 v[3:4], v[145:146], v[155:156], v[3:4]
	s_waitcnt lgkmcnt(0)
	s_delay_alu instid0(VALU_DEP_1)
	v_fma_f64 v[3:4], v[147:148], v[157:158], v[3:4]
	scratch_load_b128 v[145:148], off, off offset:288
	s_waitcnt vmcnt(4)
	;; [unrolled: 13-line block ×8, first 2 shown]
	v_fma_f64 v[3:4], v[137:138], v[159:160], v[3:4]
	ds_load_2addr_b64 v[153:156], v132 offset0:117 offset1:118
	ds_load_2addr_b64 v[157:160], v132 offset0:119 offset1:120
	s_waitcnt lgkmcnt(1)
	v_fma_f64 v[3:4], v[139:140], v[153:154], v[3:4]
	scratch_load_b64 v[153:154], off, off offset:496
	s_waitcnt vmcnt(4)
	v_fma_f64 v[3:4], v[141:142], v[155:156], v[3:4]
	s_waitcnt lgkmcnt(0)
	s_delay_alu instid0(VALU_DEP_1)
	v_fma_f64 v[3:4], v[143:144], v[157:158], v[3:4]
	ds_load_2addr_b64 v[137:140], v132 offset0:121 offset1:122
	ds_load_2addr_b64 v[141:144], v132 offset0:123 offset1:124
	s_waitcnt vmcnt(3)
	v_fma_f64 v[3:4], v[145:146], v[159:160], v[3:4]
	s_waitcnt lgkmcnt(1)
	s_delay_alu instid0(VALU_DEP_1) | instskip(SKIP_1) | instid1(VALU_DEP_1)
	v_fma_f64 v[3:4], v[147:148], v[137:138], v[3:4]
	s_waitcnt vmcnt(2)
	v_fma_f64 v[3:4], v[149:150], v[139:140], v[3:4]
	ds_load_2addr_b64 v[137:140], v132 offset0:125 offset1:126
	s_waitcnt lgkmcnt(1)
	v_fma_f64 v[3:4], v[151:152], v[141:142], v[3:4]
	s_waitcnt vmcnt(1)
	s_delay_alu instid0(VALU_DEP_1) | instskip(SKIP_1) | instid1(VALU_DEP_1)
	v_fma_f64 v[3:4], v[133:134], v[143:144], v[3:4]
	s_waitcnt lgkmcnt(0)
	v_fma_f64 v[3:4], v[135:136], v[137:138], v[3:4]
	s_waitcnt vmcnt(0)
	s_delay_alu instid0(VALU_DEP_1) | instskip(NEXT) | instid1(VALU_DEP_1)
	v_fma_f64 v[3:4], v[153:154], v[139:140], v[3:4]
	v_add_f64 v[1:2], v[1:2], -v[3:4]
	scratch_store_b64 off, v[1:2], off offset:64
	v_cmpx_lt_u32_e32 7, v0
	s_cbranch_execz .LBB62_373
; %bb.372:
	scratch_load_b64 v[1:2], off, off offset:56
	v_mov_b32_e32 v3, 0
	s_delay_alu instid0(VALU_DEP_1)
	v_mov_b32_e32 v4, v3
	scratch_store_b64 off, v[3:4], off offset:56
	s_waitcnt vmcnt(0)
	ds_store_b64 v5, v[1:2]
.LBB62_373:
	s_or_b32 exec_lo, exec_lo, s0
	s_waitcnt lgkmcnt(0)
	s_waitcnt_vscnt null, 0x0
	s_barrier
	buffer_gl0_inv
	s_clause 0x4
	scratch_load_b128 v[1:4], off, off offset:56
	scratch_load_b128 v[133:136], off, off offset:72
	;; [unrolled: 1-line block ×5, first 2 shown]
	v_mov_b32_e32 v132, 0
	ds_load_b128 v[149:152], v132 offset:576
	ds_load_b128 v[153:156], v132 offset:592
	scratch_load_b128 v[157:160], off, off offset:136
	s_mov_b32 s0, exec_lo
	s_waitcnt vmcnt(5) lgkmcnt(1)
	v_fma_f64 v[3:4], v[3:4], v[149:150], 0
	s_waitcnt vmcnt(4)
	s_delay_alu instid0(VALU_DEP_1) | instskip(SKIP_1) | instid1(VALU_DEP_1)
	v_fma_f64 v[3:4], v[133:134], v[151:152], v[3:4]
	s_waitcnt lgkmcnt(0)
	v_fma_f64 v[3:4], v[135:136], v[153:154], v[3:4]
	scratch_load_b128 v[133:136], off, off offset:152
	s_waitcnt vmcnt(4)
	v_fma_f64 v[3:4], v[137:138], v[155:156], v[3:4]
	ds_load_b128 v[149:152], v132 offset:608
	ds_load_b128 v[153:156], v132 offset:624
	s_waitcnt lgkmcnt(1)
	v_fma_f64 v[3:4], v[139:140], v[149:150], v[3:4]
	scratch_load_b128 v[137:140], off, off offset:168
	s_waitcnt vmcnt(4)
	v_fma_f64 v[3:4], v[141:142], v[151:152], v[3:4]
	s_waitcnt lgkmcnt(0)
	s_delay_alu instid0(VALU_DEP_1)
	v_fma_f64 v[3:4], v[143:144], v[153:154], v[3:4]
	scratch_load_b128 v[141:144], off, off offset:184
	s_waitcnt vmcnt(4)
	v_fma_f64 v[3:4], v[145:146], v[155:156], v[3:4]
	ds_load_b128 v[149:152], v132 offset:640
	ds_load_b128 v[153:156], v132 offset:656
	s_waitcnt lgkmcnt(1)
	v_fma_f64 v[3:4], v[147:148], v[149:150], v[3:4]
	scratch_load_b128 v[145:148], off, off offset:200
	s_waitcnt vmcnt(4)
	v_fma_f64 v[3:4], v[157:158], v[151:152], v[3:4]
	scratch_load_b128 v[149:152], off, off offset:216
	s_waitcnt lgkmcnt(0)
	v_fma_f64 v[3:4], v[159:160], v[153:154], v[3:4]
	s_waitcnt vmcnt(4)
	s_delay_alu instid0(VALU_DEP_1)
	v_fma_f64 v[3:4], v[133:134], v[155:156], v[3:4]
	ds_load_b128 v[153:156], v132 offset:672
	ds_load_b128 v[157:160], v132 offset:688
	s_waitcnt lgkmcnt(1)
	v_fma_f64 v[3:4], v[135:136], v[153:154], v[3:4]
	scratch_load_b128 v[133:136], off, off offset:232
	s_waitcnt vmcnt(4)
	v_fma_f64 v[3:4], v[137:138], v[155:156], v[3:4]
	s_waitcnt lgkmcnt(0)
	s_delay_alu instid0(VALU_DEP_1)
	v_fma_f64 v[3:4], v[139:140], v[157:158], v[3:4]
	scratch_load_b128 v[137:140], off, off offset:248
	s_waitcnt vmcnt(4)
	v_fma_f64 v[3:4], v[141:142], v[159:160], v[3:4]
	ds_load_b128 v[153:156], v132 offset:704
	ds_load_b128 v[157:160], v132 offset:720
	s_waitcnt lgkmcnt(1)
	v_fma_f64 v[3:4], v[143:144], v[153:154], v[3:4]
	scratch_load_b128 v[141:144], off, off offset:264
	s_waitcnt vmcnt(4)
	v_fma_f64 v[3:4], v[145:146], v[155:156], v[3:4]
	s_waitcnt lgkmcnt(0)
	s_delay_alu instid0(VALU_DEP_1)
	v_fma_f64 v[3:4], v[147:148], v[157:158], v[3:4]
	scratch_load_b128 v[145:148], off, off offset:280
	s_waitcnt vmcnt(4)
	;; [unrolled: 13-line block ×8, first 2 shown]
	v_fma_f64 v[3:4], v[137:138], v[159:160], v[3:4]
	ds_load_b128 v[153:156], v132 offset:928
	ds_load_b128 v[157:160], v132 offset:944
	s_waitcnt lgkmcnt(1)
	v_fma_f64 v[3:4], v[139:140], v[153:154], v[3:4]
	scratch_load_b128 v[137:140], off, off offset:488
	s_waitcnt vmcnt(4)
	v_fma_f64 v[3:4], v[141:142], v[155:156], v[3:4]
	s_waitcnt lgkmcnt(0)
	s_delay_alu instid0(VALU_DEP_1)
	v_fma_f64 v[3:4], v[143:144], v[157:158], v[3:4]
	ds_load_b128 v[141:144], v132 offset:960
	ds_load_b128 v[153:156], v132 offset:976
	s_waitcnt vmcnt(3)
	v_fma_f64 v[3:4], v[145:146], v[159:160], v[3:4]
	s_waitcnt lgkmcnt(1)
	s_delay_alu instid0(VALU_DEP_1) | instskip(SKIP_1) | instid1(VALU_DEP_1)
	v_fma_f64 v[3:4], v[147:148], v[141:142], v[3:4]
	s_waitcnt vmcnt(2)
	v_fma_f64 v[3:4], v[149:150], v[143:144], v[3:4]
	s_waitcnt lgkmcnt(0)
	s_delay_alu instid0(VALU_DEP_1) | instskip(SKIP_1) | instid1(VALU_DEP_1)
	v_fma_f64 v[3:4], v[151:152], v[153:154], v[3:4]
	s_waitcnt vmcnt(1)
	v_fma_f64 v[3:4], v[133:134], v[155:156], v[3:4]
	ds_load_b128 v[141:144], v132 offset:992
	ds_load_b64 v[133:134], v132 offset:1008
	s_waitcnt lgkmcnt(1)
	v_fma_f64 v[3:4], v[135:136], v[141:142], v[3:4]
	s_waitcnt vmcnt(0)
	s_delay_alu instid0(VALU_DEP_1) | instskip(SKIP_1) | instid1(VALU_DEP_1)
	v_fma_f64 v[3:4], v[137:138], v[143:144], v[3:4]
	s_waitcnt lgkmcnt(0)
	v_fma_f64 v[3:4], v[139:140], v[133:134], v[3:4]
	s_delay_alu instid0(VALU_DEP_1)
	v_add_f64 v[1:2], v[1:2], -v[3:4]
	scratch_store_b64 off, v[1:2], off offset:56
	v_cmpx_lt_u32_e32 6, v0
	s_cbranch_execz .LBB62_375
; %bb.374:
	scratch_load_b64 v[1:2], off, off offset:48
	v_mov_b32_e32 v133, v132
	scratch_store_b64 off, v[132:133], off offset:48
	s_waitcnt vmcnt(0)
	ds_store_b64 v5, v[1:2]
.LBB62_375:
	s_or_b32 exec_lo, exec_lo, s0
	s_waitcnt lgkmcnt(0)
	s_waitcnt_vscnt null, 0x0
	s_barrier
	buffer_gl0_inv
	s_clause 0x4
	scratch_load_b128 v[1:4], off, off offset:48
	scratch_load_b128 v[133:136], off, off offset:64
	;; [unrolled: 1-line block ×5, first 2 shown]
	ds_load_2addr_b64 v[149:152], v132 offset0:71 offset1:72
	ds_load_2addr_b64 v[153:156], v132 offset0:73 offset1:74
	scratch_load_b128 v[157:160], off, off offset:128
	s_mov_b32 s0, exec_lo
	s_waitcnt vmcnt(5) lgkmcnt(1)
	v_fma_f64 v[3:4], v[3:4], v[149:150], 0
	s_waitcnt vmcnt(4)
	s_delay_alu instid0(VALU_DEP_1) | instskip(SKIP_1) | instid1(VALU_DEP_1)
	v_fma_f64 v[3:4], v[133:134], v[151:152], v[3:4]
	s_waitcnt lgkmcnt(0)
	v_fma_f64 v[3:4], v[135:136], v[153:154], v[3:4]
	scratch_load_b128 v[133:136], off, off offset:144
	s_waitcnt vmcnt(4)
	v_fma_f64 v[3:4], v[137:138], v[155:156], v[3:4]
	ds_load_2addr_b64 v[149:152], v132 offset0:75 offset1:76
	ds_load_2addr_b64 v[153:156], v132 offset0:77 offset1:78
	s_waitcnt lgkmcnt(1)
	v_fma_f64 v[3:4], v[139:140], v[149:150], v[3:4]
	scratch_load_b128 v[137:140], off, off offset:160
	s_waitcnt vmcnt(4)
	v_fma_f64 v[3:4], v[141:142], v[151:152], v[3:4]
	s_waitcnt lgkmcnt(0)
	s_delay_alu instid0(VALU_DEP_1)
	v_fma_f64 v[3:4], v[143:144], v[153:154], v[3:4]
	scratch_load_b128 v[141:144], off, off offset:176
	s_waitcnt vmcnt(4)
	v_fma_f64 v[3:4], v[145:146], v[155:156], v[3:4]
	ds_load_2addr_b64 v[149:152], v132 offset0:79 offset1:80
	ds_load_2addr_b64 v[153:156], v132 offset0:81 offset1:82
	s_waitcnt lgkmcnt(1)
	v_fma_f64 v[3:4], v[147:148], v[149:150], v[3:4]
	scratch_load_b128 v[145:148], off, off offset:192
	s_waitcnt vmcnt(4)
	v_fma_f64 v[3:4], v[157:158], v[151:152], v[3:4]
	scratch_load_b128 v[149:152], off, off offset:208
	s_waitcnt lgkmcnt(0)
	v_fma_f64 v[3:4], v[159:160], v[153:154], v[3:4]
	s_waitcnt vmcnt(4)
	s_delay_alu instid0(VALU_DEP_1)
	v_fma_f64 v[3:4], v[133:134], v[155:156], v[3:4]
	ds_load_2addr_b64 v[153:156], v132 offset0:83 offset1:84
	ds_load_2addr_b64 v[157:160], v132 offset0:85 offset1:86
	s_waitcnt lgkmcnt(1)
	v_fma_f64 v[3:4], v[135:136], v[153:154], v[3:4]
	scratch_load_b128 v[133:136], off, off offset:224
	s_waitcnt vmcnt(4)
	v_fma_f64 v[3:4], v[137:138], v[155:156], v[3:4]
	s_waitcnt lgkmcnt(0)
	s_delay_alu instid0(VALU_DEP_1)
	v_fma_f64 v[3:4], v[139:140], v[157:158], v[3:4]
	scratch_load_b128 v[137:140], off, off offset:240
	s_waitcnt vmcnt(4)
	v_fma_f64 v[3:4], v[141:142], v[159:160], v[3:4]
	ds_load_2addr_b64 v[153:156], v132 offset0:87 offset1:88
	ds_load_2addr_b64 v[157:160], v132 offset0:89 offset1:90
	s_waitcnt lgkmcnt(1)
	v_fma_f64 v[3:4], v[143:144], v[153:154], v[3:4]
	scratch_load_b128 v[141:144], off, off offset:256
	s_waitcnt vmcnt(4)
	v_fma_f64 v[3:4], v[145:146], v[155:156], v[3:4]
	s_waitcnt lgkmcnt(0)
	s_delay_alu instid0(VALU_DEP_1)
	v_fma_f64 v[3:4], v[147:148], v[157:158], v[3:4]
	scratch_load_b128 v[145:148], off, off offset:272
	s_waitcnt vmcnt(4)
	;; [unrolled: 13-line block ×8, first 2 shown]
	v_fma_f64 v[3:4], v[137:138], v[159:160], v[3:4]
	ds_load_2addr_b64 v[153:156], v132 offset0:115 offset1:116
	ds_load_2addr_b64 v[157:160], v132 offset0:117 offset1:118
	s_waitcnt lgkmcnt(1)
	v_fma_f64 v[3:4], v[139:140], v[153:154], v[3:4]
	scratch_load_b128 v[137:140], off, off offset:480
	s_waitcnt vmcnt(4)
	v_fma_f64 v[3:4], v[141:142], v[155:156], v[3:4]
	s_waitcnt lgkmcnt(0)
	s_delay_alu instid0(VALU_DEP_1)
	v_fma_f64 v[3:4], v[143:144], v[157:158], v[3:4]
	scratch_load_b64 v[157:158], off, off offset:496
	ds_load_2addr_b64 v[141:144], v132 offset0:119 offset1:120
	ds_load_2addr_b64 v[153:156], v132 offset0:121 offset1:122
	s_waitcnt vmcnt(4)
	v_fma_f64 v[3:4], v[145:146], v[159:160], v[3:4]
	s_waitcnt lgkmcnt(1)
	s_delay_alu instid0(VALU_DEP_1) | instskip(SKIP_1) | instid1(VALU_DEP_1)
	v_fma_f64 v[3:4], v[147:148], v[141:142], v[3:4]
	s_waitcnt vmcnt(3)
	v_fma_f64 v[3:4], v[149:150], v[143:144], v[3:4]
	ds_load_2addr_b64 v[141:144], v132 offset0:123 offset1:124
	ds_load_2addr_b64 v[145:148], v132 offset0:125 offset1:126
	s_waitcnt lgkmcnt(2)
	v_fma_f64 v[3:4], v[151:152], v[153:154], v[3:4]
	s_waitcnt vmcnt(2)
	s_delay_alu instid0(VALU_DEP_1) | instskip(SKIP_1) | instid1(VALU_DEP_1)
	v_fma_f64 v[3:4], v[133:134], v[155:156], v[3:4]
	s_waitcnt lgkmcnt(1)
	v_fma_f64 v[3:4], v[135:136], v[141:142], v[3:4]
	s_waitcnt vmcnt(1)
	s_delay_alu instid0(VALU_DEP_1) | instskip(SKIP_1) | instid1(VALU_DEP_1)
	v_fma_f64 v[3:4], v[137:138], v[143:144], v[3:4]
	s_waitcnt lgkmcnt(0)
	v_fma_f64 v[3:4], v[139:140], v[145:146], v[3:4]
	s_waitcnt vmcnt(0)
	s_delay_alu instid0(VALU_DEP_1) | instskip(NEXT) | instid1(VALU_DEP_1)
	v_fma_f64 v[3:4], v[157:158], v[147:148], v[3:4]
	v_add_f64 v[1:2], v[1:2], -v[3:4]
	scratch_store_b64 off, v[1:2], off offset:48
	v_cmpx_lt_u32_e32 5, v0
	s_cbranch_execz .LBB62_377
; %bb.376:
	scratch_load_b64 v[1:2], off, off offset:40
	v_mov_b32_e32 v3, 0
	s_delay_alu instid0(VALU_DEP_1)
	v_mov_b32_e32 v4, v3
	scratch_store_b64 off, v[3:4], off offset:40
	s_waitcnt vmcnt(0)
	ds_store_b64 v5, v[1:2]
.LBB62_377:
	s_or_b32 exec_lo, exec_lo, s0
	s_waitcnt lgkmcnt(0)
	s_waitcnt_vscnt null, 0x0
	s_barrier
	buffer_gl0_inv
	s_clause 0x4
	scratch_load_b128 v[1:4], off, off offset:40
	scratch_load_b128 v[133:136], off, off offset:56
	;; [unrolled: 1-line block ×5, first 2 shown]
	v_mov_b32_e32 v132, 0
	ds_load_b128 v[149:152], v132 offset:560
	ds_load_b128 v[153:156], v132 offset:576
	scratch_load_b128 v[157:160], off, off offset:120
	s_mov_b32 s0, exec_lo
	s_waitcnt vmcnt(5) lgkmcnt(1)
	v_fma_f64 v[3:4], v[3:4], v[149:150], 0
	s_waitcnt vmcnt(4)
	s_delay_alu instid0(VALU_DEP_1) | instskip(SKIP_1) | instid1(VALU_DEP_1)
	v_fma_f64 v[3:4], v[133:134], v[151:152], v[3:4]
	s_waitcnt lgkmcnt(0)
	v_fma_f64 v[3:4], v[135:136], v[153:154], v[3:4]
	scratch_load_b128 v[133:136], off, off offset:136
	s_waitcnt vmcnt(4)
	v_fma_f64 v[3:4], v[137:138], v[155:156], v[3:4]
	ds_load_b128 v[149:152], v132 offset:592
	ds_load_b128 v[153:156], v132 offset:608
	s_waitcnt lgkmcnt(1)
	v_fma_f64 v[3:4], v[139:140], v[149:150], v[3:4]
	scratch_load_b128 v[137:140], off, off offset:152
	s_waitcnt vmcnt(4)
	v_fma_f64 v[3:4], v[141:142], v[151:152], v[3:4]
	s_waitcnt lgkmcnt(0)
	s_delay_alu instid0(VALU_DEP_1)
	v_fma_f64 v[3:4], v[143:144], v[153:154], v[3:4]
	scratch_load_b128 v[141:144], off, off offset:168
	s_waitcnt vmcnt(4)
	v_fma_f64 v[3:4], v[145:146], v[155:156], v[3:4]
	ds_load_b128 v[149:152], v132 offset:624
	ds_load_b128 v[153:156], v132 offset:640
	s_waitcnt lgkmcnt(1)
	v_fma_f64 v[3:4], v[147:148], v[149:150], v[3:4]
	scratch_load_b128 v[145:148], off, off offset:184
	s_waitcnt vmcnt(4)
	v_fma_f64 v[3:4], v[157:158], v[151:152], v[3:4]
	scratch_load_b128 v[149:152], off, off offset:200
	s_waitcnt lgkmcnt(0)
	v_fma_f64 v[3:4], v[159:160], v[153:154], v[3:4]
	s_waitcnt vmcnt(4)
	s_delay_alu instid0(VALU_DEP_1)
	v_fma_f64 v[3:4], v[133:134], v[155:156], v[3:4]
	ds_load_b128 v[153:156], v132 offset:656
	ds_load_b128 v[157:160], v132 offset:672
	s_waitcnt lgkmcnt(1)
	v_fma_f64 v[3:4], v[135:136], v[153:154], v[3:4]
	scratch_load_b128 v[133:136], off, off offset:216
	s_waitcnt vmcnt(4)
	v_fma_f64 v[3:4], v[137:138], v[155:156], v[3:4]
	s_waitcnt lgkmcnt(0)
	s_delay_alu instid0(VALU_DEP_1)
	v_fma_f64 v[3:4], v[139:140], v[157:158], v[3:4]
	scratch_load_b128 v[137:140], off, off offset:232
	s_waitcnt vmcnt(4)
	v_fma_f64 v[3:4], v[141:142], v[159:160], v[3:4]
	ds_load_b128 v[153:156], v132 offset:688
	ds_load_b128 v[157:160], v132 offset:704
	s_waitcnt lgkmcnt(1)
	v_fma_f64 v[3:4], v[143:144], v[153:154], v[3:4]
	scratch_load_b128 v[141:144], off, off offset:248
	s_waitcnt vmcnt(4)
	v_fma_f64 v[3:4], v[145:146], v[155:156], v[3:4]
	s_waitcnt lgkmcnt(0)
	s_delay_alu instid0(VALU_DEP_1)
	v_fma_f64 v[3:4], v[147:148], v[157:158], v[3:4]
	scratch_load_b128 v[145:148], off, off offset:264
	s_waitcnt vmcnt(4)
	;; [unrolled: 13-line block ×9, first 2 shown]
	v_fma_f64 v[3:4], v[145:146], v[159:160], v[3:4]
	ds_load_b128 v[153:156], v132 offset:944
	ds_load_b128 v[157:160], v132 offset:960
	s_waitcnt lgkmcnt(1)
	v_fma_f64 v[3:4], v[147:148], v[153:154], v[3:4]
	s_waitcnt vmcnt(3)
	s_delay_alu instid0(VALU_DEP_1) | instskip(SKIP_1) | instid1(VALU_DEP_1)
	v_fma_f64 v[3:4], v[149:150], v[155:156], v[3:4]
	s_waitcnt lgkmcnt(0)
	v_fma_f64 v[3:4], v[151:152], v[157:158], v[3:4]
	ds_load_b128 v[145:148], v132 offset:976
	ds_load_b128 v[149:152], v132 offset:992
	s_waitcnt vmcnt(2)
	v_fma_f64 v[3:4], v[133:134], v[159:160], v[3:4]
	ds_load_b64 v[133:134], v132 offset:1008
	s_waitcnt lgkmcnt(2)
	v_fma_f64 v[3:4], v[135:136], v[145:146], v[3:4]
	s_waitcnt vmcnt(1)
	s_delay_alu instid0(VALU_DEP_1) | instskip(SKIP_1) | instid1(VALU_DEP_1)
	v_fma_f64 v[3:4], v[137:138], v[147:148], v[3:4]
	s_waitcnt lgkmcnt(1)
	v_fma_f64 v[3:4], v[139:140], v[149:150], v[3:4]
	s_waitcnt vmcnt(0)
	s_delay_alu instid0(VALU_DEP_1) | instskip(SKIP_1) | instid1(VALU_DEP_1)
	v_fma_f64 v[3:4], v[141:142], v[151:152], v[3:4]
	s_waitcnt lgkmcnt(0)
	v_fma_f64 v[3:4], v[143:144], v[133:134], v[3:4]
	s_delay_alu instid0(VALU_DEP_1)
	v_add_f64 v[1:2], v[1:2], -v[3:4]
	scratch_store_b64 off, v[1:2], off offset:40
	v_cmpx_lt_u32_e32 4, v0
	s_cbranch_execz .LBB62_379
; %bb.378:
	scratch_load_b64 v[1:2], off, off offset:32
	v_mov_b32_e32 v133, v132
	scratch_store_b64 off, v[132:133], off offset:32
	s_waitcnt vmcnt(0)
	ds_store_b64 v5, v[1:2]
.LBB62_379:
	s_or_b32 exec_lo, exec_lo, s0
	s_waitcnt lgkmcnt(0)
	s_waitcnt_vscnt null, 0x0
	s_barrier
	buffer_gl0_inv
	s_clause 0x4
	scratch_load_b128 v[1:4], off, off offset:32
	scratch_load_b128 v[133:136], off, off offset:48
	;; [unrolled: 1-line block ×5, first 2 shown]
	ds_load_2addr_b64 v[149:152], v132 offset0:69 offset1:70
	ds_load_2addr_b64 v[153:156], v132 offset0:71 offset1:72
	scratch_load_b128 v[157:160], off, off offset:112
	s_mov_b32 s0, exec_lo
	s_waitcnt vmcnt(5) lgkmcnt(1)
	v_fma_f64 v[3:4], v[3:4], v[149:150], 0
	s_waitcnt vmcnt(4)
	s_delay_alu instid0(VALU_DEP_1) | instskip(SKIP_1) | instid1(VALU_DEP_1)
	v_fma_f64 v[3:4], v[133:134], v[151:152], v[3:4]
	s_waitcnt lgkmcnt(0)
	v_fma_f64 v[3:4], v[135:136], v[153:154], v[3:4]
	scratch_load_b128 v[133:136], off, off offset:128
	s_waitcnt vmcnt(4)
	v_fma_f64 v[3:4], v[137:138], v[155:156], v[3:4]
	ds_load_2addr_b64 v[149:152], v132 offset0:73 offset1:74
	ds_load_2addr_b64 v[153:156], v132 offset0:75 offset1:76
	s_waitcnt lgkmcnt(1)
	v_fma_f64 v[3:4], v[139:140], v[149:150], v[3:4]
	scratch_load_b128 v[137:140], off, off offset:144
	s_waitcnt vmcnt(4)
	v_fma_f64 v[3:4], v[141:142], v[151:152], v[3:4]
	s_waitcnt lgkmcnt(0)
	s_delay_alu instid0(VALU_DEP_1)
	v_fma_f64 v[3:4], v[143:144], v[153:154], v[3:4]
	scratch_load_b128 v[141:144], off, off offset:160
	s_waitcnt vmcnt(4)
	v_fma_f64 v[3:4], v[145:146], v[155:156], v[3:4]
	ds_load_2addr_b64 v[149:152], v132 offset0:77 offset1:78
	ds_load_2addr_b64 v[153:156], v132 offset0:79 offset1:80
	s_waitcnt lgkmcnt(1)
	v_fma_f64 v[3:4], v[147:148], v[149:150], v[3:4]
	scratch_load_b128 v[145:148], off, off offset:176
	s_waitcnt vmcnt(4)
	v_fma_f64 v[3:4], v[157:158], v[151:152], v[3:4]
	scratch_load_b128 v[149:152], off, off offset:192
	s_waitcnt lgkmcnt(0)
	v_fma_f64 v[3:4], v[159:160], v[153:154], v[3:4]
	s_waitcnt vmcnt(4)
	s_delay_alu instid0(VALU_DEP_1)
	v_fma_f64 v[3:4], v[133:134], v[155:156], v[3:4]
	ds_load_2addr_b64 v[153:156], v132 offset0:81 offset1:82
	ds_load_2addr_b64 v[157:160], v132 offset0:83 offset1:84
	s_waitcnt lgkmcnt(1)
	v_fma_f64 v[3:4], v[135:136], v[153:154], v[3:4]
	scratch_load_b128 v[133:136], off, off offset:208
	s_waitcnt vmcnt(4)
	v_fma_f64 v[3:4], v[137:138], v[155:156], v[3:4]
	s_waitcnt lgkmcnt(0)
	s_delay_alu instid0(VALU_DEP_1)
	v_fma_f64 v[3:4], v[139:140], v[157:158], v[3:4]
	scratch_load_b128 v[137:140], off, off offset:224
	s_waitcnt vmcnt(4)
	v_fma_f64 v[3:4], v[141:142], v[159:160], v[3:4]
	ds_load_2addr_b64 v[153:156], v132 offset0:85 offset1:86
	ds_load_2addr_b64 v[157:160], v132 offset0:87 offset1:88
	s_waitcnt lgkmcnt(1)
	v_fma_f64 v[3:4], v[143:144], v[153:154], v[3:4]
	scratch_load_b128 v[141:144], off, off offset:240
	s_waitcnt vmcnt(4)
	v_fma_f64 v[3:4], v[145:146], v[155:156], v[3:4]
	s_waitcnt lgkmcnt(0)
	s_delay_alu instid0(VALU_DEP_1)
	v_fma_f64 v[3:4], v[147:148], v[157:158], v[3:4]
	scratch_load_b128 v[145:148], off, off offset:256
	s_waitcnt vmcnt(4)
	;; [unrolled: 13-line block ×9, first 2 shown]
	v_fma_f64 v[3:4], v[145:146], v[159:160], v[3:4]
	ds_load_2addr_b64 v[153:156], v132 offset0:117 offset1:118
	ds_load_2addr_b64 v[157:160], v132 offset0:119 offset1:120
	s_waitcnt lgkmcnt(1)
	v_fma_f64 v[3:4], v[147:148], v[153:154], v[3:4]
	scratch_load_b64 v[153:154], off, off offset:496
	s_waitcnt vmcnt(4)
	v_fma_f64 v[3:4], v[149:150], v[155:156], v[3:4]
	s_waitcnt lgkmcnt(0)
	s_delay_alu instid0(VALU_DEP_1)
	v_fma_f64 v[3:4], v[151:152], v[157:158], v[3:4]
	ds_load_2addr_b64 v[145:148], v132 offset0:121 offset1:122
	ds_load_2addr_b64 v[149:152], v132 offset0:123 offset1:124
	s_waitcnt vmcnt(3)
	v_fma_f64 v[3:4], v[133:134], v[159:160], v[3:4]
	s_waitcnt lgkmcnt(1)
	s_delay_alu instid0(VALU_DEP_1) | instskip(SKIP_4) | instid1(VALU_DEP_1)
	v_fma_f64 v[3:4], v[135:136], v[145:146], v[3:4]
	ds_load_2addr_b64 v[132:135], v132 offset0:125 offset1:126
	s_waitcnt vmcnt(2)
	v_fma_f64 v[3:4], v[137:138], v[147:148], v[3:4]
	s_waitcnt lgkmcnt(1)
	v_fma_f64 v[3:4], v[139:140], v[149:150], v[3:4]
	s_waitcnt vmcnt(1)
	s_delay_alu instid0(VALU_DEP_1) | instskip(SKIP_1) | instid1(VALU_DEP_1)
	v_fma_f64 v[3:4], v[141:142], v[151:152], v[3:4]
	s_waitcnt lgkmcnt(0)
	v_fma_f64 v[3:4], v[143:144], v[132:133], v[3:4]
	s_waitcnt vmcnt(0)
	s_delay_alu instid0(VALU_DEP_1) | instskip(NEXT) | instid1(VALU_DEP_1)
	v_fma_f64 v[3:4], v[153:154], v[134:135], v[3:4]
	v_add_f64 v[1:2], v[1:2], -v[3:4]
	scratch_store_b64 off, v[1:2], off offset:32
	v_cmpx_lt_u32_e32 3, v0
	s_cbranch_execz .LBB62_381
; %bb.380:
	scratch_load_b64 v[1:2], off, off offset:24
	v_mov_b32_e32 v3, 0
	s_delay_alu instid0(VALU_DEP_1)
	v_mov_b32_e32 v4, v3
	scratch_store_b64 off, v[3:4], off offset:24
	s_waitcnt vmcnt(0)
	ds_store_b64 v5, v[1:2]
.LBB62_381:
	s_or_b32 exec_lo, exec_lo, s0
	s_waitcnt lgkmcnt(0)
	s_waitcnt_vscnt null, 0x0
	s_barrier
	buffer_gl0_inv
	s_clause 0x4
	scratch_load_b128 v[1:4], off, off offset:24
	scratch_load_b128 v[133:136], off, off offset:40
	;; [unrolled: 1-line block ×5, first 2 shown]
	v_mov_b32_e32 v132, 0
	ds_load_b128 v[149:152], v132 offset:544
	ds_load_b128 v[153:156], v132 offset:560
	scratch_load_b128 v[157:160], off, off offset:104
	s_mov_b32 s0, exec_lo
	s_waitcnt vmcnt(5) lgkmcnt(1)
	v_fma_f64 v[3:4], v[3:4], v[149:150], 0
	s_waitcnt vmcnt(4)
	s_delay_alu instid0(VALU_DEP_1) | instskip(SKIP_1) | instid1(VALU_DEP_1)
	v_fma_f64 v[3:4], v[133:134], v[151:152], v[3:4]
	s_waitcnt lgkmcnt(0)
	v_fma_f64 v[3:4], v[135:136], v[153:154], v[3:4]
	scratch_load_b128 v[133:136], off, off offset:120
	s_waitcnt vmcnt(4)
	v_fma_f64 v[3:4], v[137:138], v[155:156], v[3:4]
	ds_load_b128 v[149:152], v132 offset:576
	ds_load_b128 v[153:156], v132 offset:592
	s_waitcnt lgkmcnt(1)
	v_fma_f64 v[3:4], v[139:140], v[149:150], v[3:4]
	scratch_load_b128 v[137:140], off, off offset:136
	s_waitcnt vmcnt(4)
	v_fma_f64 v[3:4], v[141:142], v[151:152], v[3:4]
	s_waitcnt lgkmcnt(0)
	s_delay_alu instid0(VALU_DEP_1)
	v_fma_f64 v[3:4], v[143:144], v[153:154], v[3:4]
	scratch_load_b128 v[141:144], off, off offset:152
	s_waitcnt vmcnt(4)
	v_fma_f64 v[3:4], v[145:146], v[155:156], v[3:4]
	ds_load_b128 v[149:152], v132 offset:608
	ds_load_b128 v[153:156], v132 offset:624
	s_waitcnt lgkmcnt(1)
	v_fma_f64 v[3:4], v[147:148], v[149:150], v[3:4]
	scratch_load_b128 v[145:148], off, off offset:168
	s_waitcnt vmcnt(4)
	v_fma_f64 v[3:4], v[157:158], v[151:152], v[3:4]
	scratch_load_b128 v[149:152], off, off offset:184
	s_waitcnt lgkmcnt(0)
	v_fma_f64 v[3:4], v[159:160], v[153:154], v[3:4]
	s_waitcnt vmcnt(4)
	s_delay_alu instid0(VALU_DEP_1)
	v_fma_f64 v[3:4], v[133:134], v[155:156], v[3:4]
	ds_load_b128 v[153:156], v132 offset:640
	ds_load_b128 v[157:160], v132 offset:656
	s_waitcnt lgkmcnt(1)
	v_fma_f64 v[3:4], v[135:136], v[153:154], v[3:4]
	scratch_load_b128 v[133:136], off, off offset:200
	s_waitcnt vmcnt(4)
	v_fma_f64 v[3:4], v[137:138], v[155:156], v[3:4]
	s_waitcnt lgkmcnt(0)
	s_delay_alu instid0(VALU_DEP_1)
	v_fma_f64 v[3:4], v[139:140], v[157:158], v[3:4]
	scratch_load_b128 v[137:140], off, off offset:216
	s_waitcnt vmcnt(4)
	v_fma_f64 v[3:4], v[141:142], v[159:160], v[3:4]
	ds_load_b128 v[153:156], v132 offset:672
	ds_load_b128 v[157:160], v132 offset:688
	s_waitcnt lgkmcnt(1)
	v_fma_f64 v[3:4], v[143:144], v[153:154], v[3:4]
	scratch_load_b128 v[141:144], off, off offset:232
	s_waitcnt vmcnt(4)
	v_fma_f64 v[3:4], v[145:146], v[155:156], v[3:4]
	s_waitcnt lgkmcnt(0)
	s_delay_alu instid0(VALU_DEP_1)
	v_fma_f64 v[3:4], v[147:148], v[157:158], v[3:4]
	scratch_load_b128 v[145:148], off, off offset:248
	s_waitcnt vmcnt(4)
	;; [unrolled: 13-line block ×9, first 2 shown]
	v_fma_f64 v[3:4], v[145:146], v[159:160], v[3:4]
	ds_load_b128 v[153:156], v132 offset:928
	ds_load_b128 v[157:160], v132 offset:944
	s_waitcnt lgkmcnt(1)
	v_fma_f64 v[3:4], v[147:148], v[153:154], v[3:4]
	scratch_load_b128 v[145:148], off, off offset:488
	s_waitcnt vmcnt(4)
	v_fma_f64 v[3:4], v[149:150], v[155:156], v[3:4]
	s_waitcnt lgkmcnt(0)
	s_delay_alu instid0(VALU_DEP_1)
	v_fma_f64 v[3:4], v[151:152], v[157:158], v[3:4]
	ds_load_b128 v[149:152], v132 offset:960
	ds_load_b128 v[153:156], v132 offset:976
	s_waitcnt vmcnt(3)
	v_fma_f64 v[3:4], v[133:134], v[159:160], v[3:4]
	s_waitcnt lgkmcnt(1)
	s_delay_alu instid0(VALU_DEP_1) | instskip(SKIP_1) | instid1(VALU_DEP_1)
	v_fma_f64 v[3:4], v[135:136], v[149:150], v[3:4]
	s_waitcnt vmcnt(2)
	v_fma_f64 v[3:4], v[137:138], v[151:152], v[3:4]
	ds_load_b128 v[133:136], v132 offset:992
	ds_load_b64 v[137:138], v132 offset:1008
	s_waitcnt lgkmcnt(2)
	v_fma_f64 v[3:4], v[139:140], v[153:154], v[3:4]
	s_waitcnt vmcnt(1)
	s_delay_alu instid0(VALU_DEP_1) | instskip(SKIP_1) | instid1(VALU_DEP_1)
	v_fma_f64 v[3:4], v[141:142], v[155:156], v[3:4]
	s_waitcnt lgkmcnt(1)
	v_fma_f64 v[3:4], v[143:144], v[133:134], v[3:4]
	s_waitcnt vmcnt(0)
	s_delay_alu instid0(VALU_DEP_1) | instskip(SKIP_1) | instid1(VALU_DEP_1)
	v_fma_f64 v[3:4], v[145:146], v[135:136], v[3:4]
	s_waitcnt lgkmcnt(0)
	v_fma_f64 v[3:4], v[147:148], v[137:138], v[3:4]
	s_delay_alu instid0(VALU_DEP_1)
	v_add_f64 v[1:2], v[1:2], -v[3:4]
	scratch_store_b64 off, v[1:2], off offset:24
	v_cmpx_lt_u32_e32 2, v0
	s_cbranch_execz .LBB62_383
; %bb.382:
	scratch_load_b64 v[1:2], off, off offset:16
	v_mov_b32_e32 v133, v132
	scratch_store_b64 off, v[132:133], off offset:16
	s_waitcnt vmcnt(0)
	ds_store_b64 v5, v[1:2]
.LBB62_383:
	s_or_b32 exec_lo, exec_lo, s0
	s_waitcnt lgkmcnt(0)
	s_waitcnt_vscnt null, 0x0
	s_barrier
	buffer_gl0_inv
	s_clause 0x4
	scratch_load_b128 v[1:4], off, off offset:16
	scratch_load_b128 v[133:136], off, off offset:32
	;; [unrolled: 1-line block ×5, first 2 shown]
	ds_load_2addr_b64 v[149:152], v132 offset0:67 offset1:68
	ds_load_2addr_b64 v[153:156], v132 offset0:69 offset1:70
	scratch_load_b128 v[157:160], off, off offset:96
	s_mov_b32 s0, exec_lo
	s_waitcnt vmcnt(5) lgkmcnt(1)
	v_fma_f64 v[3:4], v[3:4], v[149:150], 0
	s_waitcnt vmcnt(4)
	s_delay_alu instid0(VALU_DEP_1) | instskip(SKIP_1) | instid1(VALU_DEP_1)
	v_fma_f64 v[3:4], v[133:134], v[151:152], v[3:4]
	s_waitcnt lgkmcnt(0)
	v_fma_f64 v[3:4], v[135:136], v[153:154], v[3:4]
	scratch_load_b128 v[133:136], off, off offset:112
	s_waitcnt vmcnt(4)
	v_fma_f64 v[3:4], v[137:138], v[155:156], v[3:4]
	ds_load_2addr_b64 v[149:152], v132 offset0:71 offset1:72
	ds_load_2addr_b64 v[153:156], v132 offset0:73 offset1:74
	s_waitcnt lgkmcnt(1)
	v_fma_f64 v[3:4], v[139:140], v[149:150], v[3:4]
	scratch_load_b128 v[137:140], off, off offset:128
	s_waitcnt vmcnt(4)
	v_fma_f64 v[3:4], v[141:142], v[151:152], v[3:4]
	s_waitcnt lgkmcnt(0)
	s_delay_alu instid0(VALU_DEP_1)
	v_fma_f64 v[3:4], v[143:144], v[153:154], v[3:4]
	scratch_load_b128 v[141:144], off, off offset:144
	s_waitcnt vmcnt(4)
	v_fma_f64 v[3:4], v[145:146], v[155:156], v[3:4]
	ds_load_2addr_b64 v[149:152], v132 offset0:75 offset1:76
	ds_load_2addr_b64 v[153:156], v132 offset0:77 offset1:78
	s_waitcnt lgkmcnt(1)
	v_fma_f64 v[3:4], v[147:148], v[149:150], v[3:4]
	scratch_load_b128 v[145:148], off, off offset:160
	s_waitcnt vmcnt(4)
	v_fma_f64 v[3:4], v[157:158], v[151:152], v[3:4]
	scratch_load_b128 v[149:152], off, off offset:176
	s_waitcnt lgkmcnt(0)
	v_fma_f64 v[3:4], v[159:160], v[153:154], v[3:4]
	s_waitcnt vmcnt(4)
	s_delay_alu instid0(VALU_DEP_1)
	v_fma_f64 v[3:4], v[133:134], v[155:156], v[3:4]
	ds_load_2addr_b64 v[153:156], v132 offset0:79 offset1:80
	ds_load_2addr_b64 v[157:160], v132 offset0:81 offset1:82
	s_waitcnt lgkmcnt(1)
	v_fma_f64 v[3:4], v[135:136], v[153:154], v[3:4]
	scratch_load_b128 v[133:136], off, off offset:192
	s_waitcnt vmcnt(4)
	v_fma_f64 v[3:4], v[137:138], v[155:156], v[3:4]
	s_waitcnt lgkmcnt(0)
	s_delay_alu instid0(VALU_DEP_1)
	v_fma_f64 v[3:4], v[139:140], v[157:158], v[3:4]
	scratch_load_b128 v[137:140], off, off offset:208
	s_waitcnt vmcnt(4)
	v_fma_f64 v[3:4], v[141:142], v[159:160], v[3:4]
	ds_load_2addr_b64 v[153:156], v132 offset0:83 offset1:84
	ds_load_2addr_b64 v[157:160], v132 offset0:85 offset1:86
	s_waitcnt lgkmcnt(1)
	v_fma_f64 v[3:4], v[143:144], v[153:154], v[3:4]
	scratch_load_b128 v[141:144], off, off offset:224
	s_waitcnt vmcnt(4)
	v_fma_f64 v[3:4], v[145:146], v[155:156], v[3:4]
	s_waitcnt lgkmcnt(0)
	s_delay_alu instid0(VALU_DEP_1)
	v_fma_f64 v[3:4], v[147:148], v[157:158], v[3:4]
	scratch_load_b128 v[145:148], off, off offset:240
	s_waitcnt vmcnt(4)
	;; [unrolled: 13-line block ×9, first 2 shown]
	v_fma_f64 v[3:4], v[145:146], v[159:160], v[3:4]
	ds_load_2addr_b64 v[153:156], v132 offset0:115 offset1:116
	ds_load_2addr_b64 v[157:160], v132 offset0:117 offset1:118
	s_waitcnt lgkmcnt(1)
	v_fma_f64 v[3:4], v[147:148], v[153:154], v[3:4]
	scratch_load_b128 v[145:148], off, off offset:480
	s_waitcnt vmcnt(4)
	v_fma_f64 v[3:4], v[149:150], v[155:156], v[3:4]
	s_waitcnt lgkmcnt(0)
	s_delay_alu instid0(VALU_DEP_1)
	v_fma_f64 v[3:4], v[151:152], v[157:158], v[3:4]
	scratch_load_b64 v[157:158], off, off offset:496
	ds_load_2addr_b64 v[149:152], v132 offset0:119 offset1:120
	ds_load_2addr_b64 v[153:156], v132 offset0:121 offset1:122
	s_waitcnt vmcnt(4)
	v_fma_f64 v[3:4], v[133:134], v[159:160], v[3:4]
	s_waitcnt lgkmcnt(1)
	s_delay_alu instid0(VALU_DEP_1) | instskip(SKIP_1) | instid1(VALU_DEP_1)
	v_fma_f64 v[3:4], v[135:136], v[149:150], v[3:4]
	s_waitcnt vmcnt(3)
	v_fma_f64 v[3:4], v[137:138], v[151:152], v[3:4]
	s_waitcnt lgkmcnt(0)
	s_delay_alu instid0(VALU_DEP_1)
	v_fma_f64 v[3:4], v[139:140], v[153:154], v[3:4]
	ds_load_2addr_b64 v[133:136], v132 offset0:123 offset1:124
	ds_load_2addr_b64 v[137:140], v132 offset0:125 offset1:126
	s_waitcnt vmcnt(2)
	v_fma_f64 v[3:4], v[141:142], v[155:156], v[3:4]
	s_waitcnt lgkmcnt(1)
	s_delay_alu instid0(VALU_DEP_1) | instskip(SKIP_1) | instid1(VALU_DEP_1)
	v_fma_f64 v[3:4], v[143:144], v[133:134], v[3:4]
	s_waitcnt vmcnt(1)
	v_fma_f64 v[3:4], v[145:146], v[135:136], v[3:4]
	s_waitcnt lgkmcnt(0)
	s_delay_alu instid0(VALU_DEP_1) | instskip(SKIP_1) | instid1(VALU_DEP_1)
	v_fma_f64 v[3:4], v[147:148], v[137:138], v[3:4]
	s_waitcnt vmcnt(0)
	v_fma_f64 v[3:4], v[157:158], v[139:140], v[3:4]
	s_delay_alu instid0(VALU_DEP_1)
	v_add_f64 v[1:2], v[1:2], -v[3:4]
	scratch_store_b64 off, v[1:2], off offset:16
	v_cmpx_lt_u32_e32 1, v0
	s_cbranch_execz .LBB62_385
; %bb.384:
	scratch_load_b64 v[1:2], off, off offset:8
	v_mov_b32_e32 v3, 0
	s_delay_alu instid0(VALU_DEP_1)
	v_mov_b32_e32 v4, v3
	scratch_store_b64 off, v[3:4], off offset:8
	s_waitcnt vmcnt(0)
	ds_store_b64 v5, v[1:2]
.LBB62_385:
	s_or_b32 exec_lo, exec_lo, s0
	s_waitcnt lgkmcnt(0)
	s_waitcnt_vscnt null, 0x0
	s_barrier
	buffer_gl0_inv
	s_clause 0x4
	scratch_load_b128 v[1:4], off, off offset:8
	scratch_load_b128 v[133:136], off, off offset:24
	;; [unrolled: 1-line block ×5, first 2 shown]
	v_mov_b32_e32 v132, 0
	ds_load_b128 v[149:152], v132 offset:528
	ds_load_b128 v[153:156], v132 offset:544
	scratch_load_b128 v[157:160], off, off offset:88
	s_mov_b32 s0, exec_lo
	s_waitcnt vmcnt(5) lgkmcnt(1)
	v_fma_f64 v[3:4], v[3:4], v[149:150], 0
	s_waitcnt vmcnt(4)
	s_delay_alu instid0(VALU_DEP_1) | instskip(SKIP_1) | instid1(VALU_DEP_1)
	v_fma_f64 v[3:4], v[133:134], v[151:152], v[3:4]
	s_waitcnt lgkmcnt(0)
	v_fma_f64 v[3:4], v[135:136], v[153:154], v[3:4]
	scratch_load_b128 v[133:136], off, off offset:104
	s_waitcnt vmcnt(4)
	v_fma_f64 v[3:4], v[137:138], v[155:156], v[3:4]
	ds_load_b128 v[149:152], v132 offset:560
	ds_load_b128 v[153:156], v132 offset:576
	s_waitcnt lgkmcnt(1)
	v_fma_f64 v[3:4], v[139:140], v[149:150], v[3:4]
	scratch_load_b128 v[137:140], off, off offset:120
	s_waitcnt vmcnt(4)
	v_fma_f64 v[3:4], v[141:142], v[151:152], v[3:4]
	s_waitcnt lgkmcnt(0)
	s_delay_alu instid0(VALU_DEP_1)
	v_fma_f64 v[3:4], v[143:144], v[153:154], v[3:4]
	scratch_load_b128 v[141:144], off, off offset:136
	s_waitcnt vmcnt(4)
	v_fma_f64 v[3:4], v[145:146], v[155:156], v[3:4]
	ds_load_b128 v[149:152], v132 offset:592
	ds_load_b128 v[153:156], v132 offset:608
	s_waitcnt lgkmcnt(1)
	v_fma_f64 v[3:4], v[147:148], v[149:150], v[3:4]
	scratch_load_b128 v[145:148], off, off offset:152
	s_waitcnt vmcnt(4)
	v_fma_f64 v[3:4], v[157:158], v[151:152], v[3:4]
	scratch_load_b128 v[149:152], off, off offset:168
	s_waitcnt lgkmcnt(0)
	v_fma_f64 v[3:4], v[159:160], v[153:154], v[3:4]
	s_waitcnt vmcnt(4)
	s_delay_alu instid0(VALU_DEP_1)
	v_fma_f64 v[3:4], v[133:134], v[155:156], v[3:4]
	ds_load_b128 v[153:156], v132 offset:624
	ds_load_b128 v[157:160], v132 offset:640
	s_waitcnt lgkmcnt(1)
	v_fma_f64 v[3:4], v[135:136], v[153:154], v[3:4]
	scratch_load_b128 v[133:136], off, off offset:184
	s_waitcnt vmcnt(4)
	v_fma_f64 v[3:4], v[137:138], v[155:156], v[3:4]
	s_waitcnt lgkmcnt(0)
	s_delay_alu instid0(VALU_DEP_1)
	v_fma_f64 v[3:4], v[139:140], v[157:158], v[3:4]
	scratch_load_b128 v[137:140], off, off offset:200
	s_waitcnt vmcnt(4)
	v_fma_f64 v[3:4], v[141:142], v[159:160], v[3:4]
	ds_load_b128 v[153:156], v132 offset:656
	ds_load_b128 v[157:160], v132 offset:672
	s_waitcnt lgkmcnt(1)
	v_fma_f64 v[3:4], v[143:144], v[153:154], v[3:4]
	scratch_load_b128 v[141:144], off, off offset:216
	s_waitcnt vmcnt(4)
	v_fma_f64 v[3:4], v[145:146], v[155:156], v[3:4]
	s_waitcnt lgkmcnt(0)
	s_delay_alu instid0(VALU_DEP_1)
	v_fma_f64 v[3:4], v[147:148], v[157:158], v[3:4]
	scratch_load_b128 v[145:148], off, off offset:232
	s_waitcnt vmcnt(4)
	;; [unrolled: 13-line block ×10, first 2 shown]
	v_fma_f64 v[3:4], v[133:134], v[159:160], v[3:4]
	ds_load_b128 v[153:156], v132 offset:944
	ds_load_b128 v[157:160], v132 offset:960
	s_waitcnt lgkmcnt(1)
	v_fma_f64 v[3:4], v[135:136], v[153:154], v[3:4]
	s_waitcnt vmcnt(3)
	s_delay_alu instid0(VALU_DEP_1) | instskip(SKIP_1) | instid1(VALU_DEP_1)
	v_fma_f64 v[3:4], v[137:138], v[155:156], v[3:4]
	s_waitcnt lgkmcnt(0)
	v_fma_f64 v[3:4], v[139:140], v[157:158], v[3:4]
	ds_load_b128 v[133:136], v132 offset:976
	ds_load_b128 v[137:140], v132 offset:992
	s_waitcnt vmcnt(2)
	v_fma_f64 v[3:4], v[141:142], v[159:160], v[3:4]
	s_waitcnt lgkmcnt(1)
	s_delay_alu instid0(VALU_DEP_1) | instskip(SKIP_4) | instid1(VALU_DEP_1)
	v_fma_f64 v[3:4], v[143:144], v[133:134], v[3:4]
	ds_load_b64 v[133:134], v132 offset:1008
	s_waitcnt vmcnt(1)
	v_fma_f64 v[3:4], v[145:146], v[135:136], v[3:4]
	s_waitcnt lgkmcnt(1)
	v_fma_f64 v[3:4], v[147:148], v[137:138], v[3:4]
	s_waitcnt vmcnt(0)
	s_delay_alu instid0(VALU_DEP_1) | instskip(SKIP_1) | instid1(VALU_DEP_1)
	v_fma_f64 v[3:4], v[149:150], v[139:140], v[3:4]
	s_waitcnt lgkmcnt(0)
	v_fma_f64 v[3:4], v[151:152], v[133:134], v[3:4]
	s_delay_alu instid0(VALU_DEP_1)
	v_add_f64 v[1:2], v[1:2], -v[3:4]
	scratch_store_b64 off, v[1:2], off offset:8
	v_cmpx_ne_u32_e32 0, v0
	s_cbranch_execz .LBB62_387
; %bb.386:
	scratch_load_b64 v[0:1], off, off
	v_mov_b32_e32 v133, v132
	scratch_store_b64 off, v[132:133], off
	s_waitcnt vmcnt(0)
	ds_store_b64 v5, v[0:1]
.LBB62_387:
	s_or_b32 exec_lo, exec_lo, s0
	s_waitcnt lgkmcnt(0)
	s_waitcnt_vscnt null, 0x0
	s_barrier
	buffer_gl0_inv
	s_clause 0x4
	scratch_load_b128 v[0:3], off, off
	scratch_load_b128 v[133:136], off, off offset:16
	scratch_load_b128 v[137:140], off, off offset:32
	;; [unrolled: 1-line block ×4, first 2 shown]
	ds_load_2addr_b64 v[149:152], v132 offset0:65 offset1:66
	ds_load_2addr_b64 v[153:156], v132 offset0:67 offset1:68
	s_and_b32 vcc_lo, exec_lo, s16
	s_waitcnt vmcnt(4) lgkmcnt(1)
	v_fma_f64 v[149:150], v[2:3], v[149:150], 0
	scratch_load_b128 v[2:5], off, off offset:80
	s_waitcnt vmcnt(4)
	v_fma_f64 v[133:134], v[133:134], v[151:152], v[149:150]
	s_waitcnt lgkmcnt(0)
	s_delay_alu instid0(VALU_DEP_1)
	v_fma_f64 v[149:150], v[135:136], v[153:154], v[133:134]
	scratch_load_b128 v[133:136], off, off offset:96
	s_waitcnt vmcnt(4)
	v_fma_f64 v[137:138], v[137:138], v[155:156], v[149:150]
	ds_load_2addr_b64 v[149:152], v132 offset0:69 offset1:70
	ds_load_2addr_b64 v[153:156], v132 offset0:71 offset1:72
	s_waitcnt lgkmcnt(1)
	v_fma_f64 v[149:150], v[139:140], v[149:150], v[137:138]
	scratch_load_b128 v[137:140], off, off offset:112
	s_waitcnt vmcnt(4)
	v_fma_f64 v[141:142], v[141:142], v[151:152], v[149:150]
	s_waitcnt lgkmcnt(0)
	s_delay_alu instid0(VALU_DEP_1)
	v_fma_f64 v[149:150], v[143:144], v[153:154], v[141:142]
	scratch_load_b128 v[141:144], off, off offset:128
	s_waitcnt vmcnt(4)
	v_fma_f64 v[145:146], v[145:146], v[155:156], v[149:150]
	ds_load_2addr_b64 v[149:152], v132 offset0:73 offset1:74
	ds_load_2addr_b64 v[153:156], v132 offset0:75 offset1:76
	s_waitcnt lgkmcnt(1)
	;; [unrolled: 13-line block ×13, first 2 shown]
	v_fma_f64 v[133:134], v[135:136], v[149:150], v[133:134]
	scratch_load_b64 v[149:150], off, off offset:496
	s_waitcnt vmcnt(4)
	v_fma_f64 v[133:134], v[137:138], v[151:152], v[133:134]
	s_waitcnt lgkmcnt(0)
	s_delay_alu instid0(VALU_DEP_1) | instskip(SKIP_1) | instid1(VALU_DEP_1)
	v_fma_f64 v[133:134], v[139:140], v[153:154], v[133:134]
	s_waitcnt vmcnt(3)
	v_fma_f64 v[141:142], v[141:142], v[155:156], v[133:134]
	ds_load_2addr_b64 v[133:136], v132 offset0:121 offset1:122
	ds_load_2addr_b64 v[137:140], v132 offset0:123 offset1:124
	s_waitcnt lgkmcnt(1)
	v_fma_f64 v[133:134], v[143:144], v[133:134], v[141:142]
	s_waitcnt vmcnt(2)
	s_delay_alu instid0(VALU_DEP_1) | instskip(SKIP_1) | instid1(VALU_DEP_1)
	v_fma_f64 v[133:134], v[145:146], v[135:136], v[133:134]
	s_waitcnt lgkmcnt(0)
	v_fma_f64 v[133:134], v[147:148], v[137:138], v[133:134]
	s_waitcnt vmcnt(1)
	s_delay_alu instid0(VALU_DEP_1) | instskip(SKIP_4) | instid1(VALU_DEP_1)
	v_fma_f64 v[2:3], v[2:3], v[139:140], v[133:134]
	ds_load_2addr_b64 v[132:135], v132 offset0:125 offset1:126
	s_waitcnt lgkmcnt(0)
	v_fma_f64 v[2:3], v[4:5], v[132:133], v[2:3]
	s_waitcnt vmcnt(0)
	v_fma_f64 v[2:3], v[149:150], v[134:135], v[2:3]
	s_delay_alu instid0(VALU_DEP_1)
	v_add_f64 v[0:1], v[0:1], -v[2:3]
	scratch_store_b64 off, v[0:1], off
	s_cbranch_vccz .LBB62_513
; %bb.388:
	v_dual_mov_b32 v0, s12 :: v_dual_mov_b32 v1, s13
	s_mov_b32 s0, exec_lo
	flat_load_b32 v0, v[0:1] offset:244
	s_waitcnt vmcnt(0) lgkmcnt(0)
	v_cmpx_ne_u32_e32 62, v0
	s_cbranch_execz .LBB62_390
; %bb.389:
	v_lshl_add_u32 v2, v0, 3, 0
	scratch_load_b64 v[0:1], v2, off offset:-8
	s_waitcnt vmcnt(0)
	scratch_store_b64 off, v[0:1], off offset:488
	scratch_store_b64 v2, v[4:5], off offset:-8
.LBB62_390:
	s_or_b32 exec_lo, exec_lo, s0
	v_dual_mov_b32 v0, s12 :: v_dual_mov_b32 v1, s13
	s_mov_b32 s0, exec_lo
	flat_load_b32 v0, v[0:1] offset:240
	s_waitcnt vmcnt(0) lgkmcnt(0)
	v_cmpx_ne_u32_e32 61, v0
	s_cbranch_execz .LBB62_392
; %bb.391:
	v_lshl_add_u32 v4, v0, 3, 0
	scratch_load_b64 v[0:1], v4, off offset:-8
	scratch_load_b64 v[2:3], off, off offset:480
	s_waitcnt vmcnt(1)
	scratch_store_b64 off, v[0:1], off offset:480
	s_waitcnt vmcnt(0)
	scratch_store_b64 v4, v[2:3], off offset:-8
.LBB62_392:
	s_or_b32 exec_lo, exec_lo, s0
	v_dual_mov_b32 v0, s12 :: v_dual_mov_b32 v1, s13
	s_mov_b32 s0, exec_lo
	flat_load_b32 v0, v[0:1] offset:236
	s_waitcnt vmcnt(0) lgkmcnt(0)
	v_cmpx_ne_u32_e32 60, v0
	s_cbranch_execz .LBB62_394
; %bb.393:
	v_lshl_add_u32 v4, v0, 3, 0
	scratch_load_b64 v[0:1], v4, off offset:-8
	scratch_load_b64 v[2:3], off, off offset:472
	s_waitcnt vmcnt(1)
	scratch_store_b64 off, v[0:1], off offset:472
	s_waitcnt vmcnt(0)
	scratch_store_b64 v4, v[2:3], off offset:-8
.LBB62_394:
	;; [unrolled: 16-line block ×60, first 2 shown]
	s_or_b32 exec_lo, exec_lo, s0
	v_dual_mov_b32 v0, s12 :: v_dual_mov_b32 v1, s13
	s_mov_b32 s0, exec_lo
	flat_load_b32 v2, v[0:1]
	scratch_load_b64 v[0:1], off, off
	s_waitcnt vmcnt(1) lgkmcnt(0)
	v_cmpx_ne_u32_e32 1, v2
	s_cbranch_execz .LBB62_512
; %bb.511:
	v_lshl_add_u32 v4, v2, 3, 0
	scratch_load_b64 v[2:3], v4, off offset:-8
	s_waitcnt vmcnt(0)
	scratch_store_b64 off, v[2:3], off
	scratch_store_b64 v4, v[0:1], off offset:-8
	scratch_load_b64 v[0:1], off, off
.LBB62_512:
	s_or_b32 exec_lo, exec_lo, s0
.LBB62_513:
	s_clause 0x9
	scratch_load_b128 v[2:5], off, off offset:8
	scratch_load_b128 v[132:135], off, off offset:24
	;; [unrolled: 1-line block ×10, first 2 shown]
	s_waitcnt vmcnt(10)
	global_store_b64 v[34:35], v[0:1], off
	s_waitcnt vmcnt(9)
	s_clause 0x1
	global_store_b64 v[28:29], v[2:3], off
	global_store_b64 v[38:39], v[4:5], off
	s_clause 0x1
	scratch_load_b128 v[0:3], off, off offset:168
	scratch_load_b128 v[168:171], off, off offset:184
	s_waitcnt vmcnt(10)
	s_clause 0x1
	global_store_b64 v[26:27], v[132:133], off
	global_store_b64 v[32:33], v[134:135], off
	s_clause 0x1
	scratch_load_b128 v[26:29], off, off offset:200
	scratch_load_b128 v[32:35], off, off offset:216
	;; [unrolled: 7-line block ×10, first 2 shown]
	s_waitcnt vmcnt(19)
	s_clause 0x1
	global_store_b64 v[22:23], v[0:1], off
	global_store_b64 v[44:45], v[2:3], off
	scratch_load_b128 v[0:3], off, off offset:488
	s_waitcnt vmcnt(19)
	s_clause 0x1
	global_store_b64 v[42:43], v[168:169], off
	global_store_b64 v[48:49], v[170:171], off
	s_waitcnt vmcnt(18)
	s_clause 0x1
	global_store_b64 v[52:53], v[26:27], off
	global_store_b64 v[60:61], v[28:29], off
	;; [unrolled: 4-line block ×20, first 2 shown]
	s_endpgm
	.section	.rodata,"a",@progbits
	.p2align	6, 0x0
	.amdhsa_kernel _ZN9rocsolver6v33100L18getri_kernel_smallILi63EdPdEEvT1_iilPiilS4_bb
		.amdhsa_group_segment_fixed_size 1016
		.amdhsa_private_segment_fixed_size 512
		.amdhsa_kernarg_size 60
		.amdhsa_user_sgpr_count 15
		.amdhsa_user_sgpr_dispatch_ptr 0
		.amdhsa_user_sgpr_queue_ptr 0
		.amdhsa_user_sgpr_kernarg_segment_ptr 1
		.amdhsa_user_sgpr_dispatch_id 0
		.amdhsa_user_sgpr_private_segment_size 0
		.amdhsa_wavefront_size32 1
		.amdhsa_uses_dynamic_stack 0
		.amdhsa_enable_private_segment 1
		.amdhsa_system_sgpr_workgroup_id_x 1
		.amdhsa_system_sgpr_workgroup_id_y 0
		.amdhsa_system_sgpr_workgroup_id_z 0
		.amdhsa_system_sgpr_workgroup_info 0
		.amdhsa_system_vgpr_workitem_id 0
		.amdhsa_next_free_vgpr 184
		.amdhsa_next_free_sgpr 18
		.amdhsa_reserve_vcc 1
		.amdhsa_float_round_mode_32 0
		.amdhsa_float_round_mode_16_64 0
		.amdhsa_float_denorm_mode_32 3
		.amdhsa_float_denorm_mode_16_64 3
		.amdhsa_dx10_clamp 1
		.amdhsa_ieee_mode 1
		.amdhsa_fp16_overflow 0
		.amdhsa_workgroup_processor_mode 1
		.amdhsa_memory_ordered 1
		.amdhsa_forward_progress 0
		.amdhsa_shared_vgpr_count 0
		.amdhsa_exception_fp_ieee_invalid_op 0
		.amdhsa_exception_fp_denorm_src 0
		.amdhsa_exception_fp_ieee_div_zero 0
		.amdhsa_exception_fp_ieee_overflow 0
		.amdhsa_exception_fp_ieee_underflow 0
		.amdhsa_exception_fp_ieee_inexact 0
		.amdhsa_exception_int_div_zero 0
	.end_amdhsa_kernel
	.section	.text._ZN9rocsolver6v33100L18getri_kernel_smallILi63EdPdEEvT1_iilPiilS4_bb,"axG",@progbits,_ZN9rocsolver6v33100L18getri_kernel_smallILi63EdPdEEvT1_iilPiilS4_bb,comdat
.Lfunc_end62:
	.size	_ZN9rocsolver6v33100L18getri_kernel_smallILi63EdPdEEvT1_iilPiilS4_bb, .Lfunc_end62-_ZN9rocsolver6v33100L18getri_kernel_smallILi63EdPdEEvT1_iilPiilS4_bb
                                        ; -- End function
	.section	.AMDGPU.csdata,"",@progbits
; Kernel info:
; codeLenInByte = 69364
; NumSgprs: 20
; NumVgprs: 184
; ScratchSize: 512
; MemoryBound: 0
; FloatMode: 240
; IeeeMode: 1
; LDSByteSize: 1016 bytes/workgroup (compile time only)
; SGPRBlocks: 2
; VGPRBlocks: 22
; NumSGPRsForWavesPerEU: 20
; NumVGPRsForWavesPerEU: 184
; Occupancy: 8
; WaveLimiterHint : 1
; COMPUTE_PGM_RSRC2:SCRATCH_EN: 1
; COMPUTE_PGM_RSRC2:USER_SGPR: 15
; COMPUTE_PGM_RSRC2:TRAP_HANDLER: 0
; COMPUTE_PGM_RSRC2:TGID_X_EN: 1
; COMPUTE_PGM_RSRC2:TGID_Y_EN: 0
; COMPUTE_PGM_RSRC2:TGID_Z_EN: 0
; COMPUTE_PGM_RSRC2:TIDIG_COMP_CNT: 0
	.section	.text._ZN9rocsolver6v33100L18getri_kernel_smallILi64EdPdEEvT1_iilPiilS4_bb,"axG",@progbits,_ZN9rocsolver6v33100L18getri_kernel_smallILi64EdPdEEvT1_iilPiilS4_bb,comdat
	.globl	_ZN9rocsolver6v33100L18getri_kernel_smallILi64EdPdEEvT1_iilPiilS4_bb ; -- Begin function _ZN9rocsolver6v33100L18getri_kernel_smallILi64EdPdEEvT1_iilPiilS4_bb
	.p2align	8
	.type	_ZN9rocsolver6v33100L18getri_kernel_smallILi64EdPdEEvT1_iilPiilS4_bb,@function
_ZN9rocsolver6v33100L18getri_kernel_smallILi64EdPdEEvT1_iilPiilS4_bb: ; @_ZN9rocsolver6v33100L18getri_kernel_smallILi64EdPdEEvT1_iilPiilS4_bb
; %bb.0:
	s_mov_b32 s2, exec_lo
	v_cmpx_gt_u32_e32 64, v0
	s_cbranch_execz .LBB63_266
; %bb.1:
	s_clause 0x2
	s_load_b32 s17, s[0:1], 0x38
	s_load_b128 s[8:11], s[0:1], 0x10
	s_load_b128 s[4:7], s[0:1], 0x28
	s_mov_b32 s14, s15
                                        ; implicit-def: $sgpr12_sgpr13
	s_waitcnt lgkmcnt(0)
	s_bitcmp1_b32 s17, 8
	s_cselect_b32 s16, -1, 0
	s_bfe_u32 s2, s17, 0x10008
	s_ashr_i32 s15, s15, 31
	s_cmp_eq_u32 s2, 0
	s_cbranch_scc1 .LBB63_3
; %bb.2:
	s_load_b32 s2, s[0:1], 0x20
	s_mul_i32 s3, s14, s5
	s_mul_hi_u32 s5, s14, s4
	s_mul_i32 s12, s15, s4
	s_add_i32 s3, s5, s3
	s_mul_i32 s4, s14, s4
	s_add_i32 s5, s3, s12
	s_delay_alu instid0(SALU_CYCLE_1)
	s_lshl_b64 s[4:5], s[4:5], 2
	s_waitcnt lgkmcnt(0)
	s_ashr_i32 s3, s2, 31
	s_add_u32 s4, s10, s4
	s_addc_u32 s5, s11, s5
	s_lshl_b64 s[2:3], s[2:3], 2
	s_delay_alu instid0(SALU_CYCLE_1)
	s_add_u32 s12, s4, s2
	s_addc_u32 s13, s5, s3
.LBB63_3:
	s_load_b128 s[0:3], s[0:1], 0x0
	s_mul_i32 s4, s14, s9
	s_mul_hi_u32 s5, s14, s8
	s_mul_i32 s9, s15, s8
	s_add_i32 s5, s5, s4
	s_mul_i32 s4, s14, s8
	s_add_i32 s5, s5, s9
	v_lshlrev_b32_e32 v3, 3, v0
	s_lshl_b64 s[4:5], s[4:5], 3
	s_waitcnt lgkmcnt(0)
	v_add3_u32 v1, s3, s3, v0
	s_ashr_i32 s9, s2, 31
	s_mov_b32 s8, s2
	s_add_u32 s2, s0, s4
	s_addc_u32 s5, s1, s5
	v_add_nc_u32_e32 v4, s3, v1
	s_lshl_b64 s[0:1], s[8:9], 3
	v_ashrrev_i32_e32 v2, 31, v1
	s_add_u32 s0, s2, s0
	s_addc_u32 s1, s5, s1
	v_add_co_u32 v36, s2, s0, v3
	v_ashrrev_i32_e32 v5, 31, v4
	s_mov_b32 s4, s3
	s_ashr_i32 s5, s3, 31
	v_add_nc_u32_e32 v6, s3, v4
	v_add_co_ci_u32_e64 v37, null, s1, 0, s2
	v_lshlrev_b64 v[1:2], 3, v[1:2]
	s_lshl_b64 s[4:5], s[4:5], 3
	v_lshlrev_b64 v[4:5], 3, v[4:5]
	v_add_co_u32 v24, vcc_lo, v36, s4
	v_add_nc_u32_e32 v8, s3, v6
	v_add_co_ci_u32_e32 v25, vcc_lo, s5, v37, vcc_lo
	v_ashrrev_i32_e32 v7, 31, v6
	v_add_co_u32 v26, vcc_lo, s0, v1
	v_add_co_ci_u32_e32 v27, vcc_lo, s1, v2, vcc_lo
	v_add_co_u32 v16, vcc_lo, s0, v4
	v_ashrrev_i32_e32 v9, 31, v8
	v_add_co_ci_u32_e32 v17, vcc_lo, s1, v5, vcc_lo
	v_lshlrev_b64 v[4:5], 3, v[6:7]
	v_add_nc_u32_e32 v28, s3, v8
	s_delay_alu instid0(VALU_DEP_4)
	v_lshlrev_b64 v[7:8], 3, v[8:9]
	s_clause 0x3
	global_load_b64 v[12:13], v3, s[0:1]
	global_load_b64 v[14:15], v[24:25], off
	global_load_b64 v[20:21], v[26:27], off
	;; [unrolled: 1-line block ×3, first 2 shown]
	s_bitcmp0_b32 s17, 0
	v_add_co_u32 v18, vcc_lo, s0, v4
	v_add_co_ci_u32_e32 v19, vcc_lo, s1, v5, vcc_lo
	v_add_co_u32 v10, vcc_lo, s0, v7
	v_add_co_ci_u32_e32 v11, vcc_lo, s1, v8, vcc_lo
	v_add_nc_u32_e32 v30, s3, v28
	s_clause 0x1
	global_load_b64 v[46:47], v[18:19], off
	global_load_b64 v[48:49], v[10:11], off
	v_ashrrev_i32_e32 v29, 31, v28
	v_add_nc_u32_e32 v32, s3, v30
	v_ashrrev_i32_e32 v31, 31, v30
	s_delay_alu instid0(VALU_DEP_3) | instskip(NEXT) | instid1(VALU_DEP_3)
	v_lshlrev_b64 v[28:29], 3, v[28:29]
	v_add_nc_u32_e32 v34, s3, v32
	s_delay_alu instid0(VALU_DEP_3) | instskip(SKIP_1) | instid1(VALU_DEP_4)
	v_lshlrev_b64 v[30:31], 3, v[30:31]
	v_ashrrev_i32_e32 v33, 31, v32
	v_add_co_u32 v66, vcc_lo, s0, v28
	s_delay_alu instid0(VALU_DEP_4) | instskip(SKIP_3) | instid1(VALU_DEP_4)
	v_add_nc_u32_e32 v1, s3, v34
	v_ashrrev_i32_e32 v35, 31, v34
	v_add_co_ci_u32_e32 v67, vcc_lo, s1, v29, vcc_lo
	v_lshlrev_b64 v[28:29], 3, v[32:33]
	v_add_nc_u32_e32 v6, s3, v1
	v_add_co_u32 v64, vcc_lo, s0, v30
	v_ashrrev_i32_e32 v2, 31, v1
	v_add_co_ci_u32_e32 v65, vcc_lo, s1, v31, vcc_lo
	s_delay_alu instid0(VALU_DEP_4) | instskip(SKIP_3) | instid1(VALU_DEP_4)
	v_add_nc_u32_e32 v38, s3, v6
	v_lshlrev_b64 v[30:31], 3, v[34:35]
	v_add_co_u32 v62, vcc_lo, s0, v28
	v_lshlrev_b64 v[1:2], 3, v[1:2]
	v_add_nc_u32_e32 v4, s3, v38
	v_ashrrev_i32_e32 v7, 31, v6
	v_add_co_ci_u32_e32 v63, vcc_lo, s1, v29, vcc_lo
	v_add_co_u32 v58, vcc_lo, s0, v30
	s_delay_alu instid0(VALU_DEP_4) | instskip(SKIP_3) | instid1(VALU_DEP_4)
	v_add_nc_u32_e32 v8, s3, v4
	v_ashrrev_i32_e32 v39, 31, v38
	v_add_co_ci_u32_e32 v59, vcc_lo, s1, v31, vcc_lo
	v_lshlrev_b64 v[6:7], 3, v[6:7]
	v_add_nc_u32_e32 v40, s3, v8
	v_add_co_u32 v60, vcc_lo, s0, v1
	v_add_co_ci_u32_e32 v61, vcc_lo, s1, v2, vcc_lo
	s_delay_alu instid0(VALU_DEP_3) | instskip(SKIP_3) | instid1(VALU_DEP_4)
	v_add_nc_u32_e32 v44, s3, v40
	v_lshlrev_b64 v[1:2], 3, v[38:39]
	v_add_co_u32 v56, vcc_lo, s0, v6
	v_ashrrev_i32_e32 v5, 31, v4
	v_add_nc_u32_e32 v50, s3, v44
	v_add_co_ci_u32_e32 v57, vcc_lo, s1, v7, vcc_lo
	v_add_co_u32 v52, vcc_lo, s0, v1
	s_delay_alu instid0(VALU_DEP_3) | instskip(SKIP_3) | instid1(VALU_DEP_4)
	v_add_nc_u32_e32 v88, s3, v50
	v_ashrrev_i32_e32 v9, 31, v8
	v_lshlrev_b64 v[4:5], 3, v[4:5]
	v_add_co_ci_u32_e32 v53, vcc_lo, s1, v2, vcc_lo
	v_add_nc_u32_e32 v92, s3, v88
	s_delay_alu instid0(VALU_DEP_4) | instskip(SKIP_2) | instid1(VALU_DEP_4)
	v_lshlrev_b64 v[6:7], 3, v[8:9]
	v_ashrrev_i32_e32 v41, 31, v40
	v_add_co_u32 v54, vcc_lo, s0, v4
	v_add_nc_u32_e32 v96, s3, v92
	v_add_co_ci_u32_e32 v55, vcc_lo, s1, v5, vcc_lo
	s_delay_alu instid0(VALU_DEP_4) | instskip(SKIP_1) | instid1(VALU_DEP_4)
	v_lshlrev_b64 v[4:5], 3, v[40:41]
	v_add_co_u32 v42, vcc_lo, s0, v6
	v_add_nc_u32_e32 v98, s3, v96
	v_ashrrev_i32_e32 v45, 31, v44
	v_add_co_ci_u32_e32 v43, vcc_lo, s1, v7, vcc_lo
	v_ashrrev_i32_e32 v51, 31, v50
	s_delay_alu instid0(VALU_DEP_4)
	v_add_nc_u32_e32 v100, s3, v98
	v_ashrrev_i32_e32 v89, 31, v88
	v_ashrrev_i32_e32 v93, 31, v92
	s_clause 0x3
	global_load_b64 v[68:69], v[66:67], off
	global_load_b64 v[70:71], v[64:65], off
	;; [unrolled: 1-line block ×4, first 2 shown]
	v_add_nc_u32_e32 v102, s3, v100
	s_clause 0x2
	global_load_b64 v[76:77], v[60:61], off
	global_load_b64 v[78:79], v[56:57], off
	global_load_b64 v[80:81], v[52:53], off
	v_ashrrev_i32_e32 v97, 31, v96
	v_ashrrev_i32_e32 v99, 31, v98
	v_add_nc_u32_e32 v104, s3, v102
	v_ashrrev_i32_e32 v101, 31, v100
	v_ashrrev_i32_e32 v103, 31, v102
	s_delay_alu instid0(VALU_DEP_3) | instskip(SKIP_1) | instid1(VALU_DEP_2)
	v_add_nc_u32_e32 v106, s3, v104
	v_ashrrev_i32_e32 v105, 31, v104
	v_add_nc_u32_e32 v108, s3, v106
	v_ashrrev_i32_e32 v107, 31, v106
	s_delay_alu instid0(VALU_DEP_2) | instskip(SKIP_1) | instid1(VALU_DEP_2)
	v_add_nc_u32_e32 v110, s3, v108
	v_ashrrev_i32_e32 v109, 31, v108
	v_add_nc_u32_e32 v112, s3, v110
	v_ashrrev_i32_e32 v111, 31, v110
	s_delay_alu instid0(VALU_DEP_2) | instskip(SKIP_1) | instid1(VALU_DEP_2)
	;; [unrolled: 5-line block ×19, first 2 shown]
	v_add_nc_u32_e32 v1, s3, v182
	v_ashrrev_i32_e32 v183, 31, v182
	v_ashrrev_i32_e32 v2, 31, v1
	s_delay_alu instid0(VALU_DEP_1) | instskip(NEXT) | instid1(VALU_DEP_1)
	v_lshlrev_b64 v[1:2], 3, v[1:2]
	v_add_co_u32 v6, vcc_lo, s0, v1
	s_delay_alu instid0(VALU_DEP_2)
	v_add_co_ci_u32_e32 v7, vcc_lo, s1, v2, vcc_lo
	v_lshlrev_b64 v[1:2], 3, v[44:45]
	v_add_co_u32 v34, vcc_lo, s0, v4
	global_load_b64 v[136:137], v[6:7], off
	v_add_co_ci_u32_e32 v35, vcc_lo, s1, v5, vcc_lo
	v_lshlrev_b64 v[4:5], 3, v[50:51]
	v_add_co_u32 v44, vcc_lo, s0, v1
	v_add_co_ci_u32_e32 v45, vcc_lo, s1, v2, vcc_lo
	v_lshlrev_b64 v[1:2], 3, v[88:89]
	s_delay_alu instid0(VALU_DEP_4) | instskip(SKIP_2) | instid1(VALU_DEP_4)
	v_add_co_u32 v32, vcc_lo, s0, v4
	v_add_co_ci_u32_e32 v33, vcc_lo, s1, v5, vcc_lo
	v_lshlrev_b64 v[4:5], 3, v[92:93]
	v_add_co_u32 v40, vcc_lo, s0, v1
	v_add_co_ci_u32_e32 v41, vcc_lo, s1, v2, vcc_lo
	s_waitcnt vmcnt(12)
	scratch_store_b128 off, v[12:15], off
	v_add_co_u32 v28, vcc_lo, s0, v4
	v_add_co_ci_u32_e32 v29, vcc_lo, s1, v5, vcc_lo
	s_clause 0x2
	global_load_b64 v[82:83], v[54:55], off
	global_load_b64 v[84:85], v[42:43], off
	;; [unrolled: 1-line block ×3, first 2 shown]
	s_waitcnt vmcnt(13)
	scratch_store_b128 off, v[20:23], off offset:16
	s_clause 0x1
	global_load_b64 v[88:89], v[44:45], off
	global_load_b64 v[90:91], v[32:33], off
	s_waitcnt vmcnt(13)
	scratch_store_b128 off, v[46:49], off offset:32
	s_clause 0x1
	global_load_b64 v[92:93], v[40:41], off
	global_load_b64 v[94:95], v[28:29], off
	v_lshlrev_b64 v[1:2], 3, v[96:97]
	v_lshlrev_b64 v[4:5], 3, v[98:99]
	s_delay_alu instid0(VALU_DEP_2) | instskip(NEXT) | instid1(VALU_DEP_3)
	v_add_co_u32 v30, vcc_lo, s0, v1
	v_add_co_ci_u32_e32 v31, vcc_lo, s1, v2, vcc_lo
	v_lshlrev_b64 v[1:2], 3, v[100:101]
	s_delay_alu instid0(VALU_DEP_4) | instskip(SKIP_2) | instid1(VALU_DEP_4)
	v_add_co_u32 v20, vcc_lo, s0, v4
	v_add_co_ci_u32_e32 v21, vcc_lo, s1, v5, vcc_lo
	v_lshlrev_b64 v[4:5], 3, v[102:103]
	v_add_co_u32 v22, vcc_lo, s0, v1
	v_add_co_ci_u32_e32 v23, vcc_lo, s1, v2, vcc_lo
	v_lshlrev_b64 v[1:2], 3, v[104:105]
	s_delay_alu instid0(VALU_DEP_4) | instskip(SKIP_2) | instid1(VALU_DEP_4)
	v_add_co_u32 v8, vcc_lo, s0, v4
	v_add_co_ci_u32_e32 v9, vcc_lo, s1, v5, vcc_lo
	v_lshlrev_b64 v[4:5], 3, v[106:107]
	;; [unrolled: 7-line block ×4, first 2 shown]
	v_add_co_u32 v48, vcc_lo, s0, v1
	v_add_co_ci_u32_e32 v49, vcc_lo, s1, v2, vcc_lo
	v_lshlrev_b64 v[1:2], 3, v[116:117]
	s_delay_alu instid0(VALU_DEP_4)
	v_add_co_u32 v50, vcc_lo, s0, v4
	s_clause 0x1
	global_load_b64 v[96:97], v[30:31], off
	global_load_b64 v[98:99], v[20:21], off
	v_add_co_ci_u32_e32 v51, vcc_lo, s1, v5, vcc_lo
	v_lshlrev_b64 v[4:5], 3, v[118:119]
	s_waitcnt vmcnt(15)
	scratch_store_b128 off, v[68:71], off offset:48
	v_add_co_u32 v68, vcc_lo, s0, v1
	s_waitcnt vmcnt(13)
	scratch_store_b128 off, v[72:75], off offset:64
	v_add_co_ci_u32_e32 v69, vcc_lo, s1, v2, vcc_lo
	v_lshlrev_b64 v[1:2], 3, v[120:121]
	v_add_co_u32 v70, vcc_lo, s0, v4
	s_clause 0x1
	global_load_b64 v[100:101], v[22:23], off
	global_load_b64 v[102:103], v[8:9], off
	s_waitcnt vmcnt(13)
	scratch_store_b128 off, v[76:79], off offset:80
	s_clause 0x1
	global_load_b64 v[104:105], v[12:13], off
	global_load_b64 v[106:107], v[14:15], off
	v_add_co_ci_u32_e32 v71, vcc_lo, s1, v5, vcc_lo
	v_lshlrev_b64 v[4:5], 3, v[122:123]
	v_add_co_u32 v72, vcc_lo, s0, v1
	v_add_co_ci_u32_e32 v73, vcc_lo, s1, v2, vcc_lo
	v_lshlrev_b64 v[1:2], 3, v[124:125]
	s_delay_alu instid0(VALU_DEP_4) | instskip(SKIP_2) | instid1(VALU_DEP_4)
	v_add_co_u32 v74, vcc_lo, s0, v4
	v_add_co_ci_u32_e32 v75, vcc_lo, s1, v5, vcc_lo
	v_lshlrev_b64 v[4:5], 3, v[126:127]
	v_add_co_u32 v76, vcc_lo, s0, v1
	v_add_co_ci_u32_e32 v77, vcc_lo, s1, v2, vcc_lo
	v_lshlrev_b64 v[1:2], 3, v[128:129]
	s_delay_alu instid0(VALU_DEP_4)
	v_add_co_u32 v78, vcc_lo, s0, v4
	v_add_co_ci_u32_e32 v79, vcc_lo, s1, v5, vcc_lo
	v_lshlrev_b64 v[4:5], 3, v[132:133]
	s_waitcnt vmcnt(12)
	scratch_store_b128 off, v[80:83], off offset:96
	s_waitcnt vmcnt(10)
	scratch_store_b128 off, v[84:87], off offset:112
	s_clause 0x3
	global_load_b64 v[108:109], v[38:39], off
	global_load_b64 v[110:111], v[46:47], off
	;; [unrolled: 1-line block ×4, first 2 shown]
	s_waitcnt vmcnt(12)
	scratch_store_b128 off, v[88:91], off offset:128
	s_clause 0x1
	global_load_b64 v[116:117], v[68:69], off
	global_load_b64 v[118:119], v[70:71], off
	s_waitcnt vmcnt(12)
	scratch_store_b128 off, v[92:95], off offset:144
	s_clause 0x1
	global_load_b64 v[120:121], v[72:73], off
	global_load_b64 v[122:123], v[74:75], off
	v_add_co_u32 v80, vcc_lo, s0, v1
	v_add_co_ci_u32_e32 v81, vcc_lo, s1, v2, vcc_lo
	v_lshlrev_b64 v[1:2], 3, v[130:131]
	s_delay_alu instid0(VALU_DEP_1) | instskip(NEXT) | instid1(VALU_DEP_2)
	v_add_co_u32 v82, vcc_lo, s0, v1
	v_add_co_ci_u32_e32 v83, vcc_lo, s1, v2, vcc_lo
	v_lshlrev_b64 v[1:2], 3, v[134:135]
	v_add_co_u32 v84, vcc_lo, s0, v4
	v_add_co_ci_u32_e32 v85, vcc_lo, s1, v5, vcc_lo
	v_lshlrev_b64 v[4:5], 3, v[140:141]
	s_delay_alu instid0(VALU_DEP_4) | instskip(SKIP_2) | instid1(VALU_DEP_1)
	v_add_co_u32 v86, vcc_lo, s0, v1
	v_add_co_ci_u32_e32 v87, vcc_lo, s1, v2, vcc_lo
	v_lshlrev_b64 v[1:2], 3, v[138:139]
	v_add_co_u32 v88, vcc_lo, s0, v1
	s_delay_alu instid0(VALU_DEP_2) | instskip(SKIP_4) | instid1(VALU_DEP_4)
	v_add_co_ci_u32_e32 v89, vcc_lo, s1, v2, vcc_lo
	v_lshlrev_b64 v[1:2], 3, v[142:143]
	v_add_co_u32 v90, vcc_lo, s0, v4
	v_add_co_ci_u32_e32 v91, vcc_lo, s1, v5, vcc_lo
	v_lshlrev_b64 v[4:5], 3, v[144:145]
	v_add_co_u32 v92, vcc_lo, s0, v1
	v_add_co_ci_u32_e32 v93, vcc_lo, s1, v2, vcc_lo
	v_lshlrev_b64 v[1:2], 3, v[146:147]
	s_delay_alu instid0(VALU_DEP_4)
	v_add_co_u32 v94, vcc_lo, s0, v4
	v_add_co_ci_u32_e32 v95, vcc_lo, s1, v5, vcc_lo
	v_lshlrev_b64 v[4:5], 3, v[150:151]
	s_waitcnt vmcnt(12)
	scratch_store_b128 off, v[96:99], off offset:160
	v_add_co_u32 v96, vcc_lo, s0, v1
	s_clause 0x1
	global_load_b64 v[124:125], v[76:77], off
	global_load_b64 v[126:127], v[78:79], off
	v_add_co_ci_u32_e32 v97, vcc_lo, s1, v2, vcc_lo
	v_lshlrev_b64 v[1:2], 3, v[148:149]
	global_load_b64 v[128:129], v[80:81], off
	v_add_co_u32 v98, vcc_lo, s0, v1
	v_add_co_ci_u32_e32 v99, vcc_lo, s1, v2, vcc_lo
	v_lshlrev_b64 v[1:2], 3, v[152:153]
	s_waitcnt vmcnt(13)
	scratch_store_b128 off, v[100:103], off offset:176
	v_add_co_u32 v100, vcc_lo, s0, v4
	s_waitcnt vmcnt(11)
	scratch_store_b128 off, v[104:107], off offset:192
	s_clause 0x2
	global_load_b64 v[130:131], v[82:83], off
	global_load_b64 v[132:133], v[84:85], off
	;; [unrolled: 1-line block ×3, first 2 shown]
	v_add_co_ci_u32_e32 v101, vcc_lo, s1, v5, vcc_lo
	v_add_co_u32 v102, vcc_lo, s0, v1
	v_add_co_ci_u32_e32 v103, vcc_lo, s1, v2, vcc_lo
	global_load_b64 v[138:139], v[88:89], off
	v_lshlrev_b64 v[1:2], 3, v[154:155]
	v_lshlrev_b64 v[4:5], 3, v[158:159]
	s_delay_alu instid0(VALU_DEP_2) | instskip(NEXT) | instid1(VALU_DEP_3)
	v_add_co_u32 v104, vcc_lo, s0, v1
	v_add_co_ci_u32_e32 v105, vcc_lo, s1, v2, vcc_lo
	v_lshlrev_b64 v[1:2], 3, v[156:157]
	s_delay_alu instid0(VALU_DEP_1) | instskip(NEXT) | instid1(VALU_DEP_2)
	v_add_co_u32 v106, vcc_lo, s0, v1
	v_add_co_ci_u32_e32 v107, vcc_lo, s1, v2, vcc_lo
	v_lshlrev_b64 v[1:2], 3, v[160:161]
	s_waitcnt vmcnt(13)
	scratch_store_b128 off, v[108:111], off offset:208
	v_add_co_u32 v108, vcc_lo, s0, v4
	s_waitcnt vmcnt(11)
	scratch_store_b128 off, v[112:115], off offset:224
	s_clause 0x2
	global_load_b64 v[140:141], v[90:91], off
	global_load_b64 v[142:143], v[92:93], off
	;; [unrolled: 1-line block ×3, first 2 shown]
	s_waitcnt vmcnt(12)
	scratch_store_b128 off, v[116:119], off offset:240
	s_waitcnt vmcnt(10)
	scratch_store_b128 off, v[120:123], off offset:256
	s_clause 0x3
	global_load_b64 v[146:147], v[96:97], off
	global_load_b64 v[148:149], v[98:99], off
	;; [unrolled: 1-line block ×4, first 2 shown]
	v_add_co_ci_u32_e32 v109, vcc_lo, s1, v5, vcc_lo
	v_lshlrev_b64 v[4:5], 3, v[162:163]
	v_add_co_u32 v110, vcc_lo, s0, v1
	v_add_co_ci_u32_e32 v111, vcc_lo, s1, v2, vcc_lo
	v_lshlrev_b64 v[1:2], 3, v[164:165]
	s_delay_alu instid0(VALU_DEP_4) | instskip(SKIP_2) | instid1(VALU_DEP_4)
	v_add_co_u32 v112, vcc_lo, s0, v4
	v_add_co_ci_u32_e32 v113, vcc_lo, s1, v5, vcc_lo
	v_lshlrev_b64 v[4:5], 3, v[166:167]
	v_add_co_u32 v114, vcc_lo, s0, v1
	v_add_co_ci_u32_e32 v115, vcc_lo, s1, v2, vcc_lo
	v_lshlrev_b64 v[1:2], 3, v[168:169]
	s_delay_alu instid0(VALU_DEP_4) | instskip(SKIP_2) | instid1(VALU_DEP_4)
	v_add_co_u32 v116, vcc_lo, s0, v4
	;; [unrolled: 7-line block ×3, first 2 shown]
	v_add_co_ci_u32_e32 v121, vcc_lo, s1, v5, vcc_lo
	v_lshlrev_b64 v[4:5], 3, v[174:175]
	v_add_co_u32 v122, vcc_lo, s0, v1
	v_add_co_ci_u32_e32 v123, vcc_lo, s1, v2, vcc_lo
	v_lshlrev_b64 v[1:2], 3, v[176:177]
	global_load_b64 v[154:155], v[104:105], off
	s_waitcnt vmcnt(13)
	scratch_store_b128 off, v[124:127], off offset:272
	v_add_co_u32 v124, vcc_lo, s0, v4
	v_add_co_ci_u32_e32 v125, vcc_lo, s1, v5, vcc_lo
	v_lshlrev_b64 v[4:5], 3, v[178:179]
	v_add_co_u32 v126, vcc_lo, s0, v1
	v_add_co_ci_u32_e32 v127, vcc_lo, s1, v2, vcc_lo
	v_lshlrev_b64 v[1:2], 3, v[180:181]
	s_waitcnt vmcnt(11)
	scratch_store_b128 off, v[128:131], off offset:288
	s_waitcnt vmcnt(9)
	scratch_store_b128 off, v[132:135], off offset:304
	v_add_co_u32 v128, vcc_lo, s0, v4
	v_add_co_ci_u32_e32 v129, vcc_lo, s1, v5, vcc_lo
	v_lshlrev_b64 v[4:5], 3, v[182:183]
	v_add_co_u32 v130, vcc_lo, s0, v1
	v_add_co_ci_u32_e32 v131, vcc_lo, s1, v2, vcc_lo
	s_clause 0x3
	global_load_b64 v[156:157], v[106:107], off
	global_load_b64 v[158:159], v[108:109], off
	;; [unrolled: 1-line block ×4, first 2 shown]
	v_add_co_u32 v132, vcc_lo, s0, v4
	v_add_co_ci_u32_e32 v133, vcc_lo, s1, v5, vcc_lo
	s_mov_b32 s1, -1
	s_waitcnt vmcnt(11)
	scratch_store_b128 off, v[138:141], off offset:320
	s_waitcnt vmcnt(9)
	scratch_store_b128 off, v[142:145], off offset:336
	s_clause 0x3
	global_load_b64 v[164:165], v[114:115], off
	global_load_b64 v[138:139], v[116:117], off
	;; [unrolled: 1-line block ×4, first 2 shown]
	s_waitcnt vmcnt(11)
	scratch_store_b128 off, v[146:149], off offset:352
	s_clause 0x2
	global_load_b64 v[144:145], v[122:123], off
	global_load_b64 v[146:147], v[124:125], off
	;; [unrolled: 1-line block ×3, first 2 shown]
	s_waitcnt vmcnt(12)
	scratch_store_b128 off, v[150:153], off offset:368
	s_clause 0x2
	global_load_b64 v[150:151], v[128:129], off
	global_load_b64 v[152:153], v[130:131], off
	;; [unrolled: 1-line block ×3, first 2 shown]
	s_waitcnt vmcnt(13)
	scratch_store_b128 off, v[154:157], off offset:384
	s_waitcnt vmcnt(11)
	scratch_store_b128 off, v[158:161], off offset:400
	;; [unrolled: 2-line block ×8, first 2 shown]
	s_cbranch_scc1 .LBB63_264
; %bb.4:
	v_cmp_eq_u32_e64 s0, 0, v0
	s_delay_alu instid0(VALU_DEP_1)
	s_and_saveexec_b32 s1, s0
	s_cbranch_execz .LBB63_6
; %bb.5:
	v_mov_b32_e32 v1, 0
	ds_store_b32 v1, v1 offset:1024
.LBB63_6:
	s_or_b32 exec_lo, exec_lo, s1
	s_waitcnt lgkmcnt(0)
	s_waitcnt_vscnt null, 0x0
	s_barrier
	buffer_gl0_inv
	scratch_load_b64 v[1:2], v3, off
	s_mov_b32 s2, exec_lo
	s_waitcnt vmcnt(0)
	v_cmpx_eq_f64_e32 0, v[1:2]
	s_cbranch_execz .LBB63_10
; %bb.7:
	v_mov_b32_e32 v1, 0
	s_mov_b32 s3, 0
	ds_load_b32 v2, v1 offset:1024
	s_waitcnt lgkmcnt(0)
	v_readfirstlane_b32 s1, v2
	v_add_nc_u32_e32 v2, 1, v0
	s_delay_alu instid0(VALU_DEP_2) | instskip(NEXT) | instid1(VALU_DEP_1)
	s_cmp_eq_u32 s1, 0
	v_cmp_gt_i32_e32 vcc_lo, s1, v2
	s_cselect_b32 s4, -1, 0
	s_delay_alu instid0(SALU_CYCLE_1) | instskip(NEXT) | instid1(SALU_CYCLE_1)
	s_or_b32 s4, s4, vcc_lo
	s_and_b32 exec_lo, exec_lo, s4
	s_cbranch_execz .LBB63_10
; %bb.8:
	v_mov_b32_e32 v4, s1
.LBB63_9:                               ; =>This Inner Loop Header: Depth=1
	ds_cmpstore_rtn_b32 v4, v1, v2, v4 offset:1024
	s_waitcnt lgkmcnt(0)
	v_cmp_ne_u32_e32 vcc_lo, 0, v4
	v_cmp_le_i32_e64 s1, v4, v2
	s_delay_alu instid0(VALU_DEP_1) | instskip(NEXT) | instid1(SALU_CYCLE_1)
	s_and_b32 s1, vcc_lo, s1
	s_and_b32 s1, exec_lo, s1
	s_delay_alu instid0(SALU_CYCLE_1) | instskip(NEXT) | instid1(SALU_CYCLE_1)
	s_or_b32 s3, s1, s3
	s_and_not1_b32 exec_lo, exec_lo, s3
	s_cbranch_execnz .LBB63_9
.LBB63_10:
	s_or_b32 exec_lo, exec_lo, s2
	v_mov_b32_e32 v1, 0
	s_barrier
	buffer_gl0_inv
	ds_load_b32 v2, v1 offset:1024
	s_and_saveexec_b32 s1, s0
	s_cbranch_execz .LBB63_12
; %bb.11:
	s_lshl_b64 s[2:3], s[14:15], 2
	s_delay_alu instid0(SALU_CYCLE_1)
	s_add_u32 s2, s6, s2
	s_addc_u32 s3, s7, s3
	s_waitcnt lgkmcnt(0)
	global_store_b32 v1, v2, s[2:3]
.LBB63_12:
	s_or_b32 exec_lo, exec_lo, s1
	s_waitcnt lgkmcnt(0)
	v_cmp_ne_u32_e32 vcc_lo, 0, v2
	s_mov_b32 s1, 0
	s_cbranch_vccnz .LBB63_264
; %bb.13:
	v_add_nc_u32_e32 v4, 0, v3
	v_or_b32_e32 v5, 0x200, v3
	scratch_load_b64 v[1:2], v4, off
	s_waitcnt vmcnt(0)
	v_div_scale_f64 v[134:135], null, v[1:2], v[1:2], 1.0
	v_div_scale_f64 v[140:141], vcc_lo, 1.0, v[1:2], 1.0
	s_delay_alu instid0(VALU_DEP_2) | instskip(SKIP_2) | instid1(VALU_DEP_1)
	v_rcp_f64_e32 v[136:137], v[134:135]
	s_waitcnt_depctr 0xfff
	v_fma_f64 v[138:139], -v[134:135], v[136:137], 1.0
	v_fma_f64 v[136:137], v[136:137], v[138:139], v[136:137]
	s_delay_alu instid0(VALU_DEP_1) | instskip(NEXT) | instid1(VALU_DEP_1)
	v_fma_f64 v[138:139], -v[134:135], v[136:137], 1.0
	v_fma_f64 v[136:137], v[136:137], v[138:139], v[136:137]
	s_delay_alu instid0(VALU_DEP_1) | instskip(NEXT) | instid1(VALU_DEP_1)
	v_mul_f64 v[138:139], v[140:141], v[136:137]
	v_fma_f64 v[134:135], -v[134:135], v[138:139], v[140:141]
	s_delay_alu instid0(VALU_DEP_1) | instskip(NEXT) | instid1(VALU_DEP_1)
	v_div_fmas_f64 v[134:135], v[134:135], v[136:137], v[138:139]
	v_div_fixup_f64 v[1:2], v[134:135], v[1:2], 1.0
	scratch_store_b64 v4, v[1:2], off
	scratch_load_b64 v[134:135], off, off offset:8
	v_xor_b32_e32 v2, 0x80000000, v2
	s_waitcnt vmcnt(0)
	ds_store_2addr_stride64_b64 v3, v[1:2], v[134:135] offset1:1
	s_waitcnt lgkmcnt(0)
	s_waitcnt_vscnt null, 0x0
	s_barrier
	buffer_gl0_inv
	s_and_saveexec_b32 s1, s0
	s_cbranch_execz .LBB63_15
; %bb.14:
	scratch_load_b64 v[1:2], v4, off
	ds_load_b64 v[134:135], v5
	s_waitcnt vmcnt(0) lgkmcnt(0)
	v_fma_f64 v[1:2], v[1:2], v[134:135], 0
	v_mov_b32_e32 v134, 0
	ds_load_b64 v[134:135], v134 offset:8
	s_waitcnt lgkmcnt(0)
	v_mul_f64 v[1:2], v[1:2], v[134:135]
	scratch_store_b64 off, v[1:2], off offset:8
.LBB63_15:
	s_or_b32 exec_lo, exec_lo, s1
	s_waitcnt_vscnt null, 0x0
	s_barrier
	buffer_gl0_inv
	scratch_load_b64 v[1:2], off, off offset:16
	s_mov_b32 s1, exec_lo
	s_waitcnt vmcnt(0)
	ds_store_b64 v5, v[1:2]
	s_waitcnt lgkmcnt(0)
	s_barrier
	buffer_gl0_inv
	v_cmpx_gt_u32_e32 2, v0
	s_cbranch_execz .LBB63_19
; %bb.16:
	scratch_load_b64 v[1:2], v4, off
	ds_load_b64 v[134:135], v5
	s_waitcnt vmcnt(0) lgkmcnt(0)
	v_fma_f64 v[1:2], v[1:2], v[134:135], 0
	s_and_saveexec_b32 s2, s0
	s_cbranch_execz .LBB63_18
; %bb.17:
	scratch_load_b64 v[134:135], off, off offset:8
	v_mov_b32_e32 v136, 0
	ds_load_b64 v[136:137], v136 offset:520
	s_waitcnt vmcnt(0) lgkmcnt(0)
	v_fma_f64 v[1:2], v[134:135], v[136:137], v[1:2]
.LBB63_18:
	s_or_b32 exec_lo, exec_lo, s2
	v_mov_b32_e32 v134, 0
	ds_load_b64 v[134:135], v134 offset:16
	s_waitcnt lgkmcnt(0)
	v_mul_f64 v[1:2], v[1:2], v[134:135]
	scratch_store_b64 off, v[1:2], off offset:16
.LBB63_19:
	s_or_b32 exec_lo, exec_lo, s1
	s_waitcnt_vscnt null, 0x0
	s_barrier
	buffer_gl0_inv
	scratch_load_b64 v[1:2], off, off offset:24
	v_add_nc_u32_e32 v134, -1, v0
	s_mov_b32 s0, exec_lo
	s_waitcnt vmcnt(0)
	ds_store_b64 v5, v[1:2]
	s_waitcnt lgkmcnt(0)
	s_barrier
	buffer_gl0_inv
	v_cmpx_gt_u32_e32 3, v0
	s_cbranch_execz .LBB63_23
; %bb.20:
	v_mov_b32_e32 v1, 0
	v_dual_mov_b32 v2, 0 :: v_dual_add_nc_u32 v135, -1, v0
	v_or_b32_e32 v136, 0x200, v3
	v_add_nc_u32_e32 v137, 0, v3
	s_mov_b32 s1, 0
.LBB63_21:                              ; =>This Inner Loop Header: Depth=1
	scratch_load_b64 v[138:139], v137, off
	ds_load_b64 v[140:141], v136
	v_add_nc_u32_e32 v135, 1, v135
	v_add_nc_u32_e32 v136, 8, v136
	v_add_nc_u32_e32 v137, 8, v137
	s_delay_alu instid0(VALU_DEP_3)
	v_cmp_lt_u32_e32 vcc_lo, 1, v135
	s_or_b32 s1, vcc_lo, s1
	s_waitcnt vmcnt(0) lgkmcnt(0)
	v_fma_f64 v[1:2], v[138:139], v[140:141], v[1:2]
	s_and_not1_b32 exec_lo, exec_lo, s1
	s_cbranch_execnz .LBB63_21
; %bb.22:
	s_or_b32 exec_lo, exec_lo, s1
	v_mov_b32_e32 v135, 0
	ds_load_b64 v[135:136], v135 offset:24
	s_waitcnt lgkmcnt(0)
	v_mul_f64 v[1:2], v[1:2], v[135:136]
	scratch_store_b64 off, v[1:2], off offset:24
.LBB63_23:
	s_or_b32 exec_lo, exec_lo, s0
	s_waitcnt_vscnt null, 0x0
	s_barrier
	buffer_gl0_inv
	scratch_load_b64 v[1:2], off, off offset:32
	s_mov_b32 s0, exec_lo
	s_waitcnt vmcnt(0)
	ds_store_b64 v5, v[1:2]
	s_waitcnt lgkmcnt(0)
	s_barrier
	buffer_gl0_inv
	v_cmpx_gt_u32_e32 4, v0
	s_cbranch_execz .LBB63_27
; %bb.24:
	v_mov_b32_e32 v1, 0
	v_dual_mov_b32 v2, 0 :: v_dual_add_nc_u32 v135, -1, v0
	v_or_b32_e32 v136, 0x200, v3
	v_add_nc_u32_e32 v137, 0, v3
	s_mov_b32 s1, 0
.LBB63_25:                              ; =>This Inner Loop Header: Depth=1
	scratch_load_b64 v[138:139], v137, off
	ds_load_b64 v[140:141], v136
	v_add_nc_u32_e32 v135, 1, v135
	v_add_nc_u32_e32 v136, 8, v136
	v_add_nc_u32_e32 v137, 8, v137
	s_delay_alu instid0(VALU_DEP_3)
	v_cmp_lt_u32_e32 vcc_lo, 2, v135
	s_or_b32 s1, vcc_lo, s1
	s_waitcnt vmcnt(0) lgkmcnt(0)
	v_fma_f64 v[1:2], v[138:139], v[140:141], v[1:2]
	s_and_not1_b32 exec_lo, exec_lo, s1
	s_cbranch_execnz .LBB63_25
; %bb.26:
	s_or_b32 exec_lo, exec_lo, s1
	v_mov_b32_e32 v135, 0
	ds_load_b64 v[135:136], v135 offset:32
	s_waitcnt lgkmcnt(0)
	v_mul_f64 v[1:2], v[1:2], v[135:136]
	scratch_store_b64 off, v[1:2], off offset:32
.LBB63_27:
	s_or_b32 exec_lo, exec_lo, s0
	s_waitcnt_vscnt null, 0x0
	s_barrier
	buffer_gl0_inv
	scratch_load_b64 v[1:2], off, off offset:40
	;; [unrolled: 40-line block ×20, first 2 shown]
	s_mov_b32 s0, exec_lo
	s_waitcnt vmcnt(0)
	ds_store_b64 v5, v[1:2]
	s_waitcnt lgkmcnt(0)
	s_barrier
	buffer_gl0_inv
	v_cmpx_gt_u32_e32 23, v0
	s_cbranch_execz .LBB63_103
; %bb.100:
	v_mov_b32_e32 v1, 0
	v_dual_mov_b32 v2, 0 :: v_dual_add_nc_u32 v135, -1, v0
	v_or_b32_e32 v136, 0x200, v3
	v_add_nc_u32_e32 v137, 0, v3
	s_mov_b32 s1, 0
.LBB63_101:                             ; =>This Inner Loop Header: Depth=1
	scratch_load_b64 v[138:139], v137, off
	ds_load_b64 v[140:141], v136
	v_add_nc_u32_e32 v135, 1, v135
	v_add_nc_u32_e32 v136, 8, v136
	v_add_nc_u32_e32 v137, 8, v137
	s_delay_alu instid0(VALU_DEP_3)
	v_cmp_lt_u32_e32 vcc_lo, 21, v135
	s_or_b32 s1, vcc_lo, s1
	s_waitcnt vmcnt(0) lgkmcnt(0)
	v_fma_f64 v[1:2], v[138:139], v[140:141], v[1:2]
	s_and_not1_b32 exec_lo, exec_lo, s1
	s_cbranch_execnz .LBB63_101
; %bb.102:
	s_or_b32 exec_lo, exec_lo, s1
	v_mov_b32_e32 v135, 0
	ds_load_b64 v[135:136], v135 offset:184
	s_waitcnt lgkmcnt(0)
	v_mul_f64 v[1:2], v[1:2], v[135:136]
	scratch_store_b64 off, v[1:2], off offset:184
.LBB63_103:
	s_or_b32 exec_lo, exec_lo, s0
	s_waitcnt_vscnt null, 0x0
	s_barrier
	buffer_gl0_inv
	scratch_load_b64 v[1:2], off, off offset:192
	s_mov_b32 s0, exec_lo
	s_waitcnt vmcnt(0)
	ds_store_b64 v5, v[1:2]
	s_waitcnt lgkmcnt(0)
	s_barrier
	buffer_gl0_inv
	v_cmpx_gt_u32_e32 24, v0
	s_cbranch_execz .LBB63_107
; %bb.104:
	v_mov_b32_e32 v1, 0
	v_dual_mov_b32 v2, 0 :: v_dual_add_nc_u32 v135, -1, v0
	v_or_b32_e32 v136, 0x200, v3
	v_add_nc_u32_e32 v137, 0, v3
	s_mov_b32 s1, 0
.LBB63_105:                             ; =>This Inner Loop Header: Depth=1
	scratch_load_b64 v[138:139], v137, off
	ds_load_b64 v[140:141], v136
	v_add_nc_u32_e32 v135, 1, v135
	v_add_nc_u32_e32 v136, 8, v136
	v_add_nc_u32_e32 v137, 8, v137
	s_delay_alu instid0(VALU_DEP_3)
	v_cmp_lt_u32_e32 vcc_lo, 22, v135
	s_or_b32 s1, vcc_lo, s1
	s_waitcnt vmcnt(0) lgkmcnt(0)
	v_fma_f64 v[1:2], v[138:139], v[140:141], v[1:2]
	s_and_not1_b32 exec_lo, exec_lo, s1
	s_cbranch_execnz .LBB63_105
; %bb.106:
	s_or_b32 exec_lo, exec_lo, s1
	v_mov_b32_e32 v135, 0
	ds_load_b64 v[135:136], v135 offset:192
	s_waitcnt lgkmcnt(0)
	v_mul_f64 v[1:2], v[1:2], v[135:136]
	scratch_store_b64 off, v[1:2], off offset:192
.LBB63_107:
	s_or_b32 exec_lo, exec_lo, s0
	s_waitcnt_vscnt null, 0x0
	s_barrier
	buffer_gl0_inv
	scratch_load_b64 v[1:2], off, off offset:200
	;; [unrolled: 40-line block ×40, first 2 shown]
	s_mov_b32 s0, exec_lo
	s_waitcnt vmcnt(0)
	ds_store_b64 v5, v[1:2]
	s_waitcnt lgkmcnt(0)
	s_barrier
	buffer_gl0_inv
	v_cmpx_ne_u32_e32 63, v0
	s_cbranch_execz .LBB63_263
; %bb.260:
	v_mov_b32_e32 v1, 0
	v_mov_b32_e32 v2, 0
	s_mov_b32 s1, 0
.LBB63_261:                             ; =>This Inner Loop Header: Depth=1
	scratch_load_b64 v[135:136], v4, off
	ds_load_b64 v[137:138], v5
	v_add_nc_u32_e32 v134, 1, v134
	v_add_nc_u32_e32 v5, 8, v5
	v_add_nc_u32_e32 v4, 8, v4
	s_delay_alu instid0(VALU_DEP_3)
	v_cmp_lt_u32_e32 vcc_lo, 61, v134
	s_or_b32 s1, vcc_lo, s1
	s_waitcnt vmcnt(0) lgkmcnt(0)
	v_fma_f64 v[1:2], v[135:136], v[137:138], v[1:2]
	s_and_not1_b32 exec_lo, exec_lo, s1
	s_cbranch_execnz .LBB63_261
; %bb.262:
	s_or_b32 exec_lo, exec_lo, s1
	v_mov_b32_e32 v3, 0
	ds_load_b64 v[3:4], v3 offset:504
	s_waitcnt lgkmcnt(0)
	v_mul_f64 v[1:2], v[1:2], v[3:4]
	scratch_store_b64 off, v[1:2], off offset:504
.LBB63_263:
	s_or_b32 exec_lo, exec_lo, s0
	s_mov_b32 s1, -1
	s_waitcnt_vscnt null, 0x0
	s_barrier
	buffer_gl0_inv
.LBB63_264:
	s_and_b32 vcc_lo, exec_lo, s1
	s_cbranch_vccz .LBB63_266
; %bb.265:
	s_lshl_b64 s[0:1], s[14:15], 2
	v_mov_b32_e32 v1, 0
	s_add_u32 s0, s6, s0
	s_addc_u32 s1, s7, s1
	global_load_b32 v1, v1, s[0:1]
	s_waitcnt vmcnt(0)
	v_cmp_ne_u32_e32 vcc_lo, 0, v1
	s_cbranch_vccz .LBB63_267
.LBB63_266:
	s_endpgm
.LBB63_267:
	v_lshl_or_b32 v5, v0, 3, 0x200
	s_mov_b32 s0, exec_lo
	v_cmpx_eq_u32_e32 63, v0
	s_cbranch_execz .LBB63_269
; %bb.268:
	scratch_load_b64 v[1:2], off, off offset:496
	v_mov_b32_e32 v3, 0
	s_delay_alu instid0(VALU_DEP_1)
	v_mov_b32_e32 v4, v3
	scratch_store_b64 off, v[3:4], off offset:496
	s_waitcnt vmcnt(0)
	ds_store_b64 v5, v[1:2]
.LBB63_269:
	s_or_b32 exec_lo, exec_lo, s0
	s_waitcnt lgkmcnt(0)
	s_waitcnt_vscnt null, 0x0
	s_barrier
	buffer_gl0_inv
	scratch_load_b128 v[134:137], off, off offset:496
	v_mov_b32_e32 v1, 0
	s_mov_b32 s0, exec_lo
	ds_load_b64 v[2:3], v1 offset:1016
	s_waitcnt vmcnt(0) lgkmcnt(0)
	v_fma_f64 v[2:3], v[136:137], v[2:3], 0
	s_delay_alu instid0(VALU_DEP_1)
	v_add_f64 v[2:3], v[134:135], -v[2:3]
	scratch_store_b64 off, v[2:3], off offset:496
	v_cmpx_lt_u32_e32 61, v0
	s_cbranch_execz .LBB63_271
; %bb.270:
	scratch_load_b64 v[3:4], off, off offset:488
	v_mov_b32_e32 v2, v1
	scratch_store_b64 off, v[1:2], off offset:488
	s_waitcnt vmcnt(0)
	ds_store_b64 v5, v[3:4]
.LBB63_271:
	s_or_b32 exec_lo, exec_lo, s0
	s_waitcnt lgkmcnt(0)
	s_waitcnt_vscnt null, 0x0
	s_barrier
	buffer_gl0_inv
	s_clause 0x1
	scratch_load_b128 v[134:137], off, off offset:488
	scratch_load_b64 v[138:139], off, off offset:504
	ds_load_b128 v[1:4], v1 offset:1008
	s_mov_b32 s0, exec_lo
	s_waitcnt vmcnt(1) lgkmcnt(0)
	v_fma_f64 v[1:2], v[136:137], v[1:2], 0
	s_waitcnt vmcnt(0)
	s_delay_alu instid0(VALU_DEP_1) | instskip(NEXT) | instid1(VALU_DEP_1)
	v_fma_f64 v[1:2], v[138:139], v[3:4], v[1:2]
	v_add_f64 v[1:2], v[134:135], -v[1:2]
	scratch_store_b64 off, v[1:2], off offset:488
	v_cmpx_lt_u32_e32 60, v0
	s_cbranch_execz .LBB63_273
; %bb.272:
	scratch_load_b64 v[1:2], off, off offset:480
	v_mov_b32_e32 v3, 0
	s_delay_alu instid0(VALU_DEP_1)
	v_mov_b32_e32 v4, v3
	scratch_store_b64 off, v[3:4], off offset:480
	s_waitcnt vmcnt(0)
	ds_store_b64 v5, v[1:2]
.LBB63_273:
	s_or_b32 exec_lo, exec_lo, s0
	s_waitcnt lgkmcnt(0)
	s_waitcnt_vscnt null, 0x0
	s_barrier
	buffer_gl0_inv
	s_clause 0x1
	scratch_load_b128 v[134:137], off, off offset:480
	scratch_load_b128 v[138:141], off, off offset:496
	v_mov_b32_e32 v1, 0
	s_mov_b32 s0, exec_lo
	ds_load_2addr_b64 v[142:145], v1 offset0:125 offset1:126
	s_waitcnt vmcnt(1) lgkmcnt(0)
	v_fma_f64 v[2:3], v[136:137], v[142:143], 0
	ds_load_b64 v[136:137], v1 offset:1016
	s_waitcnt vmcnt(0)
	v_fma_f64 v[2:3], v[138:139], v[144:145], v[2:3]
	s_waitcnt lgkmcnt(0)
	s_delay_alu instid0(VALU_DEP_1) | instskip(NEXT) | instid1(VALU_DEP_1)
	v_fma_f64 v[2:3], v[140:141], v[136:137], v[2:3]
	v_add_f64 v[2:3], v[134:135], -v[2:3]
	scratch_store_b64 off, v[2:3], off offset:480
	v_cmpx_lt_u32_e32 59, v0
	s_cbranch_execz .LBB63_275
; %bb.274:
	scratch_load_b64 v[3:4], off, off offset:472
	v_mov_b32_e32 v2, v1
	scratch_store_b64 off, v[1:2], off offset:472
	s_waitcnt vmcnt(0)
	ds_store_b64 v5, v[3:4]
.LBB63_275:
	s_or_b32 exec_lo, exec_lo, s0
	s_waitcnt lgkmcnt(0)
	s_waitcnt_vscnt null, 0x0
	s_barrier
	buffer_gl0_inv
	s_clause 0x2
	scratch_load_b128 v[134:137], off, off offset:472
	scratch_load_b128 v[138:141], off, off offset:488
	scratch_load_b64 v[146:147], off, off offset:504
	ds_load_b128 v[142:145], v1 offset:992
	ds_load_b128 v[1:4], v1 offset:1008
	s_mov_b32 s0, exec_lo
	s_waitcnt vmcnt(2) lgkmcnt(1)
	v_fma_f64 v[136:137], v[136:137], v[142:143], 0
	s_waitcnt vmcnt(1)
	s_delay_alu instid0(VALU_DEP_1) | instskip(SKIP_1) | instid1(VALU_DEP_1)
	v_fma_f64 v[136:137], v[138:139], v[144:145], v[136:137]
	s_waitcnt lgkmcnt(0)
	v_fma_f64 v[1:2], v[140:141], v[1:2], v[136:137]
	s_waitcnt vmcnt(0)
	s_delay_alu instid0(VALU_DEP_1) | instskip(NEXT) | instid1(VALU_DEP_1)
	v_fma_f64 v[1:2], v[146:147], v[3:4], v[1:2]
	v_add_f64 v[1:2], v[134:135], -v[1:2]
	scratch_store_b64 off, v[1:2], off offset:472
	v_cmpx_lt_u32_e32 58, v0
	s_cbranch_execz .LBB63_277
; %bb.276:
	scratch_load_b64 v[1:2], off, off offset:464
	v_mov_b32_e32 v3, 0
	s_delay_alu instid0(VALU_DEP_1)
	v_mov_b32_e32 v4, v3
	scratch_store_b64 off, v[3:4], off offset:464
	s_waitcnt vmcnt(0)
	ds_store_b64 v5, v[1:2]
.LBB63_277:
	s_or_b32 exec_lo, exec_lo, s0
	s_waitcnt lgkmcnt(0)
	s_waitcnt_vscnt null, 0x0
	s_barrier
	buffer_gl0_inv
	s_clause 0x2
	scratch_load_b128 v[134:137], off, off offset:464
	scratch_load_b128 v[138:141], off, off offset:480
	;; [unrolled: 1-line block ×3, first 2 shown]
	v_mov_b32_e32 v1, 0
	ds_load_2addr_b64 v[146:149], v1 offset0:123 offset1:124
	ds_load_2addr_b64 v[150:153], v1 offset0:125 offset1:126
	s_mov_b32 s0, exec_lo
	s_waitcnt vmcnt(2) lgkmcnt(1)
	v_fma_f64 v[2:3], v[136:137], v[146:147], 0
	ds_load_b64 v[136:137], v1 offset:1016
	s_waitcnt vmcnt(1)
	v_fma_f64 v[2:3], v[138:139], v[148:149], v[2:3]
	s_waitcnt lgkmcnt(1)
	s_delay_alu instid0(VALU_DEP_1) | instskip(SKIP_1) | instid1(VALU_DEP_1)
	v_fma_f64 v[2:3], v[140:141], v[150:151], v[2:3]
	s_waitcnt vmcnt(0)
	v_fma_f64 v[2:3], v[142:143], v[152:153], v[2:3]
	s_waitcnt lgkmcnt(0)
	s_delay_alu instid0(VALU_DEP_1) | instskip(NEXT) | instid1(VALU_DEP_1)
	v_fma_f64 v[2:3], v[144:145], v[136:137], v[2:3]
	v_add_f64 v[2:3], v[134:135], -v[2:3]
	scratch_store_b64 off, v[2:3], off offset:464
	v_cmpx_lt_u32_e32 57, v0
	s_cbranch_execz .LBB63_279
; %bb.278:
	scratch_load_b64 v[3:4], off, off offset:456
	v_mov_b32_e32 v2, v1
	scratch_store_b64 off, v[1:2], off offset:456
	s_waitcnt vmcnt(0)
	ds_store_b64 v5, v[3:4]
.LBB63_279:
	s_or_b32 exec_lo, exec_lo, s0
	s_waitcnt lgkmcnt(0)
	s_waitcnt_vscnt null, 0x0
	s_barrier
	buffer_gl0_inv
	s_clause 0x3
	scratch_load_b128 v[134:137], off, off offset:456
	scratch_load_b128 v[138:141], off, off offset:472
	;; [unrolled: 1-line block ×3, first 2 shown]
	scratch_load_b64 v[154:155], off, off offset:504
	ds_load_b128 v[146:149], v1 offset:976
	ds_load_b128 v[150:153], v1 offset:992
	s_mov_b32 s0, exec_lo
	s_waitcnt vmcnt(3) lgkmcnt(1)
	v_fma_f64 v[2:3], v[136:137], v[146:147], 0
	s_waitcnt vmcnt(2)
	s_delay_alu instid0(VALU_DEP_1) | instskip(SKIP_1) | instid1(VALU_DEP_1)
	v_fma_f64 v[2:3], v[138:139], v[148:149], v[2:3]
	s_waitcnt lgkmcnt(0)
	v_fma_f64 v[2:3], v[140:141], v[150:151], v[2:3]
	s_waitcnt vmcnt(1)
	s_delay_alu instid0(VALU_DEP_1) | instskip(SKIP_4) | instid1(VALU_DEP_1)
	v_fma_f64 v[136:137], v[142:143], v[152:153], v[2:3]
	ds_load_b128 v[1:4], v1 offset:1008
	s_waitcnt lgkmcnt(0)
	v_fma_f64 v[1:2], v[144:145], v[1:2], v[136:137]
	s_waitcnt vmcnt(0)
	v_fma_f64 v[1:2], v[154:155], v[3:4], v[1:2]
	s_delay_alu instid0(VALU_DEP_1)
	v_add_f64 v[1:2], v[134:135], -v[1:2]
	scratch_store_b64 off, v[1:2], off offset:456
	v_cmpx_lt_u32_e32 56, v0
	s_cbranch_execz .LBB63_281
; %bb.280:
	scratch_load_b64 v[1:2], off, off offset:448
	v_mov_b32_e32 v3, 0
	s_delay_alu instid0(VALU_DEP_1)
	v_mov_b32_e32 v4, v3
	scratch_store_b64 off, v[3:4], off offset:448
	s_waitcnt vmcnt(0)
	ds_store_b64 v5, v[1:2]
.LBB63_281:
	s_or_b32 exec_lo, exec_lo, s0
	s_waitcnt lgkmcnt(0)
	s_waitcnt_vscnt null, 0x0
	s_barrier
	buffer_gl0_inv
	s_clause 0x3
	scratch_load_b128 v[134:137], off, off offset:448
	scratch_load_b128 v[138:141], off, off offset:464
	;; [unrolled: 1-line block ×4, first 2 shown]
	v_mov_b32_e32 v1, 0
	ds_load_2addr_b64 v[150:153], v1 offset0:121 offset1:122
	ds_load_2addr_b64 v[154:157], v1 offset0:123 offset1:124
	s_mov_b32 s0, exec_lo
	s_waitcnt vmcnt(3) lgkmcnt(1)
	v_fma_f64 v[2:3], v[136:137], v[150:151], 0
	s_waitcnt vmcnt(2)
	s_delay_alu instid0(VALU_DEP_1) | instskip(SKIP_1) | instid1(VALU_DEP_1)
	v_fma_f64 v[2:3], v[138:139], v[152:153], v[2:3]
	s_waitcnt lgkmcnt(0)
	v_fma_f64 v[2:3], v[140:141], v[154:155], v[2:3]
	ds_load_2addr_b64 v[136:139], v1 offset0:125 offset1:126
	ds_load_b64 v[140:141], v1 offset:1016
	s_waitcnt vmcnt(1)
	v_fma_f64 v[2:3], v[142:143], v[156:157], v[2:3]
	s_waitcnt lgkmcnt(1)
	s_delay_alu instid0(VALU_DEP_1) | instskip(SKIP_1) | instid1(VALU_DEP_1)
	v_fma_f64 v[2:3], v[144:145], v[136:137], v[2:3]
	s_waitcnt vmcnt(0)
	v_fma_f64 v[2:3], v[146:147], v[138:139], v[2:3]
	s_waitcnt lgkmcnt(0)
	s_delay_alu instid0(VALU_DEP_1) | instskip(NEXT) | instid1(VALU_DEP_1)
	v_fma_f64 v[2:3], v[148:149], v[140:141], v[2:3]
	v_add_f64 v[2:3], v[134:135], -v[2:3]
	scratch_store_b64 off, v[2:3], off offset:448
	v_cmpx_lt_u32_e32 55, v0
	s_cbranch_execz .LBB63_283
; %bb.282:
	scratch_load_b64 v[3:4], off, off offset:440
	v_mov_b32_e32 v2, v1
	scratch_store_b64 off, v[1:2], off offset:440
	s_waitcnt vmcnt(0)
	ds_store_b64 v5, v[3:4]
.LBB63_283:
	s_or_b32 exec_lo, exec_lo, s0
	s_waitcnt lgkmcnt(0)
	s_waitcnt_vscnt null, 0x0
	s_barrier
	buffer_gl0_inv
	s_clause 0x4
	scratch_load_b128 v[134:137], off, off offset:440
	scratch_load_b128 v[138:141], off, off offset:456
	scratch_load_b128 v[142:145], off, off offset:472
	scratch_load_b128 v[146:149], off, off offset:488
	scratch_load_b64 v[158:159], off, off offset:504
	ds_load_b128 v[150:153], v1 offset:960
	ds_load_b128 v[154:157], v1 offset:976
	s_mov_b32 s0, exec_lo
	s_waitcnt vmcnt(4) lgkmcnt(1)
	v_fma_f64 v[2:3], v[136:137], v[150:151], 0
	s_waitcnt vmcnt(3)
	s_delay_alu instid0(VALU_DEP_1) | instskip(SKIP_1) | instid1(VALU_DEP_1)
	v_fma_f64 v[2:3], v[138:139], v[152:153], v[2:3]
	s_waitcnt lgkmcnt(0)
	v_fma_f64 v[2:3], v[140:141], v[154:155], v[2:3]
	s_waitcnt vmcnt(2)
	s_delay_alu instid0(VALU_DEP_1)
	v_fma_f64 v[140:141], v[142:143], v[156:157], v[2:3]
	ds_load_b128 v[136:139], v1 offset:992
	ds_load_b128 v[1:4], v1 offset:1008
	s_waitcnt lgkmcnt(1)
	v_fma_f64 v[136:137], v[144:145], v[136:137], v[140:141]
	s_waitcnt vmcnt(1)
	s_delay_alu instid0(VALU_DEP_1) | instskip(SKIP_1) | instid1(VALU_DEP_1)
	v_fma_f64 v[136:137], v[146:147], v[138:139], v[136:137]
	s_waitcnt lgkmcnt(0)
	v_fma_f64 v[1:2], v[148:149], v[1:2], v[136:137]
	s_waitcnt vmcnt(0)
	s_delay_alu instid0(VALU_DEP_1) | instskip(NEXT) | instid1(VALU_DEP_1)
	v_fma_f64 v[1:2], v[158:159], v[3:4], v[1:2]
	v_add_f64 v[1:2], v[134:135], -v[1:2]
	scratch_store_b64 off, v[1:2], off offset:440
	v_cmpx_lt_u32_e32 54, v0
	s_cbranch_execz .LBB63_285
; %bb.284:
	scratch_load_b64 v[1:2], off, off offset:432
	v_mov_b32_e32 v3, 0
	s_delay_alu instid0(VALU_DEP_1)
	v_mov_b32_e32 v4, v3
	scratch_store_b64 off, v[3:4], off offset:432
	s_waitcnt vmcnt(0)
	ds_store_b64 v5, v[1:2]
.LBB63_285:
	s_or_b32 exec_lo, exec_lo, s0
	s_waitcnt lgkmcnt(0)
	s_waitcnt_vscnt null, 0x0
	s_barrier
	buffer_gl0_inv
	s_clause 0x4
	scratch_load_b128 v[134:137], off, off offset:432
	scratch_load_b128 v[138:141], off, off offset:448
	;; [unrolled: 1-line block ×5, first 2 shown]
	v_mov_b32_e32 v1, 0
	ds_load_2addr_b64 v[154:157], v1 offset0:119 offset1:120
	ds_load_2addr_b64 v[158:161], v1 offset0:121 offset1:122
	s_mov_b32 s0, exec_lo
	s_waitcnt vmcnt(4) lgkmcnt(1)
	v_fma_f64 v[2:3], v[136:137], v[154:155], 0
	s_waitcnt vmcnt(3)
	s_delay_alu instid0(VALU_DEP_1) | instskip(SKIP_1) | instid1(VALU_DEP_1)
	v_fma_f64 v[2:3], v[138:139], v[156:157], v[2:3]
	s_waitcnt lgkmcnt(0)
	v_fma_f64 v[2:3], v[140:141], v[158:159], v[2:3]
	s_waitcnt vmcnt(2)
	s_delay_alu instid0(VALU_DEP_1)
	v_fma_f64 v[2:3], v[142:143], v[160:161], v[2:3]
	ds_load_2addr_b64 v[136:139], v1 offset0:123 offset1:124
	ds_load_2addr_b64 v[140:143], v1 offset0:125 offset1:126
	s_waitcnt lgkmcnt(1)
	v_fma_f64 v[2:3], v[144:145], v[136:137], v[2:3]
	ds_load_b64 v[136:137], v1 offset:1016
	s_waitcnt vmcnt(1)
	v_fma_f64 v[2:3], v[146:147], v[138:139], v[2:3]
	s_waitcnt lgkmcnt(1)
	s_delay_alu instid0(VALU_DEP_1) | instskip(SKIP_1) | instid1(VALU_DEP_1)
	v_fma_f64 v[2:3], v[148:149], v[140:141], v[2:3]
	s_waitcnt vmcnt(0)
	v_fma_f64 v[2:3], v[150:151], v[142:143], v[2:3]
	s_waitcnt lgkmcnt(0)
	s_delay_alu instid0(VALU_DEP_1) | instskip(NEXT) | instid1(VALU_DEP_1)
	v_fma_f64 v[2:3], v[152:153], v[136:137], v[2:3]
	v_add_f64 v[2:3], v[134:135], -v[2:3]
	scratch_store_b64 off, v[2:3], off offset:432
	v_cmpx_lt_u32_e32 53, v0
	s_cbranch_execz .LBB63_287
; %bb.286:
	scratch_load_b64 v[3:4], off, off offset:424
	v_mov_b32_e32 v2, v1
	scratch_store_b64 off, v[1:2], off offset:424
	s_waitcnt vmcnt(0)
	ds_store_b64 v5, v[3:4]
.LBB63_287:
	s_or_b32 exec_lo, exec_lo, s0
	s_waitcnt lgkmcnt(0)
	s_waitcnt_vscnt null, 0x0
	s_barrier
	buffer_gl0_inv
	s_clause 0x4
	scratch_load_b128 v[134:137], off, off offset:424
	scratch_load_b128 v[138:141], off, off offset:440
	;; [unrolled: 1-line block ×5, first 2 shown]
	ds_load_b128 v[154:157], v1 offset:944
	ds_load_b128 v[158:161], v1 offset:960
	s_mov_b32 s0, exec_lo
	s_waitcnt vmcnt(4) lgkmcnt(1)
	v_fma_f64 v[2:3], v[136:137], v[154:155], 0
	scratch_load_b64 v[154:155], off, off offset:504
	s_waitcnt vmcnt(4)
	v_fma_f64 v[2:3], v[138:139], v[156:157], v[2:3]
	s_waitcnt lgkmcnt(0)
	s_delay_alu instid0(VALU_DEP_1) | instskip(SKIP_1) | instid1(VALU_DEP_1)
	v_fma_f64 v[2:3], v[140:141], v[158:159], v[2:3]
	s_waitcnt vmcnt(3)
	v_fma_f64 v[2:3], v[142:143], v[160:161], v[2:3]
	ds_load_b128 v[136:139], v1 offset:976
	ds_load_b128 v[140:143], v1 offset:992
	s_waitcnt lgkmcnt(1)
	v_fma_f64 v[2:3], v[144:145], v[136:137], v[2:3]
	s_waitcnt vmcnt(2)
	s_delay_alu instid0(VALU_DEP_1) | instskip(SKIP_1) | instid1(VALU_DEP_1)
	v_fma_f64 v[2:3], v[146:147], v[138:139], v[2:3]
	s_waitcnt lgkmcnt(0)
	v_fma_f64 v[2:3], v[148:149], v[140:141], v[2:3]
	s_waitcnt vmcnt(1)
	s_delay_alu instid0(VALU_DEP_1) | instskip(SKIP_4) | instid1(VALU_DEP_1)
	v_fma_f64 v[136:137], v[150:151], v[142:143], v[2:3]
	ds_load_b128 v[1:4], v1 offset:1008
	s_waitcnt lgkmcnt(0)
	v_fma_f64 v[1:2], v[152:153], v[1:2], v[136:137]
	s_waitcnt vmcnt(0)
	v_fma_f64 v[1:2], v[154:155], v[3:4], v[1:2]
	s_delay_alu instid0(VALU_DEP_1)
	v_add_f64 v[1:2], v[134:135], -v[1:2]
	scratch_store_b64 off, v[1:2], off offset:424
	v_cmpx_lt_u32_e32 52, v0
	s_cbranch_execz .LBB63_289
; %bb.288:
	scratch_load_b64 v[1:2], off, off offset:416
	v_mov_b32_e32 v3, 0
	s_delay_alu instid0(VALU_DEP_1)
	v_mov_b32_e32 v4, v3
	scratch_store_b64 off, v[3:4], off offset:416
	s_waitcnt vmcnt(0)
	ds_store_b64 v5, v[1:2]
.LBB63_289:
	s_or_b32 exec_lo, exec_lo, s0
	s_waitcnt lgkmcnt(0)
	s_waitcnt_vscnt null, 0x0
	s_barrier
	buffer_gl0_inv
	s_clause 0x4
	scratch_load_b128 v[134:137], off, off offset:416
	scratch_load_b128 v[138:141], off, off offset:432
	;; [unrolled: 1-line block ×5, first 2 shown]
	v_mov_b32_e32 v1, 0
	ds_load_2addr_b64 v[154:157], v1 offset0:117 offset1:118
	ds_load_2addr_b64 v[158:161], v1 offset0:119 offset1:120
	scratch_load_b128 v[162:165], off, off offset:496
	s_mov_b32 s0, exec_lo
	s_waitcnt vmcnt(5) lgkmcnt(1)
	v_fma_f64 v[2:3], v[136:137], v[154:155], 0
	s_waitcnt vmcnt(4)
	s_delay_alu instid0(VALU_DEP_1) | instskip(SKIP_1) | instid1(VALU_DEP_1)
	v_fma_f64 v[2:3], v[138:139], v[156:157], v[2:3]
	s_waitcnt lgkmcnt(0)
	v_fma_f64 v[2:3], v[140:141], v[158:159], v[2:3]
	s_waitcnt vmcnt(3)
	s_delay_alu instid0(VALU_DEP_1)
	v_fma_f64 v[2:3], v[142:143], v[160:161], v[2:3]
	ds_load_2addr_b64 v[136:139], v1 offset0:121 offset1:122
	ds_load_2addr_b64 v[140:143], v1 offset0:123 offset1:124
	s_waitcnt lgkmcnt(1)
	v_fma_f64 v[2:3], v[144:145], v[136:137], v[2:3]
	s_waitcnt vmcnt(2)
	s_delay_alu instid0(VALU_DEP_1) | instskip(SKIP_1) | instid1(VALU_DEP_1)
	v_fma_f64 v[2:3], v[146:147], v[138:139], v[2:3]
	s_waitcnt lgkmcnt(0)
	v_fma_f64 v[2:3], v[148:149], v[140:141], v[2:3]
	ds_load_2addr_b64 v[136:139], v1 offset0:125 offset1:126
	ds_load_b64 v[140:141], v1 offset:1016
	s_waitcnt vmcnt(1)
	v_fma_f64 v[2:3], v[150:151], v[142:143], v[2:3]
	s_waitcnt lgkmcnt(1)
	s_delay_alu instid0(VALU_DEP_1) | instskip(SKIP_1) | instid1(VALU_DEP_1)
	v_fma_f64 v[2:3], v[152:153], v[136:137], v[2:3]
	s_waitcnt vmcnt(0)
	v_fma_f64 v[2:3], v[162:163], v[138:139], v[2:3]
	s_waitcnt lgkmcnt(0)
	s_delay_alu instid0(VALU_DEP_1) | instskip(NEXT) | instid1(VALU_DEP_1)
	v_fma_f64 v[2:3], v[164:165], v[140:141], v[2:3]
	v_add_f64 v[2:3], v[134:135], -v[2:3]
	scratch_store_b64 off, v[2:3], off offset:416
	v_cmpx_lt_u32_e32 51, v0
	s_cbranch_execz .LBB63_291
; %bb.290:
	scratch_load_b64 v[3:4], off, off offset:408
	v_mov_b32_e32 v2, v1
	scratch_store_b64 off, v[1:2], off offset:408
	s_waitcnt vmcnt(0)
	ds_store_b64 v5, v[3:4]
.LBB63_291:
	s_or_b32 exec_lo, exec_lo, s0
	s_waitcnt lgkmcnt(0)
	s_waitcnt_vscnt null, 0x0
	s_barrier
	buffer_gl0_inv
	s_clause 0x4
	scratch_load_b128 v[134:137], off, off offset:408
	scratch_load_b128 v[138:141], off, off offset:424
	;; [unrolled: 1-line block ×5, first 2 shown]
	ds_load_b128 v[154:157], v1 offset:928
	ds_load_b128 v[158:161], v1 offset:944
	scratch_load_b128 v[162:165], off, off offset:488
	s_mov_b32 s0, exec_lo
	s_waitcnt vmcnt(5) lgkmcnt(1)
	v_fma_f64 v[2:3], v[136:137], v[154:155], 0
	scratch_load_b64 v[154:155], off, off offset:504
	s_waitcnt vmcnt(5)
	v_fma_f64 v[2:3], v[138:139], v[156:157], v[2:3]
	s_waitcnt lgkmcnt(0)
	s_delay_alu instid0(VALU_DEP_1) | instskip(SKIP_1) | instid1(VALU_DEP_1)
	v_fma_f64 v[2:3], v[140:141], v[158:159], v[2:3]
	s_waitcnt vmcnt(4)
	v_fma_f64 v[2:3], v[142:143], v[160:161], v[2:3]
	ds_load_b128 v[136:139], v1 offset:960
	ds_load_b128 v[140:143], v1 offset:976
	s_waitcnt lgkmcnt(1)
	v_fma_f64 v[2:3], v[144:145], v[136:137], v[2:3]
	s_waitcnt vmcnt(3)
	s_delay_alu instid0(VALU_DEP_1) | instskip(SKIP_1) | instid1(VALU_DEP_1)
	v_fma_f64 v[2:3], v[146:147], v[138:139], v[2:3]
	s_waitcnt lgkmcnt(0)
	v_fma_f64 v[2:3], v[148:149], v[140:141], v[2:3]
	s_waitcnt vmcnt(2)
	s_delay_alu instid0(VALU_DEP_1)
	v_fma_f64 v[140:141], v[150:151], v[142:143], v[2:3]
	ds_load_b128 v[136:139], v1 offset:992
	ds_load_b128 v[1:4], v1 offset:1008
	s_waitcnt lgkmcnt(1)
	v_fma_f64 v[136:137], v[152:153], v[136:137], v[140:141]
	s_waitcnt vmcnt(1)
	s_delay_alu instid0(VALU_DEP_1) | instskip(SKIP_1) | instid1(VALU_DEP_1)
	v_fma_f64 v[136:137], v[162:163], v[138:139], v[136:137]
	s_waitcnt lgkmcnt(0)
	v_fma_f64 v[1:2], v[164:165], v[1:2], v[136:137]
	s_waitcnt vmcnt(0)
	s_delay_alu instid0(VALU_DEP_1) | instskip(NEXT) | instid1(VALU_DEP_1)
	v_fma_f64 v[1:2], v[154:155], v[3:4], v[1:2]
	v_add_f64 v[1:2], v[134:135], -v[1:2]
	scratch_store_b64 off, v[1:2], off offset:408
	v_cmpx_lt_u32_e32 50, v0
	s_cbranch_execz .LBB63_293
; %bb.292:
	scratch_load_b64 v[1:2], off, off offset:400
	v_mov_b32_e32 v3, 0
	s_delay_alu instid0(VALU_DEP_1)
	v_mov_b32_e32 v4, v3
	scratch_store_b64 off, v[3:4], off offset:400
	s_waitcnt vmcnt(0)
	ds_store_b64 v5, v[1:2]
.LBB63_293:
	s_or_b32 exec_lo, exec_lo, s0
	s_waitcnt lgkmcnt(0)
	s_waitcnt_vscnt null, 0x0
	s_barrier
	buffer_gl0_inv
	s_clause 0x4
	scratch_load_b128 v[134:137], off, off offset:400
	scratch_load_b128 v[138:141], off, off offset:416
	;; [unrolled: 1-line block ×5, first 2 shown]
	v_mov_b32_e32 v1, 0
	ds_load_2addr_b64 v[154:157], v1 offset0:115 offset1:116
	ds_load_2addr_b64 v[158:161], v1 offset0:117 offset1:118
	scratch_load_b128 v[162:165], off, off offset:480
	s_mov_b32 s0, exec_lo
	s_waitcnt vmcnt(5) lgkmcnt(1)
	v_fma_f64 v[2:3], v[136:137], v[154:155], 0
	s_waitcnt vmcnt(4)
	s_delay_alu instid0(VALU_DEP_1) | instskip(SKIP_4) | instid1(VALU_DEP_1)
	v_fma_f64 v[2:3], v[138:139], v[156:157], v[2:3]
	scratch_load_b128 v[136:139], off, off offset:496
	s_waitcnt lgkmcnt(0)
	v_fma_f64 v[2:3], v[140:141], v[158:159], v[2:3]
	s_waitcnt vmcnt(4)
	v_fma_f64 v[2:3], v[142:143], v[160:161], v[2:3]
	ds_load_2addr_b64 v[140:143], v1 offset0:119 offset1:120
	ds_load_2addr_b64 v[154:157], v1 offset0:121 offset1:122
	s_waitcnt lgkmcnt(1)
	v_fma_f64 v[2:3], v[144:145], v[140:141], v[2:3]
	s_waitcnt vmcnt(3)
	s_delay_alu instid0(VALU_DEP_1)
	v_fma_f64 v[2:3], v[146:147], v[142:143], v[2:3]
	ds_load_2addr_b64 v[140:143], v1 offset0:123 offset1:124
	ds_load_2addr_b64 v[144:147], v1 offset0:125 offset1:126
	s_waitcnt lgkmcnt(2)
	v_fma_f64 v[2:3], v[148:149], v[154:155], v[2:3]
	s_waitcnt vmcnt(2)
	s_delay_alu instid0(VALU_DEP_1) | instskip(SKIP_1) | instid1(VALU_DEP_1)
	v_fma_f64 v[2:3], v[150:151], v[156:157], v[2:3]
	s_waitcnt lgkmcnt(1)
	v_fma_f64 v[2:3], v[152:153], v[140:141], v[2:3]
	s_waitcnt vmcnt(1)
	s_delay_alu instid0(VALU_DEP_1) | instskip(SKIP_1) | instid1(VALU_DEP_1)
	v_fma_f64 v[2:3], v[162:163], v[142:143], v[2:3]
	s_waitcnt lgkmcnt(0)
	v_fma_f64 v[2:3], v[164:165], v[144:145], v[2:3]
	s_waitcnt vmcnt(0)
	s_delay_alu instid0(VALU_DEP_1) | instskip(SKIP_3) | instid1(VALU_DEP_1)
	v_fma_f64 v[2:3], v[136:137], v[146:147], v[2:3]
	ds_load_b64 v[136:137], v1 offset:1016
	s_waitcnt lgkmcnt(0)
	v_fma_f64 v[2:3], v[138:139], v[136:137], v[2:3]
	v_add_f64 v[2:3], v[134:135], -v[2:3]
	scratch_store_b64 off, v[2:3], off offset:400
	v_cmpx_lt_u32_e32 49, v0
	s_cbranch_execz .LBB63_295
; %bb.294:
	scratch_load_b64 v[3:4], off, off offset:392
	v_mov_b32_e32 v2, v1
	scratch_store_b64 off, v[1:2], off offset:392
	s_waitcnt vmcnt(0)
	ds_store_b64 v5, v[3:4]
.LBB63_295:
	s_or_b32 exec_lo, exec_lo, s0
	s_waitcnt lgkmcnt(0)
	s_waitcnt_vscnt null, 0x0
	s_barrier
	buffer_gl0_inv
	s_clause 0x4
	scratch_load_b128 v[134:137], off, off offset:392
	scratch_load_b128 v[138:141], off, off offset:408
	;; [unrolled: 1-line block ×5, first 2 shown]
	ds_load_b128 v[154:157], v1 offset:912
	ds_load_b128 v[158:161], v1 offset:928
	scratch_load_b128 v[162:165], off, off offset:472
	s_mov_b32 s0, exec_lo
	s_waitcnt vmcnt(5) lgkmcnt(1)
	v_fma_f64 v[2:3], v[136:137], v[154:155], 0
	s_waitcnt vmcnt(4)
	s_delay_alu instid0(VALU_DEP_1) | instskip(SKIP_4) | instid1(VALU_DEP_1)
	v_fma_f64 v[2:3], v[138:139], v[156:157], v[2:3]
	scratch_load_b128 v[136:139], off, off offset:488
	s_waitcnt lgkmcnt(0)
	v_fma_f64 v[2:3], v[140:141], v[158:159], v[2:3]
	s_waitcnt vmcnt(4)
	v_fma_f64 v[2:3], v[142:143], v[160:161], v[2:3]
	ds_load_b128 v[140:143], v1 offset:944
	ds_load_b128 v[154:157], v1 offset:960
	scratch_load_b64 v[158:159], off, off offset:504
	s_waitcnt lgkmcnt(1)
	v_fma_f64 v[2:3], v[144:145], v[140:141], v[2:3]
	s_waitcnt vmcnt(4)
	s_delay_alu instid0(VALU_DEP_1)
	v_fma_f64 v[2:3], v[146:147], v[142:143], v[2:3]
	ds_load_b128 v[140:143], v1 offset:976
	ds_load_b128 v[144:147], v1 offset:992
	s_waitcnt lgkmcnt(2)
	v_fma_f64 v[2:3], v[148:149], v[154:155], v[2:3]
	s_waitcnt vmcnt(3)
	s_delay_alu instid0(VALU_DEP_1) | instskip(SKIP_1) | instid1(VALU_DEP_1)
	v_fma_f64 v[2:3], v[150:151], v[156:157], v[2:3]
	s_waitcnt lgkmcnt(1)
	v_fma_f64 v[2:3], v[152:153], v[140:141], v[2:3]
	s_waitcnt vmcnt(2)
	s_delay_alu instid0(VALU_DEP_1) | instskip(SKIP_1) | instid1(VALU_DEP_1)
	v_fma_f64 v[2:3], v[162:163], v[142:143], v[2:3]
	s_waitcnt lgkmcnt(0)
	v_fma_f64 v[2:3], v[164:165], v[144:145], v[2:3]
	s_waitcnt vmcnt(1)
	s_delay_alu instid0(VALU_DEP_1) | instskip(SKIP_4) | instid1(VALU_DEP_1)
	v_fma_f64 v[136:137], v[136:137], v[146:147], v[2:3]
	ds_load_b128 v[1:4], v1 offset:1008
	s_waitcnt lgkmcnt(0)
	v_fma_f64 v[1:2], v[138:139], v[1:2], v[136:137]
	s_waitcnt vmcnt(0)
	v_fma_f64 v[1:2], v[158:159], v[3:4], v[1:2]
	s_delay_alu instid0(VALU_DEP_1)
	v_add_f64 v[1:2], v[134:135], -v[1:2]
	scratch_store_b64 off, v[1:2], off offset:392
	v_cmpx_lt_u32_e32 48, v0
	s_cbranch_execz .LBB63_297
; %bb.296:
	scratch_load_b64 v[1:2], off, off offset:384
	v_mov_b32_e32 v3, 0
	s_delay_alu instid0(VALU_DEP_1)
	v_mov_b32_e32 v4, v3
	scratch_store_b64 off, v[3:4], off offset:384
	s_waitcnt vmcnt(0)
	ds_store_b64 v5, v[1:2]
.LBB63_297:
	s_or_b32 exec_lo, exec_lo, s0
	s_waitcnt lgkmcnt(0)
	s_waitcnt_vscnt null, 0x0
	s_barrier
	buffer_gl0_inv
	s_clause 0x4
	scratch_load_b128 v[134:137], off, off offset:384
	scratch_load_b128 v[138:141], off, off offset:400
	;; [unrolled: 1-line block ×5, first 2 shown]
	v_mov_b32_e32 v1, 0
	ds_load_2addr_b64 v[154:157], v1 offset0:113 offset1:114
	ds_load_2addr_b64 v[158:161], v1 offset0:115 offset1:116
	scratch_load_b128 v[162:165], off, off offset:464
	s_mov_b32 s0, exec_lo
	s_waitcnt vmcnt(5) lgkmcnt(1)
	v_fma_f64 v[2:3], v[136:137], v[154:155], 0
	s_waitcnt vmcnt(4)
	s_delay_alu instid0(VALU_DEP_1) | instskip(SKIP_4) | instid1(VALU_DEP_1)
	v_fma_f64 v[2:3], v[138:139], v[156:157], v[2:3]
	scratch_load_b128 v[136:139], off, off offset:480
	s_waitcnt lgkmcnt(0)
	v_fma_f64 v[2:3], v[140:141], v[158:159], v[2:3]
	s_waitcnt vmcnt(4)
	v_fma_f64 v[2:3], v[142:143], v[160:161], v[2:3]
	ds_load_2addr_b64 v[140:143], v1 offset0:117 offset1:118
	ds_load_2addr_b64 v[154:157], v1 offset0:119 offset1:120
	scratch_load_b128 v[158:161], off, off offset:496
	s_waitcnt lgkmcnt(1)
	v_fma_f64 v[2:3], v[144:145], v[140:141], v[2:3]
	s_waitcnt vmcnt(4)
	s_delay_alu instid0(VALU_DEP_1)
	v_fma_f64 v[2:3], v[146:147], v[142:143], v[2:3]
	ds_load_2addr_b64 v[140:143], v1 offset0:121 offset1:122
	ds_load_2addr_b64 v[144:147], v1 offset0:123 offset1:124
	s_waitcnt lgkmcnt(2)
	v_fma_f64 v[2:3], v[148:149], v[154:155], v[2:3]
	s_waitcnt vmcnt(3)
	s_delay_alu instid0(VALU_DEP_1) | instskip(SKIP_1) | instid1(VALU_DEP_1)
	v_fma_f64 v[2:3], v[150:151], v[156:157], v[2:3]
	s_waitcnt lgkmcnt(1)
	v_fma_f64 v[2:3], v[152:153], v[140:141], v[2:3]
	s_waitcnt vmcnt(2)
	s_delay_alu instid0(VALU_DEP_1) | instskip(SKIP_1) | instid1(VALU_DEP_1)
	v_fma_f64 v[2:3], v[162:163], v[142:143], v[2:3]
	s_waitcnt lgkmcnt(0)
	v_fma_f64 v[2:3], v[164:165], v[144:145], v[2:3]
	s_waitcnt vmcnt(1)
	s_delay_alu instid0(VALU_DEP_1)
	v_fma_f64 v[2:3], v[136:137], v[146:147], v[2:3]
	ds_load_2addr_b64 v[140:143], v1 offset0:125 offset1:126
	ds_load_b64 v[136:137], v1 offset:1016
	s_waitcnt lgkmcnt(1)
	v_fma_f64 v[2:3], v[138:139], v[140:141], v[2:3]
	s_waitcnt vmcnt(0)
	s_delay_alu instid0(VALU_DEP_1) | instskip(SKIP_1) | instid1(VALU_DEP_1)
	v_fma_f64 v[2:3], v[158:159], v[142:143], v[2:3]
	s_waitcnt lgkmcnt(0)
	v_fma_f64 v[2:3], v[160:161], v[136:137], v[2:3]
	s_delay_alu instid0(VALU_DEP_1)
	v_add_f64 v[2:3], v[134:135], -v[2:3]
	scratch_store_b64 off, v[2:3], off offset:384
	v_cmpx_lt_u32_e32 47, v0
	s_cbranch_execz .LBB63_299
; %bb.298:
	scratch_load_b64 v[3:4], off, off offset:376
	v_mov_b32_e32 v2, v1
	scratch_store_b64 off, v[1:2], off offset:376
	s_waitcnt vmcnt(0)
	ds_store_b64 v5, v[3:4]
.LBB63_299:
	s_or_b32 exec_lo, exec_lo, s0
	s_waitcnt lgkmcnt(0)
	s_waitcnt_vscnt null, 0x0
	s_barrier
	buffer_gl0_inv
	s_clause 0x4
	scratch_load_b128 v[134:137], off, off offset:376
	scratch_load_b128 v[138:141], off, off offset:392
	;; [unrolled: 1-line block ×5, first 2 shown]
	ds_load_b128 v[154:157], v1 offset:896
	ds_load_b128 v[158:161], v1 offset:912
	scratch_load_b128 v[162:165], off, off offset:456
	s_mov_b32 s0, exec_lo
	s_waitcnt vmcnt(5) lgkmcnt(1)
	v_fma_f64 v[2:3], v[136:137], v[154:155], 0
	s_waitcnt vmcnt(4)
	s_delay_alu instid0(VALU_DEP_1) | instskip(SKIP_4) | instid1(VALU_DEP_1)
	v_fma_f64 v[2:3], v[138:139], v[156:157], v[2:3]
	scratch_load_b128 v[136:139], off, off offset:472
	s_waitcnt lgkmcnt(0)
	v_fma_f64 v[2:3], v[140:141], v[158:159], v[2:3]
	s_waitcnt vmcnt(4)
	v_fma_f64 v[2:3], v[142:143], v[160:161], v[2:3]
	ds_load_b128 v[140:143], v1 offset:928
	ds_load_b128 v[154:157], v1 offset:944
	scratch_load_b128 v[158:161], off, off offset:488
	s_waitcnt lgkmcnt(1)
	v_fma_f64 v[2:3], v[144:145], v[140:141], v[2:3]
	s_waitcnt vmcnt(4)
	s_delay_alu instid0(VALU_DEP_1) | instskip(SKIP_1) | instid1(VALU_DEP_1)
	v_fma_f64 v[2:3], v[146:147], v[142:143], v[2:3]
	s_waitcnt lgkmcnt(0)
	v_fma_f64 v[2:3], v[148:149], v[154:155], v[2:3]
	scratch_load_b64 v[148:149], off, off offset:504
	ds_load_b128 v[140:143], v1 offset:960
	ds_load_b128 v[144:147], v1 offset:976
	s_waitcnt vmcnt(4)
	v_fma_f64 v[2:3], v[150:151], v[156:157], v[2:3]
	s_waitcnt lgkmcnt(1)
	s_delay_alu instid0(VALU_DEP_1) | instskip(SKIP_1) | instid1(VALU_DEP_1)
	v_fma_f64 v[2:3], v[152:153], v[140:141], v[2:3]
	s_waitcnt vmcnt(3)
	v_fma_f64 v[2:3], v[162:163], v[142:143], v[2:3]
	s_waitcnt lgkmcnt(0)
	s_delay_alu instid0(VALU_DEP_1) | instskip(SKIP_1) | instid1(VALU_DEP_1)
	v_fma_f64 v[2:3], v[164:165], v[144:145], v[2:3]
	s_waitcnt vmcnt(2)
	v_fma_f64 v[136:137], v[136:137], v[146:147], v[2:3]
	ds_load_b128 v[140:143], v1 offset:992
	ds_load_b128 v[1:4], v1 offset:1008
	s_waitcnt lgkmcnt(1)
	v_fma_f64 v[136:137], v[138:139], v[140:141], v[136:137]
	s_waitcnt vmcnt(1)
	s_delay_alu instid0(VALU_DEP_1) | instskip(SKIP_1) | instid1(VALU_DEP_1)
	v_fma_f64 v[136:137], v[158:159], v[142:143], v[136:137]
	s_waitcnt lgkmcnt(0)
	v_fma_f64 v[1:2], v[160:161], v[1:2], v[136:137]
	s_waitcnt vmcnt(0)
	s_delay_alu instid0(VALU_DEP_1) | instskip(NEXT) | instid1(VALU_DEP_1)
	v_fma_f64 v[1:2], v[148:149], v[3:4], v[1:2]
	v_add_f64 v[1:2], v[134:135], -v[1:2]
	scratch_store_b64 off, v[1:2], off offset:376
	v_cmpx_lt_u32_e32 46, v0
	s_cbranch_execz .LBB63_301
; %bb.300:
	scratch_load_b64 v[1:2], off, off offset:368
	v_mov_b32_e32 v3, 0
	s_delay_alu instid0(VALU_DEP_1)
	v_mov_b32_e32 v4, v3
	scratch_store_b64 off, v[3:4], off offset:368
	s_waitcnt vmcnt(0)
	ds_store_b64 v5, v[1:2]
.LBB63_301:
	s_or_b32 exec_lo, exec_lo, s0
	s_waitcnt lgkmcnt(0)
	s_waitcnt_vscnt null, 0x0
	s_barrier
	buffer_gl0_inv
	s_clause 0x4
	scratch_load_b128 v[134:137], off, off offset:368
	scratch_load_b128 v[138:141], off, off offset:384
	;; [unrolled: 1-line block ×5, first 2 shown]
	v_mov_b32_e32 v1, 0
	ds_load_2addr_b64 v[154:157], v1 offset0:111 offset1:112
	ds_load_2addr_b64 v[158:161], v1 offset0:113 offset1:114
	scratch_load_b128 v[162:165], off, off offset:448
	s_mov_b32 s0, exec_lo
	s_waitcnt vmcnt(5) lgkmcnt(1)
	v_fma_f64 v[2:3], v[136:137], v[154:155], 0
	s_waitcnt vmcnt(4)
	s_delay_alu instid0(VALU_DEP_1) | instskip(SKIP_4) | instid1(VALU_DEP_1)
	v_fma_f64 v[2:3], v[138:139], v[156:157], v[2:3]
	scratch_load_b128 v[136:139], off, off offset:464
	s_waitcnt lgkmcnt(0)
	v_fma_f64 v[2:3], v[140:141], v[158:159], v[2:3]
	s_waitcnt vmcnt(4)
	v_fma_f64 v[2:3], v[142:143], v[160:161], v[2:3]
	ds_load_2addr_b64 v[140:143], v1 offset0:115 offset1:116
	ds_load_2addr_b64 v[154:157], v1 offset0:117 offset1:118
	scratch_load_b128 v[158:161], off, off offset:480
	s_waitcnt lgkmcnt(1)
	v_fma_f64 v[2:3], v[144:145], v[140:141], v[2:3]
	s_waitcnt vmcnt(4)
	s_delay_alu instid0(VALU_DEP_1) | instskip(SKIP_4) | instid1(VALU_DEP_1)
	v_fma_f64 v[2:3], v[146:147], v[142:143], v[2:3]
	scratch_load_b128 v[140:143], off, off offset:496
	s_waitcnt lgkmcnt(0)
	v_fma_f64 v[2:3], v[148:149], v[154:155], v[2:3]
	s_waitcnt vmcnt(4)
	v_fma_f64 v[2:3], v[150:151], v[156:157], v[2:3]
	ds_load_2addr_b64 v[144:147], v1 offset0:119 offset1:120
	ds_load_2addr_b64 v[148:151], v1 offset0:121 offset1:122
	s_waitcnt lgkmcnt(1)
	v_fma_f64 v[2:3], v[152:153], v[144:145], v[2:3]
	s_waitcnt vmcnt(3)
	s_delay_alu instid0(VALU_DEP_1) | instskip(SKIP_1) | instid1(VALU_DEP_1)
	v_fma_f64 v[2:3], v[162:163], v[146:147], v[2:3]
	s_waitcnt lgkmcnt(0)
	v_fma_f64 v[2:3], v[164:165], v[148:149], v[2:3]
	s_waitcnt vmcnt(2)
	s_delay_alu instid0(VALU_DEP_1)
	v_fma_f64 v[2:3], v[136:137], v[150:151], v[2:3]
	ds_load_2addr_b64 v[144:147], v1 offset0:123 offset1:124
	ds_load_2addr_b64 v[148:151], v1 offset0:125 offset1:126
	ds_load_b64 v[136:137], v1 offset:1016
	s_waitcnt lgkmcnt(2)
	v_fma_f64 v[2:3], v[138:139], v[144:145], v[2:3]
	s_waitcnt vmcnt(1)
	s_delay_alu instid0(VALU_DEP_1) | instskip(SKIP_1) | instid1(VALU_DEP_1)
	v_fma_f64 v[2:3], v[158:159], v[146:147], v[2:3]
	s_waitcnt lgkmcnt(1)
	v_fma_f64 v[2:3], v[160:161], v[148:149], v[2:3]
	s_waitcnt vmcnt(0)
	s_delay_alu instid0(VALU_DEP_1) | instskip(SKIP_1) | instid1(VALU_DEP_1)
	v_fma_f64 v[2:3], v[140:141], v[150:151], v[2:3]
	s_waitcnt lgkmcnt(0)
	v_fma_f64 v[2:3], v[142:143], v[136:137], v[2:3]
	s_delay_alu instid0(VALU_DEP_1)
	v_add_f64 v[2:3], v[134:135], -v[2:3]
	scratch_store_b64 off, v[2:3], off offset:368
	v_cmpx_lt_u32_e32 45, v0
	s_cbranch_execz .LBB63_303
; %bb.302:
	scratch_load_b64 v[3:4], off, off offset:360
	v_mov_b32_e32 v2, v1
	scratch_store_b64 off, v[1:2], off offset:360
	s_waitcnt vmcnt(0)
	ds_store_b64 v5, v[3:4]
.LBB63_303:
	s_or_b32 exec_lo, exec_lo, s0
	s_waitcnt lgkmcnt(0)
	s_waitcnt_vscnt null, 0x0
	s_barrier
	buffer_gl0_inv
	s_clause 0x4
	scratch_load_b128 v[134:137], off, off offset:360
	scratch_load_b128 v[138:141], off, off offset:376
	;; [unrolled: 1-line block ×5, first 2 shown]
	ds_load_b128 v[154:157], v1 offset:880
	ds_load_b128 v[158:161], v1 offset:896
	scratch_load_b128 v[162:165], off, off offset:440
	s_mov_b32 s0, exec_lo
	s_waitcnt vmcnt(5) lgkmcnt(1)
	v_fma_f64 v[2:3], v[136:137], v[154:155], 0
	s_waitcnt vmcnt(4)
	s_delay_alu instid0(VALU_DEP_1) | instskip(SKIP_4) | instid1(VALU_DEP_1)
	v_fma_f64 v[2:3], v[138:139], v[156:157], v[2:3]
	scratch_load_b128 v[136:139], off, off offset:456
	s_waitcnt lgkmcnt(0)
	v_fma_f64 v[2:3], v[140:141], v[158:159], v[2:3]
	s_waitcnt vmcnt(4)
	v_fma_f64 v[2:3], v[142:143], v[160:161], v[2:3]
	ds_load_b128 v[140:143], v1 offset:912
	ds_load_b128 v[154:157], v1 offset:928
	scratch_load_b128 v[158:161], off, off offset:472
	s_waitcnt lgkmcnt(1)
	v_fma_f64 v[2:3], v[144:145], v[140:141], v[2:3]
	s_waitcnt vmcnt(4)
	s_delay_alu instid0(VALU_DEP_1) | instskip(SKIP_4) | instid1(VALU_DEP_1)
	v_fma_f64 v[2:3], v[146:147], v[142:143], v[2:3]
	scratch_load_b128 v[140:143], off, off offset:488
	s_waitcnt lgkmcnt(0)
	v_fma_f64 v[2:3], v[148:149], v[154:155], v[2:3]
	s_waitcnt vmcnt(4)
	v_fma_f64 v[2:3], v[150:151], v[156:157], v[2:3]
	ds_load_b128 v[144:147], v1 offset:944
	ds_load_b128 v[148:151], v1 offset:960
	s_waitcnt lgkmcnt(1)
	v_fma_f64 v[2:3], v[152:153], v[144:145], v[2:3]
	scratch_load_b64 v[152:153], off, off offset:504
	s_waitcnt vmcnt(4)
	v_fma_f64 v[2:3], v[162:163], v[146:147], v[2:3]
	s_waitcnt lgkmcnt(0)
	s_delay_alu instid0(VALU_DEP_1) | instskip(SKIP_1) | instid1(VALU_DEP_1)
	v_fma_f64 v[2:3], v[164:165], v[148:149], v[2:3]
	s_waitcnt vmcnt(3)
	v_fma_f64 v[2:3], v[136:137], v[150:151], v[2:3]
	ds_load_b128 v[144:147], v1 offset:976
	ds_load_b128 v[148:151], v1 offset:992
	s_waitcnt lgkmcnt(1)
	v_fma_f64 v[2:3], v[138:139], v[144:145], v[2:3]
	s_waitcnt vmcnt(2)
	s_delay_alu instid0(VALU_DEP_1) | instskip(SKIP_1) | instid1(VALU_DEP_1)
	v_fma_f64 v[2:3], v[158:159], v[146:147], v[2:3]
	s_waitcnt lgkmcnt(0)
	v_fma_f64 v[2:3], v[160:161], v[148:149], v[2:3]
	s_waitcnt vmcnt(1)
	s_delay_alu instid0(VALU_DEP_1) | instskip(SKIP_4) | instid1(VALU_DEP_1)
	v_fma_f64 v[136:137], v[140:141], v[150:151], v[2:3]
	ds_load_b128 v[1:4], v1 offset:1008
	s_waitcnt lgkmcnt(0)
	v_fma_f64 v[1:2], v[142:143], v[1:2], v[136:137]
	s_waitcnt vmcnt(0)
	v_fma_f64 v[1:2], v[152:153], v[3:4], v[1:2]
	s_delay_alu instid0(VALU_DEP_1)
	v_add_f64 v[1:2], v[134:135], -v[1:2]
	scratch_store_b64 off, v[1:2], off offset:360
	v_cmpx_lt_u32_e32 44, v0
	s_cbranch_execz .LBB63_305
; %bb.304:
	scratch_load_b64 v[1:2], off, off offset:352
	v_mov_b32_e32 v3, 0
	s_delay_alu instid0(VALU_DEP_1)
	v_mov_b32_e32 v4, v3
	scratch_store_b64 off, v[3:4], off offset:352
	s_waitcnt vmcnt(0)
	ds_store_b64 v5, v[1:2]
.LBB63_305:
	s_or_b32 exec_lo, exec_lo, s0
	s_waitcnt lgkmcnt(0)
	s_waitcnt_vscnt null, 0x0
	s_barrier
	buffer_gl0_inv
	s_clause 0x4
	scratch_load_b128 v[134:137], off, off offset:352
	scratch_load_b128 v[138:141], off, off offset:368
	;; [unrolled: 1-line block ×5, first 2 shown]
	v_mov_b32_e32 v1, 0
	ds_load_2addr_b64 v[154:157], v1 offset0:109 offset1:110
	ds_load_2addr_b64 v[158:161], v1 offset0:111 offset1:112
	scratch_load_b128 v[162:165], off, off offset:432
	s_mov_b32 s0, exec_lo
	s_waitcnt vmcnt(5) lgkmcnt(1)
	v_fma_f64 v[2:3], v[136:137], v[154:155], 0
	s_waitcnt vmcnt(4)
	s_delay_alu instid0(VALU_DEP_1) | instskip(SKIP_4) | instid1(VALU_DEP_1)
	v_fma_f64 v[2:3], v[138:139], v[156:157], v[2:3]
	scratch_load_b128 v[136:139], off, off offset:448
	s_waitcnt lgkmcnt(0)
	v_fma_f64 v[2:3], v[140:141], v[158:159], v[2:3]
	s_waitcnt vmcnt(4)
	v_fma_f64 v[2:3], v[142:143], v[160:161], v[2:3]
	ds_load_2addr_b64 v[140:143], v1 offset0:113 offset1:114
	ds_load_2addr_b64 v[154:157], v1 offset0:115 offset1:116
	scratch_load_b128 v[158:161], off, off offset:464
	s_waitcnt lgkmcnt(1)
	v_fma_f64 v[2:3], v[144:145], v[140:141], v[2:3]
	s_waitcnt vmcnt(4)
	s_delay_alu instid0(VALU_DEP_1) | instskip(SKIP_4) | instid1(VALU_DEP_1)
	v_fma_f64 v[2:3], v[146:147], v[142:143], v[2:3]
	scratch_load_b128 v[140:143], off, off offset:480
	s_waitcnt lgkmcnt(0)
	v_fma_f64 v[2:3], v[148:149], v[154:155], v[2:3]
	s_waitcnt vmcnt(4)
	v_fma_f64 v[2:3], v[150:151], v[156:157], v[2:3]
	ds_load_2addr_b64 v[144:147], v1 offset0:117 offset1:118
	ds_load_2addr_b64 v[148:151], v1 offset0:119 offset1:120
	s_waitcnt lgkmcnt(1)
	v_fma_f64 v[2:3], v[152:153], v[144:145], v[2:3]
	scratch_load_b128 v[152:155], off, off offset:496
	s_waitcnt vmcnt(4)
	v_fma_f64 v[2:3], v[162:163], v[146:147], v[2:3]
	s_waitcnt lgkmcnt(0)
	s_delay_alu instid0(VALU_DEP_1) | instskip(SKIP_1) | instid1(VALU_DEP_1)
	v_fma_f64 v[2:3], v[164:165], v[148:149], v[2:3]
	s_waitcnt vmcnt(3)
	v_fma_f64 v[2:3], v[136:137], v[150:151], v[2:3]
	ds_load_2addr_b64 v[144:147], v1 offset0:121 offset1:122
	ds_load_2addr_b64 v[148:151], v1 offset0:123 offset1:124
	s_waitcnt lgkmcnt(1)
	v_fma_f64 v[2:3], v[138:139], v[144:145], v[2:3]
	s_waitcnt vmcnt(2)
	s_delay_alu instid0(VALU_DEP_1) | instskip(SKIP_1) | instid1(VALU_DEP_1)
	v_fma_f64 v[2:3], v[158:159], v[146:147], v[2:3]
	s_waitcnt lgkmcnt(0)
	v_fma_f64 v[2:3], v[160:161], v[148:149], v[2:3]
	s_waitcnt vmcnt(1)
	s_delay_alu instid0(VALU_DEP_1)
	v_fma_f64 v[2:3], v[140:141], v[150:151], v[2:3]
	ds_load_2addr_b64 v[136:139], v1 offset0:125 offset1:126
	ds_load_b64 v[140:141], v1 offset:1016
	s_waitcnt lgkmcnt(1)
	v_fma_f64 v[2:3], v[142:143], v[136:137], v[2:3]
	s_waitcnt vmcnt(0)
	s_delay_alu instid0(VALU_DEP_1) | instskip(SKIP_1) | instid1(VALU_DEP_1)
	v_fma_f64 v[2:3], v[152:153], v[138:139], v[2:3]
	s_waitcnt lgkmcnt(0)
	v_fma_f64 v[2:3], v[154:155], v[140:141], v[2:3]
	s_delay_alu instid0(VALU_DEP_1)
	v_add_f64 v[2:3], v[134:135], -v[2:3]
	scratch_store_b64 off, v[2:3], off offset:352
	v_cmpx_lt_u32_e32 43, v0
	s_cbranch_execz .LBB63_307
; %bb.306:
	scratch_load_b64 v[3:4], off, off offset:344
	v_mov_b32_e32 v2, v1
	scratch_store_b64 off, v[1:2], off offset:344
	s_waitcnt vmcnt(0)
	ds_store_b64 v5, v[3:4]
.LBB63_307:
	s_or_b32 exec_lo, exec_lo, s0
	s_waitcnt lgkmcnt(0)
	s_waitcnt_vscnt null, 0x0
	s_barrier
	buffer_gl0_inv
	s_clause 0x4
	scratch_load_b128 v[134:137], off, off offset:344
	scratch_load_b128 v[138:141], off, off offset:360
	;; [unrolled: 1-line block ×5, first 2 shown]
	ds_load_b128 v[154:157], v1 offset:864
	ds_load_b128 v[158:161], v1 offset:880
	scratch_load_b128 v[162:165], off, off offset:424
	s_mov_b32 s0, exec_lo
	s_waitcnt vmcnt(5) lgkmcnt(1)
	v_fma_f64 v[2:3], v[136:137], v[154:155], 0
	s_waitcnt vmcnt(4)
	s_delay_alu instid0(VALU_DEP_1) | instskip(SKIP_4) | instid1(VALU_DEP_1)
	v_fma_f64 v[2:3], v[138:139], v[156:157], v[2:3]
	scratch_load_b128 v[136:139], off, off offset:440
	s_waitcnt lgkmcnt(0)
	v_fma_f64 v[2:3], v[140:141], v[158:159], v[2:3]
	s_waitcnt vmcnt(4)
	v_fma_f64 v[2:3], v[142:143], v[160:161], v[2:3]
	ds_load_b128 v[140:143], v1 offset:896
	ds_load_b128 v[154:157], v1 offset:912
	scratch_load_b128 v[158:161], off, off offset:456
	s_waitcnt lgkmcnt(1)
	v_fma_f64 v[2:3], v[144:145], v[140:141], v[2:3]
	s_waitcnt vmcnt(4)
	s_delay_alu instid0(VALU_DEP_1) | instskip(SKIP_4) | instid1(VALU_DEP_1)
	v_fma_f64 v[2:3], v[146:147], v[142:143], v[2:3]
	scratch_load_b128 v[140:143], off, off offset:472
	s_waitcnt lgkmcnt(0)
	v_fma_f64 v[2:3], v[148:149], v[154:155], v[2:3]
	s_waitcnt vmcnt(4)
	v_fma_f64 v[2:3], v[150:151], v[156:157], v[2:3]
	ds_load_b128 v[144:147], v1 offset:928
	ds_load_b128 v[148:151], v1 offset:944
	scratch_load_b64 v[156:157], off, off offset:504
	s_waitcnt lgkmcnt(1)
	v_fma_f64 v[2:3], v[152:153], v[144:145], v[2:3]
	scratch_load_b128 v[152:155], off, off offset:488
	s_waitcnt vmcnt(5)
	v_fma_f64 v[2:3], v[162:163], v[146:147], v[2:3]
	s_waitcnt lgkmcnt(0)
	s_delay_alu instid0(VALU_DEP_1) | instskip(SKIP_1) | instid1(VALU_DEP_1)
	v_fma_f64 v[2:3], v[164:165], v[148:149], v[2:3]
	s_waitcnt vmcnt(4)
	v_fma_f64 v[2:3], v[136:137], v[150:151], v[2:3]
	ds_load_b128 v[144:147], v1 offset:960
	ds_load_b128 v[148:151], v1 offset:976
	s_waitcnt lgkmcnt(1)
	v_fma_f64 v[2:3], v[138:139], v[144:145], v[2:3]
	s_waitcnt vmcnt(3)
	s_delay_alu instid0(VALU_DEP_1) | instskip(SKIP_1) | instid1(VALU_DEP_1)
	v_fma_f64 v[2:3], v[158:159], v[146:147], v[2:3]
	s_waitcnt lgkmcnt(0)
	v_fma_f64 v[2:3], v[160:161], v[148:149], v[2:3]
	s_waitcnt vmcnt(2)
	s_delay_alu instid0(VALU_DEP_1)
	v_fma_f64 v[140:141], v[140:141], v[150:151], v[2:3]
	ds_load_b128 v[136:139], v1 offset:992
	ds_load_b128 v[1:4], v1 offset:1008
	s_waitcnt lgkmcnt(1)
	v_fma_f64 v[136:137], v[142:143], v[136:137], v[140:141]
	s_waitcnt vmcnt(0)
	s_delay_alu instid0(VALU_DEP_1) | instskip(SKIP_1) | instid1(VALU_DEP_1)
	v_fma_f64 v[136:137], v[152:153], v[138:139], v[136:137]
	s_waitcnt lgkmcnt(0)
	v_fma_f64 v[1:2], v[154:155], v[1:2], v[136:137]
	s_delay_alu instid0(VALU_DEP_1) | instskip(NEXT) | instid1(VALU_DEP_1)
	v_fma_f64 v[1:2], v[156:157], v[3:4], v[1:2]
	v_add_f64 v[1:2], v[134:135], -v[1:2]
	scratch_store_b64 off, v[1:2], off offset:344
	v_cmpx_lt_u32_e32 42, v0
	s_cbranch_execz .LBB63_309
; %bb.308:
	scratch_load_b64 v[1:2], off, off offset:336
	v_mov_b32_e32 v3, 0
	s_delay_alu instid0(VALU_DEP_1)
	v_mov_b32_e32 v4, v3
	scratch_store_b64 off, v[3:4], off offset:336
	s_waitcnt vmcnt(0)
	ds_store_b64 v5, v[1:2]
.LBB63_309:
	s_or_b32 exec_lo, exec_lo, s0
	s_waitcnt lgkmcnt(0)
	s_waitcnt_vscnt null, 0x0
	s_barrier
	buffer_gl0_inv
	s_clause 0x4
	scratch_load_b128 v[134:137], off, off offset:336
	scratch_load_b128 v[138:141], off, off offset:352
	;; [unrolled: 1-line block ×5, first 2 shown]
	v_mov_b32_e32 v1, 0
	ds_load_2addr_b64 v[154:157], v1 offset0:107 offset1:108
	ds_load_2addr_b64 v[158:161], v1 offset0:109 offset1:110
	scratch_load_b128 v[162:165], off, off offset:416
	s_mov_b32 s0, exec_lo
	s_waitcnt vmcnt(5) lgkmcnt(1)
	v_fma_f64 v[2:3], v[136:137], v[154:155], 0
	s_waitcnt vmcnt(4)
	s_delay_alu instid0(VALU_DEP_1) | instskip(SKIP_4) | instid1(VALU_DEP_1)
	v_fma_f64 v[2:3], v[138:139], v[156:157], v[2:3]
	scratch_load_b128 v[136:139], off, off offset:432
	s_waitcnt lgkmcnt(0)
	v_fma_f64 v[2:3], v[140:141], v[158:159], v[2:3]
	s_waitcnt vmcnt(4)
	v_fma_f64 v[2:3], v[142:143], v[160:161], v[2:3]
	ds_load_2addr_b64 v[140:143], v1 offset0:111 offset1:112
	ds_load_2addr_b64 v[154:157], v1 offset0:113 offset1:114
	scratch_load_b128 v[158:161], off, off offset:448
	s_waitcnt lgkmcnt(1)
	v_fma_f64 v[2:3], v[144:145], v[140:141], v[2:3]
	s_waitcnt vmcnt(4)
	s_delay_alu instid0(VALU_DEP_1) | instskip(SKIP_4) | instid1(VALU_DEP_1)
	v_fma_f64 v[2:3], v[146:147], v[142:143], v[2:3]
	scratch_load_b128 v[140:143], off, off offset:464
	s_waitcnt lgkmcnt(0)
	v_fma_f64 v[2:3], v[148:149], v[154:155], v[2:3]
	s_waitcnt vmcnt(4)
	v_fma_f64 v[2:3], v[150:151], v[156:157], v[2:3]
	ds_load_2addr_b64 v[144:147], v1 offset0:115 offset1:116
	ds_load_2addr_b64 v[148:151], v1 offset0:117 offset1:118
	s_waitcnt lgkmcnt(1)
	v_fma_f64 v[2:3], v[152:153], v[144:145], v[2:3]
	scratch_load_b128 v[152:155], off, off offset:480
	s_waitcnt vmcnt(4)
	v_fma_f64 v[2:3], v[162:163], v[146:147], v[2:3]
	scratch_load_b128 v[144:147], off, off offset:496
	s_waitcnt lgkmcnt(0)
	v_fma_f64 v[2:3], v[164:165], v[148:149], v[2:3]
	s_waitcnt vmcnt(4)
	s_delay_alu instid0(VALU_DEP_1)
	v_fma_f64 v[2:3], v[136:137], v[150:151], v[2:3]
	ds_load_2addr_b64 v[148:151], v1 offset0:119 offset1:120
	ds_load_2addr_b64 v[162:165], v1 offset0:121 offset1:122
	s_waitcnt lgkmcnt(1)
	v_fma_f64 v[2:3], v[138:139], v[148:149], v[2:3]
	s_waitcnt vmcnt(3)
	s_delay_alu instid0(VALU_DEP_1)
	v_fma_f64 v[2:3], v[158:159], v[150:151], v[2:3]
	ds_load_2addr_b64 v[136:139], v1 offset0:123 offset1:124
	ds_load_2addr_b64 v[148:151], v1 offset0:125 offset1:126
	s_waitcnt lgkmcnt(2)
	v_fma_f64 v[2:3], v[160:161], v[162:163], v[2:3]
	s_waitcnt vmcnt(2)
	s_delay_alu instid0(VALU_DEP_1) | instskip(SKIP_1) | instid1(VALU_DEP_1)
	v_fma_f64 v[2:3], v[140:141], v[164:165], v[2:3]
	s_waitcnt lgkmcnt(1)
	v_fma_f64 v[2:3], v[142:143], v[136:137], v[2:3]
	ds_load_b64 v[136:137], v1 offset:1016
	s_waitcnt vmcnt(1)
	v_fma_f64 v[2:3], v[152:153], v[138:139], v[2:3]
	s_waitcnt lgkmcnt(1)
	s_delay_alu instid0(VALU_DEP_1) | instskip(SKIP_1) | instid1(VALU_DEP_1)
	v_fma_f64 v[2:3], v[154:155], v[148:149], v[2:3]
	s_waitcnt vmcnt(0)
	v_fma_f64 v[2:3], v[144:145], v[150:151], v[2:3]
	s_waitcnt lgkmcnt(0)
	s_delay_alu instid0(VALU_DEP_1) | instskip(NEXT) | instid1(VALU_DEP_1)
	v_fma_f64 v[2:3], v[146:147], v[136:137], v[2:3]
	v_add_f64 v[2:3], v[134:135], -v[2:3]
	scratch_store_b64 off, v[2:3], off offset:336
	v_cmpx_lt_u32_e32 41, v0
	s_cbranch_execz .LBB63_311
; %bb.310:
	scratch_load_b64 v[3:4], off, off offset:328
	v_mov_b32_e32 v2, v1
	scratch_store_b64 off, v[1:2], off offset:328
	s_waitcnt vmcnt(0)
	ds_store_b64 v5, v[3:4]
.LBB63_311:
	s_or_b32 exec_lo, exec_lo, s0
	s_waitcnt lgkmcnt(0)
	s_waitcnt_vscnt null, 0x0
	s_barrier
	buffer_gl0_inv
	s_clause 0x4
	scratch_load_b128 v[134:137], off, off offset:328
	scratch_load_b128 v[138:141], off, off offset:344
	;; [unrolled: 1-line block ×5, first 2 shown]
	ds_load_b128 v[154:157], v1 offset:848
	ds_load_b128 v[158:161], v1 offset:864
	scratch_load_b128 v[162:165], off, off offset:408
	s_mov_b32 s0, exec_lo
	s_waitcnt vmcnt(5) lgkmcnt(1)
	v_fma_f64 v[2:3], v[136:137], v[154:155], 0
	s_waitcnt vmcnt(4)
	s_delay_alu instid0(VALU_DEP_1) | instskip(SKIP_4) | instid1(VALU_DEP_1)
	v_fma_f64 v[2:3], v[138:139], v[156:157], v[2:3]
	scratch_load_b128 v[136:139], off, off offset:424
	s_waitcnt lgkmcnt(0)
	v_fma_f64 v[2:3], v[140:141], v[158:159], v[2:3]
	s_waitcnt vmcnt(4)
	v_fma_f64 v[2:3], v[142:143], v[160:161], v[2:3]
	ds_load_b128 v[140:143], v1 offset:880
	ds_load_b128 v[154:157], v1 offset:896
	scratch_load_b128 v[158:161], off, off offset:440
	s_waitcnt lgkmcnt(1)
	v_fma_f64 v[2:3], v[144:145], v[140:141], v[2:3]
	s_waitcnt vmcnt(4)
	s_delay_alu instid0(VALU_DEP_1) | instskip(SKIP_4) | instid1(VALU_DEP_1)
	v_fma_f64 v[2:3], v[146:147], v[142:143], v[2:3]
	scratch_load_b128 v[140:143], off, off offset:456
	s_waitcnt lgkmcnt(0)
	v_fma_f64 v[2:3], v[148:149], v[154:155], v[2:3]
	s_waitcnt vmcnt(4)
	v_fma_f64 v[2:3], v[150:151], v[156:157], v[2:3]
	ds_load_b128 v[144:147], v1 offset:912
	ds_load_b128 v[148:151], v1 offset:928
	s_waitcnt lgkmcnt(1)
	v_fma_f64 v[2:3], v[152:153], v[144:145], v[2:3]
	scratch_load_b128 v[152:155], off, off offset:472
	s_waitcnt vmcnt(4)
	v_fma_f64 v[2:3], v[162:163], v[146:147], v[2:3]
	scratch_load_b128 v[144:147], off, off offset:488
	s_waitcnt lgkmcnt(0)
	v_fma_f64 v[2:3], v[164:165], v[148:149], v[2:3]
	s_waitcnt vmcnt(4)
	s_delay_alu instid0(VALU_DEP_1)
	v_fma_f64 v[2:3], v[136:137], v[150:151], v[2:3]
	ds_load_b128 v[148:151], v1 offset:944
	ds_load_b128 v[162:165], v1 offset:960
	scratch_load_b64 v[156:157], off, off offset:504
	s_waitcnt lgkmcnt(1)
	v_fma_f64 v[2:3], v[138:139], v[148:149], v[2:3]
	s_waitcnt vmcnt(4)
	s_delay_alu instid0(VALU_DEP_1)
	v_fma_f64 v[2:3], v[158:159], v[150:151], v[2:3]
	ds_load_b128 v[136:139], v1 offset:976
	ds_load_b128 v[148:151], v1 offset:992
	s_waitcnt lgkmcnt(2)
	v_fma_f64 v[2:3], v[160:161], v[162:163], v[2:3]
	s_waitcnt vmcnt(3)
	s_delay_alu instid0(VALU_DEP_1) | instskip(SKIP_1) | instid1(VALU_DEP_1)
	v_fma_f64 v[2:3], v[140:141], v[164:165], v[2:3]
	s_waitcnt lgkmcnt(1)
	v_fma_f64 v[2:3], v[142:143], v[136:137], v[2:3]
	s_waitcnt vmcnt(2)
	s_delay_alu instid0(VALU_DEP_1) | instskip(SKIP_1) | instid1(VALU_DEP_1)
	v_fma_f64 v[2:3], v[152:153], v[138:139], v[2:3]
	s_waitcnt lgkmcnt(0)
	v_fma_f64 v[2:3], v[154:155], v[148:149], v[2:3]
	s_waitcnt vmcnt(1)
	s_delay_alu instid0(VALU_DEP_1) | instskip(SKIP_4) | instid1(VALU_DEP_1)
	v_fma_f64 v[136:137], v[144:145], v[150:151], v[2:3]
	ds_load_b128 v[1:4], v1 offset:1008
	s_waitcnt lgkmcnt(0)
	v_fma_f64 v[1:2], v[146:147], v[1:2], v[136:137]
	s_waitcnt vmcnt(0)
	v_fma_f64 v[1:2], v[156:157], v[3:4], v[1:2]
	s_delay_alu instid0(VALU_DEP_1)
	v_add_f64 v[1:2], v[134:135], -v[1:2]
	scratch_store_b64 off, v[1:2], off offset:328
	v_cmpx_lt_u32_e32 40, v0
	s_cbranch_execz .LBB63_313
; %bb.312:
	scratch_load_b64 v[1:2], off, off offset:320
	v_mov_b32_e32 v3, 0
	s_delay_alu instid0(VALU_DEP_1)
	v_mov_b32_e32 v4, v3
	scratch_store_b64 off, v[3:4], off offset:320
	s_waitcnt vmcnt(0)
	ds_store_b64 v5, v[1:2]
.LBB63_313:
	s_or_b32 exec_lo, exec_lo, s0
	s_waitcnt lgkmcnt(0)
	s_waitcnt_vscnt null, 0x0
	s_barrier
	buffer_gl0_inv
	s_clause 0x4
	scratch_load_b128 v[134:137], off, off offset:320
	scratch_load_b128 v[138:141], off, off offset:336
	;; [unrolled: 1-line block ×5, first 2 shown]
	v_mov_b32_e32 v1, 0
	ds_load_2addr_b64 v[154:157], v1 offset0:105 offset1:106
	ds_load_2addr_b64 v[158:161], v1 offset0:107 offset1:108
	scratch_load_b128 v[162:165], off, off offset:400
	s_mov_b32 s0, exec_lo
	s_waitcnt vmcnt(5) lgkmcnt(1)
	v_fma_f64 v[2:3], v[136:137], v[154:155], 0
	s_waitcnt vmcnt(4)
	s_delay_alu instid0(VALU_DEP_1) | instskip(SKIP_4) | instid1(VALU_DEP_1)
	v_fma_f64 v[2:3], v[138:139], v[156:157], v[2:3]
	scratch_load_b128 v[136:139], off, off offset:416
	s_waitcnt lgkmcnt(0)
	v_fma_f64 v[2:3], v[140:141], v[158:159], v[2:3]
	s_waitcnt vmcnt(4)
	v_fma_f64 v[2:3], v[142:143], v[160:161], v[2:3]
	ds_load_2addr_b64 v[140:143], v1 offset0:109 offset1:110
	ds_load_2addr_b64 v[154:157], v1 offset0:111 offset1:112
	scratch_load_b128 v[158:161], off, off offset:432
	s_waitcnt lgkmcnt(1)
	v_fma_f64 v[2:3], v[144:145], v[140:141], v[2:3]
	s_waitcnt vmcnt(4)
	s_delay_alu instid0(VALU_DEP_1) | instskip(SKIP_4) | instid1(VALU_DEP_1)
	v_fma_f64 v[2:3], v[146:147], v[142:143], v[2:3]
	scratch_load_b128 v[140:143], off, off offset:448
	s_waitcnt lgkmcnt(0)
	v_fma_f64 v[2:3], v[148:149], v[154:155], v[2:3]
	s_waitcnt vmcnt(4)
	v_fma_f64 v[2:3], v[150:151], v[156:157], v[2:3]
	ds_load_2addr_b64 v[144:147], v1 offset0:113 offset1:114
	ds_load_2addr_b64 v[148:151], v1 offset0:115 offset1:116
	s_waitcnt lgkmcnt(1)
	v_fma_f64 v[2:3], v[152:153], v[144:145], v[2:3]
	scratch_load_b128 v[152:155], off, off offset:464
	s_waitcnt vmcnt(4)
	v_fma_f64 v[2:3], v[162:163], v[146:147], v[2:3]
	scratch_load_b128 v[144:147], off, off offset:480
	s_waitcnt lgkmcnt(0)
	v_fma_f64 v[2:3], v[164:165], v[148:149], v[2:3]
	s_waitcnt vmcnt(4)
	s_delay_alu instid0(VALU_DEP_1)
	v_fma_f64 v[2:3], v[136:137], v[150:151], v[2:3]
	ds_load_2addr_b64 v[148:151], v1 offset0:117 offset1:118
	ds_load_2addr_b64 v[162:165], v1 offset0:119 offset1:120
	s_waitcnt lgkmcnt(1)
	v_fma_f64 v[2:3], v[138:139], v[148:149], v[2:3]
	scratch_load_b128 v[136:139], off, off offset:496
	s_waitcnt vmcnt(4)
	v_fma_f64 v[2:3], v[158:159], v[150:151], v[2:3]
	ds_load_2addr_b64 v[148:151], v1 offset0:121 offset1:122
	ds_load_2addr_b64 v[156:159], v1 offset0:123 offset1:124
	s_waitcnt lgkmcnt(2)
	v_fma_f64 v[2:3], v[160:161], v[162:163], v[2:3]
	s_waitcnt vmcnt(3)
	s_delay_alu instid0(VALU_DEP_1) | instskip(SKIP_1) | instid1(VALU_DEP_1)
	v_fma_f64 v[2:3], v[140:141], v[164:165], v[2:3]
	s_waitcnt lgkmcnt(1)
	v_fma_f64 v[2:3], v[142:143], v[148:149], v[2:3]
	s_waitcnt vmcnt(2)
	s_delay_alu instid0(VALU_DEP_1) | instskip(SKIP_1) | instid1(VALU_DEP_1)
	v_fma_f64 v[2:3], v[152:153], v[150:151], v[2:3]
	s_waitcnt lgkmcnt(0)
	v_fma_f64 v[2:3], v[154:155], v[156:157], v[2:3]
	s_waitcnt vmcnt(1)
	s_delay_alu instid0(VALU_DEP_1)
	v_fma_f64 v[2:3], v[144:145], v[158:159], v[2:3]
	ds_load_2addr_b64 v[140:143], v1 offset0:125 offset1:126
	ds_load_b64 v[144:145], v1 offset:1016
	s_waitcnt lgkmcnt(1)
	v_fma_f64 v[2:3], v[146:147], v[140:141], v[2:3]
	s_waitcnt vmcnt(0)
	s_delay_alu instid0(VALU_DEP_1) | instskip(SKIP_1) | instid1(VALU_DEP_1)
	v_fma_f64 v[2:3], v[136:137], v[142:143], v[2:3]
	s_waitcnt lgkmcnt(0)
	v_fma_f64 v[2:3], v[138:139], v[144:145], v[2:3]
	s_delay_alu instid0(VALU_DEP_1)
	v_add_f64 v[2:3], v[134:135], -v[2:3]
	scratch_store_b64 off, v[2:3], off offset:320
	v_cmpx_lt_u32_e32 39, v0
	s_cbranch_execz .LBB63_315
; %bb.314:
	scratch_load_b64 v[3:4], off, off offset:312
	v_mov_b32_e32 v2, v1
	scratch_store_b64 off, v[1:2], off offset:312
	s_waitcnt vmcnt(0)
	ds_store_b64 v5, v[3:4]
.LBB63_315:
	s_or_b32 exec_lo, exec_lo, s0
	s_waitcnt lgkmcnt(0)
	s_waitcnt_vscnt null, 0x0
	s_barrier
	buffer_gl0_inv
	s_clause 0x4
	scratch_load_b128 v[134:137], off, off offset:312
	scratch_load_b128 v[138:141], off, off offset:328
	;; [unrolled: 1-line block ×5, first 2 shown]
	ds_load_b128 v[154:157], v1 offset:832
	ds_load_b128 v[158:161], v1 offset:848
	scratch_load_b128 v[162:165], off, off offset:392
	s_mov_b32 s0, exec_lo
	s_waitcnt vmcnt(5) lgkmcnt(1)
	v_fma_f64 v[2:3], v[136:137], v[154:155], 0
	s_waitcnt vmcnt(4)
	s_delay_alu instid0(VALU_DEP_1) | instskip(SKIP_4) | instid1(VALU_DEP_1)
	v_fma_f64 v[2:3], v[138:139], v[156:157], v[2:3]
	scratch_load_b128 v[136:139], off, off offset:408
	s_waitcnt lgkmcnt(0)
	v_fma_f64 v[2:3], v[140:141], v[158:159], v[2:3]
	s_waitcnt vmcnt(4)
	v_fma_f64 v[2:3], v[142:143], v[160:161], v[2:3]
	ds_load_b128 v[140:143], v1 offset:864
	ds_load_b128 v[154:157], v1 offset:880
	scratch_load_b128 v[158:161], off, off offset:424
	s_waitcnt lgkmcnt(1)
	v_fma_f64 v[2:3], v[144:145], v[140:141], v[2:3]
	s_waitcnt vmcnt(4)
	s_delay_alu instid0(VALU_DEP_1) | instskip(SKIP_4) | instid1(VALU_DEP_1)
	v_fma_f64 v[2:3], v[146:147], v[142:143], v[2:3]
	scratch_load_b128 v[140:143], off, off offset:440
	s_waitcnt lgkmcnt(0)
	v_fma_f64 v[2:3], v[148:149], v[154:155], v[2:3]
	s_waitcnt vmcnt(4)
	v_fma_f64 v[2:3], v[150:151], v[156:157], v[2:3]
	ds_load_b128 v[144:147], v1 offset:896
	ds_load_b128 v[148:151], v1 offset:912
	s_waitcnt lgkmcnt(1)
	v_fma_f64 v[2:3], v[152:153], v[144:145], v[2:3]
	scratch_load_b128 v[152:155], off, off offset:456
	s_waitcnt vmcnt(4)
	v_fma_f64 v[2:3], v[162:163], v[146:147], v[2:3]
	scratch_load_b128 v[144:147], off, off offset:472
	s_waitcnt lgkmcnt(0)
	v_fma_f64 v[2:3], v[164:165], v[148:149], v[2:3]
	s_waitcnt vmcnt(4)
	s_delay_alu instid0(VALU_DEP_1)
	v_fma_f64 v[2:3], v[136:137], v[150:151], v[2:3]
	ds_load_b128 v[148:151], v1 offset:928
	ds_load_b128 v[162:165], v1 offset:944
	s_waitcnt lgkmcnt(1)
	v_fma_f64 v[2:3], v[138:139], v[148:149], v[2:3]
	scratch_load_b128 v[136:139], off, off offset:488
	s_waitcnt vmcnt(4)
	v_fma_f64 v[2:3], v[158:159], v[150:151], v[2:3]
	s_waitcnt lgkmcnt(0)
	s_delay_alu instid0(VALU_DEP_1)
	v_fma_f64 v[2:3], v[160:161], v[162:163], v[2:3]
	scratch_load_b64 v[160:161], off, off offset:504
	ds_load_b128 v[148:151], v1 offset:960
	ds_load_b128 v[156:159], v1 offset:976
	s_waitcnt vmcnt(4)
	v_fma_f64 v[2:3], v[140:141], v[164:165], v[2:3]
	s_waitcnt lgkmcnt(1)
	s_delay_alu instid0(VALU_DEP_1) | instskip(SKIP_1) | instid1(VALU_DEP_1)
	v_fma_f64 v[2:3], v[142:143], v[148:149], v[2:3]
	s_waitcnt vmcnt(3)
	v_fma_f64 v[2:3], v[152:153], v[150:151], v[2:3]
	s_waitcnt lgkmcnt(0)
	s_delay_alu instid0(VALU_DEP_1) | instskip(SKIP_1) | instid1(VALU_DEP_1)
	v_fma_f64 v[2:3], v[154:155], v[156:157], v[2:3]
	s_waitcnt vmcnt(2)
	v_fma_f64 v[144:145], v[144:145], v[158:159], v[2:3]
	ds_load_b128 v[140:143], v1 offset:992
	ds_load_b128 v[1:4], v1 offset:1008
	s_waitcnt lgkmcnt(1)
	v_fma_f64 v[140:141], v[146:147], v[140:141], v[144:145]
	s_waitcnt vmcnt(1)
	s_delay_alu instid0(VALU_DEP_1) | instskip(SKIP_1) | instid1(VALU_DEP_1)
	v_fma_f64 v[136:137], v[136:137], v[142:143], v[140:141]
	s_waitcnt lgkmcnt(0)
	v_fma_f64 v[1:2], v[138:139], v[1:2], v[136:137]
	s_waitcnt vmcnt(0)
	s_delay_alu instid0(VALU_DEP_1) | instskip(NEXT) | instid1(VALU_DEP_1)
	v_fma_f64 v[1:2], v[160:161], v[3:4], v[1:2]
	v_add_f64 v[1:2], v[134:135], -v[1:2]
	scratch_store_b64 off, v[1:2], off offset:312
	v_cmpx_lt_u32_e32 38, v0
	s_cbranch_execz .LBB63_317
; %bb.316:
	scratch_load_b64 v[1:2], off, off offset:304
	v_mov_b32_e32 v3, 0
	s_delay_alu instid0(VALU_DEP_1)
	v_mov_b32_e32 v4, v3
	scratch_store_b64 off, v[3:4], off offset:304
	s_waitcnt vmcnt(0)
	ds_store_b64 v5, v[1:2]
.LBB63_317:
	s_or_b32 exec_lo, exec_lo, s0
	s_waitcnt lgkmcnt(0)
	s_waitcnt_vscnt null, 0x0
	s_barrier
	buffer_gl0_inv
	s_clause 0x4
	scratch_load_b128 v[134:137], off, off offset:304
	scratch_load_b128 v[138:141], off, off offset:320
	;; [unrolled: 1-line block ×5, first 2 shown]
	v_mov_b32_e32 v1, 0
	ds_load_2addr_b64 v[154:157], v1 offset0:103 offset1:104
	ds_load_2addr_b64 v[158:161], v1 offset0:105 offset1:106
	scratch_load_b128 v[162:165], off, off offset:384
	s_mov_b32 s0, exec_lo
	s_waitcnt vmcnt(5) lgkmcnt(1)
	v_fma_f64 v[2:3], v[136:137], v[154:155], 0
	s_waitcnt vmcnt(4)
	s_delay_alu instid0(VALU_DEP_1) | instskip(SKIP_4) | instid1(VALU_DEP_1)
	v_fma_f64 v[2:3], v[138:139], v[156:157], v[2:3]
	scratch_load_b128 v[136:139], off, off offset:400
	s_waitcnt lgkmcnt(0)
	v_fma_f64 v[2:3], v[140:141], v[158:159], v[2:3]
	s_waitcnt vmcnt(4)
	v_fma_f64 v[2:3], v[142:143], v[160:161], v[2:3]
	ds_load_2addr_b64 v[140:143], v1 offset0:107 offset1:108
	ds_load_2addr_b64 v[154:157], v1 offset0:109 offset1:110
	scratch_load_b128 v[158:161], off, off offset:416
	s_waitcnt lgkmcnt(1)
	v_fma_f64 v[2:3], v[144:145], v[140:141], v[2:3]
	s_waitcnt vmcnt(4)
	s_delay_alu instid0(VALU_DEP_1) | instskip(SKIP_4) | instid1(VALU_DEP_1)
	v_fma_f64 v[2:3], v[146:147], v[142:143], v[2:3]
	scratch_load_b128 v[140:143], off, off offset:432
	s_waitcnt lgkmcnt(0)
	v_fma_f64 v[2:3], v[148:149], v[154:155], v[2:3]
	s_waitcnt vmcnt(4)
	v_fma_f64 v[2:3], v[150:151], v[156:157], v[2:3]
	ds_load_2addr_b64 v[144:147], v1 offset0:111 offset1:112
	ds_load_2addr_b64 v[148:151], v1 offset0:113 offset1:114
	s_waitcnt lgkmcnt(1)
	v_fma_f64 v[2:3], v[152:153], v[144:145], v[2:3]
	scratch_load_b128 v[152:155], off, off offset:448
	s_waitcnt vmcnt(4)
	v_fma_f64 v[2:3], v[162:163], v[146:147], v[2:3]
	scratch_load_b128 v[144:147], off, off offset:464
	s_waitcnt lgkmcnt(0)
	v_fma_f64 v[2:3], v[164:165], v[148:149], v[2:3]
	s_waitcnt vmcnt(4)
	s_delay_alu instid0(VALU_DEP_1)
	v_fma_f64 v[2:3], v[136:137], v[150:151], v[2:3]
	ds_load_2addr_b64 v[148:151], v1 offset0:115 offset1:116
	ds_load_2addr_b64 v[162:165], v1 offset0:117 offset1:118
	s_waitcnt lgkmcnt(1)
	v_fma_f64 v[2:3], v[138:139], v[148:149], v[2:3]
	scratch_load_b128 v[136:139], off, off offset:480
	s_waitcnt vmcnt(4)
	v_fma_f64 v[2:3], v[158:159], v[150:151], v[2:3]
	scratch_load_b128 v[148:151], off, off offset:496
	s_waitcnt lgkmcnt(0)
	v_fma_f64 v[2:3], v[160:161], v[162:163], v[2:3]
	ds_load_2addr_b64 v[156:159], v1 offset0:119 offset1:120
	ds_load_2addr_b64 v[160:163], v1 offset0:121 offset1:122
	s_waitcnt vmcnt(4)
	v_fma_f64 v[2:3], v[140:141], v[164:165], v[2:3]
	s_waitcnt lgkmcnt(1)
	s_delay_alu instid0(VALU_DEP_1) | instskip(SKIP_1) | instid1(VALU_DEP_1)
	v_fma_f64 v[2:3], v[142:143], v[156:157], v[2:3]
	s_waitcnt vmcnt(3)
	v_fma_f64 v[2:3], v[152:153], v[158:159], v[2:3]
	s_waitcnt lgkmcnt(0)
	s_delay_alu instid0(VALU_DEP_1)
	v_fma_f64 v[2:3], v[154:155], v[160:161], v[2:3]
	ds_load_2addr_b64 v[140:143], v1 offset0:123 offset1:124
	ds_load_2addr_b64 v[152:155], v1 offset0:125 offset1:126
	s_waitcnt vmcnt(2)
	v_fma_f64 v[2:3], v[144:145], v[162:163], v[2:3]
	s_waitcnt lgkmcnt(1)
	s_delay_alu instid0(VALU_DEP_1) | instskip(SKIP_1) | instid1(VALU_DEP_1)
	v_fma_f64 v[2:3], v[146:147], v[140:141], v[2:3]
	s_waitcnt vmcnt(1)
	v_fma_f64 v[2:3], v[136:137], v[142:143], v[2:3]
	ds_load_b64 v[136:137], v1 offset:1016
	s_waitcnt lgkmcnt(1)
	v_fma_f64 v[2:3], v[138:139], v[152:153], v[2:3]
	s_waitcnt vmcnt(0)
	s_delay_alu instid0(VALU_DEP_1) | instskip(SKIP_1) | instid1(VALU_DEP_1)
	v_fma_f64 v[2:3], v[148:149], v[154:155], v[2:3]
	s_waitcnt lgkmcnt(0)
	v_fma_f64 v[2:3], v[150:151], v[136:137], v[2:3]
	s_delay_alu instid0(VALU_DEP_1)
	v_add_f64 v[2:3], v[134:135], -v[2:3]
	scratch_store_b64 off, v[2:3], off offset:304
	v_cmpx_lt_u32_e32 37, v0
	s_cbranch_execz .LBB63_319
; %bb.318:
	scratch_load_b64 v[3:4], off, off offset:296
	v_mov_b32_e32 v2, v1
	scratch_store_b64 off, v[1:2], off offset:296
	s_waitcnt vmcnt(0)
	ds_store_b64 v5, v[3:4]
.LBB63_319:
	s_or_b32 exec_lo, exec_lo, s0
	s_waitcnt lgkmcnt(0)
	s_waitcnt_vscnt null, 0x0
	s_barrier
	buffer_gl0_inv
	s_clause 0x4
	scratch_load_b128 v[134:137], off, off offset:296
	scratch_load_b128 v[138:141], off, off offset:312
	;; [unrolled: 1-line block ×5, first 2 shown]
	ds_load_b128 v[154:157], v1 offset:816
	ds_load_b128 v[158:161], v1 offset:832
	scratch_load_b128 v[162:165], off, off offset:376
	s_mov_b32 s0, exec_lo
	s_waitcnt vmcnt(5) lgkmcnt(1)
	v_fma_f64 v[2:3], v[136:137], v[154:155], 0
	s_waitcnt vmcnt(4)
	s_delay_alu instid0(VALU_DEP_1) | instskip(SKIP_4) | instid1(VALU_DEP_1)
	v_fma_f64 v[2:3], v[138:139], v[156:157], v[2:3]
	scratch_load_b128 v[136:139], off, off offset:392
	s_waitcnt lgkmcnt(0)
	v_fma_f64 v[2:3], v[140:141], v[158:159], v[2:3]
	s_waitcnt vmcnt(4)
	v_fma_f64 v[2:3], v[142:143], v[160:161], v[2:3]
	ds_load_b128 v[140:143], v1 offset:848
	ds_load_b128 v[154:157], v1 offset:864
	scratch_load_b128 v[158:161], off, off offset:408
	s_waitcnt lgkmcnt(1)
	v_fma_f64 v[2:3], v[144:145], v[140:141], v[2:3]
	s_waitcnt vmcnt(4)
	s_delay_alu instid0(VALU_DEP_1) | instskip(SKIP_4) | instid1(VALU_DEP_1)
	v_fma_f64 v[2:3], v[146:147], v[142:143], v[2:3]
	scratch_load_b128 v[140:143], off, off offset:424
	s_waitcnt lgkmcnt(0)
	v_fma_f64 v[2:3], v[148:149], v[154:155], v[2:3]
	s_waitcnt vmcnt(4)
	v_fma_f64 v[2:3], v[150:151], v[156:157], v[2:3]
	ds_load_b128 v[144:147], v1 offset:880
	ds_load_b128 v[148:151], v1 offset:896
	s_waitcnt lgkmcnt(1)
	v_fma_f64 v[2:3], v[152:153], v[144:145], v[2:3]
	scratch_load_b128 v[152:155], off, off offset:440
	s_waitcnt vmcnt(4)
	v_fma_f64 v[2:3], v[162:163], v[146:147], v[2:3]
	scratch_load_b128 v[144:147], off, off offset:456
	s_waitcnt lgkmcnt(0)
	v_fma_f64 v[2:3], v[164:165], v[148:149], v[2:3]
	s_waitcnt vmcnt(4)
	s_delay_alu instid0(VALU_DEP_1)
	v_fma_f64 v[2:3], v[136:137], v[150:151], v[2:3]
	ds_load_b128 v[148:151], v1 offset:912
	ds_load_b128 v[162:165], v1 offset:928
	s_waitcnt lgkmcnt(1)
	v_fma_f64 v[2:3], v[138:139], v[148:149], v[2:3]
	scratch_load_b128 v[136:139], off, off offset:472
	s_waitcnt vmcnt(4)
	v_fma_f64 v[2:3], v[158:159], v[150:151], v[2:3]
	scratch_load_b128 v[148:151], off, off offset:488
	s_waitcnt lgkmcnt(0)
	v_fma_f64 v[2:3], v[160:161], v[162:163], v[2:3]
	ds_load_b128 v[156:159], v1 offset:944
	ds_load_b128 v[160:163], v1 offset:960
	s_waitcnt vmcnt(4)
	v_fma_f64 v[2:3], v[140:141], v[164:165], v[2:3]
	s_waitcnt lgkmcnt(1)
	s_delay_alu instid0(VALU_DEP_1) | instskip(SKIP_4) | instid1(VALU_DEP_1)
	v_fma_f64 v[2:3], v[142:143], v[156:157], v[2:3]
	scratch_load_b64 v[156:157], off, off offset:504
	s_waitcnt vmcnt(4)
	v_fma_f64 v[2:3], v[152:153], v[158:159], v[2:3]
	s_waitcnt lgkmcnt(0)
	v_fma_f64 v[2:3], v[154:155], v[160:161], v[2:3]
	ds_load_b128 v[140:143], v1 offset:976
	ds_load_b128 v[152:155], v1 offset:992
	s_waitcnt vmcnt(3)
	v_fma_f64 v[2:3], v[144:145], v[162:163], v[2:3]
	s_waitcnt lgkmcnt(1)
	s_delay_alu instid0(VALU_DEP_1) | instskip(SKIP_1) | instid1(VALU_DEP_1)
	v_fma_f64 v[2:3], v[146:147], v[140:141], v[2:3]
	s_waitcnt vmcnt(2)
	v_fma_f64 v[2:3], v[136:137], v[142:143], v[2:3]
	s_waitcnt lgkmcnt(0)
	s_delay_alu instid0(VALU_DEP_1) | instskip(SKIP_1) | instid1(VALU_DEP_1)
	v_fma_f64 v[2:3], v[138:139], v[152:153], v[2:3]
	s_waitcnt vmcnt(1)
	v_fma_f64 v[136:137], v[148:149], v[154:155], v[2:3]
	ds_load_b128 v[1:4], v1 offset:1008
	s_waitcnt lgkmcnt(0)
	v_fma_f64 v[1:2], v[150:151], v[1:2], v[136:137]
	s_waitcnt vmcnt(0)
	s_delay_alu instid0(VALU_DEP_1) | instskip(NEXT) | instid1(VALU_DEP_1)
	v_fma_f64 v[1:2], v[156:157], v[3:4], v[1:2]
	v_add_f64 v[1:2], v[134:135], -v[1:2]
	scratch_store_b64 off, v[1:2], off offset:296
	v_cmpx_lt_u32_e32 36, v0
	s_cbranch_execz .LBB63_321
; %bb.320:
	scratch_load_b64 v[1:2], off, off offset:288
	v_mov_b32_e32 v3, 0
	s_delay_alu instid0(VALU_DEP_1)
	v_mov_b32_e32 v4, v3
	scratch_store_b64 off, v[3:4], off offset:288
	s_waitcnt vmcnt(0)
	ds_store_b64 v5, v[1:2]
.LBB63_321:
	s_or_b32 exec_lo, exec_lo, s0
	s_waitcnt lgkmcnt(0)
	s_waitcnt_vscnt null, 0x0
	s_barrier
	buffer_gl0_inv
	s_clause 0x4
	scratch_load_b128 v[134:137], off, off offset:288
	scratch_load_b128 v[138:141], off, off offset:304
	;; [unrolled: 1-line block ×5, first 2 shown]
	v_mov_b32_e32 v1, 0
	ds_load_2addr_b64 v[154:157], v1 offset0:101 offset1:102
	ds_load_2addr_b64 v[158:161], v1 offset0:103 offset1:104
	scratch_load_b128 v[162:165], off, off offset:368
	s_mov_b32 s0, exec_lo
	s_waitcnt vmcnt(5) lgkmcnt(1)
	v_fma_f64 v[2:3], v[136:137], v[154:155], 0
	s_waitcnt vmcnt(4)
	s_delay_alu instid0(VALU_DEP_1) | instskip(SKIP_4) | instid1(VALU_DEP_1)
	v_fma_f64 v[2:3], v[138:139], v[156:157], v[2:3]
	scratch_load_b128 v[136:139], off, off offset:384
	s_waitcnt lgkmcnt(0)
	v_fma_f64 v[2:3], v[140:141], v[158:159], v[2:3]
	s_waitcnt vmcnt(4)
	v_fma_f64 v[2:3], v[142:143], v[160:161], v[2:3]
	ds_load_2addr_b64 v[140:143], v1 offset0:105 offset1:106
	ds_load_2addr_b64 v[154:157], v1 offset0:107 offset1:108
	scratch_load_b128 v[158:161], off, off offset:400
	s_waitcnt lgkmcnt(1)
	v_fma_f64 v[2:3], v[144:145], v[140:141], v[2:3]
	s_waitcnt vmcnt(4)
	s_delay_alu instid0(VALU_DEP_1) | instskip(SKIP_4) | instid1(VALU_DEP_1)
	v_fma_f64 v[2:3], v[146:147], v[142:143], v[2:3]
	scratch_load_b128 v[140:143], off, off offset:416
	s_waitcnt lgkmcnt(0)
	v_fma_f64 v[2:3], v[148:149], v[154:155], v[2:3]
	s_waitcnt vmcnt(4)
	v_fma_f64 v[2:3], v[150:151], v[156:157], v[2:3]
	ds_load_2addr_b64 v[144:147], v1 offset0:109 offset1:110
	ds_load_2addr_b64 v[148:151], v1 offset0:111 offset1:112
	s_waitcnt lgkmcnt(1)
	v_fma_f64 v[2:3], v[152:153], v[144:145], v[2:3]
	scratch_load_b128 v[152:155], off, off offset:432
	s_waitcnt vmcnt(4)
	v_fma_f64 v[2:3], v[162:163], v[146:147], v[2:3]
	scratch_load_b128 v[144:147], off, off offset:448
	s_waitcnt lgkmcnt(0)
	v_fma_f64 v[2:3], v[164:165], v[148:149], v[2:3]
	s_waitcnt vmcnt(4)
	s_delay_alu instid0(VALU_DEP_1)
	v_fma_f64 v[2:3], v[136:137], v[150:151], v[2:3]
	ds_load_2addr_b64 v[148:151], v1 offset0:113 offset1:114
	ds_load_2addr_b64 v[162:165], v1 offset0:115 offset1:116
	s_waitcnt lgkmcnt(1)
	v_fma_f64 v[2:3], v[138:139], v[148:149], v[2:3]
	scratch_load_b128 v[136:139], off, off offset:464
	s_waitcnt vmcnt(4)
	v_fma_f64 v[2:3], v[158:159], v[150:151], v[2:3]
	scratch_load_b128 v[148:151], off, off offset:480
	s_waitcnt lgkmcnt(0)
	v_fma_f64 v[2:3], v[160:161], v[162:163], v[2:3]
	ds_load_2addr_b64 v[156:159], v1 offset0:117 offset1:118
	ds_load_2addr_b64 v[160:163], v1 offset0:119 offset1:120
	s_waitcnt vmcnt(4)
	v_fma_f64 v[2:3], v[140:141], v[164:165], v[2:3]
	s_waitcnt lgkmcnt(1)
	s_delay_alu instid0(VALU_DEP_1) | instskip(SKIP_4) | instid1(VALU_DEP_1)
	v_fma_f64 v[2:3], v[142:143], v[156:157], v[2:3]
	scratch_load_b128 v[140:143], off, off offset:496
	s_waitcnt vmcnt(4)
	v_fma_f64 v[2:3], v[152:153], v[158:159], v[2:3]
	s_waitcnt lgkmcnt(0)
	v_fma_f64 v[2:3], v[154:155], v[160:161], v[2:3]
	ds_load_2addr_b64 v[152:155], v1 offset0:121 offset1:122
	ds_load_2addr_b64 v[156:159], v1 offset0:123 offset1:124
	s_waitcnt vmcnt(3)
	v_fma_f64 v[2:3], v[144:145], v[162:163], v[2:3]
	s_waitcnt lgkmcnt(1)
	s_delay_alu instid0(VALU_DEP_1) | instskip(SKIP_1) | instid1(VALU_DEP_1)
	v_fma_f64 v[2:3], v[146:147], v[152:153], v[2:3]
	s_waitcnt vmcnt(2)
	v_fma_f64 v[2:3], v[136:137], v[154:155], v[2:3]
	s_waitcnt lgkmcnt(0)
	s_delay_alu instid0(VALU_DEP_1)
	v_fma_f64 v[2:3], v[138:139], v[156:157], v[2:3]
	ds_load_2addr_b64 v[136:139], v1 offset0:125 offset1:126
	ds_load_b64 v[144:145], v1 offset:1016
	s_waitcnt vmcnt(1)
	v_fma_f64 v[2:3], v[148:149], v[158:159], v[2:3]
	s_waitcnt lgkmcnt(1)
	s_delay_alu instid0(VALU_DEP_1) | instskip(SKIP_1) | instid1(VALU_DEP_1)
	v_fma_f64 v[2:3], v[150:151], v[136:137], v[2:3]
	s_waitcnt vmcnt(0)
	v_fma_f64 v[2:3], v[140:141], v[138:139], v[2:3]
	s_waitcnt lgkmcnt(0)
	s_delay_alu instid0(VALU_DEP_1) | instskip(NEXT) | instid1(VALU_DEP_1)
	v_fma_f64 v[2:3], v[142:143], v[144:145], v[2:3]
	v_add_f64 v[2:3], v[134:135], -v[2:3]
	scratch_store_b64 off, v[2:3], off offset:288
	v_cmpx_lt_u32_e32 35, v0
	s_cbranch_execz .LBB63_323
; %bb.322:
	scratch_load_b64 v[3:4], off, off offset:280
	v_mov_b32_e32 v2, v1
	scratch_store_b64 off, v[1:2], off offset:280
	s_waitcnt vmcnt(0)
	ds_store_b64 v5, v[3:4]
.LBB63_323:
	s_or_b32 exec_lo, exec_lo, s0
	s_waitcnt lgkmcnt(0)
	s_waitcnt_vscnt null, 0x0
	s_barrier
	buffer_gl0_inv
	s_clause 0x4
	scratch_load_b128 v[134:137], off, off offset:280
	scratch_load_b128 v[138:141], off, off offset:296
	;; [unrolled: 1-line block ×5, first 2 shown]
	ds_load_b128 v[154:157], v1 offset:800
	ds_load_b128 v[158:161], v1 offset:816
	scratch_load_b128 v[162:165], off, off offset:360
	s_mov_b32 s0, exec_lo
	s_waitcnt vmcnt(5) lgkmcnt(1)
	v_fma_f64 v[2:3], v[136:137], v[154:155], 0
	s_waitcnt vmcnt(4)
	s_delay_alu instid0(VALU_DEP_1) | instskip(SKIP_4) | instid1(VALU_DEP_1)
	v_fma_f64 v[2:3], v[138:139], v[156:157], v[2:3]
	scratch_load_b128 v[136:139], off, off offset:376
	s_waitcnt lgkmcnt(0)
	v_fma_f64 v[2:3], v[140:141], v[158:159], v[2:3]
	s_waitcnt vmcnt(4)
	v_fma_f64 v[2:3], v[142:143], v[160:161], v[2:3]
	ds_load_b128 v[140:143], v1 offset:832
	ds_load_b128 v[154:157], v1 offset:848
	scratch_load_b128 v[158:161], off, off offset:392
	s_waitcnt lgkmcnt(1)
	v_fma_f64 v[2:3], v[144:145], v[140:141], v[2:3]
	s_waitcnt vmcnt(4)
	s_delay_alu instid0(VALU_DEP_1) | instskip(SKIP_4) | instid1(VALU_DEP_1)
	v_fma_f64 v[2:3], v[146:147], v[142:143], v[2:3]
	scratch_load_b128 v[140:143], off, off offset:408
	s_waitcnt lgkmcnt(0)
	v_fma_f64 v[2:3], v[148:149], v[154:155], v[2:3]
	s_waitcnt vmcnt(4)
	v_fma_f64 v[2:3], v[150:151], v[156:157], v[2:3]
	ds_load_b128 v[144:147], v1 offset:864
	ds_load_b128 v[148:151], v1 offset:880
	s_waitcnt lgkmcnt(1)
	v_fma_f64 v[2:3], v[152:153], v[144:145], v[2:3]
	scratch_load_b128 v[152:155], off, off offset:424
	s_waitcnt vmcnt(4)
	v_fma_f64 v[2:3], v[162:163], v[146:147], v[2:3]
	scratch_load_b128 v[144:147], off, off offset:440
	s_waitcnt lgkmcnt(0)
	v_fma_f64 v[2:3], v[164:165], v[148:149], v[2:3]
	s_waitcnt vmcnt(4)
	s_delay_alu instid0(VALU_DEP_1)
	v_fma_f64 v[2:3], v[136:137], v[150:151], v[2:3]
	ds_load_b128 v[148:151], v1 offset:896
	ds_load_b128 v[162:165], v1 offset:912
	s_waitcnt lgkmcnt(1)
	v_fma_f64 v[2:3], v[138:139], v[148:149], v[2:3]
	scratch_load_b128 v[136:139], off, off offset:456
	s_waitcnt vmcnt(4)
	v_fma_f64 v[2:3], v[158:159], v[150:151], v[2:3]
	scratch_load_b128 v[148:151], off, off offset:472
	s_waitcnt lgkmcnt(0)
	v_fma_f64 v[2:3], v[160:161], v[162:163], v[2:3]
	ds_load_b128 v[156:159], v1 offset:928
	ds_load_b128 v[160:163], v1 offset:944
	s_waitcnt vmcnt(4)
	v_fma_f64 v[2:3], v[140:141], v[164:165], v[2:3]
	s_waitcnt lgkmcnt(1)
	s_delay_alu instid0(VALU_DEP_1) | instskip(SKIP_4) | instid1(VALU_DEP_1)
	v_fma_f64 v[2:3], v[142:143], v[156:157], v[2:3]
	scratch_load_b128 v[140:143], off, off offset:488
	s_waitcnt vmcnt(4)
	v_fma_f64 v[2:3], v[152:153], v[158:159], v[2:3]
	s_waitcnt lgkmcnt(0)
	v_fma_f64 v[2:3], v[154:155], v[160:161], v[2:3]
	scratch_load_b64 v[160:161], off, off offset:504
	ds_load_b128 v[152:155], v1 offset:960
	ds_load_b128 v[156:159], v1 offset:976
	s_waitcnt vmcnt(4)
	v_fma_f64 v[2:3], v[144:145], v[162:163], v[2:3]
	s_waitcnt lgkmcnt(1)
	s_delay_alu instid0(VALU_DEP_1) | instskip(SKIP_1) | instid1(VALU_DEP_1)
	v_fma_f64 v[2:3], v[146:147], v[152:153], v[2:3]
	s_waitcnt vmcnt(3)
	v_fma_f64 v[2:3], v[136:137], v[154:155], v[2:3]
	s_waitcnt lgkmcnt(0)
	s_delay_alu instid0(VALU_DEP_1) | instskip(SKIP_1) | instid1(VALU_DEP_1)
	v_fma_f64 v[2:3], v[138:139], v[156:157], v[2:3]
	s_waitcnt vmcnt(2)
	v_fma_f64 v[144:145], v[148:149], v[158:159], v[2:3]
	ds_load_b128 v[136:139], v1 offset:992
	ds_load_b128 v[1:4], v1 offset:1008
	s_waitcnt lgkmcnt(1)
	v_fma_f64 v[136:137], v[150:151], v[136:137], v[144:145]
	s_waitcnt vmcnt(1)
	s_delay_alu instid0(VALU_DEP_1) | instskip(SKIP_1) | instid1(VALU_DEP_1)
	v_fma_f64 v[136:137], v[140:141], v[138:139], v[136:137]
	s_waitcnt lgkmcnt(0)
	v_fma_f64 v[1:2], v[142:143], v[1:2], v[136:137]
	s_waitcnt vmcnt(0)
	s_delay_alu instid0(VALU_DEP_1) | instskip(NEXT) | instid1(VALU_DEP_1)
	v_fma_f64 v[1:2], v[160:161], v[3:4], v[1:2]
	v_add_f64 v[1:2], v[134:135], -v[1:2]
	scratch_store_b64 off, v[1:2], off offset:280
	v_cmpx_lt_u32_e32 34, v0
	s_cbranch_execz .LBB63_325
; %bb.324:
	scratch_load_b64 v[1:2], off, off offset:272
	v_mov_b32_e32 v3, 0
	s_delay_alu instid0(VALU_DEP_1)
	v_mov_b32_e32 v4, v3
	scratch_store_b64 off, v[3:4], off offset:272
	s_waitcnt vmcnt(0)
	ds_store_b64 v5, v[1:2]
.LBB63_325:
	s_or_b32 exec_lo, exec_lo, s0
	s_waitcnt lgkmcnt(0)
	s_waitcnt_vscnt null, 0x0
	s_barrier
	buffer_gl0_inv
	s_clause 0x4
	scratch_load_b128 v[134:137], off, off offset:272
	scratch_load_b128 v[138:141], off, off offset:288
	;; [unrolled: 1-line block ×5, first 2 shown]
	v_mov_b32_e32 v1, 0
	ds_load_2addr_b64 v[154:157], v1 offset0:99 offset1:100
	ds_load_2addr_b64 v[158:161], v1 offset0:101 offset1:102
	scratch_load_b128 v[162:165], off, off offset:352
	s_mov_b32 s0, exec_lo
	s_waitcnt vmcnt(5) lgkmcnt(1)
	v_fma_f64 v[2:3], v[136:137], v[154:155], 0
	s_waitcnt vmcnt(4)
	s_delay_alu instid0(VALU_DEP_1) | instskip(SKIP_4) | instid1(VALU_DEP_1)
	v_fma_f64 v[2:3], v[138:139], v[156:157], v[2:3]
	scratch_load_b128 v[136:139], off, off offset:368
	s_waitcnt lgkmcnt(0)
	v_fma_f64 v[2:3], v[140:141], v[158:159], v[2:3]
	s_waitcnt vmcnt(4)
	v_fma_f64 v[2:3], v[142:143], v[160:161], v[2:3]
	ds_load_2addr_b64 v[140:143], v1 offset0:103 offset1:104
	ds_load_2addr_b64 v[154:157], v1 offset0:105 offset1:106
	scratch_load_b128 v[158:161], off, off offset:384
	s_waitcnt lgkmcnt(1)
	v_fma_f64 v[2:3], v[144:145], v[140:141], v[2:3]
	s_waitcnt vmcnt(4)
	s_delay_alu instid0(VALU_DEP_1) | instskip(SKIP_4) | instid1(VALU_DEP_1)
	v_fma_f64 v[2:3], v[146:147], v[142:143], v[2:3]
	scratch_load_b128 v[140:143], off, off offset:400
	s_waitcnt lgkmcnt(0)
	v_fma_f64 v[2:3], v[148:149], v[154:155], v[2:3]
	s_waitcnt vmcnt(4)
	v_fma_f64 v[2:3], v[150:151], v[156:157], v[2:3]
	ds_load_2addr_b64 v[144:147], v1 offset0:107 offset1:108
	ds_load_2addr_b64 v[148:151], v1 offset0:109 offset1:110
	s_waitcnt lgkmcnt(1)
	v_fma_f64 v[2:3], v[152:153], v[144:145], v[2:3]
	scratch_load_b128 v[152:155], off, off offset:416
	s_waitcnt vmcnt(4)
	v_fma_f64 v[2:3], v[162:163], v[146:147], v[2:3]
	scratch_load_b128 v[144:147], off, off offset:432
	s_waitcnt lgkmcnt(0)
	v_fma_f64 v[2:3], v[164:165], v[148:149], v[2:3]
	s_waitcnt vmcnt(4)
	s_delay_alu instid0(VALU_DEP_1)
	v_fma_f64 v[2:3], v[136:137], v[150:151], v[2:3]
	ds_load_2addr_b64 v[148:151], v1 offset0:111 offset1:112
	ds_load_2addr_b64 v[162:165], v1 offset0:113 offset1:114
	s_waitcnt lgkmcnt(1)
	v_fma_f64 v[2:3], v[138:139], v[148:149], v[2:3]
	scratch_load_b128 v[136:139], off, off offset:448
	s_waitcnt vmcnt(4)
	v_fma_f64 v[2:3], v[158:159], v[150:151], v[2:3]
	scratch_load_b128 v[148:151], off, off offset:464
	s_waitcnt lgkmcnt(0)
	v_fma_f64 v[2:3], v[160:161], v[162:163], v[2:3]
	ds_load_2addr_b64 v[156:159], v1 offset0:115 offset1:116
	ds_load_2addr_b64 v[160:163], v1 offset0:117 offset1:118
	s_waitcnt vmcnt(4)
	v_fma_f64 v[2:3], v[140:141], v[164:165], v[2:3]
	s_waitcnt lgkmcnt(1)
	s_delay_alu instid0(VALU_DEP_1) | instskip(SKIP_4) | instid1(VALU_DEP_1)
	v_fma_f64 v[2:3], v[142:143], v[156:157], v[2:3]
	scratch_load_b128 v[140:143], off, off offset:480
	s_waitcnt vmcnt(4)
	v_fma_f64 v[2:3], v[152:153], v[158:159], v[2:3]
	s_waitcnt lgkmcnt(0)
	v_fma_f64 v[2:3], v[154:155], v[160:161], v[2:3]
	scratch_load_b128 v[152:155], off, off offset:496
	s_waitcnt vmcnt(4)
	v_fma_f64 v[2:3], v[144:145], v[162:163], v[2:3]
	ds_load_2addr_b64 v[156:159], v1 offset0:119 offset1:120
	ds_load_2addr_b64 v[160:163], v1 offset0:121 offset1:122
	s_waitcnt lgkmcnt(1)
	v_fma_f64 v[2:3], v[146:147], v[156:157], v[2:3]
	s_waitcnt vmcnt(3)
	s_delay_alu instid0(VALU_DEP_1) | instskip(SKIP_1) | instid1(VALU_DEP_1)
	v_fma_f64 v[2:3], v[136:137], v[158:159], v[2:3]
	s_waitcnt lgkmcnt(0)
	v_fma_f64 v[2:3], v[138:139], v[160:161], v[2:3]
	ds_load_2addr_b64 v[136:139], v1 offset0:123 offset1:124
	ds_load_2addr_b64 v[144:147], v1 offset0:125 offset1:126
	s_waitcnt vmcnt(2)
	v_fma_f64 v[2:3], v[148:149], v[162:163], v[2:3]
	s_waitcnt lgkmcnt(1)
	s_delay_alu instid0(VALU_DEP_1) | instskip(SKIP_4) | instid1(VALU_DEP_1)
	v_fma_f64 v[2:3], v[150:151], v[136:137], v[2:3]
	ds_load_b64 v[136:137], v1 offset:1016
	s_waitcnt vmcnt(1)
	v_fma_f64 v[2:3], v[140:141], v[138:139], v[2:3]
	s_waitcnt lgkmcnt(1)
	v_fma_f64 v[2:3], v[142:143], v[144:145], v[2:3]
	s_waitcnt vmcnt(0)
	s_delay_alu instid0(VALU_DEP_1) | instskip(SKIP_1) | instid1(VALU_DEP_1)
	v_fma_f64 v[2:3], v[152:153], v[146:147], v[2:3]
	s_waitcnt lgkmcnt(0)
	v_fma_f64 v[2:3], v[154:155], v[136:137], v[2:3]
	s_delay_alu instid0(VALU_DEP_1)
	v_add_f64 v[2:3], v[134:135], -v[2:3]
	scratch_store_b64 off, v[2:3], off offset:272
	v_cmpx_lt_u32_e32 33, v0
	s_cbranch_execz .LBB63_327
; %bb.326:
	scratch_load_b64 v[3:4], off, off offset:264
	v_mov_b32_e32 v2, v1
	scratch_store_b64 off, v[1:2], off offset:264
	s_waitcnt vmcnt(0)
	ds_store_b64 v5, v[3:4]
.LBB63_327:
	s_or_b32 exec_lo, exec_lo, s0
	s_waitcnt lgkmcnt(0)
	s_waitcnt_vscnt null, 0x0
	s_barrier
	buffer_gl0_inv
	s_clause 0x4
	scratch_load_b128 v[134:137], off, off offset:264
	scratch_load_b128 v[138:141], off, off offset:280
	;; [unrolled: 1-line block ×5, first 2 shown]
	ds_load_b128 v[154:157], v1 offset:784
	ds_load_b128 v[158:161], v1 offset:800
	scratch_load_b128 v[162:165], off, off offset:344
	s_mov_b32 s0, exec_lo
	s_waitcnt vmcnt(5) lgkmcnt(1)
	v_fma_f64 v[2:3], v[136:137], v[154:155], 0
	s_waitcnt vmcnt(4)
	s_delay_alu instid0(VALU_DEP_1) | instskip(SKIP_4) | instid1(VALU_DEP_1)
	v_fma_f64 v[2:3], v[138:139], v[156:157], v[2:3]
	scratch_load_b128 v[136:139], off, off offset:360
	s_waitcnt lgkmcnt(0)
	v_fma_f64 v[2:3], v[140:141], v[158:159], v[2:3]
	s_waitcnt vmcnt(4)
	v_fma_f64 v[2:3], v[142:143], v[160:161], v[2:3]
	ds_load_b128 v[140:143], v1 offset:816
	ds_load_b128 v[154:157], v1 offset:832
	scratch_load_b128 v[158:161], off, off offset:376
	s_waitcnt lgkmcnt(1)
	v_fma_f64 v[2:3], v[144:145], v[140:141], v[2:3]
	s_waitcnt vmcnt(4)
	s_delay_alu instid0(VALU_DEP_1) | instskip(SKIP_4) | instid1(VALU_DEP_1)
	v_fma_f64 v[2:3], v[146:147], v[142:143], v[2:3]
	scratch_load_b128 v[140:143], off, off offset:392
	s_waitcnt lgkmcnt(0)
	v_fma_f64 v[2:3], v[148:149], v[154:155], v[2:3]
	s_waitcnt vmcnt(4)
	v_fma_f64 v[2:3], v[150:151], v[156:157], v[2:3]
	ds_load_b128 v[144:147], v1 offset:848
	ds_load_b128 v[148:151], v1 offset:864
	s_waitcnt lgkmcnt(1)
	v_fma_f64 v[2:3], v[152:153], v[144:145], v[2:3]
	scratch_load_b128 v[152:155], off, off offset:408
	s_waitcnt vmcnt(4)
	v_fma_f64 v[2:3], v[162:163], v[146:147], v[2:3]
	scratch_load_b128 v[144:147], off, off offset:424
	s_waitcnt lgkmcnt(0)
	v_fma_f64 v[2:3], v[164:165], v[148:149], v[2:3]
	s_waitcnt vmcnt(4)
	s_delay_alu instid0(VALU_DEP_1)
	v_fma_f64 v[2:3], v[136:137], v[150:151], v[2:3]
	ds_load_b128 v[148:151], v1 offset:880
	ds_load_b128 v[162:165], v1 offset:896
	s_waitcnt lgkmcnt(1)
	v_fma_f64 v[2:3], v[138:139], v[148:149], v[2:3]
	scratch_load_b128 v[136:139], off, off offset:440
	s_waitcnt vmcnt(4)
	v_fma_f64 v[2:3], v[158:159], v[150:151], v[2:3]
	scratch_load_b128 v[148:151], off, off offset:456
	s_waitcnt lgkmcnt(0)
	v_fma_f64 v[2:3], v[160:161], v[162:163], v[2:3]
	ds_load_b128 v[156:159], v1 offset:912
	ds_load_b128 v[160:163], v1 offset:928
	s_waitcnt vmcnt(4)
	v_fma_f64 v[2:3], v[140:141], v[164:165], v[2:3]
	s_waitcnt lgkmcnt(1)
	s_delay_alu instid0(VALU_DEP_1) | instskip(SKIP_4) | instid1(VALU_DEP_1)
	v_fma_f64 v[2:3], v[142:143], v[156:157], v[2:3]
	scratch_load_b128 v[140:143], off, off offset:472
	s_waitcnt vmcnt(4)
	v_fma_f64 v[2:3], v[152:153], v[158:159], v[2:3]
	s_waitcnt lgkmcnt(0)
	v_fma_f64 v[2:3], v[154:155], v[160:161], v[2:3]
	scratch_load_b128 v[152:155], off, off offset:488
	s_waitcnt vmcnt(4)
	v_fma_f64 v[2:3], v[144:145], v[162:163], v[2:3]
	ds_load_b128 v[156:159], v1 offset:944
	ds_load_b128 v[160:163], v1 offset:960
	s_waitcnt lgkmcnt(1)
	v_fma_f64 v[2:3], v[146:147], v[156:157], v[2:3]
	scratch_load_b64 v[156:157], off, off offset:504
	s_waitcnt vmcnt(4)
	v_fma_f64 v[2:3], v[136:137], v[158:159], v[2:3]
	s_waitcnt lgkmcnt(0)
	s_delay_alu instid0(VALU_DEP_1)
	v_fma_f64 v[2:3], v[138:139], v[160:161], v[2:3]
	ds_load_b128 v[136:139], v1 offset:976
	ds_load_b128 v[144:147], v1 offset:992
	s_waitcnt vmcnt(3)
	v_fma_f64 v[2:3], v[148:149], v[162:163], v[2:3]
	s_waitcnt lgkmcnt(1)
	s_delay_alu instid0(VALU_DEP_1) | instskip(SKIP_1) | instid1(VALU_DEP_1)
	v_fma_f64 v[2:3], v[150:151], v[136:137], v[2:3]
	s_waitcnt vmcnt(2)
	v_fma_f64 v[2:3], v[140:141], v[138:139], v[2:3]
	s_waitcnt lgkmcnt(0)
	s_delay_alu instid0(VALU_DEP_1) | instskip(SKIP_1) | instid1(VALU_DEP_1)
	v_fma_f64 v[2:3], v[142:143], v[144:145], v[2:3]
	s_waitcnt vmcnt(1)
	v_fma_f64 v[136:137], v[152:153], v[146:147], v[2:3]
	ds_load_b128 v[1:4], v1 offset:1008
	s_waitcnt lgkmcnt(0)
	v_fma_f64 v[1:2], v[154:155], v[1:2], v[136:137]
	s_waitcnt vmcnt(0)
	s_delay_alu instid0(VALU_DEP_1) | instskip(NEXT) | instid1(VALU_DEP_1)
	v_fma_f64 v[1:2], v[156:157], v[3:4], v[1:2]
	v_add_f64 v[1:2], v[134:135], -v[1:2]
	scratch_store_b64 off, v[1:2], off offset:264
	v_cmpx_lt_u32_e32 32, v0
	s_cbranch_execz .LBB63_329
; %bb.328:
	scratch_load_b64 v[1:2], off, off offset:256
	v_mov_b32_e32 v3, 0
	s_delay_alu instid0(VALU_DEP_1)
	v_mov_b32_e32 v4, v3
	scratch_store_b64 off, v[3:4], off offset:256
	s_waitcnt vmcnt(0)
	ds_store_b64 v5, v[1:2]
.LBB63_329:
	s_or_b32 exec_lo, exec_lo, s0
	s_waitcnt lgkmcnt(0)
	s_waitcnt_vscnt null, 0x0
	s_barrier
	buffer_gl0_inv
	s_clause 0x4
	scratch_load_b128 v[134:137], off, off offset:256
	scratch_load_b128 v[138:141], off, off offset:272
	;; [unrolled: 1-line block ×5, first 2 shown]
	v_mov_b32_e32 v1, 0
	ds_load_2addr_b64 v[154:157], v1 offset0:97 offset1:98
	ds_load_2addr_b64 v[158:161], v1 offset0:99 offset1:100
	scratch_load_b128 v[162:165], off, off offset:336
	s_mov_b32 s0, exec_lo
	s_waitcnt vmcnt(5) lgkmcnt(1)
	v_fma_f64 v[2:3], v[136:137], v[154:155], 0
	s_waitcnt vmcnt(4)
	s_delay_alu instid0(VALU_DEP_1) | instskip(SKIP_4) | instid1(VALU_DEP_1)
	v_fma_f64 v[2:3], v[138:139], v[156:157], v[2:3]
	scratch_load_b128 v[136:139], off, off offset:352
	s_waitcnt lgkmcnt(0)
	v_fma_f64 v[2:3], v[140:141], v[158:159], v[2:3]
	s_waitcnt vmcnt(4)
	v_fma_f64 v[2:3], v[142:143], v[160:161], v[2:3]
	ds_load_2addr_b64 v[140:143], v1 offset0:101 offset1:102
	ds_load_2addr_b64 v[154:157], v1 offset0:103 offset1:104
	scratch_load_b128 v[158:161], off, off offset:368
	s_waitcnt lgkmcnt(1)
	v_fma_f64 v[2:3], v[144:145], v[140:141], v[2:3]
	s_waitcnt vmcnt(4)
	s_delay_alu instid0(VALU_DEP_1) | instskip(SKIP_4) | instid1(VALU_DEP_1)
	v_fma_f64 v[2:3], v[146:147], v[142:143], v[2:3]
	scratch_load_b128 v[140:143], off, off offset:384
	s_waitcnt lgkmcnt(0)
	v_fma_f64 v[2:3], v[148:149], v[154:155], v[2:3]
	s_waitcnt vmcnt(4)
	v_fma_f64 v[2:3], v[150:151], v[156:157], v[2:3]
	ds_load_2addr_b64 v[144:147], v1 offset0:105 offset1:106
	ds_load_2addr_b64 v[148:151], v1 offset0:107 offset1:108
	s_waitcnt lgkmcnt(1)
	v_fma_f64 v[2:3], v[152:153], v[144:145], v[2:3]
	scratch_load_b128 v[152:155], off, off offset:400
	s_waitcnt vmcnt(4)
	v_fma_f64 v[2:3], v[162:163], v[146:147], v[2:3]
	scratch_load_b128 v[144:147], off, off offset:416
	s_waitcnt lgkmcnt(0)
	v_fma_f64 v[2:3], v[164:165], v[148:149], v[2:3]
	s_waitcnt vmcnt(4)
	s_delay_alu instid0(VALU_DEP_1)
	v_fma_f64 v[2:3], v[136:137], v[150:151], v[2:3]
	ds_load_2addr_b64 v[148:151], v1 offset0:109 offset1:110
	ds_load_2addr_b64 v[162:165], v1 offset0:111 offset1:112
	s_waitcnt lgkmcnt(1)
	v_fma_f64 v[2:3], v[138:139], v[148:149], v[2:3]
	scratch_load_b128 v[136:139], off, off offset:432
	s_waitcnt vmcnt(4)
	v_fma_f64 v[2:3], v[158:159], v[150:151], v[2:3]
	scratch_load_b128 v[148:151], off, off offset:448
	s_waitcnt lgkmcnt(0)
	v_fma_f64 v[2:3], v[160:161], v[162:163], v[2:3]
	ds_load_2addr_b64 v[156:159], v1 offset0:113 offset1:114
	ds_load_2addr_b64 v[160:163], v1 offset0:115 offset1:116
	s_waitcnt vmcnt(4)
	v_fma_f64 v[2:3], v[140:141], v[164:165], v[2:3]
	s_waitcnt lgkmcnt(1)
	s_delay_alu instid0(VALU_DEP_1) | instskip(SKIP_4) | instid1(VALU_DEP_1)
	v_fma_f64 v[2:3], v[142:143], v[156:157], v[2:3]
	scratch_load_b128 v[140:143], off, off offset:464
	s_waitcnt vmcnt(4)
	v_fma_f64 v[2:3], v[152:153], v[158:159], v[2:3]
	s_waitcnt lgkmcnt(0)
	v_fma_f64 v[2:3], v[154:155], v[160:161], v[2:3]
	scratch_load_b128 v[152:155], off, off offset:480
	s_waitcnt vmcnt(4)
	v_fma_f64 v[2:3], v[144:145], v[162:163], v[2:3]
	ds_load_2addr_b64 v[156:159], v1 offset0:117 offset1:118
	ds_load_2addr_b64 v[160:163], v1 offset0:119 offset1:120
	s_waitcnt lgkmcnt(1)
	v_fma_f64 v[2:3], v[146:147], v[156:157], v[2:3]
	scratch_load_b128 v[144:147], off, off offset:496
	s_waitcnt vmcnt(4)
	v_fma_f64 v[2:3], v[136:137], v[158:159], v[2:3]
	s_waitcnt lgkmcnt(0)
	s_delay_alu instid0(VALU_DEP_1)
	v_fma_f64 v[2:3], v[138:139], v[160:161], v[2:3]
	ds_load_2addr_b64 v[136:139], v1 offset0:121 offset1:122
	ds_load_2addr_b64 v[156:159], v1 offset0:123 offset1:124
	s_waitcnt vmcnt(3)
	v_fma_f64 v[2:3], v[148:149], v[162:163], v[2:3]
	s_waitcnt lgkmcnt(1)
	s_delay_alu instid0(VALU_DEP_1) | instskip(SKIP_1) | instid1(VALU_DEP_1)
	v_fma_f64 v[2:3], v[150:151], v[136:137], v[2:3]
	s_waitcnt vmcnt(2)
	v_fma_f64 v[2:3], v[140:141], v[138:139], v[2:3]
	ds_load_2addr_b64 v[136:139], v1 offset0:125 offset1:126
	ds_load_b64 v[140:141], v1 offset:1016
	s_waitcnt lgkmcnt(2)
	v_fma_f64 v[2:3], v[142:143], v[156:157], v[2:3]
	s_waitcnt vmcnt(1)
	s_delay_alu instid0(VALU_DEP_1) | instskip(SKIP_1) | instid1(VALU_DEP_1)
	v_fma_f64 v[2:3], v[152:153], v[158:159], v[2:3]
	s_waitcnt lgkmcnt(1)
	v_fma_f64 v[2:3], v[154:155], v[136:137], v[2:3]
	s_waitcnt vmcnt(0)
	s_delay_alu instid0(VALU_DEP_1) | instskip(SKIP_1) | instid1(VALU_DEP_1)
	v_fma_f64 v[2:3], v[144:145], v[138:139], v[2:3]
	s_waitcnt lgkmcnt(0)
	v_fma_f64 v[2:3], v[146:147], v[140:141], v[2:3]
	s_delay_alu instid0(VALU_DEP_1)
	v_add_f64 v[2:3], v[134:135], -v[2:3]
	scratch_store_b64 off, v[2:3], off offset:256
	v_cmpx_lt_u32_e32 31, v0
	s_cbranch_execz .LBB63_331
; %bb.330:
	scratch_load_b64 v[3:4], off, off offset:248
	v_mov_b32_e32 v2, v1
	scratch_store_b64 off, v[1:2], off offset:248
	s_waitcnt vmcnt(0)
	ds_store_b64 v5, v[3:4]
.LBB63_331:
	s_or_b32 exec_lo, exec_lo, s0
	s_waitcnt lgkmcnt(0)
	s_waitcnt_vscnt null, 0x0
	s_barrier
	buffer_gl0_inv
	s_clause 0x4
	scratch_load_b128 v[134:137], off, off offset:248
	scratch_load_b128 v[138:141], off, off offset:264
	;; [unrolled: 1-line block ×5, first 2 shown]
	ds_load_b128 v[154:157], v1 offset:768
	ds_load_b128 v[158:161], v1 offset:784
	scratch_load_b128 v[162:165], off, off offset:328
	s_mov_b32 s0, exec_lo
	s_waitcnt vmcnt(5) lgkmcnt(1)
	v_fma_f64 v[2:3], v[136:137], v[154:155], 0
	s_waitcnt vmcnt(4)
	s_delay_alu instid0(VALU_DEP_1) | instskip(SKIP_4) | instid1(VALU_DEP_1)
	v_fma_f64 v[2:3], v[138:139], v[156:157], v[2:3]
	scratch_load_b128 v[136:139], off, off offset:344
	s_waitcnt lgkmcnt(0)
	v_fma_f64 v[2:3], v[140:141], v[158:159], v[2:3]
	s_waitcnt vmcnt(4)
	v_fma_f64 v[2:3], v[142:143], v[160:161], v[2:3]
	ds_load_b128 v[140:143], v1 offset:800
	ds_load_b128 v[154:157], v1 offset:816
	scratch_load_b128 v[158:161], off, off offset:360
	s_waitcnt lgkmcnt(1)
	v_fma_f64 v[2:3], v[144:145], v[140:141], v[2:3]
	s_waitcnt vmcnt(4)
	s_delay_alu instid0(VALU_DEP_1) | instskip(SKIP_4) | instid1(VALU_DEP_1)
	v_fma_f64 v[2:3], v[146:147], v[142:143], v[2:3]
	scratch_load_b128 v[140:143], off, off offset:376
	s_waitcnt lgkmcnt(0)
	v_fma_f64 v[2:3], v[148:149], v[154:155], v[2:3]
	s_waitcnt vmcnt(4)
	v_fma_f64 v[2:3], v[150:151], v[156:157], v[2:3]
	ds_load_b128 v[144:147], v1 offset:832
	ds_load_b128 v[148:151], v1 offset:848
	s_waitcnt lgkmcnt(1)
	v_fma_f64 v[2:3], v[152:153], v[144:145], v[2:3]
	scratch_load_b128 v[152:155], off, off offset:392
	s_waitcnt vmcnt(4)
	v_fma_f64 v[2:3], v[162:163], v[146:147], v[2:3]
	scratch_load_b128 v[144:147], off, off offset:408
	s_waitcnt lgkmcnt(0)
	v_fma_f64 v[2:3], v[164:165], v[148:149], v[2:3]
	s_waitcnt vmcnt(4)
	s_delay_alu instid0(VALU_DEP_1)
	v_fma_f64 v[2:3], v[136:137], v[150:151], v[2:3]
	ds_load_b128 v[148:151], v1 offset:864
	ds_load_b128 v[162:165], v1 offset:880
	s_waitcnt lgkmcnt(1)
	v_fma_f64 v[2:3], v[138:139], v[148:149], v[2:3]
	scratch_load_b128 v[136:139], off, off offset:424
	s_waitcnt vmcnt(4)
	v_fma_f64 v[2:3], v[158:159], v[150:151], v[2:3]
	scratch_load_b128 v[148:151], off, off offset:440
	s_waitcnt lgkmcnt(0)
	v_fma_f64 v[2:3], v[160:161], v[162:163], v[2:3]
	ds_load_b128 v[156:159], v1 offset:896
	ds_load_b128 v[160:163], v1 offset:912
	s_waitcnt vmcnt(4)
	v_fma_f64 v[2:3], v[140:141], v[164:165], v[2:3]
	s_waitcnt lgkmcnt(1)
	s_delay_alu instid0(VALU_DEP_1) | instskip(SKIP_4) | instid1(VALU_DEP_1)
	v_fma_f64 v[2:3], v[142:143], v[156:157], v[2:3]
	scratch_load_b128 v[140:143], off, off offset:456
	s_waitcnt vmcnt(4)
	v_fma_f64 v[2:3], v[152:153], v[158:159], v[2:3]
	s_waitcnt lgkmcnt(0)
	v_fma_f64 v[2:3], v[154:155], v[160:161], v[2:3]
	scratch_load_b128 v[152:155], off, off offset:472
	s_waitcnt vmcnt(4)
	v_fma_f64 v[2:3], v[144:145], v[162:163], v[2:3]
	ds_load_b128 v[156:159], v1 offset:928
	ds_load_b128 v[160:163], v1 offset:944
	s_waitcnt lgkmcnt(1)
	v_fma_f64 v[2:3], v[146:147], v[156:157], v[2:3]
	scratch_load_b128 v[144:147], off, off offset:488
	s_waitcnt vmcnt(4)
	v_fma_f64 v[2:3], v[136:137], v[158:159], v[2:3]
	s_waitcnt lgkmcnt(0)
	s_delay_alu instid0(VALU_DEP_1)
	v_fma_f64 v[2:3], v[138:139], v[160:161], v[2:3]
	scratch_load_b64 v[160:161], off, off offset:504
	ds_load_b128 v[136:139], v1 offset:960
	ds_load_b128 v[156:159], v1 offset:976
	s_waitcnt vmcnt(4)
	v_fma_f64 v[2:3], v[148:149], v[162:163], v[2:3]
	s_waitcnt lgkmcnt(1)
	s_delay_alu instid0(VALU_DEP_1) | instskip(SKIP_1) | instid1(VALU_DEP_1)
	v_fma_f64 v[2:3], v[150:151], v[136:137], v[2:3]
	s_waitcnt vmcnt(3)
	v_fma_f64 v[2:3], v[140:141], v[138:139], v[2:3]
	s_waitcnt lgkmcnt(0)
	s_delay_alu instid0(VALU_DEP_1) | instskip(SKIP_1) | instid1(VALU_DEP_1)
	v_fma_f64 v[2:3], v[142:143], v[156:157], v[2:3]
	s_waitcnt vmcnt(2)
	v_fma_f64 v[140:141], v[152:153], v[158:159], v[2:3]
	ds_load_b128 v[136:139], v1 offset:992
	ds_load_b128 v[1:4], v1 offset:1008
	s_waitcnt lgkmcnt(1)
	v_fma_f64 v[136:137], v[154:155], v[136:137], v[140:141]
	s_waitcnt vmcnt(1)
	s_delay_alu instid0(VALU_DEP_1) | instskip(SKIP_1) | instid1(VALU_DEP_1)
	v_fma_f64 v[136:137], v[144:145], v[138:139], v[136:137]
	s_waitcnt lgkmcnt(0)
	v_fma_f64 v[1:2], v[146:147], v[1:2], v[136:137]
	s_waitcnt vmcnt(0)
	s_delay_alu instid0(VALU_DEP_1) | instskip(NEXT) | instid1(VALU_DEP_1)
	v_fma_f64 v[1:2], v[160:161], v[3:4], v[1:2]
	v_add_f64 v[1:2], v[134:135], -v[1:2]
	scratch_store_b64 off, v[1:2], off offset:248
	v_cmpx_lt_u32_e32 30, v0
	s_cbranch_execz .LBB63_333
; %bb.332:
	scratch_load_b64 v[1:2], off, off offset:240
	v_mov_b32_e32 v3, 0
	s_delay_alu instid0(VALU_DEP_1)
	v_mov_b32_e32 v4, v3
	scratch_store_b64 off, v[3:4], off offset:240
	s_waitcnt vmcnt(0)
	ds_store_b64 v5, v[1:2]
.LBB63_333:
	s_or_b32 exec_lo, exec_lo, s0
	s_waitcnt lgkmcnt(0)
	s_waitcnt_vscnt null, 0x0
	s_barrier
	buffer_gl0_inv
	s_clause 0x4
	scratch_load_b128 v[134:137], off, off offset:240
	scratch_load_b128 v[138:141], off, off offset:256
	;; [unrolled: 1-line block ×5, first 2 shown]
	v_mov_b32_e32 v1, 0
	ds_load_2addr_b64 v[154:157], v1 offset0:95 offset1:96
	ds_load_2addr_b64 v[158:161], v1 offset0:97 offset1:98
	scratch_load_b128 v[162:165], off, off offset:320
	s_mov_b32 s0, exec_lo
	s_waitcnt vmcnt(5) lgkmcnt(1)
	v_fma_f64 v[2:3], v[136:137], v[154:155], 0
	s_waitcnt vmcnt(4)
	s_delay_alu instid0(VALU_DEP_1) | instskip(SKIP_4) | instid1(VALU_DEP_1)
	v_fma_f64 v[2:3], v[138:139], v[156:157], v[2:3]
	scratch_load_b128 v[136:139], off, off offset:336
	s_waitcnt lgkmcnt(0)
	v_fma_f64 v[2:3], v[140:141], v[158:159], v[2:3]
	s_waitcnt vmcnt(4)
	v_fma_f64 v[2:3], v[142:143], v[160:161], v[2:3]
	ds_load_2addr_b64 v[140:143], v1 offset0:99 offset1:100
	ds_load_2addr_b64 v[154:157], v1 offset0:101 offset1:102
	scratch_load_b128 v[158:161], off, off offset:352
	s_waitcnt lgkmcnt(1)
	v_fma_f64 v[2:3], v[144:145], v[140:141], v[2:3]
	s_waitcnt vmcnt(4)
	s_delay_alu instid0(VALU_DEP_1) | instskip(SKIP_4) | instid1(VALU_DEP_1)
	v_fma_f64 v[2:3], v[146:147], v[142:143], v[2:3]
	scratch_load_b128 v[140:143], off, off offset:368
	s_waitcnt lgkmcnt(0)
	v_fma_f64 v[2:3], v[148:149], v[154:155], v[2:3]
	s_waitcnt vmcnt(4)
	v_fma_f64 v[2:3], v[150:151], v[156:157], v[2:3]
	ds_load_2addr_b64 v[144:147], v1 offset0:103 offset1:104
	ds_load_2addr_b64 v[148:151], v1 offset0:105 offset1:106
	s_waitcnt lgkmcnt(1)
	v_fma_f64 v[2:3], v[152:153], v[144:145], v[2:3]
	scratch_load_b128 v[152:155], off, off offset:384
	s_waitcnt vmcnt(4)
	v_fma_f64 v[2:3], v[162:163], v[146:147], v[2:3]
	scratch_load_b128 v[144:147], off, off offset:400
	s_waitcnt lgkmcnt(0)
	v_fma_f64 v[2:3], v[164:165], v[148:149], v[2:3]
	s_waitcnt vmcnt(4)
	s_delay_alu instid0(VALU_DEP_1)
	v_fma_f64 v[2:3], v[136:137], v[150:151], v[2:3]
	ds_load_2addr_b64 v[148:151], v1 offset0:107 offset1:108
	ds_load_2addr_b64 v[162:165], v1 offset0:109 offset1:110
	s_waitcnt lgkmcnt(1)
	v_fma_f64 v[2:3], v[138:139], v[148:149], v[2:3]
	scratch_load_b128 v[136:139], off, off offset:416
	s_waitcnt vmcnt(4)
	v_fma_f64 v[2:3], v[158:159], v[150:151], v[2:3]
	scratch_load_b128 v[148:151], off, off offset:432
	s_waitcnt lgkmcnt(0)
	v_fma_f64 v[2:3], v[160:161], v[162:163], v[2:3]
	ds_load_2addr_b64 v[156:159], v1 offset0:111 offset1:112
	ds_load_2addr_b64 v[160:163], v1 offset0:113 offset1:114
	s_waitcnt vmcnt(4)
	v_fma_f64 v[2:3], v[140:141], v[164:165], v[2:3]
	s_waitcnt lgkmcnt(1)
	s_delay_alu instid0(VALU_DEP_1) | instskip(SKIP_4) | instid1(VALU_DEP_1)
	v_fma_f64 v[2:3], v[142:143], v[156:157], v[2:3]
	scratch_load_b128 v[140:143], off, off offset:448
	s_waitcnt vmcnt(4)
	v_fma_f64 v[2:3], v[152:153], v[158:159], v[2:3]
	s_waitcnt lgkmcnt(0)
	v_fma_f64 v[2:3], v[154:155], v[160:161], v[2:3]
	scratch_load_b128 v[152:155], off, off offset:464
	s_waitcnt vmcnt(4)
	v_fma_f64 v[2:3], v[144:145], v[162:163], v[2:3]
	ds_load_2addr_b64 v[156:159], v1 offset0:115 offset1:116
	ds_load_2addr_b64 v[160:163], v1 offset0:117 offset1:118
	s_waitcnt lgkmcnt(1)
	v_fma_f64 v[2:3], v[146:147], v[156:157], v[2:3]
	scratch_load_b128 v[144:147], off, off offset:480
	s_waitcnt vmcnt(4)
	v_fma_f64 v[2:3], v[136:137], v[158:159], v[2:3]
	s_waitcnt lgkmcnt(0)
	s_delay_alu instid0(VALU_DEP_1)
	v_fma_f64 v[2:3], v[138:139], v[160:161], v[2:3]
	scratch_load_b128 v[136:139], off, off offset:496
	s_waitcnt vmcnt(4)
	v_fma_f64 v[2:3], v[148:149], v[162:163], v[2:3]
	ds_load_2addr_b64 v[156:159], v1 offset0:119 offset1:120
	ds_load_2addr_b64 v[160:163], v1 offset0:121 offset1:122
	s_waitcnt lgkmcnt(1)
	v_fma_f64 v[2:3], v[150:151], v[156:157], v[2:3]
	s_waitcnt vmcnt(3)
	s_delay_alu instid0(VALU_DEP_1) | instskip(SKIP_1) | instid1(VALU_DEP_1)
	v_fma_f64 v[2:3], v[140:141], v[158:159], v[2:3]
	s_waitcnt lgkmcnt(0)
	v_fma_f64 v[2:3], v[142:143], v[160:161], v[2:3]
	ds_load_2addr_b64 v[140:143], v1 offset0:123 offset1:124
	ds_load_2addr_b64 v[148:151], v1 offset0:125 offset1:126
	s_waitcnt vmcnt(2)
	v_fma_f64 v[2:3], v[152:153], v[162:163], v[2:3]
	s_waitcnt lgkmcnt(1)
	s_delay_alu instid0(VALU_DEP_1) | instskip(SKIP_1) | instid1(VALU_DEP_1)
	v_fma_f64 v[2:3], v[154:155], v[140:141], v[2:3]
	s_waitcnt vmcnt(1)
	v_fma_f64 v[2:3], v[144:145], v[142:143], v[2:3]
	s_waitcnt lgkmcnt(0)
	s_delay_alu instid0(VALU_DEP_1) | instskip(SKIP_1) | instid1(VALU_DEP_1)
	v_fma_f64 v[2:3], v[146:147], v[148:149], v[2:3]
	s_waitcnt vmcnt(0)
	v_fma_f64 v[2:3], v[136:137], v[150:151], v[2:3]
	ds_load_b64 v[136:137], v1 offset:1016
	s_waitcnt lgkmcnt(0)
	v_fma_f64 v[2:3], v[138:139], v[136:137], v[2:3]
	s_delay_alu instid0(VALU_DEP_1)
	v_add_f64 v[2:3], v[134:135], -v[2:3]
	scratch_store_b64 off, v[2:3], off offset:240
	v_cmpx_lt_u32_e32 29, v0
	s_cbranch_execz .LBB63_335
; %bb.334:
	scratch_load_b64 v[3:4], off, off offset:232
	v_mov_b32_e32 v2, v1
	scratch_store_b64 off, v[1:2], off offset:232
	s_waitcnt vmcnt(0)
	ds_store_b64 v5, v[3:4]
.LBB63_335:
	s_or_b32 exec_lo, exec_lo, s0
	s_waitcnt lgkmcnt(0)
	s_waitcnt_vscnt null, 0x0
	s_barrier
	buffer_gl0_inv
	s_clause 0x4
	scratch_load_b128 v[134:137], off, off offset:232
	scratch_load_b128 v[138:141], off, off offset:248
	;; [unrolled: 1-line block ×5, first 2 shown]
	ds_load_b128 v[154:157], v1 offset:752
	ds_load_b128 v[158:161], v1 offset:768
	scratch_load_b128 v[162:165], off, off offset:312
	s_mov_b32 s0, exec_lo
	s_waitcnt vmcnt(5) lgkmcnt(1)
	v_fma_f64 v[2:3], v[136:137], v[154:155], 0
	s_waitcnt vmcnt(4)
	s_delay_alu instid0(VALU_DEP_1) | instskip(SKIP_4) | instid1(VALU_DEP_1)
	v_fma_f64 v[2:3], v[138:139], v[156:157], v[2:3]
	scratch_load_b128 v[136:139], off, off offset:328
	s_waitcnt lgkmcnt(0)
	v_fma_f64 v[2:3], v[140:141], v[158:159], v[2:3]
	s_waitcnt vmcnt(4)
	v_fma_f64 v[2:3], v[142:143], v[160:161], v[2:3]
	ds_load_b128 v[140:143], v1 offset:784
	ds_load_b128 v[154:157], v1 offset:800
	scratch_load_b128 v[158:161], off, off offset:344
	s_waitcnt lgkmcnt(1)
	v_fma_f64 v[2:3], v[144:145], v[140:141], v[2:3]
	s_waitcnt vmcnt(4)
	s_delay_alu instid0(VALU_DEP_1) | instskip(SKIP_4) | instid1(VALU_DEP_1)
	v_fma_f64 v[2:3], v[146:147], v[142:143], v[2:3]
	scratch_load_b128 v[140:143], off, off offset:360
	s_waitcnt lgkmcnt(0)
	v_fma_f64 v[2:3], v[148:149], v[154:155], v[2:3]
	s_waitcnt vmcnt(4)
	v_fma_f64 v[2:3], v[150:151], v[156:157], v[2:3]
	ds_load_b128 v[144:147], v1 offset:816
	ds_load_b128 v[148:151], v1 offset:832
	s_waitcnt lgkmcnt(1)
	v_fma_f64 v[2:3], v[152:153], v[144:145], v[2:3]
	scratch_load_b128 v[152:155], off, off offset:376
	s_waitcnt vmcnt(4)
	v_fma_f64 v[2:3], v[162:163], v[146:147], v[2:3]
	scratch_load_b128 v[144:147], off, off offset:392
	s_waitcnt lgkmcnt(0)
	v_fma_f64 v[2:3], v[164:165], v[148:149], v[2:3]
	s_waitcnt vmcnt(4)
	s_delay_alu instid0(VALU_DEP_1)
	v_fma_f64 v[2:3], v[136:137], v[150:151], v[2:3]
	ds_load_b128 v[148:151], v1 offset:848
	ds_load_b128 v[162:165], v1 offset:864
	s_waitcnt lgkmcnt(1)
	v_fma_f64 v[2:3], v[138:139], v[148:149], v[2:3]
	scratch_load_b128 v[136:139], off, off offset:408
	s_waitcnt vmcnt(4)
	v_fma_f64 v[2:3], v[158:159], v[150:151], v[2:3]
	scratch_load_b128 v[148:151], off, off offset:424
	s_waitcnt lgkmcnt(0)
	v_fma_f64 v[2:3], v[160:161], v[162:163], v[2:3]
	ds_load_b128 v[156:159], v1 offset:880
	ds_load_b128 v[160:163], v1 offset:896
	s_waitcnt vmcnt(4)
	v_fma_f64 v[2:3], v[140:141], v[164:165], v[2:3]
	s_waitcnt lgkmcnt(1)
	s_delay_alu instid0(VALU_DEP_1) | instskip(SKIP_4) | instid1(VALU_DEP_1)
	v_fma_f64 v[2:3], v[142:143], v[156:157], v[2:3]
	scratch_load_b128 v[140:143], off, off offset:440
	s_waitcnt vmcnt(4)
	v_fma_f64 v[2:3], v[152:153], v[158:159], v[2:3]
	s_waitcnt lgkmcnt(0)
	v_fma_f64 v[2:3], v[154:155], v[160:161], v[2:3]
	scratch_load_b128 v[152:155], off, off offset:456
	s_waitcnt vmcnt(4)
	v_fma_f64 v[2:3], v[144:145], v[162:163], v[2:3]
	ds_load_b128 v[156:159], v1 offset:912
	ds_load_b128 v[160:163], v1 offset:928
	s_waitcnt lgkmcnt(1)
	v_fma_f64 v[2:3], v[146:147], v[156:157], v[2:3]
	scratch_load_b128 v[144:147], off, off offset:472
	s_waitcnt vmcnt(4)
	v_fma_f64 v[2:3], v[136:137], v[158:159], v[2:3]
	s_waitcnt lgkmcnt(0)
	s_delay_alu instid0(VALU_DEP_1)
	v_fma_f64 v[2:3], v[138:139], v[160:161], v[2:3]
	scratch_load_b128 v[136:139], off, off offset:488
	s_waitcnt vmcnt(4)
	v_fma_f64 v[2:3], v[148:149], v[162:163], v[2:3]
	ds_load_b128 v[156:159], v1 offset:944
	ds_load_b128 v[160:163], v1 offset:960
	s_waitcnt lgkmcnt(1)
	v_fma_f64 v[2:3], v[150:151], v[156:157], v[2:3]
	scratch_load_b64 v[156:157], off, off offset:504
	s_waitcnt vmcnt(4)
	v_fma_f64 v[2:3], v[140:141], v[158:159], v[2:3]
	s_waitcnt lgkmcnt(0)
	s_delay_alu instid0(VALU_DEP_1)
	v_fma_f64 v[2:3], v[142:143], v[160:161], v[2:3]
	ds_load_b128 v[140:143], v1 offset:976
	ds_load_b128 v[148:151], v1 offset:992
	s_waitcnt vmcnt(3)
	v_fma_f64 v[2:3], v[152:153], v[162:163], v[2:3]
	s_waitcnt lgkmcnt(1)
	s_delay_alu instid0(VALU_DEP_1) | instskip(SKIP_1) | instid1(VALU_DEP_1)
	v_fma_f64 v[2:3], v[154:155], v[140:141], v[2:3]
	s_waitcnt vmcnt(2)
	v_fma_f64 v[2:3], v[144:145], v[142:143], v[2:3]
	s_waitcnt lgkmcnt(0)
	s_delay_alu instid0(VALU_DEP_1) | instskip(SKIP_1) | instid1(VALU_DEP_1)
	v_fma_f64 v[2:3], v[146:147], v[148:149], v[2:3]
	s_waitcnt vmcnt(1)
	v_fma_f64 v[136:137], v[136:137], v[150:151], v[2:3]
	ds_load_b128 v[1:4], v1 offset:1008
	s_waitcnt lgkmcnt(0)
	v_fma_f64 v[1:2], v[138:139], v[1:2], v[136:137]
	s_waitcnt vmcnt(0)
	s_delay_alu instid0(VALU_DEP_1) | instskip(NEXT) | instid1(VALU_DEP_1)
	v_fma_f64 v[1:2], v[156:157], v[3:4], v[1:2]
	v_add_f64 v[1:2], v[134:135], -v[1:2]
	scratch_store_b64 off, v[1:2], off offset:232
	v_cmpx_lt_u32_e32 28, v0
	s_cbranch_execz .LBB63_337
; %bb.336:
	scratch_load_b64 v[1:2], off, off offset:224
	v_mov_b32_e32 v3, 0
	s_delay_alu instid0(VALU_DEP_1)
	v_mov_b32_e32 v4, v3
	scratch_store_b64 off, v[3:4], off offset:224
	s_waitcnt vmcnt(0)
	ds_store_b64 v5, v[1:2]
.LBB63_337:
	s_or_b32 exec_lo, exec_lo, s0
	s_waitcnt lgkmcnt(0)
	s_waitcnt_vscnt null, 0x0
	s_barrier
	buffer_gl0_inv
	s_clause 0x4
	scratch_load_b128 v[134:137], off, off offset:224
	scratch_load_b128 v[138:141], off, off offset:240
	;; [unrolled: 1-line block ×5, first 2 shown]
	v_mov_b32_e32 v1, 0
	ds_load_2addr_b64 v[154:157], v1 offset0:93 offset1:94
	ds_load_2addr_b64 v[158:161], v1 offset0:95 offset1:96
	scratch_load_b128 v[162:165], off, off offset:304
	s_mov_b32 s0, exec_lo
	s_waitcnt vmcnt(5) lgkmcnt(1)
	v_fma_f64 v[2:3], v[136:137], v[154:155], 0
	s_waitcnt vmcnt(4)
	s_delay_alu instid0(VALU_DEP_1) | instskip(SKIP_4) | instid1(VALU_DEP_1)
	v_fma_f64 v[2:3], v[138:139], v[156:157], v[2:3]
	scratch_load_b128 v[136:139], off, off offset:320
	s_waitcnt lgkmcnt(0)
	v_fma_f64 v[2:3], v[140:141], v[158:159], v[2:3]
	s_waitcnt vmcnt(4)
	v_fma_f64 v[2:3], v[142:143], v[160:161], v[2:3]
	ds_load_2addr_b64 v[140:143], v1 offset0:97 offset1:98
	ds_load_2addr_b64 v[154:157], v1 offset0:99 offset1:100
	scratch_load_b128 v[158:161], off, off offset:336
	s_waitcnt lgkmcnt(1)
	v_fma_f64 v[2:3], v[144:145], v[140:141], v[2:3]
	s_waitcnt vmcnt(4)
	s_delay_alu instid0(VALU_DEP_1) | instskip(SKIP_4) | instid1(VALU_DEP_1)
	v_fma_f64 v[2:3], v[146:147], v[142:143], v[2:3]
	scratch_load_b128 v[140:143], off, off offset:352
	s_waitcnt lgkmcnt(0)
	v_fma_f64 v[2:3], v[148:149], v[154:155], v[2:3]
	s_waitcnt vmcnt(4)
	v_fma_f64 v[2:3], v[150:151], v[156:157], v[2:3]
	ds_load_2addr_b64 v[144:147], v1 offset0:101 offset1:102
	ds_load_2addr_b64 v[148:151], v1 offset0:103 offset1:104
	s_waitcnt lgkmcnt(1)
	v_fma_f64 v[2:3], v[152:153], v[144:145], v[2:3]
	scratch_load_b128 v[152:155], off, off offset:368
	s_waitcnt vmcnt(4)
	v_fma_f64 v[2:3], v[162:163], v[146:147], v[2:3]
	scratch_load_b128 v[144:147], off, off offset:384
	s_waitcnt lgkmcnt(0)
	v_fma_f64 v[2:3], v[164:165], v[148:149], v[2:3]
	s_waitcnt vmcnt(4)
	s_delay_alu instid0(VALU_DEP_1)
	v_fma_f64 v[2:3], v[136:137], v[150:151], v[2:3]
	ds_load_2addr_b64 v[148:151], v1 offset0:105 offset1:106
	ds_load_2addr_b64 v[162:165], v1 offset0:107 offset1:108
	s_waitcnt lgkmcnt(1)
	v_fma_f64 v[2:3], v[138:139], v[148:149], v[2:3]
	scratch_load_b128 v[136:139], off, off offset:400
	s_waitcnt vmcnt(4)
	v_fma_f64 v[2:3], v[158:159], v[150:151], v[2:3]
	scratch_load_b128 v[148:151], off, off offset:416
	s_waitcnt lgkmcnt(0)
	v_fma_f64 v[2:3], v[160:161], v[162:163], v[2:3]
	ds_load_2addr_b64 v[156:159], v1 offset0:109 offset1:110
	ds_load_2addr_b64 v[160:163], v1 offset0:111 offset1:112
	s_waitcnt vmcnt(4)
	v_fma_f64 v[2:3], v[140:141], v[164:165], v[2:3]
	s_waitcnt lgkmcnt(1)
	s_delay_alu instid0(VALU_DEP_1) | instskip(SKIP_4) | instid1(VALU_DEP_1)
	v_fma_f64 v[2:3], v[142:143], v[156:157], v[2:3]
	scratch_load_b128 v[140:143], off, off offset:432
	s_waitcnt vmcnt(4)
	v_fma_f64 v[2:3], v[152:153], v[158:159], v[2:3]
	s_waitcnt lgkmcnt(0)
	v_fma_f64 v[2:3], v[154:155], v[160:161], v[2:3]
	scratch_load_b128 v[152:155], off, off offset:448
	s_waitcnt vmcnt(4)
	v_fma_f64 v[2:3], v[144:145], v[162:163], v[2:3]
	ds_load_2addr_b64 v[156:159], v1 offset0:113 offset1:114
	ds_load_2addr_b64 v[160:163], v1 offset0:115 offset1:116
	s_waitcnt lgkmcnt(1)
	v_fma_f64 v[2:3], v[146:147], v[156:157], v[2:3]
	scratch_load_b128 v[144:147], off, off offset:464
	s_waitcnt vmcnt(4)
	v_fma_f64 v[2:3], v[136:137], v[158:159], v[2:3]
	s_waitcnt lgkmcnt(0)
	s_delay_alu instid0(VALU_DEP_1)
	v_fma_f64 v[2:3], v[138:139], v[160:161], v[2:3]
	scratch_load_b128 v[136:139], off, off offset:480
	s_waitcnt vmcnt(4)
	v_fma_f64 v[2:3], v[148:149], v[162:163], v[2:3]
	ds_load_2addr_b64 v[156:159], v1 offset0:117 offset1:118
	ds_load_2addr_b64 v[160:163], v1 offset0:119 offset1:120
	s_waitcnt lgkmcnt(1)
	v_fma_f64 v[2:3], v[150:151], v[156:157], v[2:3]
	scratch_load_b128 v[148:151], off, off offset:496
	s_waitcnt vmcnt(4)
	v_fma_f64 v[2:3], v[140:141], v[158:159], v[2:3]
	s_waitcnt lgkmcnt(0)
	s_delay_alu instid0(VALU_DEP_1)
	v_fma_f64 v[2:3], v[142:143], v[160:161], v[2:3]
	ds_load_2addr_b64 v[140:143], v1 offset0:121 offset1:122
	ds_load_2addr_b64 v[156:159], v1 offset0:123 offset1:124
	s_waitcnt vmcnt(3)
	v_fma_f64 v[2:3], v[152:153], v[162:163], v[2:3]
	s_waitcnt lgkmcnt(1)
	s_delay_alu instid0(VALU_DEP_1) | instskip(SKIP_1) | instid1(VALU_DEP_1)
	v_fma_f64 v[2:3], v[154:155], v[140:141], v[2:3]
	s_waitcnt vmcnt(2)
	v_fma_f64 v[2:3], v[144:145], v[142:143], v[2:3]
	s_waitcnt lgkmcnt(0)
	s_delay_alu instid0(VALU_DEP_1) | instskip(SKIP_1) | instid1(VALU_DEP_1)
	v_fma_f64 v[2:3], v[146:147], v[156:157], v[2:3]
	s_waitcnt vmcnt(1)
	v_fma_f64 v[2:3], v[136:137], v[158:159], v[2:3]
	ds_load_2addr_b64 v[140:143], v1 offset0:125 offset1:126
	ds_load_b64 v[136:137], v1 offset:1016
	s_waitcnt lgkmcnt(1)
	v_fma_f64 v[2:3], v[138:139], v[140:141], v[2:3]
	s_waitcnt vmcnt(0)
	s_delay_alu instid0(VALU_DEP_1) | instskip(SKIP_1) | instid1(VALU_DEP_1)
	v_fma_f64 v[2:3], v[148:149], v[142:143], v[2:3]
	s_waitcnt lgkmcnt(0)
	v_fma_f64 v[2:3], v[150:151], v[136:137], v[2:3]
	s_delay_alu instid0(VALU_DEP_1)
	v_add_f64 v[2:3], v[134:135], -v[2:3]
	scratch_store_b64 off, v[2:3], off offset:224
	v_cmpx_lt_u32_e32 27, v0
	s_cbranch_execz .LBB63_339
; %bb.338:
	scratch_load_b64 v[3:4], off, off offset:216
	v_mov_b32_e32 v2, v1
	scratch_store_b64 off, v[1:2], off offset:216
	s_waitcnt vmcnt(0)
	ds_store_b64 v5, v[3:4]
.LBB63_339:
	s_or_b32 exec_lo, exec_lo, s0
	s_waitcnt lgkmcnt(0)
	s_waitcnt_vscnt null, 0x0
	s_barrier
	buffer_gl0_inv
	s_clause 0x4
	scratch_load_b128 v[134:137], off, off offset:216
	scratch_load_b128 v[138:141], off, off offset:232
	scratch_load_b128 v[142:145], off, off offset:248
	scratch_load_b128 v[146:149], off, off offset:264
	scratch_load_b128 v[150:153], off, off offset:280
	ds_load_b128 v[154:157], v1 offset:736
	ds_load_b128 v[158:161], v1 offset:752
	scratch_load_b128 v[162:165], off, off offset:296
	s_mov_b32 s0, exec_lo
	s_waitcnt vmcnt(5) lgkmcnt(1)
	v_fma_f64 v[2:3], v[136:137], v[154:155], 0
	s_waitcnt vmcnt(4)
	s_delay_alu instid0(VALU_DEP_1) | instskip(SKIP_4) | instid1(VALU_DEP_1)
	v_fma_f64 v[2:3], v[138:139], v[156:157], v[2:3]
	scratch_load_b128 v[136:139], off, off offset:312
	s_waitcnt lgkmcnt(0)
	v_fma_f64 v[2:3], v[140:141], v[158:159], v[2:3]
	s_waitcnt vmcnt(4)
	v_fma_f64 v[2:3], v[142:143], v[160:161], v[2:3]
	ds_load_b128 v[140:143], v1 offset:768
	ds_load_b128 v[154:157], v1 offset:784
	scratch_load_b128 v[158:161], off, off offset:328
	s_waitcnt lgkmcnt(1)
	v_fma_f64 v[2:3], v[144:145], v[140:141], v[2:3]
	s_waitcnt vmcnt(4)
	s_delay_alu instid0(VALU_DEP_1) | instskip(SKIP_4) | instid1(VALU_DEP_1)
	v_fma_f64 v[2:3], v[146:147], v[142:143], v[2:3]
	scratch_load_b128 v[140:143], off, off offset:344
	s_waitcnt lgkmcnt(0)
	v_fma_f64 v[2:3], v[148:149], v[154:155], v[2:3]
	s_waitcnt vmcnt(4)
	v_fma_f64 v[2:3], v[150:151], v[156:157], v[2:3]
	ds_load_b128 v[144:147], v1 offset:800
	ds_load_b128 v[148:151], v1 offset:816
	s_waitcnt lgkmcnt(1)
	v_fma_f64 v[2:3], v[152:153], v[144:145], v[2:3]
	scratch_load_b128 v[152:155], off, off offset:360
	s_waitcnt vmcnt(4)
	v_fma_f64 v[2:3], v[162:163], v[146:147], v[2:3]
	scratch_load_b128 v[144:147], off, off offset:376
	s_waitcnt lgkmcnt(0)
	v_fma_f64 v[2:3], v[164:165], v[148:149], v[2:3]
	s_waitcnt vmcnt(4)
	s_delay_alu instid0(VALU_DEP_1)
	v_fma_f64 v[2:3], v[136:137], v[150:151], v[2:3]
	ds_load_b128 v[148:151], v1 offset:832
	ds_load_b128 v[162:165], v1 offset:848
	s_waitcnt lgkmcnt(1)
	v_fma_f64 v[2:3], v[138:139], v[148:149], v[2:3]
	scratch_load_b128 v[136:139], off, off offset:392
	s_waitcnt vmcnt(4)
	v_fma_f64 v[2:3], v[158:159], v[150:151], v[2:3]
	scratch_load_b128 v[148:151], off, off offset:408
	s_waitcnt lgkmcnt(0)
	v_fma_f64 v[2:3], v[160:161], v[162:163], v[2:3]
	ds_load_b128 v[156:159], v1 offset:864
	ds_load_b128 v[160:163], v1 offset:880
	s_waitcnt vmcnt(4)
	v_fma_f64 v[2:3], v[140:141], v[164:165], v[2:3]
	s_waitcnt lgkmcnt(1)
	s_delay_alu instid0(VALU_DEP_1) | instskip(SKIP_4) | instid1(VALU_DEP_1)
	v_fma_f64 v[2:3], v[142:143], v[156:157], v[2:3]
	scratch_load_b128 v[140:143], off, off offset:424
	s_waitcnt vmcnt(4)
	v_fma_f64 v[2:3], v[152:153], v[158:159], v[2:3]
	s_waitcnt lgkmcnt(0)
	v_fma_f64 v[2:3], v[154:155], v[160:161], v[2:3]
	scratch_load_b128 v[152:155], off, off offset:440
	s_waitcnt vmcnt(4)
	v_fma_f64 v[2:3], v[144:145], v[162:163], v[2:3]
	ds_load_b128 v[156:159], v1 offset:896
	ds_load_b128 v[160:163], v1 offset:912
	s_waitcnt lgkmcnt(1)
	v_fma_f64 v[2:3], v[146:147], v[156:157], v[2:3]
	scratch_load_b128 v[144:147], off, off offset:456
	s_waitcnt vmcnt(4)
	v_fma_f64 v[2:3], v[136:137], v[158:159], v[2:3]
	s_waitcnt lgkmcnt(0)
	s_delay_alu instid0(VALU_DEP_1)
	v_fma_f64 v[2:3], v[138:139], v[160:161], v[2:3]
	scratch_load_b128 v[136:139], off, off offset:472
	s_waitcnt vmcnt(4)
	v_fma_f64 v[2:3], v[148:149], v[162:163], v[2:3]
	ds_load_b128 v[156:159], v1 offset:928
	ds_load_b128 v[160:163], v1 offset:944
	s_waitcnt lgkmcnt(1)
	v_fma_f64 v[2:3], v[150:151], v[156:157], v[2:3]
	scratch_load_b128 v[148:151], off, off offset:488
	s_waitcnt vmcnt(4)
	v_fma_f64 v[2:3], v[140:141], v[158:159], v[2:3]
	s_waitcnt lgkmcnt(0)
	s_delay_alu instid0(VALU_DEP_1)
	v_fma_f64 v[2:3], v[142:143], v[160:161], v[2:3]
	scratch_load_b64 v[160:161], off, off offset:504
	ds_load_b128 v[140:143], v1 offset:960
	ds_load_b128 v[156:159], v1 offset:976
	s_waitcnt vmcnt(4)
	v_fma_f64 v[2:3], v[152:153], v[162:163], v[2:3]
	s_waitcnt lgkmcnt(1)
	s_delay_alu instid0(VALU_DEP_1) | instskip(SKIP_1) | instid1(VALU_DEP_1)
	v_fma_f64 v[2:3], v[154:155], v[140:141], v[2:3]
	s_waitcnt vmcnt(3)
	v_fma_f64 v[2:3], v[144:145], v[142:143], v[2:3]
	s_waitcnt lgkmcnt(0)
	s_delay_alu instid0(VALU_DEP_1) | instskip(SKIP_1) | instid1(VALU_DEP_1)
	v_fma_f64 v[2:3], v[146:147], v[156:157], v[2:3]
	s_waitcnt vmcnt(2)
	v_fma_f64 v[136:137], v[136:137], v[158:159], v[2:3]
	ds_load_b128 v[140:143], v1 offset:992
	ds_load_b128 v[1:4], v1 offset:1008
	s_waitcnt lgkmcnt(1)
	v_fma_f64 v[136:137], v[138:139], v[140:141], v[136:137]
	s_waitcnt vmcnt(1)
	s_delay_alu instid0(VALU_DEP_1) | instskip(SKIP_1) | instid1(VALU_DEP_1)
	v_fma_f64 v[136:137], v[148:149], v[142:143], v[136:137]
	s_waitcnt lgkmcnt(0)
	v_fma_f64 v[1:2], v[150:151], v[1:2], v[136:137]
	s_waitcnt vmcnt(0)
	s_delay_alu instid0(VALU_DEP_1) | instskip(NEXT) | instid1(VALU_DEP_1)
	v_fma_f64 v[1:2], v[160:161], v[3:4], v[1:2]
	v_add_f64 v[1:2], v[134:135], -v[1:2]
	scratch_store_b64 off, v[1:2], off offset:216
	v_cmpx_lt_u32_e32 26, v0
	s_cbranch_execz .LBB63_341
; %bb.340:
	scratch_load_b64 v[1:2], off, off offset:208
	v_mov_b32_e32 v3, 0
	s_delay_alu instid0(VALU_DEP_1)
	v_mov_b32_e32 v4, v3
	scratch_store_b64 off, v[3:4], off offset:208
	s_waitcnt vmcnt(0)
	ds_store_b64 v5, v[1:2]
.LBB63_341:
	s_or_b32 exec_lo, exec_lo, s0
	s_waitcnt lgkmcnt(0)
	s_waitcnt_vscnt null, 0x0
	s_barrier
	buffer_gl0_inv
	s_clause 0x4
	scratch_load_b128 v[134:137], off, off offset:208
	scratch_load_b128 v[138:141], off, off offset:224
	;; [unrolled: 1-line block ×5, first 2 shown]
	v_mov_b32_e32 v1, 0
	ds_load_2addr_b64 v[154:157], v1 offset0:91 offset1:92
	ds_load_2addr_b64 v[158:161], v1 offset0:93 offset1:94
	scratch_load_b128 v[162:165], off, off offset:288
	s_mov_b32 s0, exec_lo
	s_waitcnt vmcnt(5) lgkmcnt(1)
	v_fma_f64 v[2:3], v[136:137], v[154:155], 0
	s_waitcnt vmcnt(4)
	s_delay_alu instid0(VALU_DEP_1) | instskip(SKIP_4) | instid1(VALU_DEP_1)
	v_fma_f64 v[2:3], v[138:139], v[156:157], v[2:3]
	scratch_load_b128 v[136:139], off, off offset:304
	s_waitcnt lgkmcnt(0)
	v_fma_f64 v[2:3], v[140:141], v[158:159], v[2:3]
	s_waitcnt vmcnt(4)
	v_fma_f64 v[2:3], v[142:143], v[160:161], v[2:3]
	ds_load_2addr_b64 v[140:143], v1 offset0:95 offset1:96
	ds_load_2addr_b64 v[154:157], v1 offset0:97 offset1:98
	scratch_load_b128 v[158:161], off, off offset:320
	s_waitcnt lgkmcnt(1)
	v_fma_f64 v[2:3], v[144:145], v[140:141], v[2:3]
	s_waitcnt vmcnt(4)
	s_delay_alu instid0(VALU_DEP_1) | instskip(SKIP_4) | instid1(VALU_DEP_1)
	v_fma_f64 v[2:3], v[146:147], v[142:143], v[2:3]
	scratch_load_b128 v[140:143], off, off offset:336
	s_waitcnt lgkmcnt(0)
	v_fma_f64 v[2:3], v[148:149], v[154:155], v[2:3]
	s_waitcnt vmcnt(4)
	v_fma_f64 v[2:3], v[150:151], v[156:157], v[2:3]
	ds_load_2addr_b64 v[144:147], v1 offset0:99 offset1:100
	ds_load_2addr_b64 v[148:151], v1 offset0:101 offset1:102
	s_waitcnt lgkmcnt(1)
	v_fma_f64 v[2:3], v[152:153], v[144:145], v[2:3]
	scratch_load_b128 v[152:155], off, off offset:352
	s_waitcnt vmcnt(4)
	v_fma_f64 v[2:3], v[162:163], v[146:147], v[2:3]
	scratch_load_b128 v[144:147], off, off offset:368
	s_waitcnt lgkmcnt(0)
	v_fma_f64 v[2:3], v[164:165], v[148:149], v[2:3]
	s_waitcnt vmcnt(4)
	s_delay_alu instid0(VALU_DEP_1)
	v_fma_f64 v[2:3], v[136:137], v[150:151], v[2:3]
	ds_load_2addr_b64 v[148:151], v1 offset0:103 offset1:104
	ds_load_2addr_b64 v[162:165], v1 offset0:105 offset1:106
	s_waitcnt lgkmcnt(1)
	v_fma_f64 v[2:3], v[138:139], v[148:149], v[2:3]
	scratch_load_b128 v[136:139], off, off offset:384
	s_waitcnt vmcnt(4)
	v_fma_f64 v[2:3], v[158:159], v[150:151], v[2:3]
	scratch_load_b128 v[148:151], off, off offset:400
	s_waitcnt lgkmcnt(0)
	v_fma_f64 v[2:3], v[160:161], v[162:163], v[2:3]
	ds_load_2addr_b64 v[156:159], v1 offset0:107 offset1:108
	ds_load_2addr_b64 v[160:163], v1 offset0:109 offset1:110
	s_waitcnt vmcnt(4)
	v_fma_f64 v[2:3], v[140:141], v[164:165], v[2:3]
	s_waitcnt lgkmcnt(1)
	s_delay_alu instid0(VALU_DEP_1) | instskip(SKIP_4) | instid1(VALU_DEP_1)
	v_fma_f64 v[2:3], v[142:143], v[156:157], v[2:3]
	scratch_load_b128 v[140:143], off, off offset:416
	s_waitcnt vmcnt(4)
	v_fma_f64 v[2:3], v[152:153], v[158:159], v[2:3]
	s_waitcnt lgkmcnt(0)
	v_fma_f64 v[2:3], v[154:155], v[160:161], v[2:3]
	scratch_load_b128 v[152:155], off, off offset:432
	s_waitcnt vmcnt(4)
	v_fma_f64 v[2:3], v[144:145], v[162:163], v[2:3]
	ds_load_2addr_b64 v[156:159], v1 offset0:111 offset1:112
	ds_load_2addr_b64 v[160:163], v1 offset0:113 offset1:114
	s_waitcnt lgkmcnt(1)
	v_fma_f64 v[2:3], v[146:147], v[156:157], v[2:3]
	scratch_load_b128 v[144:147], off, off offset:448
	s_waitcnt vmcnt(4)
	v_fma_f64 v[2:3], v[136:137], v[158:159], v[2:3]
	s_waitcnt lgkmcnt(0)
	s_delay_alu instid0(VALU_DEP_1)
	v_fma_f64 v[2:3], v[138:139], v[160:161], v[2:3]
	scratch_load_b128 v[136:139], off, off offset:464
	s_waitcnt vmcnt(4)
	v_fma_f64 v[2:3], v[148:149], v[162:163], v[2:3]
	ds_load_2addr_b64 v[156:159], v1 offset0:115 offset1:116
	ds_load_2addr_b64 v[160:163], v1 offset0:117 offset1:118
	s_waitcnt lgkmcnt(1)
	v_fma_f64 v[2:3], v[150:151], v[156:157], v[2:3]
	scratch_load_b128 v[148:151], off, off offset:480
	s_waitcnt vmcnt(4)
	v_fma_f64 v[2:3], v[140:141], v[158:159], v[2:3]
	s_waitcnt lgkmcnt(0)
	s_delay_alu instid0(VALU_DEP_1)
	v_fma_f64 v[2:3], v[142:143], v[160:161], v[2:3]
	scratch_load_b128 v[140:143], off, off offset:496
	s_waitcnt vmcnt(4)
	v_fma_f64 v[2:3], v[152:153], v[162:163], v[2:3]
	ds_load_2addr_b64 v[156:159], v1 offset0:119 offset1:120
	ds_load_2addr_b64 v[160:163], v1 offset0:121 offset1:122
	s_waitcnt lgkmcnt(1)
	v_fma_f64 v[2:3], v[154:155], v[156:157], v[2:3]
	s_waitcnt vmcnt(3)
	s_delay_alu instid0(VALU_DEP_1) | instskip(SKIP_1) | instid1(VALU_DEP_1)
	v_fma_f64 v[2:3], v[144:145], v[158:159], v[2:3]
	s_waitcnt lgkmcnt(0)
	v_fma_f64 v[2:3], v[146:147], v[160:161], v[2:3]
	ds_load_2addr_b64 v[144:147], v1 offset0:123 offset1:124
	ds_load_2addr_b64 v[152:155], v1 offset0:125 offset1:126
	s_waitcnt vmcnt(2)
	v_fma_f64 v[2:3], v[136:137], v[162:163], v[2:3]
	ds_load_b64 v[136:137], v1 offset:1016
	s_waitcnt lgkmcnt(2)
	v_fma_f64 v[2:3], v[138:139], v[144:145], v[2:3]
	s_waitcnt vmcnt(1)
	s_delay_alu instid0(VALU_DEP_1) | instskip(SKIP_1) | instid1(VALU_DEP_1)
	v_fma_f64 v[2:3], v[148:149], v[146:147], v[2:3]
	s_waitcnt lgkmcnt(1)
	v_fma_f64 v[2:3], v[150:151], v[152:153], v[2:3]
	s_waitcnt vmcnt(0)
	s_delay_alu instid0(VALU_DEP_1) | instskip(SKIP_1) | instid1(VALU_DEP_1)
	v_fma_f64 v[2:3], v[140:141], v[154:155], v[2:3]
	s_waitcnt lgkmcnt(0)
	v_fma_f64 v[2:3], v[142:143], v[136:137], v[2:3]
	s_delay_alu instid0(VALU_DEP_1)
	v_add_f64 v[2:3], v[134:135], -v[2:3]
	scratch_store_b64 off, v[2:3], off offset:208
	v_cmpx_lt_u32_e32 25, v0
	s_cbranch_execz .LBB63_343
; %bb.342:
	scratch_load_b64 v[3:4], off, off offset:200
	v_mov_b32_e32 v2, v1
	scratch_store_b64 off, v[1:2], off offset:200
	s_waitcnt vmcnt(0)
	ds_store_b64 v5, v[3:4]
.LBB63_343:
	s_or_b32 exec_lo, exec_lo, s0
	s_waitcnt lgkmcnt(0)
	s_waitcnt_vscnt null, 0x0
	s_barrier
	buffer_gl0_inv
	s_clause 0x4
	scratch_load_b128 v[134:137], off, off offset:200
	scratch_load_b128 v[138:141], off, off offset:216
	;; [unrolled: 1-line block ×5, first 2 shown]
	ds_load_b128 v[154:157], v1 offset:720
	ds_load_b128 v[158:161], v1 offset:736
	scratch_load_b128 v[162:165], off, off offset:280
	s_mov_b32 s0, exec_lo
	s_waitcnt vmcnt(5) lgkmcnt(1)
	v_fma_f64 v[2:3], v[136:137], v[154:155], 0
	s_waitcnt vmcnt(4)
	s_delay_alu instid0(VALU_DEP_1) | instskip(SKIP_4) | instid1(VALU_DEP_1)
	v_fma_f64 v[2:3], v[138:139], v[156:157], v[2:3]
	scratch_load_b128 v[136:139], off, off offset:296
	s_waitcnt lgkmcnt(0)
	v_fma_f64 v[2:3], v[140:141], v[158:159], v[2:3]
	s_waitcnt vmcnt(4)
	v_fma_f64 v[2:3], v[142:143], v[160:161], v[2:3]
	ds_load_b128 v[140:143], v1 offset:752
	ds_load_b128 v[154:157], v1 offset:768
	scratch_load_b128 v[158:161], off, off offset:312
	s_waitcnt lgkmcnt(1)
	v_fma_f64 v[2:3], v[144:145], v[140:141], v[2:3]
	s_waitcnt vmcnt(4)
	s_delay_alu instid0(VALU_DEP_1) | instskip(SKIP_4) | instid1(VALU_DEP_1)
	v_fma_f64 v[2:3], v[146:147], v[142:143], v[2:3]
	scratch_load_b128 v[140:143], off, off offset:328
	s_waitcnt lgkmcnt(0)
	v_fma_f64 v[2:3], v[148:149], v[154:155], v[2:3]
	s_waitcnt vmcnt(4)
	v_fma_f64 v[2:3], v[150:151], v[156:157], v[2:3]
	ds_load_b128 v[144:147], v1 offset:784
	ds_load_b128 v[148:151], v1 offset:800
	s_waitcnt lgkmcnt(1)
	v_fma_f64 v[2:3], v[152:153], v[144:145], v[2:3]
	scratch_load_b128 v[152:155], off, off offset:344
	s_waitcnt vmcnt(4)
	v_fma_f64 v[2:3], v[162:163], v[146:147], v[2:3]
	scratch_load_b128 v[144:147], off, off offset:360
	s_waitcnt lgkmcnt(0)
	v_fma_f64 v[2:3], v[164:165], v[148:149], v[2:3]
	s_waitcnt vmcnt(4)
	s_delay_alu instid0(VALU_DEP_1)
	v_fma_f64 v[2:3], v[136:137], v[150:151], v[2:3]
	ds_load_b128 v[148:151], v1 offset:816
	ds_load_b128 v[162:165], v1 offset:832
	s_waitcnt lgkmcnt(1)
	v_fma_f64 v[2:3], v[138:139], v[148:149], v[2:3]
	scratch_load_b128 v[136:139], off, off offset:376
	s_waitcnt vmcnt(4)
	v_fma_f64 v[2:3], v[158:159], v[150:151], v[2:3]
	scratch_load_b128 v[148:151], off, off offset:392
	s_waitcnt lgkmcnt(0)
	v_fma_f64 v[2:3], v[160:161], v[162:163], v[2:3]
	ds_load_b128 v[156:159], v1 offset:848
	ds_load_b128 v[160:163], v1 offset:864
	s_waitcnt vmcnt(4)
	v_fma_f64 v[2:3], v[140:141], v[164:165], v[2:3]
	s_waitcnt lgkmcnt(1)
	s_delay_alu instid0(VALU_DEP_1) | instskip(SKIP_4) | instid1(VALU_DEP_1)
	v_fma_f64 v[2:3], v[142:143], v[156:157], v[2:3]
	scratch_load_b128 v[140:143], off, off offset:408
	s_waitcnt vmcnt(4)
	v_fma_f64 v[2:3], v[152:153], v[158:159], v[2:3]
	s_waitcnt lgkmcnt(0)
	v_fma_f64 v[2:3], v[154:155], v[160:161], v[2:3]
	scratch_load_b128 v[152:155], off, off offset:424
	s_waitcnt vmcnt(4)
	v_fma_f64 v[2:3], v[144:145], v[162:163], v[2:3]
	ds_load_b128 v[156:159], v1 offset:880
	ds_load_b128 v[160:163], v1 offset:896
	s_waitcnt lgkmcnt(1)
	v_fma_f64 v[2:3], v[146:147], v[156:157], v[2:3]
	scratch_load_b128 v[144:147], off, off offset:440
	s_waitcnt vmcnt(4)
	v_fma_f64 v[2:3], v[136:137], v[158:159], v[2:3]
	s_waitcnt lgkmcnt(0)
	s_delay_alu instid0(VALU_DEP_1)
	v_fma_f64 v[2:3], v[138:139], v[160:161], v[2:3]
	scratch_load_b128 v[136:139], off, off offset:456
	s_waitcnt vmcnt(4)
	v_fma_f64 v[2:3], v[148:149], v[162:163], v[2:3]
	ds_load_b128 v[156:159], v1 offset:912
	ds_load_b128 v[160:163], v1 offset:928
	s_waitcnt lgkmcnt(1)
	v_fma_f64 v[2:3], v[150:151], v[156:157], v[2:3]
	scratch_load_b128 v[148:151], off, off offset:472
	s_waitcnt vmcnt(4)
	v_fma_f64 v[2:3], v[140:141], v[158:159], v[2:3]
	s_waitcnt lgkmcnt(0)
	s_delay_alu instid0(VALU_DEP_1)
	v_fma_f64 v[2:3], v[142:143], v[160:161], v[2:3]
	scratch_load_b128 v[140:143], off, off offset:488
	s_waitcnt vmcnt(4)
	v_fma_f64 v[2:3], v[152:153], v[162:163], v[2:3]
	ds_load_b128 v[156:159], v1 offset:944
	ds_load_b128 v[160:163], v1 offset:960
	s_waitcnt lgkmcnt(1)
	v_fma_f64 v[2:3], v[154:155], v[156:157], v[2:3]
	scratch_load_b64 v[156:157], off, off offset:504
	s_waitcnt vmcnt(4)
	v_fma_f64 v[2:3], v[144:145], v[158:159], v[2:3]
	s_waitcnt lgkmcnt(0)
	s_delay_alu instid0(VALU_DEP_1)
	v_fma_f64 v[2:3], v[146:147], v[160:161], v[2:3]
	ds_load_b128 v[144:147], v1 offset:976
	ds_load_b128 v[152:155], v1 offset:992
	s_waitcnt vmcnt(3)
	v_fma_f64 v[2:3], v[136:137], v[162:163], v[2:3]
	s_waitcnt lgkmcnt(1)
	s_delay_alu instid0(VALU_DEP_1) | instskip(SKIP_1) | instid1(VALU_DEP_1)
	v_fma_f64 v[2:3], v[138:139], v[144:145], v[2:3]
	s_waitcnt vmcnt(2)
	v_fma_f64 v[2:3], v[148:149], v[146:147], v[2:3]
	s_waitcnt lgkmcnt(0)
	s_delay_alu instid0(VALU_DEP_1) | instskip(SKIP_1) | instid1(VALU_DEP_1)
	v_fma_f64 v[2:3], v[150:151], v[152:153], v[2:3]
	s_waitcnt vmcnt(1)
	v_fma_f64 v[136:137], v[140:141], v[154:155], v[2:3]
	ds_load_b128 v[1:4], v1 offset:1008
	s_waitcnt lgkmcnt(0)
	v_fma_f64 v[1:2], v[142:143], v[1:2], v[136:137]
	s_waitcnt vmcnt(0)
	s_delay_alu instid0(VALU_DEP_1) | instskip(NEXT) | instid1(VALU_DEP_1)
	v_fma_f64 v[1:2], v[156:157], v[3:4], v[1:2]
	v_add_f64 v[1:2], v[134:135], -v[1:2]
	scratch_store_b64 off, v[1:2], off offset:200
	v_cmpx_lt_u32_e32 24, v0
	s_cbranch_execz .LBB63_345
; %bb.344:
	scratch_load_b64 v[1:2], off, off offset:192
	v_mov_b32_e32 v3, 0
	s_delay_alu instid0(VALU_DEP_1)
	v_mov_b32_e32 v4, v3
	scratch_store_b64 off, v[3:4], off offset:192
	s_waitcnt vmcnt(0)
	ds_store_b64 v5, v[1:2]
.LBB63_345:
	s_or_b32 exec_lo, exec_lo, s0
	s_waitcnt lgkmcnt(0)
	s_waitcnt_vscnt null, 0x0
	s_barrier
	buffer_gl0_inv
	s_clause 0x4
	scratch_load_b128 v[134:137], off, off offset:192
	scratch_load_b128 v[138:141], off, off offset:208
	;; [unrolled: 1-line block ×5, first 2 shown]
	v_mov_b32_e32 v1, 0
	ds_load_2addr_b64 v[154:157], v1 offset0:89 offset1:90
	ds_load_2addr_b64 v[158:161], v1 offset0:91 offset1:92
	scratch_load_b128 v[162:165], off, off offset:272
	s_mov_b32 s0, exec_lo
	s_waitcnt vmcnt(5) lgkmcnt(1)
	v_fma_f64 v[2:3], v[136:137], v[154:155], 0
	s_waitcnt vmcnt(4)
	s_delay_alu instid0(VALU_DEP_1) | instskip(SKIP_4) | instid1(VALU_DEP_1)
	v_fma_f64 v[2:3], v[138:139], v[156:157], v[2:3]
	scratch_load_b128 v[136:139], off, off offset:288
	s_waitcnt lgkmcnt(0)
	v_fma_f64 v[2:3], v[140:141], v[158:159], v[2:3]
	s_waitcnt vmcnt(4)
	v_fma_f64 v[2:3], v[142:143], v[160:161], v[2:3]
	ds_load_2addr_b64 v[140:143], v1 offset0:93 offset1:94
	ds_load_2addr_b64 v[154:157], v1 offset0:95 offset1:96
	scratch_load_b128 v[158:161], off, off offset:304
	s_waitcnt lgkmcnt(1)
	v_fma_f64 v[2:3], v[144:145], v[140:141], v[2:3]
	s_waitcnt vmcnt(4)
	s_delay_alu instid0(VALU_DEP_1) | instskip(SKIP_4) | instid1(VALU_DEP_1)
	v_fma_f64 v[2:3], v[146:147], v[142:143], v[2:3]
	scratch_load_b128 v[140:143], off, off offset:320
	s_waitcnt lgkmcnt(0)
	v_fma_f64 v[2:3], v[148:149], v[154:155], v[2:3]
	s_waitcnt vmcnt(4)
	v_fma_f64 v[2:3], v[150:151], v[156:157], v[2:3]
	ds_load_2addr_b64 v[144:147], v1 offset0:97 offset1:98
	ds_load_2addr_b64 v[148:151], v1 offset0:99 offset1:100
	s_waitcnt lgkmcnt(1)
	v_fma_f64 v[2:3], v[152:153], v[144:145], v[2:3]
	scratch_load_b128 v[152:155], off, off offset:336
	s_waitcnt vmcnt(4)
	v_fma_f64 v[2:3], v[162:163], v[146:147], v[2:3]
	scratch_load_b128 v[144:147], off, off offset:352
	s_waitcnt lgkmcnt(0)
	v_fma_f64 v[2:3], v[164:165], v[148:149], v[2:3]
	s_waitcnt vmcnt(4)
	s_delay_alu instid0(VALU_DEP_1)
	v_fma_f64 v[2:3], v[136:137], v[150:151], v[2:3]
	ds_load_2addr_b64 v[148:151], v1 offset0:101 offset1:102
	ds_load_2addr_b64 v[162:165], v1 offset0:103 offset1:104
	s_waitcnt lgkmcnt(1)
	v_fma_f64 v[2:3], v[138:139], v[148:149], v[2:3]
	scratch_load_b128 v[136:139], off, off offset:368
	s_waitcnt vmcnt(4)
	v_fma_f64 v[2:3], v[158:159], v[150:151], v[2:3]
	scratch_load_b128 v[148:151], off, off offset:384
	s_waitcnt lgkmcnt(0)
	v_fma_f64 v[2:3], v[160:161], v[162:163], v[2:3]
	ds_load_2addr_b64 v[156:159], v1 offset0:105 offset1:106
	ds_load_2addr_b64 v[160:163], v1 offset0:107 offset1:108
	s_waitcnt vmcnt(4)
	v_fma_f64 v[2:3], v[140:141], v[164:165], v[2:3]
	s_waitcnt lgkmcnt(1)
	s_delay_alu instid0(VALU_DEP_1) | instskip(SKIP_4) | instid1(VALU_DEP_1)
	v_fma_f64 v[2:3], v[142:143], v[156:157], v[2:3]
	scratch_load_b128 v[140:143], off, off offset:400
	s_waitcnt vmcnt(4)
	v_fma_f64 v[2:3], v[152:153], v[158:159], v[2:3]
	s_waitcnt lgkmcnt(0)
	v_fma_f64 v[2:3], v[154:155], v[160:161], v[2:3]
	scratch_load_b128 v[152:155], off, off offset:416
	s_waitcnt vmcnt(4)
	v_fma_f64 v[2:3], v[144:145], v[162:163], v[2:3]
	ds_load_2addr_b64 v[156:159], v1 offset0:109 offset1:110
	ds_load_2addr_b64 v[160:163], v1 offset0:111 offset1:112
	s_waitcnt lgkmcnt(1)
	v_fma_f64 v[2:3], v[146:147], v[156:157], v[2:3]
	scratch_load_b128 v[144:147], off, off offset:432
	s_waitcnt vmcnt(4)
	v_fma_f64 v[2:3], v[136:137], v[158:159], v[2:3]
	s_waitcnt lgkmcnt(0)
	s_delay_alu instid0(VALU_DEP_1)
	v_fma_f64 v[2:3], v[138:139], v[160:161], v[2:3]
	scratch_load_b128 v[136:139], off, off offset:448
	s_waitcnt vmcnt(4)
	v_fma_f64 v[2:3], v[148:149], v[162:163], v[2:3]
	ds_load_2addr_b64 v[156:159], v1 offset0:113 offset1:114
	ds_load_2addr_b64 v[160:163], v1 offset0:115 offset1:116
	s_waitcnt lgkmcnt(1)
	v_fma_f64 v[2:3], v[150:151], v[156:157], v[2:3]
	scratch_load_b128 v[148:151], off, off offset:464
	s_waitcnt vmcnt(4)
	v_fma_f64 v[2:3], v[140:141], v[158:159], v[2:3]
	s_waitcnt lgkmcnt(0)
	s_delay_alu instid0(VALU_DEP_1)
	;; [unrolled: 13-line block ×3, first 2 shown]
	v_fma_f64 v[2:3], v[146:147], v[160:161], v[2:3]
	ds_load_2addr_b64 v[144:147], v1 offset0:121 offset1:122
	ds_load_2addr_b64 v[156:159], v1 offset0:123 offset1:124
	s_waitcnt vmcnt(3)
	v_fma_f64 v[2:3], v[136:137], v[162:163], v[2:3]
	s_waitcnt lgkmcnt(1)
	s_delay_alu instid0(VALU_DEP_1) | instskip(SKIP_1) | instid1(VALU_DEP_1)
	v_fma_f64 v[2:3], v[138:139], v[144:145], v[2:3]
	s_waitcnt vmcnt(2)
	v_fma_f64 v[2:3], v[148:149], v[146:147], v[2:3]
	s_waitcnt lgkmcnt(0)
	s_delay_alu instid0(VALU_DEP_1) | instskip(SKIP_1) | instid1(VALU_DEP_1)
	v_fma_f64 v[2:3], v[150:151], v[156:157], v[2:3]
	s_waitcnt vmcnt(1)
	v_fma_f64 v[2:3], v[140:141], v[158:159], v[2:3]
	ds_load_2addr_b64 v[136:139], v1 offset0:125 offset1:126
	ds_load_b64 v[140:141], v1 offset:1016
	s_waitcnt lgkmcnt(1)
	v_fma_f64 v[2:3], v[142:143], v[136:137], v[2:3]
	s_waitcnt vmcnt(0)
	s_delay_alu instid0(VALU_DEP_1) | instskip(SKIP_1) | instid1(VALU_DEP_1)
	v_fma_f64 v[2:3], v[152:153], v[138:139], v[2:3]
	s_waitcnt lgkmcnt(0)
	v_fma_f64 v[2:3], v[154:155], v[140:141], v[2:3]
	s_delay_alu instid0(VALU_DEP_1)
	v_add_f64 v[2:3], v[134:135], -v[2:3]
	scratch_store_b64 off, v[2:3], off offset:192
	v_cmpx_lt_u32_e32 23, v0
	s_cbranch_execz .LBB63_347
; %bb.346:
	scratch_load_b64 v[3:4], off, off offset:184
	v_mov_b32_e32 v2, v1
	scratch_store_b64 off, v[1:2], off offset:184
	s_waitcnt vmcnt(0)
	ds_store_b64 v5, v[3:4]
.LBB63_347:
	s_or_b32 exec_lo, exec_lo, s0
	s_waitcnt lgkmcnt(0)
	s_waitcnt_vscnt null, 0x0
	s_barrier
	buffer_gl0_inv
	s_clause 0x4
	scratch_load_b128 v[134:137], off, off offset:184
	scratch_load_b128 v[138:141], off, off offset:200
	scratch_load_b128 v[142:145], off, off offset:216
	scratch_load_b128 v[146:149], off, off offset:232
	scratch_load_b128 v[150:153], off, off offset:248
	ds_load_b128 v[154:157], v1 offset:704
	ds_load_b128 v[158:161], v1 offset:720
	scratch_load_b128 v[162:165], off, off offset:264
	s_mov_b32 s0, exec_lo
	s_waitcnt vmcnt(5) lgkmcnt(1)
	v_fma_f64 v[2:3], v[136:137], v[154:155], 0
	s_waitcnt vmcnt(4)
	s_delay_alu instid0(VALU_DEP_1) | instskip(SKIP_4) | instid1(VALU_DEP_1)
	v_fma_f64 v[2:3], v[138:139], v[156:157], v[2:3]
	scratch_load_b128 v[136:139], off, off offset:280
	s_waitcnt lgkmcnt(0)
	v_fma_f64 v[2:3], v[140:141], v[158:159], v[2:3]
	s_waitcnt vmcnt(4)
	v_fma_f64 v[2:3], v[142:143], v[160:161], v[2:3]
	ds_load_b128 v[140:143], v1 offset:736
	ds_load_b128 v[154:157], v1 offset:752
	scratch_load_b128 v[158:161], off, off offset:296
	s_waitcnt lgkmcnt(1)
	v_fma_f64 v[2:3], v[144:145], v[140:141], v[2:3]
	s_waitcnt vmcnt(4)
	s_delay_alu instid0(VALU_DEP_1) | instskip(SKIP_4) | instid1(VALU_DEP_1)
	v_fma_f64 v[2:3], v[146:147], v[142:143], v[2:3]
	scratch_load_b128 v[140:143], off, off offset:312
	s_waitcnt lgkmcnt(0)
	v_fma_f64 v[2:3], v[148:149], v[154:155], v[2:3]
	s_waitcnt vmcnt(4)
	v_fma_f64 v[2:3], v[150:151], v[156:157], v[2:3]
	ds_load_b128 v[144:147], v1 offset:768
	ds_load_b128 v[148:151], v1 offset:784
	s_waitcnt lgkmcnt(1)
	v_fma_f64 v[2:3], v[152:153], v[144:145], v[2:3]
	scratch_load_b128 v[152:155], off, off offset:328
	s_waitcnt vmcnt(4)
	v_fma_f64 v[2:3], v[162:163], v[146:147], v[2:3]
	scratch_load_b128 v[144:147], off, off offset:344
	s_waitcnt lgkmcnt(0)
	v_fma_f64 v[2:3], v[164:165], v[148:149], v[2:3]
	s_waitcnt vmcnt(4)
	s_delay_alu instid0(VALU_DEP_1)
	v_fma_f64 v[2:3], v[136:137], v[150:151], v[2:3]
	ds_load_b128 v[148:151], v1 offset:800
	ds_load_b128 v[162:165], v1 offset:816
	s_waitcnt lgkmcnt(1)
	v_fma_f64 v[2:3], v[138:139], v[148:149], v[2:3]
	scratch_load_b128 v[136:139], off, off offset:360
	s_waitcnt vmcnt(4)
	v_fma_f64 v[2:3], v[158:159], v[150:151], v[2:3]
	scratch_load_b128 v[148:151], off, off offset:376
	s_waitcnt lgkmcnt(0)
	v_fma_f64 v[2:3], v[160:161], v[162:163], v[2:3]
	ds_load_b128 v[156:159], v1 offset:832
	ds_load_b128 v[160:163], v1 offset:848
	s_waitcnt vmcnt(4)
	v_fma_f64 v[2:3], v[140:141], v[164:165], v[2:3]
	s_waitcnt lgkmcnt(1)
	s_delay_alu instid0(VALU_DEP_1) | instskip(SKIP_4) | instid1(VALU_DEP_1)
	v_fma_f64 v[2:3], v[142:143], v[156:157], v[2:3]
	scratch_load_b128 v[140:143], off, off offset:392
	s_waitcnt vmcnt(4)
	v_fma_f64 v[2:3], v[152:153], v[158:159], v[2:3]
	s_waitcnt lgkmcnt(0)
	v_fma_f64 v[2:3], v[154:155], v[160:161], v[2:3]
	scratch_load_b128 v[152:155], off, off offset:408
	s_waitcnt vmcnt(4)
	v_fma_f64 v[2:3], v[144:145], v[162:163], v[2:3]
	ds_load_b128 v[156:159], v1 offset:864
	ds_load_b128 v[160:163], v1 offset:880
	s_waitcnt lgkmcnt(1)
	v_fma_f64 v[2:3], v[146:147], v[156:157], v[2:3]
	scratch_load_b128 v[144:147], off, off offset:424
	s_waitcnt vmcnt(4)
	v_fma_f64 v[2:3], v[136:137], v[158:159], v[2:3]
	s_waitcnt lgkmcnt(0)
	s_delay_alu instid0(VALU_DEP_1)
	v_fma_f64 v[2:3], v[138:139], v[160:161], v[2:3]
	scratch_load_b128 v[136:139], off, off offset:440
	s_waitcnt vmcnt(4)
	v_fma_f64 v[2:3], v[148:149], v[162:163], v[2:3]
	ds_load_b128 v[156:159], v1 offset:896
	ds_load_b128 v[160:163], v1 offset:912
	s_waitcnt lgkmcnt(1)
	v_fma_f64 v[2:3], v[150:151], v[156:157], v[2:3]
	scratch_load_b128 v[148:151], off, off offset:456
	s_waitcnt vmcnt(4)
	v_fma_f64 v[2:3], v[140:141], v[158:159], v[2:3]
	s_waitcnt lgkmcnt(0)
	s_delay_alu instid0(VALU_DEP_1)
	;; [unrolled: 13-line block ×3, first 2 shown]
	v_fma_f64 v[2:3], v[146:147], v[160:161], v[2:3]
	scratch_load_b64 v[160:161], off, off offset:504
	ds_load_b128 v[144:147], v1 offset:960
	ds_load_b128 v[156:159], v1 offset:976
	s_waitcnt vmcnt(4)
	v_fma_f64 v[2:3], v[136:137], v[162:163], v[2:3]
	s_waitcnt lgkmcnt(1)
	s_delay_alu instid0(VALU_DEP_1) | instskip(SKIP_1) | instid1(VALU_DEP_1)
	v_fma_f64 v[2:3], v[138:139], v[144:145], v[2:3]
	s_waitcnt vmcnt(3)
	v_fma_f64 v[2:3], v[148:149], v[146:147], v[2:3]
	s_waitcnt lgkmcnt(0)
	s_delay_alu instid0(VALU_DEP_1) | instskip(SKIP_1) | instid1(VALU_DEP_1)
	v_fma_f64 v[2:3], v[150:151], v[156:157], v[2:3]
	s_waitcnt vmcnt(2)
	v_fma_f64 v[140:141], v[140:141], v[158:159], v[2:3]
	ds_load_b128 v[136:139], v1 offset:992
	ds_load_b128 v[1:4], v1 offset:1008
	s_waitcnt lgkmcnt(1)
	v_fma_f64 v[136:137], v[142:143], v[136:137], v[140:141]
	s_waitcnt vmcnt(1)
	s_delay_alu instid0(VALU_DEP_1) | instskip(SKIP_1) | instid1(VALU_DEP_1)
	v_fma_f64 v[136:137], v[152:153], v[138:139], v[136:137]
	s_waitcnt lgkmcnt(0)
	v_fma_f64 v[1:2], v[154:155], v[1:2], v[136:137]
	s_waitcnt vmcnt(0)
	s_delay_alu instid0(VALU_DEP_1) | instskip(NEXT) | instid1(VALU_DEP_1)
	v_fma_f64 v[1:2], v[160:161], v[3:4], v[1:2]
	v_add_f64 v[1:2], v[134:135], -v[1:2]
	scratch_store_b64 off, v[1:2], off offset:184
	v_cmpx_lt_u32_e32 22, v0
	s_cbranch_execz .LBB63_349
; %bb.348:
	scratch_load_b64 v[1:2], off, off offset:176
	v_mov_b32_e32 v3, 0
	s_delay_alu instid0(VALU_DEP_1)
	v_mov_b32_e32 v4, v3
	scratch_store_b64 off, v[3:4], off offset:176
	s_waitcnt vmcnt(0)
	ds_store_b64 v5, v[1:2]
.LBB63_349:
	s_or_b32 exec_lo, exec_lo, s0
	s_waitcnt lgkmcnt(0)
	s_waitcnt_vscnt null, 0x0
	s_barrier
	buffer_gl0_inv
	s_clause 0x4
	scratch_load_b128 v[134:137], off, off offset:176
	scratch_load_b128 v[138:141], off, off offset:192
	scratch_load_b128 v[142:145], off, off offset:208
	scratch_load_b128 v[146:149], off, off offset:224
	scratch_load_b128 v[150:153], off, off offset:240
	v_mov_b32_e32 v1, 0
	ds_load_2addr_b64 v[154:157], v1 offset0:87 offset1:88
	ds_load_2addr_b64 v[158:161], v1 offset0:89 offset1:90
	scratch_load_b128 v[162:165], off, off offset:256
	s_mov_b32 s0, exec_lo
	s_waitcnt vmcnt(5) lgkmcnt(1)
	v_fma_f64 v[2:3], v[136:137], v[154:155], 0
	s_waitcnt vmcnt(4)
	s_delay_alu instid0(VALU_DEP_1) | instskip(SKIP_4) | instid1(VALU_DEP_1)
	v_fma_f64 v[2:3], v[138:139], v[156:157], v[2:3]
	scratch_load_b128 v[136:139], off, off offset:272
	s_waitcnt lgkmcnt(0)
	v_fma_f64 v[2:3], v[140:141], v[158:159], v[2:3]
	s_waitcnt vmcnt(4)
	v_fma_f64 v[2:3], v[142:143], v[160:161], v[2:3]
	ds_load_2addr_b64 v[140:143], v1 offset0:91 offset1:92
	ds_load_2addr_b64 v[154:157], v1 offset0:93 offset1:94
	scratch_load_b128 v[158:161], off, off offset:288
	s_waitcnt lgkmcnt(1)
	v_fma_f64 v[2:3], v[144:145], v[140:141], v[2:3]
	s_waitcnt vmcnt(4)
	s_delay_alu instid0(VALU_DEP_1) | instskip(SKIP_4) | instid1(VALU_DEP_1)
	v_fma_f64 v[2:3], v[146:147], v[142:143], v[2:3]
	scratch_load_b128 v[140:143], off, off offset:304
	s_waitcnt lgkmcnt(0)
	v_fma_f64 v[2:3], v[148:149], v[154:155], v[2:3]
	s_waitcnt vmcnt(4)
	v_fma_f64 v[2:3], v[150:151], v[156:157], v[2:3]
	ds_load_2addr_b64 v[144:147], v1 offset0:95 offset1:96
	ds_load_2addr_b64 v[148:151], v1 offset0:97 offset1:98
	s_waitcnt lgkmcnt(1)
	v_fma_f64 v[2:3], v[152:153], v[144:145], v[2:3]
	scratch_load_b128 v[152:155], off, off offset:320
	s_waitcnt vmcnt(4)
	v_fma_f64 v[2:3], v[162:163], v[146:147], v[2:3]
	scratch_load_b128 v[144:147], off, off offset:336
	s_waitcnt lgkmcnt(0)
	v_fma_f64 v[2:3], v[164:165], v[148:149], v[2:3]
	s_waitcnt vmcnt(4)
	s_delay_alu instid0(VALU_DEP_1)
	v_fma_f64 v[2:3], v[136:137], v[150:151], v[2:3]
	ds_load_2addr_b64 v[148:151], v1 offset0:99 offset1:100
	ds_load_2addr_b64 v[162:165], v1 offset0:101 offset1:102
	s_waitcnt lgkmcnt(1)
	v_fma_f64 v[2:3], v[138:139], v[148:149], v[2:3]
	scratch_load_b128 v[136:139], off, off offset:352
	s_waitcnt vmcnt(4)
	v_fma_f64 v[2:3], v[158:159], v[150:151], v[2:3]
	scratch_load_b128 v[148:151], off, off offset:368
	s_waitcnt lgkmcnt(0)
	v_fma_f64 v[2:3], v[160:161], v[162:163], v[2:3]
	ds_load_2addr_b64 v[156:159], v1 offset0:103 offset1:104
	ds_load_2addr_b64 v[160:163], v1 offset0:105 offset1:106
	s_waitcnt vmcnt(4)
	v_fma_f64 v[2:3], v[140:141], v[164:165], v[2:3]
	s_waitcnt lgkmcnt(1)
	s_delay_alu instid0(VALU_DEP_1) | instskip(SKIP_4) | instid1(VALU_DEP_1)
	v_fma_f64 v[2:3], v[142:143], v[156:157], v[2:3]
	scratch_load_b128 v[140:143], off, off offset:384
	s_waitcnt vmcnt(4)
	v_fma_f64 v[2:3], v[152:153], v[158:159], v[2:3]
	s_waitcnt lgkmcnt(0)
	v_fma_f64 v[2:3], v[154:155], v[160:161], v[2:3]
	scratch_load_b128 v[152:155], off, off offset:400
	s_waitcnt vmcnt(4)
	v_fma_f64 v[2:3], v[144:145], v[162:163], v[2:3]
	ds_load_2addr_b64 v[156:159], v1 offset0:107 offset1:108
	ds_load_2addr_b64 v[160:163], v1 offset0:109 offset1:110
	s_waitcnt lgkmcnt(1)
	v_fma_f64 v[2:3], v[146:147], v[156:157], v[2:3]
	scratch_load_b128 v[144:147], off, off offset:416
	s_waitcnt vmcnt(4)
	v_fma_f64 v[2:3], v[136:137], v[158:159], v[2:3]
	s_waitcnt lgkmcnt(0)
	s_delay_alu instid0(VALU_DEP_1)
	v_fma_f64 v[2:3], v[138:139], v[160:161], v[2:3]
	scratch_load_b128 v[136:139], off, off offset:432
	s_waitcnt vmcnt(4)
	v_fma_f64 v[2:3], v[148:149], v[162:163], v[2:3]
	ds_load_2addr_b64 v[156:159], v1 offset0:111 offset1:112
	ds_load_2addr_b64 v[160:163], v1 offset0:113 offset1:114
	s_waitcnt lgkmcnt(1)
	v_fma_f64 v[2:3], v[150:151], v[156:157], v[2:3]
	scratch_load_b128 v[148:151], off, off offset:448
	s_waitcnt vmcnt(4)
	v_fma_f64 v[2:3], v[140:141], v[158:159], v[2:3]
	s_waitcnt lgkmcnt(0)
	s_delay_alu instid0(VALU_DEP_1)
	;; [unrolled: 13-line block ×3, first 2 shown]
	v_fma_f64 v[2:3], v[146:147], v[160:161], v[2:3]
	scratch_load_b128 v[144:147], off, off offset:496
	s_waitcnt vmcnt(4)
	v_fma_f64 v[2:3], v[136:137], v[162:163], v[2:3]
	ds_load_2addr_b64 v[156:159], v1 offset0:119 offset1:120
	ds_load_2addr_b64 v[160:163], v1 offset0:121 offset1:122
	s_waitcnt lgkmcnt(1)
	v_fma_f64 v[2:3], v[138:139], v[156:157], v[2:3]
	s_waitcnt vmcnt(3)
	s_delay_alu instid0(VALU_DEP_1) | instskip(SKIP_1) | instid1(VALU_DEP_1)
	v_fma_f64 v[2:3], v[148:149], v[158:159], v[2:3]
	s_waitcnt lgkmcnt(0)
	v_fma_f64 v[2:3], v[150:151], v[160:161], v[2:3]
	ds_load_2addr_b64 v[136:139], v1 offset0:123 offset1:124
	ds_load_2addr_b64 v[148:151], v1 offset0:125 offset1:126
	s_waitcnt vmcnt(2)
	v_fma_f64 v[2:3], v[140:141], v[162:163], v[2:3]
	s_waitcnt lgkmcnt(1)
	s_delay_alu instid0(VALU_DEP_1) | instskip(SKIP_4) | instid1(VALU_DEP_1)
	v_fma_f64 v[2:3], v[142:143], v[136:137], v[2:3]
	ds_load_b64 v[136:137], v1 offset:1016
	s_waitcnt vmcnt(1)
	v_fma_f64 v[2:3], v[152:153], v[138:139], v[2:3]
	s_waitcnt lgkmcnt(1)
	v_fma_f64 v[2:3], v[154:155], v[148:149], v[2:3]
	s_waitcnt vmcnt(0)
	s_delay_alu instid0(VALU_DEP_1) | instskip(SKIP_1) | instid1(VALU_DEP_1)
	v_fma_f64 v[2:3], v[144:145], v[150:151], v[2:3]
	s_waitcnt lgkmcnt(0)
	v_fma_f64 v[2:3], v[146:147], v[136:137], v[2:3]
	s_delay_alu instid0(VALU_DEP_1)
	v_add_f64 v[2:3], v[134:135], -v[2:3]
	scratch_store_b64 off, v[2:3], off offset:176
	v_cmpx_lt_u32_e32 21, v0
	s_cbranch_execz .LBB63_351
; %bb.350:
	scratch_load_b64 v[3:4], off, off offset:168
	v_mov_b32_e32 v2, v1
	scratch_store_b64 off, v[1:2], off offset:168
	s_waitcnt vmcnt(0)
	ds_store_b64 v5, v[3:4]
.LBB63_351:
	s_or_b32 exec_lo, exec_lo, s0
	s_waitcnt lgkmcnt(0)
	s_waitcnt_vscnt null, 0x0
	s_barrier
	buffer_gl0_inv
	s_clause 0x4
	scratch_load_b128 v[134:137], off, off offset:168
	scratch_load_b128 v[138:141], off, off offset:184
	scratch_load_b128 v[142:145], off, off offset:200
	scratch_load_b128 v[146:149], off, off offset:216
	scratch_load_b128 v[150:153], off, off offset:232
	ds_load_b128 v[154:157], v1 offset:688
	ds_load_b128 v[158:161], v1 offset:704
	scratch_load_b128 v[162:165], off, off offset:248
	s_mov_b32 s0, exec_lo
	s_waitcnt vmcnt(5) lgkmcnt(1)
	v_fma_f64 v[2:3], v[136:137], v[154:155], 0
	s_waitcnt vmcnt(4)
	s_delay_alu instid0(VALU_DEP_1) | instskip(SKIP_4) | instid1(VALU_DEP_1)
	v_fma_f64 v[2:3], v[138:139], v[156:157], v[2:3]
	scratch_load_b128 v[136:139], off, off offset:264
	s_waitcnt lgkmcnt(0)
	v_fma_f64 v[2:3], v[140:141], v[158:159], v[2:3]
	s_waitcnt vmcnt(4)
	v_fma_f64 v[2:3], v[142:143], v[160:161], v[2:3]
	ds_load_b128 v[140:143], v1 offset:720
	ds_load_b128 v[154:157], v1 offset:736
	scratch_load_b128 v[158:161], off, off offset:280
	s_waitcnt lgkmcnt(1)
	v_fma_f64 v[2:3], v[144:145], v[140:141], v[2:3]
	s_waitcnt vmcnt(4)
	s_delay_alu instid0(VALU_DEP_1) | instskip(SKIP_4) | instid1(VALU_DEP_1)
	v_fma_f64 v[2:3], v[146:147], v[142:143], v[2:3]
	scratch_load_b128 v[140:143], off, off offset:296
	s_waitcnt lgkmcnt(0)
	v_fma_f64 v[2:3], v[148:149], v[154:155], v[2:3]
	s_waitcnt vmcnt(4)
	v_fma_f64 v[2:3], v[150:151], v[156:157], v[2:3]
	ds_load_b128 v[144:147], v1 offset:752
	ds_load_b128 v[148:151], v1 offset:768
	s_waitcnt lgkmcnt(1)
	v_fma_f64 v[2:3], v[152:153], v[144:145], v[2:3]
	scratch_load_b128 v[152:155], off, off offset:312
	s_waitcnt vmcnt(4)
	v_fma_f64 v[2:3], v[162:163], v[146:147], v[2:3]
	scratch_load_b128 v[144:147], off, off offset:328
	s_waitcnt lgkmcnt(0)
	v_fma_f64 v[2:3], v[164:165], v[148:149], v[2:3]
	s_waitcnt vmcnt(4)
	s_delay_alu instid0(VALU_DEP_1)
	v_fma_f64 v[2:3], v[136:137], v[150:151], v[2:3]
	ds_load_b128 v[148:151], v1 offset:784
	ds_load_b128 v[162:165], v1 offset:800
	s_waitcnt lgkmcnt(1)
	v_fma_f64 v[2:3], v[138:139], v[148:149], v[2:3]
	scratch_load_b128 v[136:139], off, off offset:344
	s_waitcnt vmcnt(4)
	v_fma_f64 v[2:3], v[158:159], v[150:151], v[2:3]
	scratch_load_b128 v[148:151], off, off offset:360
	s_waitcnt lgkmcnt(0)
	v_fma_f64 v[2:3], v[160:161], v[162:163], v[2:3]
	ds_load_b128 v[156:159], v1 offset:816
	ds_load_b128 v[160:163], v1 offset:832
	s_waitcnt vmcnt(4)
	v_fma_f64 v[2:3], v[140:141], v[164:165], v[2:3]
	s_waitcnt lgkmcnt(1)
	s_delay_alu instid0(VALU_DEP_1) | instskip(SKIP_4) | instid1(VALU_DEP_1)
	v_fma_f64 v[2:3], v[142:143], v[156:157], v[2:3]
	scratch_load_b128 v[140:143], off, off offset:376
	s_waitcnt vmcnt(4)
	v_fma_f64 v[2:3], v[152:153], v[158:159], v[2:3]
	s_waitcnt lgkmcnt(0)
	v_fma_f64 v[2:3], v[154:155], v[160:161], v[2:3]
	scratch_load_b128 v[152:155], off, off offset:392
	s_waitcnt vmcnt(4)
	v_fma_f64 v[2:3], v[144:145], v[162:163], v[2:3]
	ds_load_b128 v[156:159], v1 offset:848
	ds_load_b128 v[160:163], v1 offset:864
	s_waitcnt lgkmcnt(1)
	v_fma_f64 v[2:3], v[146:147], v[156:157], v[2:3]
	scratch_load_b128 v[144:147], off, off offset:408
	s_waitcnt vmcnt(4)
	v_fma_f64 v[2:3], v[136:137], v[158:159], v[2:3]
	s_waitcnt lgkmcnt(0)
	s_delay_alu instid0(VALU_DEP_1)
	v_fma_f64 v[2:3], v[138:139], v[160:161], v[2:3]
	scratch_load_b128 v[136:139], off, off offset:424
	s_waitcnt vmcnt(4)
	v_fma_f64 v[2:3], v[148:149], v[162:163], v[2:3]
	ds_load_b128 v[156:159], v1 offset:880
	ds_load_b128 v[160:163], v1 offset:896
	s_waitcnt lgkmcnt(1)
	v_fma_f64 v[2:3], v[150:151], v[156:157], v[2:3]
	scratch_load_b128 v[148:151], off, off offset:440
	s_waitcnt vmcnt(4)
	v_fma_f64 v[2:3], v[140:141], v[158:159], v[2:3]
	s_waitcnt lgkmcnt(0)
	s_delay_alu instid0(VALU_DEP_1)
	;; [unrolled: 13-line block ×3, first 2 shown]
	v_fma_f64 v[2:3], v[146:147], v[160:161], v[2:3]
	scratch_load_b128 v[144:147], off, off offset:488
	s_waitcnt vmcnt(4)
	v_fma_f64 v[2:3], v[136:137], v[162:163], v[2:3]
	ds_load_b128 v[156:159], v1 offset:944
	ds_load_b128 v[160:163], v1 offset:960
	s_waitcnt lgkmcnt(1)
	v_fma_f64 v[2:3], v[138:139], v[156:157], v[2:3]
	scratch_load_b64 v[156:157], off, off offset:504
	s_waitcnt vmcnt(4)
	v_fma_f64 v[2:3], v[148:149], v[158:159], v[2:3]
	s_waitcnt lgkmcnt(0)
	s_delay_alu instid0(VALU_DEP_1)
	v_fma_f64 v[2:3], v[150:151], v[160:161], v[2:3]
	ds_load_b128 v[136:139], v1 offset:976
	ds_load_b128 v[148:151], v1 offset:992
	s_waitcnt vmcnt(3)
	v_fma_f64 v[2:3], v[140:141], v[162:163], v[2:3]
	s_waitcnt lgkmcnt(1)
	s_delay_alu instid0(VALU_DEP_1) | instskip(SKIP_1) | instid1(VALU_DEP_1)
	v_fma_f64 v[2:3], v[142:143], v[136:137], v[2:3]
	s_waitcnt vmcnt(2)
	v_fma_f64 v[2:3], v[152:153], v[138:139], v[2:3]
	s_waitcnt lgkmcnt(0)
	s_delay_alu instid0(VALU_DEP_1) | instskip(SKIP_1) | instid1(VALU_DEP_1)
	v_fma_f64 v[2:3], v[154:155], v[148:149], v[2:3]
	s_waitcnt vmcnt(1)
	v_fma_f64 v[136:137], v[144:145], v[150:151], v[2:3]
	ds_load_b128 v[1:4], v1 offset:1008
	s_waitcnt lgkmcnt(0)
	v_fma_f64 v[1:2], v[146:147], v[1:2], v[136:137]
	s_waitcnt vmcnt(0)
	s_delay_alu instid0(VALU_DEP_1) | instskip(NEXT) | instid1(VALU_DEP_1)
	v_fma_f64 v[1:2], v[156:157], v[3:4], v[1:2]
	v_add_f64 v[1:2], v[134:135], -v[1:2]
	scratch_store_b64 off, v[1:2], off offset:168
	v_cmpx_lt_u32_e32 20, v0
	s_cbranch_execz .LBB63_353
; %bb.352:
	scratch_load_b64 v[1:2], off, off offset:160
	v_mov_b32_e32 v3, 0
	s_delay_alu instid0(VALU_DEP_1)
	v_mov_b32_e32 v4, v3
	scratch_store_b64 off, v[3:4], off offset:160
	s_waitcnt vmcnt(0)
	ds_store_b64 v5, v[1:2]
.LBB63_353:
	s_or_b32 exec_lo, exec_lo, s0
	s_waitcnt lgkmcnt(0)
	s_waitcnt_vscnt null, 0x0
	s_barrier
	buffer_gl0_inv
	s_clause 0x4
	scratch_load_b128 v[134:137], off, off offset:160
	scratch_load_b128 v[138:141], off, off offset:176
	;; [unrolled: 1-line block ×5, first 2 shown]
	v_mov_b32_e32 v1, 0
	ds_load_2addr_b64 v[154:157], v1 offset0:85 offset1:86
	ds_load_2addr_b64 v[158:161], v1 offset0:87 offset1:88
	scratch_load_b128 v[162:165], off, off offset:240
	s_mov_b32 s0, exec_lo
	s_waitcnt vmcnt(5) lgkmcnt(1)
	v_fma_f64 v[2:3], v[136:137], v[154:155], 0
	s_waitcnt vmcnt(4)
	s_delay_alu instid0(VALU_DEP_1) | instskip(SKIP_4) | instid1(VALU_DEP_1)
	v_fma_f64 v[2:3], v[138:139], v[156:157], v[2:3]
	scratch_load_b128 v[136:139], off, off offset:256
	s_waitcnt lgkmcnt(0)
	v_fma_f64 v[2:3], v[140:141], v[158:159], v[2:3]
	s_waitcnt vmcnt(4)
	v_fma_f64 v[2:3], v[142:143], v[160:161], v[2:3]
	ds_load_2addr_b64 v[140:143], v1 offset0:89 offset1:90
	ds_load_2addr_b64 v[154:157], v1 offset0:91 offset1:92
	scratch_load_b128 v[158:161], off, off offset:272
	s_waitcnt lgkmcnt(1)
	v_fma_f64 v[2:3], v[144:145], v[140:141], v[2:3]
	s_waitcnt vmcnt(4)
	s_delay_alu instid0(VALU_DEP_1) | instskip(SKIP_4) | instid1(VALU_DEP_1)
	v_fma_f64 v[2:3], v[146:147], v[142:143], v[2:3]
	scratch_load_b128 v[140:143], off, off offset:288
	s_waitcnt lgkmcnt(0)
	v_fma_f64 v[2:3], v[148:149], v[154:155], v[2:3]
	s_waitcnt vmcnt(4)
	v_fma_f64 v[2:3], v[150:151], v[156:157], v[2:3]
	ds_load_2addr_b64 v[144:147], v1 offset0:93 offset1:94
	ds_load_2addr_b64 v[148:151], v1 offset0:95 offset1:96
	s_waitcnt lgkmcnt(1)
	v_fma_f64 v[2:3], v[152:153], v[144:145], v[2:3]
	scratch_load_b128 v[152:155], off, off offset:304
	s_waitcnt vmcnt(4)
	v_fma_f64 v[2:3], v[162:163], v[146:147], v[2:3]
	scratch_load_b128 v[144:147], off, off offset:320
	s_waitcnt lgkmcnt(0)
	v_fma_f64 v[2:3], v[164:165], v[148:149], v[2:3]
	s_waitcnt vmcnt(4)
	s_delay_alu instid0(VALU_DEP_1)
	v_fma_f64 v[2:3], v[136:137], v[150:151], v[2:3]
	ds_load_2addr_b64 v[148:151], v1 offset0:97 offset1:98
	ds_load_2addr_b64 v[162:165], v1 offset0:99 offset1:100
	s_waitcnt lgkmcnt(1)
	v_fma_f64 v[2:3], v[138:139], v[148:149], v[2:3]
	scratch_load_b128 v[136:139], off, off offset:336
	s_waitcnt vmcnt(4)
	v_fma_f64 v[2:3], v[158:159], v[150:151], v[2:3]
	scratch_load_b128 v[148:151], off, off offset:352
	s_waitcnt lgkmcnt(0)
	v_fma_f64 v[2:3], v[160:161], v[162:163], v[2:3]
	ds_load_2addr_b64 v[156:159], v1 offset0:101 offset1:102
	ds_load_2addr_b64 v[160:163], v1 offset0:103 offset1:104
	s_waitcnt vmcnt(4)
	v_fma_f64 v[2:3], v[140:141], v[164:165], v[2:3]
	s_waitcnt lgkmcnt(1)
	s_delay_alu instid0(VALU_DEP_1) | instskip(SKIP_4) | instid1(VALU_DEP_1)
	v_fma_f64 v[2:3], v[142:143], v[156:157], v[2:3]
	scratch_load_b128 v[140:143], off, off offset:368
	s_waitcnt vmcnt(4)
	v_fma_f64 v[2:3], v[152:153], v[158:159], v[2:3]
	s_waitcnt lgkmcnt(0)
	v_fma_f64 v[2:3], v[154:155], v[160:161], v[2:3]
	scratch_load_b128 v[152:155], off, off offset:384
	s_waitcnt vmcnt(4)
	v_fma_f64 v[2:3], v[144:145], v[162:163], v[2:3]
	ds_load_2addr_b64 v[156:159], v1 offset0:105 offset1:106
	ds_load_2addr_b64 v[160:163], v1 offset0:107 offset1:108
	s_waitcnt lgkmcnt(1)
	v_fma_f64 v[2:3], v[146:147], v[156:157], v[2:3]
	scratch_load_b128 v[144:147], off, off offset:400
	s_waitcnt vmcnt(4)
	v_fma_f64 v[2:3], v[136:137], v[158:159], v[2:3]
	s_waitcnt lgkmcnt(0)
	s_delay_alu instid0(VALU_DEP_1)
	v_fma_f64 v[2:3], v[138:139], v[160:161], v[2:3]
	scratch_load_b128 v[136:139], off, off offset:416
	s_waitcnt vmcnt(4)
	v_fma_f64 v[2:3], v[148:149], v[162:163], v[2:3]
	ds_load_2addr_b64 v[156:159], v1 offset0:109 offset1:110
	ds_load_2addr_b64 v[160:163], v1 offset0:111 offset1:112
	s_waitcnt lgkmcnt(1)
	v_fma_f64 v[2:3], v[150:151], v[156:157], v[2:3]
	scratch_load_b128 v[148:151], off, off offset:432
	s_waitcnt vmcnt(4)
	v_fma_f64 v[2:3], v[140:141], v[158:159], v[2:3]
	s_waitcnt lgkmcnt(0)
	s_delay_alu instid0(VALU_DEP_1)
	v_fma_f64 v[2:3], v[142:143], v[160:161], v[2:3]
	scratch_load_b128 v[140:143], off, off offset:448
	s_waitcnt vmcnt(4)
	v_fma_f64 v[2:3], v[152:153], v[162:163], v[2:3]
	ds_load_2addr_b64 v[156:159], v1 offset0:113 offset1:114
	ds_load_2addr_b64 v[160:163], v1 offset0:115 offset1:116
	s_waitcnt lgkmcnt(1)
	v_fma_f64 v[2:3], v[154:155], v[156:157], v[2:3]
	scratch_load_b128 v[152:155], off, off offset:464
	s_waitcnt vmcnt(4)
	v_fma_f64 v[2:3], v[144:145], v[158:159], v[2:3]
	s_waitcnt lgkmcnt(0)
	s_delay_alu instid0(VALU_DEP_1)
	v_fma_f64 v[2:3], v[146:147], v[160:161], v[2:3]
	scratch_load_b128 v[144:147], off, off offset:480
	s_waitcnt vmcnt(4)
	v_fma_f64 v[2:3], v[136:137], v[162:163], v[2:3]
	ds_load_2addr_b64 v[156:159], v1 offset0:117 offset1:118
	ds_load_2addr_b64 v[160:163], v1 offset0:119 offset1:120
	s_waitcnt lgkmcnt(1)
	v_fma_f64 v[2:3], v[138:139], v[156:157], v[2:3]
	scratch_load_b128 v[136:139], off, off offset:496
	s_waitcnt vmcnt(4)
	v_fma_f64 v[2:3], v[148:149], v[158:159], v[2:3]
	s_waitcnt lgkmcnt(0)
	s_delay_alu instid0(VALU_DEP_1)
	v_fma_f64 v[2:3], v[150:151], v[160:161], v[2:3]
	ds_load_2addr_b64 v[148:151], v1 offset0:121 offset1:122
	ds_load_2addr_b64 v[156:159], v1 offset0:123 offset1:124
	s_waitcnt vmcnt(3)
	v_fma_f64 v[2:3], v[140:141], v[162:163], v[2:3]
	s_waitcnt lgkmcnt(1)
	s_delay_alu instid0(VALU_DEP_1) | instskip(SKIP_1) | instid1(VALU_DEP_1)
	v_fma_f64 v[2:3], v[142:143], v[148:149], v[2:3]
	s_waitcnt vmcnt(2)
	v_fma_f64 v[2:3], v[152:153], v[150:151], v[2:3]
	s_waitcnt lgkmcnt(0)
	s_delay_alu instid0(VALU_DEP_1) | instskip(SKIP_1) | instid1(VALU_DEP_1)
	v_fma_f64 v[2:3], v[154:155], v[156:157], v[2:3]
	s_waitcnt vmcnt(1)
	v_fma_f64 v[2:3], v[144:145], v[158:159], v[2:3]
	ds_load_2addr_b64 v[140:143], v1 offset0:125 offset1:126
	ds_load_b64 v[144:145], v1 offset:1016
	s_waitcnt lgkmcnt(1)
	v_fma_f64 v[2:3], v[146:147], v[140:141], v[2:3]
	s_waitcnt vmcnt(0)
	s_delay_alu instid0(VALU_DEP_1) | instskip(SKIP_1) | instid1(VALU_DEP_1)
	v_fma_f64 v[2:3], v[136:137], v[142:143], v[2:3]
	s_waitcnt lgkmcnt(0)
	v_fma_f64 v[2:3], v[138:139], v[144:145], v[2:3]
	s_delay_alu instid0(VALU_DEP_1)
	v_add_f64 v[2:3], v[134:135], -v[2:3]
	scratch_store_b64 off, v[2:3], off offset:160
	v_cmpx_lt_u32_e32 19, v0
	s_cbranch_execz .LBB63_355
; %bb.354:
	scratch_load_b64 v[3:4], off, off offset:152
	v_mov_b32_e32 v2, v1
	scratch_store_b64 off, v[1:2], off offset:152
	s_waitcnt vmcnt(0)
	ds_store_b64 v5, v[3:4]
.LBB63_355:
	s_or_b32 exec_lo, exec_lo, s0
	s_waitcnt lgkmcnt(0)
	s_waitcnt_vscnt null, 0x0
	s_barrier
	buffer_gl0_inv
	s_clause 0x4
	scratch_load_b128 v[134:137], off, off offset:152
	scratch_load_b128 v[138:141], off, off offset:168
	;; [unrolled: 1-line block ×5, first 2 shown]
	ds_load_b128 v[154:157], v1 offset:672
	ds_load_b128 v[158:161], v1 offset:688
	scratch_load_b128 v[162:165], off, off offset:232
	s_mov_b32 s0, exec_lo
	s_waitcnt vmcnt(5) lgkmcnt(1)
	v_fma_f64 v[2:3], v[136:137], v[154:155], 0
	s_waitcnt vmcnt(4)
	s_delay_alu instid0(VALU_DEP_1) | instskip(SKIP_4) | instid1(VALU_DEP_1)
	v_fma_f64 v[2:3], v[138:139], v[156:157], v[2:3]
	scratch_load_b128 v[136:139], off, off offset:248
	s_waitcnt lgkmcnt(0)
	v_fma_f64 v[2:3], v[140:141], v[158:159], v[2:3]
	s_waitcnt vmcnt(4)
	v_fma_f64 v[2:3], v[142:143], v[160:161], v[2:3]
	ds_load_b128 v[140:143], v1 offset:704
	ds_load_b128 v[154:157], v1 offset:720
	scratch_load_b128 v[158:161], off, off offset:264
	s_waitcnt lgkmcnt(1)
	v_fma_f64 v[2:3], v[144:145], v[140:141], v[2:3]
	s_waitcnt vmcnt(4)
	s_delay_alu instid0(VALU_DEP_1) | instskip(SKIP_4) | instid1(VALU_DEP_1)
	v_fma_f64 v[2:3], v[146:147], v[142:143], v[2:3]
	scratch_load_b128 v[140:143], off, off offset:280
	s_waitcnt lgkmcnt(0)
	v_fma_f64 v[2:3], v[148:149], v[154:155], v[2:3]
	s_waitcnt vmcnt(4)
	v_fma_f64 v[2:3], v[150:151], v[156:157], v[2:3]
	ds_load_b128 v[144:147], v1 offset:736
	ds_load_b128 v[148:151], v1 offset:752
	s_waitcnt lgkmcnt(1)
	v_fma_f64 v[2:3], v[152:153], v[144:145], v[2:3]
	scratch_load_b128 v[152:155], off, off offset:296
	s_waitcnt vmcnt(4)
	v_fma_f64 v[2:3], v[162:163], v[146:147], v[2:3]
	scratch_load_b128 v[144:147], off, off offset:312
	s_waitcnt lgkmcnt(0)
	v_fma_f64 v[2:3], v[164:165], v[148:149], v[2:3]
	s_waitcnt vmcnt(4)
	s_delay_alu instid0(VALU_DEP_1)
	v_fma_f64 v[2:3], v[136:137], v[150:151], v[2:3]
	ds_load_b128 v[148:151], v1 offset:768
	ds_load_b128 v[162:165], v1 offset:784
	s_waitcnt lgkmcnt(1)
	v_fma_f64 v[2:3], v[138:139], v[148:149], v[2:3]
	scratch_load_b128 v[136:139], off, off offset:328
	s_waitcnt vmcnt(4)
	v_fma_f64 v[2:3], v[158:159], v[150:151], v[2:3]
	scratch_load_b128 v[148:151], off, off offset:344
	s_waitcnt lgkmcnt(0)
	v_fma_f64 v[2:3], v[160:161], v[162:163], v[2:3]
	ds_load_b128 v[156:159], v1 offset:800
	ds_load_b128 v[160:163], v1 offset:816
	s_waitcnt vmcnt(4)
	v_fma_f64 v[2:3], v[140:141], v[164:165], v[2:3]
	s_waitcnt lgkmcnt(1)
	s_delay_alu instid0(VALU_DEP_1) | instskip(SKIP_4) | instid1(VALU_DEP_1)
	v_fma_f64 v[2:3], v[142:143], v[156:157], v[2:3]
	scratch_load_b128 v[140:143], off, off offset:360
	s_waitcnt vmcnt(4)
	v_fma_f64 v[2:3], v[152:153], v[158:159], v[2:3]
	s_waitcnt lgkmcnt(0)
	v_fma_f64 v[2:3], v[154:155], v[160:161], v[2:3]
	scratch_load_b128 v[152:155], off, off offset:376
	s_waitcnt vmcnt(4)
	v_fma_f64 v[2:3], v[144:145], v[162:163], v[2:3]
	ds_load_b128 v[156:159], v1 offset:832
	ds_load_b128 v[160:163], v1 offset:848
	s_waitcnt lgkmcnt(1)
	v_fma_f64 v[2:3], v[146:147], v[156:157], v[2:3]
	scratch_load_b128 v[144:147], off, off offset:392
	s_waitcnt vmcnt(4)
	v_fma_f64 v[2:3], v[136:137], v[158:159], v[2:3]
	s_waitcnt lgkmcnt(0)
	s_delay_alu instid0(VALU_DEP_1)
	v_fma_f64 v[2:3], v[138:139], v[160:161], v[2:3]
	scratch_load_b128 v[136:139], off, off offset:408
	s_waitcnt vmcnt(4)
	v_fma_f64 v[2:3], v[148:149], v[162:163], v[2:3]
	ds_load_b128 v[156:159], v1 offset:864
	ds_load_b128 v[160:163], v1 offset:880
	s_waitcnt lgkmcnt(1)
	v_fma_f64 v[2:3], v[150:151], v[156:157], v[2:3]
	scratch_load_b128 v[148:151], off, off offset:424
	s_waitcnt vmcnt(4)
	v_fma_f64 v[2:3], v[140:141], v[158:159], v[2:3]
	s_waitcnt lgkmcnt(0)
	s_delay_alu instid0(VALU_DEP_1)
	;; [unrolled: 13-line block ×4, first 2 shown]
	v_fma_f64 v[2:3], v[150:151], v[160:161], v[2:3]
	scratch_load_b64 v[160:161], off, off offset:504
	ds_load_b128 v[148:151], v1 offset:960
	ds_load_b128 v[156:159], v1 offset:976
	s_waitcnt vmcnt(4)
	v_fma_f64 v[2:3], v[140:141], v[162:163], v[2:3]
	s_waitcnt lgkmcnt(1)
	s_delay_alu instid0(VALU_DEP_1) | instskip(SKIP_1) | instid1(VALU_DEP_1)
	v_fma_f64 v[2:3], v[142:143], v[148:149], v[2:3]
	s_waitcnt vmcnt(3)
	v_fma_f64 v[2:3], v[152:153], v[150:151], v[2:3]
	s_waitcnt lgkmcnt(0)
	s_delay_alu instid0(VALU_DEP_1) | instskip(SKIP_1) | instid1(VALU_DEP_1)
	v_fma_f64 v[2:3], v[154:155], v[156:157], v[2:3]
	s_waitcnt vmcnt(2)
	v_fma_f64 v[144:145], v[144:145], v[158:159], v[2:3]
	ds_load_b128 v[140:143], v1 offset:992
	ds_load_b128 v[1:4], v1 offset:1008
	s_waitcnt lgkmcnt(1)
	v_fma_f64 v[140:141], v[146:147], v[140:141], v[144:145]
	s_waitcnt vmcnt(1)
	s_delay_alu instid0(VALU_DEP_1) | instskip(SKIP_1) | instid1(VALU_DEP_1)
	v_fma_f64 v[136:137], v[136:137], v[142:143], v[140:141]
	s_waitcnt lgkmcnt(0)
	v_fma_f64 v[1:2], v[138:139], v[1:2], v[136:137]
	s_waitcnt vmcnt(0)
	s_delay_alu instid0(VALU_DEP_1) | instskip(NEXT) | instid1(VALU_DEP_1)
	v_fma_f64 v[1:2], v[160:161], v[3:4], v[1:2]
	v_add_f64 v[1:2], v[134:135], -v[1:2]
	scratch_store_b64 off, v[1:2], off offset:152
	v_cmpx_lt_u32_e32 18, v0
	s_cbranch_execz .LBB63_357
; %bb.356:
	scratch_load_b64 v[1:2], off, off offset:144
	v_mov_b32_e32 v3, 0
	s_delay_alu instid0(VALU_DEP_1)
	v_mov_b32_e32 v4, v3
	scratch_store_b64 off, v[3:4], off offset:144
	s_waitcnt vmcnt(0)
	ds_store_b64 v5, v[1:2]
.LBB63_357:
	s_or_b32 exec_lo, exec_lo, s0
	s_waitcnt lgkmcnt(0)
	s_waitcnt_vscnt null, 0x0
	s_barrier
	buffer_gl0_inv
	s_clause 0x4
	scratch_load_b128 v[1:4], off, off offset:144
	scratch_load_b128 v[135:138], off, off offset:160
	;; [unrolled: 1-line block ×5, first 2 shown]
	v_mov_b32_e32 v134, 0
	ds_load_2addr_b64 v[151:154], v134 offset0:83 offset1:84
	ds_load_2addr_b64 v[155:158], v134 offset0:85 offset1:86
	scratch_load_b128 v[159:162], off, off offset:224
	s_mov_b32 s0, exec_lo
	s_waitcnt vmcnt(5) lgkmcnt(1)
	v_fma_f64 v[3:4], v[3:4], v[151:152], 0
	s_waitcnt vmcnt(4)
	s_delay_alu instid0(VALU_DEP_1) | instskip(SKIP_1) | instid1(VALU_DEP_1)
	v_fma_f64 v[3:4], v[135:136], v[153:154], v[3:4]
	s_waitcnt lgkmcnt(0)
	v_fma_f64 v[3:4], v[137:138], v[155:156], v[3:4]
	scratch_load_b128 v[135:138], off, off offset:240
	s_waitcnt vmcnt(4)
	v_fma_f64 v[3:4], v[139:140], v[157:158], v[3:4]
	ds_load_2addr_b64 v[151:154], v134 offset0:87 offset1:88
	ds_load_2addr_b64 v[155:158], v134 offset0:89 offset1:90
	s_waitcnt lgkmcnt(1)
	v_fma_f64 v[3:4], v[141:142], v[151:152], v[3:4]
	scratch_load_b128 v[139:142], off, off offset:256
	s_waitcnt vmcnt(4)
	v_fma_f64 v[3:4], v[143:144], v[153:154], v[3:4]
	s_waitcnt lgkmcnt(0)
	s_delay_alu instid0(VALU_DEP_1)
	v_fma_f64 v[3:4], v[145:146], v[155:156], v[3:4]
	scratch_load_b128 v[143:146], off, off offset:272
	s_waitcnt vmcnt(4)
	v_fma_f64 v[3:4], v[147:148], v[157:158], v[3:4]
	ds_load_2addr_b64 v[151:154], v134 offset0:91 offset1:92
	ds_load_2addr_b64 v[155:158], v134 offset0:93 offset1:94
	s_waitcnt lgkmcnt(1)
	v_fma_f64 v[3:4], v[149:150], v[151:152], v[3:4]
	scratch_load_b128 v[147:150], off, off offset:288
	s_waitcnt vmcnt(4)
	v_fma_f64 v[3:4], v[159:160], v[153:154], v[3:4]
	scratch_load_b128 v[151:154], off, off offset:304
	s_waitcnt lgkmcnt(0)
	v_fma_f64 v[3:4], v[161:162], v[155:156], v[3:4]
	s_waitcnt vmcnt(4)
	s_delay_alu instid0(VALU_DEP_1)
	v_fma_f64 v[3:4], v[135:136], v[157:158], v[3:4]
	ds_load_2addr_b64 v[155:158], v134 offset0:95 offset1:96
	ds_load_2addr_b64 v[159:162], v134 offset0:97 offset1:98
	s_waitcnt lgkmcnt(1)
	v_fma_f64 v[3:4], v[137:138], v[155:156], v[3:4]
	scratch_load_b128 v[135:138], off, off offset:320
	s_waitcnt vmcnt(4)
	v_fma_f64 v[3:4], v[139:140], v[157:158], v[3:4]
	s_waitcnt lgkmcnt(0)
	s_delay_alu instid0(VALU_DEP_1)
	v_fma_f64 v[3:4], v[141:142], v[159:160], v[3:4]
	scratch_load_b128 v[139:142], off, off offset:336
	s_waitcnt vmcnt(4)
	v_fma_f64 v[3:4], v[143:144], v[161:162], v[3:4]
	ds_load_2addr_b64 v[155:158], v134 offset0:99 offset1:100
	ds_load_2addr_b64 v[159:162], v134 offset0:101 offset1:102
	s_waitcnt lgkmcnt(1)
	v_fma_f64 v[3:4], v[145:146], v[155:156], v[3:4]
	scratch_load_b128 v[143:146], off, off offset:352
	s_waitcnt vmcnt(4)
	v_fma_f64 v[3:4], v[147:148], v[157:158], v[3:4]
	s_waitcnt lgkmcnt(0)
	s_delay_alu instid0(VALU_DEP_1)
	v_fma_f64 v[3:4], v[149:150], v[159:160], v[3:4]
	scratch_load_b128 v[147:150], off, off offset:368
	s_waitcnt vmcnt(4)
	;; [unrolled: 13-line block ×6, first 2 shown]
	v_fma_f64 v[3:4], v[143:144], v[161:162], v[3:4]
	ds_load_2addr_b64 v[155:158], v134 offset0:119 offset1:120
	ds_load_2addr_b64 v[159:162], v134 offset0:121 offset1:122
	s_waitcnt lgkmcnt(1)
	v_fma_f64 v[3:4], v[145:146], v[155:156], v[3:4]
	s_waitcnt vmcnt(3)
	s_delay_alu instid0(VALU_DEP_1) | instskip(SKIP_1) | instid1(VALU_DEP_1)
	v_fma_f64 v[3:4], v[147:148], v[157:158], v[3:4]
	s_waitcnt lgkmcnt(0)
	v_fma_f64 v[3:4], v[149:150], v[159:160], v[3:4]
	ds_load_2addr_b64 v[143:146], v134 offset0:123 offset1:124
	ds_load_2addr_b64 v[147:150], v134 offset0:125 offset1:126
	s_waitcnt vmcnt(2)
	v_fma_f64 v[3:4], v[151:152], v[161:162], v[3:4]
	s_waitcnt lgkmcnt(1)
	s_delay_alu instid0(VALU_DEP_1) | instskip(SKIP_1) | instid1(VALU_DEP_1)
	v_fma_f64 v[3:4], v[153:154], v[143:144], v[3:4]
	s_waitcnt vmcnt(1)
	v_fma_f64 v[3:4], v[135:136], v[145:146], v[3:4]
	ds_load_b64 v[135:136], v134 offset:1016
	s_waitcnt lgkmcnt(1)
	v_fma_f64 v[3:4], v[137:138], v[147:148], v[3:4]
	s_waitcnt vmcnt(0)
	s_delay_alu instid0(VALU_DEP_1) | instskip(SKIP_1) | instid1(VALU_DEP_1)
	v_fma_f64 v[3:4], v[139:140], v[149:150], v[3:4]
	s_waitcnt lgkmcnt(0)
	v_fma_f64 v[3:4], v[141:142], v[135:136], v[3:4]
	s_delay_alu instid0(VALU_DEP_1)
	v_add_f64 v[1:2], v[1:2], -v[3:4]
	scratch_store_b64 off, v[1:2], off offset:144
	v_cmpx_lt_u32_e32 17, v0
	s_cbranch_execz .LBB63_359
; %bb.358:
	scratch_load_b64 v[1:2], off, off offset:136
	v_mov_b32_e32 v135, v134
	scratch_store_b64 off, v[134:135], off offset:136
	s_waitcnt vmcnt(0)
	ds_store_b64 v5, v[1:2]
.LBB63_359:
	s_or_b32 exec_lo, exec_lo, s0
	s_waitcnt lgkmcnt(0)
	s_waitcnt_vscnt null, 0x0
	s_barrier
	buffer_gl0_inv
	s_clause 0x4
	scratch_load_b128 v[1:4], off, off offset:136
	scratch_load_b128 v[135:138], off, off offset:152
	;; [unrolled: 1-line block ×5, first 2 shown]
	ds_load_b128 v[151:154], v134 offset:656
	ds_load_b128 v[155:158], v134 offset:672
	scratch_load_b128 v[159:162], off, off offset:216
	s_mov_b32 s0, exec_lo
	s_waitcnt vmcnt(5) lgkmcnt(1)
	v_fma_f64 v[3:4], v[3:4], v[151:152], 0
	s_waitcnt vmcnt(4)
	s_delay_alu instid0(VALU_DEP_1) | instskip(SKIP_1) | instid1(VALU_DEP_1)
	v_fma_f64 v[3:4], v[135:136], v[153:154], v[3:4]
	s_waitcnt lgkmcnt(0)
	v_fma_f64 v[3:4], v[137:138], v[155:156], v[3:4]
	scratch_load_b128 v[135:138], off, off offset:232
	s_waitcnt vmcnt(4)
	v_fma_f64 v[3:4], v[139:140], v[157:158], v[3:4]
	ds_load_b128 v[151:154], v134 offset:688
	ds_load_b128 v[155:158], v134 offset:704
	s_waitcnt lgkmcnt(1)
	v_fma_f64 v[3:4], v[141:142], v[151:152], v[3:4]
	scratch_load_b128 v[139:142], off, off offset:248
	s_waitcnt vmcnt(4)
	v_fma_f64 v[3:4], v[143:144], v[153:154], v[3:4]
	s_waitcnt lgkmcnt(0)
	s_delay_alu instid0(VALU_DEP_1)
	v_fma_f64 v[3:4], v[145:146], v[155:156], v[3:4]
	scratch_load_b128 v[143:146], off, off offset:264
	s_waitcnt vmcnt(4)
	v_fma_f64 v[3:4], v[147:148], v[157:158], v[3:4]
	ds_load_b128 v[151:154], v134 offset:720
	ds_load_b128 v[155:158], v134 offset:736
	s_waitcnt lgkmcnt(1)
	v_fma_f64 v[3:4], v[149:150], v[151:152], v[3:4]
	scratch_load_b128 v[147:150], off, off offset:280
	s_waitcnt vmcnt(4)
	v_fma_f64 v[3:4], v[159:160], v[153:154], v[3:4]
	scratch_load_b128 v[151:154], off, off offset:296
	s_waitcnt lgkmcnt(0)
	v_fma_f64 v[3:4], v[161:162], v[155:156], v[3:4]
	s_waitcnt vmcnt(4)
	s_delay_alu instid0(VALU_DEP_1)
	v_fma_f64 v[3:4], v[135:136], v[157:158], v[3:4]
	ds_load_b128 v[155:158], v134 offset:752
	ds_load_b128 v[159:162], v134 offset:768
	s_waitcnt lgkmcnt(1)
	v_fma_f64 v[3:4], v[137:138], v[155:156], v[3:4]
	scratch_load_b128 v[135:138], off, off offset:312
	s_waitcnt vmcnt(4)
	v_fma_f64 v[3:4], v[139:140], v[157:158], v[3:4]
	s_waitcnt lgkmcnt(0)
	s_delay_alu instid0(VALU_DEP_1)
	v_fma_f64 v[3:4], v[141:142], v[159:160], v[3:4]
	scratch_load_b128 v[139:142], off, off offset:328
	s_waitcnt vmcnt(4)
	v_fma_f64 v[3:4], v[143:144], v[161:162], v[3:4]
	ds_load_b128 v[155:158], v134 offset:784
	ds_load_b128 v[159:162], v134 offset:800
	s_waitcnt lgkmcnt(1)
	v_fma_f64 v[3:4], v[145:146], v[155:156], v[3:4]
	scratch_load_b128 v[143:146], off, off offset:344
	s_waitcnt vmcnt(4)
	v_fma_f64 v[3:4], v[147:148], v[157:158], v[3:4]
	s_waitcnt lgkmcnt(0)
	s_delay_alu instid0(VALU_DEP_1)
	v_fma_f64 v[3:4], v[149:150], v[159:160], v[3:4]
	scratch_load_b128 v[147:150], off, off offset:360
	s_waitcnt vmcnt(4)
	;; [unrolled: 13-line block ×6, first 2 shown]
	v_fma_f64 v[3:4], v[143:144], v[161:162], v[3:4]
	ds_load_b128 v[155:158], v134 offset:944
	ds_load_b128 v[159:162], v134 offset:960
	s_waitcnt lgkmcnt(1)
	v_fma_f64 v[3:4], v[145:146], v[155:156], v[3:4]
	scratch_load_b64 v[155:156], off, off offset:504
	s_waitcnt vmcnt(4)
	v_fma_f64 v[3:4], v[147:148], v[157:158], v[3:4]
	s_waitcnt lgkmcnt(0)
	s_delay_alu instid0(VALU_DEP_1)
	v_fma_f64 v[3:4], v[149:150], v[159:160], v[3:4]
	ds_load_b128 v[143:146], v134 offset:976
	ds_load_b128 v[147:150], v134 offset:992
	s_waitcnt vmcnt(3)
	v_fma_f64 v[3:4], v[151:152], v[161:162], v[3:4]
	s_waitcnt lgkmcnt(1)
	s_delay_alu instid0(VALU_DEP_1) | instskip(SKIP_1) | instid1(VALU_DEP_1)
	v_fma_f64 v[3:4], v[153:154], v[143:144], v[3:4]
	s_waitcnt vmcnt(2)
	v_fma_f64 v[3:4], v[135:136], v[145:146], v[3:4]
	s_waitcnt lgkmcnt(0)
	s_delay_alu instid0(VALU_DEP_1) | instskip(SKIP_4) | instid1(VALU_DEP_1)
	v_fma_f64 v[3:4], v[137:138], v[147:148], v[3:4]
	ds_load_b128 v[134:137], v134 offset:1008
	s_waitcnt vmcnt(1)
	v_fma_f64 v[3:4], v[139:140], v[149:150], v[3:4]
	s_waitcnt lgkmcnt(0)
	v_fma_f64 v[3:4], v[141:142], v[134:135], v[3:4]
	s_waitcnt vmcnt(0)
	s_delay_alu instid0(VALU_DEP_1) | instskip(NEXT) | instid1(VALU_DEP_1)
	v_fma_f64 v[3:4], v[155:156], v[136:137], v[3:4]
	v_add_f64 v[1:2], v[1:2], -v[3:4]
	scratch_store_b64 off, v[1:2], off offset:136
	v_cmpx_lt_u32_e32 16, v0
	s_cbranch_execz .LBB63_361
; %bb.360:
	scratch_load_b64 v[1:2], off, off offset:128
	v_mov_b32_e32 v3, 0
	s_delay_alu instid0(VALU_DEP_1)
	v_mov_b32_e32 v4, v3
	scratch_store_b64 off, v[3:4], off offset:128
	s_waitcnt vmcnt(0)
	ds_store_b64 v5, v[1:2]
.LBB63_361:
	s_or_b32 exec_lo, exec_lo, s0
	s_waitcnt lgkmcnt(0)
	s_waitcnt_vscnt null, 0x0
	s_barrier
	buffer_gl0_inv
	s_clause 0x4
	scratch_load_b128 v[1:4], off, off offset:128
	scratch_load_b128 v[135:138], off, off offset:144
	;; [unrolled: 1-line block ×5, first 2 shown]
	v_mov_b32_e32 v134, 0
	ds_load_2addr_b64 v[151:154], v134 offset0:81 offset1:82
	ds_load_2addr_b64 v[155:158], v134 offset0:83 offset1:84
	scratch_load_b128 v[159:162], off, off offset:208
	s_mov_b32 s0, exec_lo
	s_waitcnt vmcnt(5) lgkmcnt(1)
	v_fma_f64 v[3:4], v[3:4], v[151:152], 0
	s_waitcnt vmcnt(4)
	s_delay_alu instid0(VALU_DEP_1) | instskip(SKIP_1) | instid1(VALU_DEP_1)
	v_fma_f64 v[3:4], v[135:136], v[153:154], v[3:4]
	s_waitcnt lgkmcnt(0)
	v_fma_f64 v[3:4], v[137:138], v[155:156], v[3:4]
	scratch_load_b128 v[135:138], off, off offset:224
	s_waitcnt vmcnt(4)
	v_fma_f64 v[3:4], v[139:140], v[157:158], v[3:4]
	ds_load_2addr_b64 v[151:154], v134 offset0:85 offset1:86
	ds_load_2addr_b64 v[155:158], v134 offset0:87 offset1:88
	s_waitcnt lgkmcnt(1)
	v_fma_f64 v[3:4], v[141:142], v[151:152], v[3:4]
	scratch_load_b128 v[139:142], off, off offset:240
	s_waitcnt vmcnt(4)
	v_fma_f64 v[3:4], v[143:144], v[153:154], v[3:4]
	s_waitcnt lgkmcnt(0)
	s_delay_alu instid0(VALU_DEP_1)
	v_fma_f64 v[3:4], v[145:146], v[155:156], v[3:4]
	scratch_load_b128 v[143:146], off, off offset:256
	s_waitcnt vmcnt(4)
	v_fma_f64 v[3:4], v[147:148], v[157:158], v[3:4]
	ds_load_2addr_b64 v[151:154], v134 offset0:89 offset1:90
	ds_load_2addr_b64 v[155:158], v134 offset0:91 offset1:92
	s_waitcnt lgkmcnt(1)
	v_fma_f64 v[3:4], v[149:150], v[151:152], v[3:4]
	scratch_load_b128 v[147:150], off, off offset:272
	s_waitcnt vmcnt(4)
	v_fma_f64 v[3:4], v[159:160], v[153:154], v[3:4]
	scratch_load_b128 v[151:154], off, off offset:288
	s_waitcnt lgkmcnt(0)
	v_fma_f64 v[3:4], v[161:162], v[155:156], v[3:4]
	s_waitcnt vmcnt(4)
	s_delay_alu instid0(VALU_DEP_1)
	v_fma_f64 v[3:4], v[135:136], v[157:158], v[3:4]
	ds_load_2addr_b64 v[155:158], v134 offset0:93 offset1:94
	ds_load_2addr_b64 v[159:162], v134 offset0:95 offset1:96
	s_waitcnt lgkmcnt(1)
	v_fma_f64 v[3:4], v[137:138], v[155:156], v[3:4]
	scratch_load_b128 v[135:138], off, off offset:304
	s_waitcnt vmcnt(4)
	v_fma_f64 v[3:4], v[139:140], v[157:158], v[3:4]
	s_waitcnt lgkmcnt(0)
	s_delay_alu instid0(VALU_DEP_1)
	v_fma_f64 v[3:4], v[141:142], v[159:160], v[3:4]
	scratch_load_b128 v[139:142], off, off offset:320
	s_waitcnt vmcnt(4)
	v_fma_f64 v[3:4], v[143:144], v[161:162], v[3:4]
	ds_load_2addr_b64 v[155:158], v134 offset0:97 offset1:98
	ds_load_2addr_b64 v[159:162], v134 offset0:99 offset1:100
	s_waitcnt lgkmcnt(1)
	v_fma_f64 v[3:4], v[145:146], v[155:156], v[3:4]
	scratch_load_b128 v[143:146], off, off offset:336
	s_waitcnt vmcnt(4)
	v_fma_f64 v[3:4], v[147:148], v[157:158], v[3:4]
	s_waitcnt lgkmcnt(0)
	s_delay_alu instid0(VALU_DEP_1)
	v_fma_f64 v[3:4], v[149:150], v[159:160], v[3:4]
	scratch_load_b128 v[147:150], off, off offset:352
	s_waitcnt vmcnt(4)
	v_fma_f64 v[3:4], v[151:152], v[161:162], v[3:4]
	ds_load_2addr_b64 v[155:158], v134 offset0:101 offset1:102
	ds_load_2addr_b64 v[159:162], v134 offset0:103 offset1:104
	s_waitcnt lgkmcnt(1)
	v_fma_f64 v[3:4], v[153:154], v[155:156], v[3:4]
	scratch_load_b128 v[151:154], off, off offset:368
	s_waitcnt vmcnt(4)
	v_fma_f64 v[3:4], v[135:136], v[157:158], v[3:4]
	s_waitcnt lgkmcnt(0)
	s_delay_alu instid0(VALU_DEP_1)
	v_fma_f64 v[3:4], v[137:138], v[159:160], v[3:4]
	scratch_load_b128 v[135:138], off, off offset:384
	s_waitcnt vmcnt(4)
	v_fma_f64 v[3:4], v[139:140], v[161:162], v[3:4]
	ds_load_2addr_b64 v[155:158], v134 offset0:105 offset1:106
	ds_load_2addr_b64 v[159:162], v134 offset0:107 offset1:108
	s_waitcnt lgkmcnt(1)
	v_fma_f64 v[3:4], v[141:142], v[155:156], v[3:4]
	scratch_load_b128 v[139:142], off, off offset:400
	s_waitcnt vmcnt(4)
	v_fma_f64 v[3:4], v[143:144], v[157:158], v[3:4]
	s_waitcnt lgkmcnt(0)
	s_delay_alu instid0(VALU_DEP_1)
	v_fma_f64 v[3:4], v[145:146], v[159:160], v[3:4]
	scratch_load_b128 v[143:146], off, off offset:416
	s_waitcnt vmcnt(4)
	v_fma_f64 v[3:4], v[147:148], v[161:162], v[3:4]
	ds_load_2addr_b64 v[155:158], v134 offset0:109 offset1:110
	ds_load_2addr_b64 v[159:162], v134 offset0:111 offset1:112
	s_waitcnt lgkmcnt(1)
	v_fma_f64 v[3:4], v[149:150], v[155:156], v[3:4]
	scratch_load_b128 v[147:150], off, off offset:432
	s_waitcnt vmcnt(4)
	v_fma_f64 v[3:4], v[151:152], v[157:158], v[3:4]
	s_waitcnt lgkmcnt(0)
	s_delay_alu instid0(VALU_DEP_1)
	v_fma_f64 v[3:4], v[153:154], v[159:160], v[3:4]
	scratch_load_b128 v[151:154], off, off offset:448
	s_waitcnt vmcnt(4)
	v_fma_f64 v[3:4], v[135:136], v[161:162], v[3:4]
	ds_load_2addr_b64 v[155:158], v134 offset0:113 offset1:114
	ds_load_2addr_b64 v[159:162], v134 offset0:115 offset1:116
	s_waitcnt lgkmcnt(1)
	v_fma_f64 v[3:4], v[137:138], v[155:156], v[3:4]
	scratch_load_b128 v[135:138], off, off offset:464
	s_waitcnt vmcnt(4)
	v_fma_f64 v[3:4], v[139:140], v[157:158], v[3:4]
	s_waitcnt lgkmcnt(0)
	s_delay_alu instid0(VALU_DEP_1)
	v_fma_f64 v[3:4], v[141:142], v[159:160], v[3:4]
	scratch_load_b128 v[139:142], off, off offset:480
	s_waitcnt vmcnt(4)
	v_fma_f64 v[3:4], v[143:144], v[161:162], v[3:4]
	ds_load_2addr_b64 v[155:158], v134 offset0:117 offset1:118
	ds_load_2addr_b64 v[159:162], v134 offset0:119 offset1:120
	s_waitcnt lgkmcnt(1)
	v_fma_f64 v[3:4], v[145:146], v[155:156], v[3:4]
	scratch_load_b128 v[143:146], off, off offset:496
	s_waitcnt vmcnt(4)
	v_fma_f64 v[3:4], v[147:148], v[157:158], v[3:4]
	s_waitcnt lgkmcnt(0)
	s_delay_alu instid0(VALU_DEP_1)
	v_fma_f64 v[3:4], v[149:150], v[159:160], v[3:4]
	ds_load_2addr_b64 v[147:150], v134 offset0:121 offset1:122
	ds_load_2addr_b64 v[155:158], v134 offset0:123 offset1:124
	s_waitcnt vmcnt(3)
	v_fma_f64 v[3:4], v[151:152], v[161:162], v[3:4]
	s_waitcnt lgkmcnt(1)
	s_delay_alu instid0(VALU_DEP_1) | instskip(SKIP_1) | instid1(VALU_DEP_1)
	v_fma_f64 v[3:4], v[153:154], v[147:148], v[3:4]
	s_waitcnt vmcnt(2)
	v_fma_f64 v[3:4], v[135:136], v[149:150], v[3:4]
	s_waitcnt lgkmcnt(0)
	s_delay_alu instid0(VALU_DEP_1) | instskip(SKIP_1) | instid1(VALU_DEP_1)
	v_fma_f64 v[3:4], v[137:138], v[155:156], v[3:4]
	s_waitcnt vmcnt(1)
	v_fma_f64 v[3:4], v[139:140], v[157:158], v[3:4]
	ds_load_2addr_b64 v[135:138], v134 offset0:125 offset1:126
	ds_load_b64 v[139:140], v134 offset:1016
	s_waitcnt lgkmcnt(1)
	v_fma_f64 v[3:4], v[141:142], v[135:136], v[3:4]
	s_waitcnt vmcnt(0)
	s_delay_alu instid0(VALU_DEP_1) | instskip(SKIP_1) | instid1(VALU_DEP_1)
	v_fma_f64 v[3:4], v[143:144], v[137:138], v[3:4]
	s_waitcnt lgkmcnt(0)
	v_fma_f64 v[3:4], v[145:146], v[139:140], v[3:4]
	s_delay_alu instid0(VALU_DEP_1)
	v_add_f64 v[1:2], v[1:2], -v[3:4]
	scratch_store_b64 off, v[1:2], off offset:128
	v_cmpx_lt_u32_e32 15, v0
	s_cbranch_execz .LBB63_363
; %bb.362:
	scratch_load_b64 v[1:2], off, off offset:120
	v_mov_b32_e32 v135, v134
	scratch_store_b64 off, v[134:135], off offset:120
	s_waitcnt vmcnt(0)
	ds_store_b64 v5, v[1:2]
.LBB63_363:
	s_or_b32 exec_lo, exec_lo, s0
	s_waitcnt lgkmcnt(0)
	s_waitcnt_vscnt null, 0x0
	s_barrier
	buffer_gl0_inv
	s_clause 0x4
	scratch_load_b128 v[1:4], off, off offset:120
	scratch_load_b128 v[135:138], off, off offset:136
	;; [unrolled: 1-line block ×5, first 2 shown]
	ds_load_b128 v[151:154], v134 offset:640
	ds_load_b128 v[155:158], v134 offset:656
	scratch_load_b128 v[159:162], off, off offset:200
	s_mov_b32 s0, exec_lo
	s_waitcnt vmcnt(5) lgkmcnt(1)
	v_fma_f64 v[3:4], v[3:4], v[151:152], 0
	s_waitcnt vmcnt(4)
	s_delay_alu instid0(VALU_DEP_1) | instskip(SKIP_1) | instid1(VALU_DEP_1)
	v_fma_f64 v[3:4], v[135:136], v[153:154], v[3:4]
	s_waitcnt lgkmcnt(0)
	v_fma_f64 v[3:4], v[137:138], v[155:156], v[3:4]
	scratch_load_b128 v[135:138], off, off offset:216
	s_waitcnt vmcnt(4)
	v_fma_f64 v[3:4], v[139:140], v[157:158], v[3:4]
	ds_load_b128 v[151:154], v134 offset:672
	ds_load_b128 v[155:158], v134 offset:688
	s_waitcnt lgkmcnt(1)
	v_fma_f64 v[3:4], v[141:142], v[151:152], v[3:4]
	scratch_load_b128 v[139:142], off, off offset:232
	s_waitcnt vmcnt(4)
	v_fma_f64 v[3:4], v[143:144], v[153:154], v[3:4]
	s_waitcnt lgkmcnt(0)
	s_delay_alu instid0(VALU_DEP_1)
	v_fma_f64 v[3:4], v[145:146], v[155:156], v[3:4]
	scratch_load_b128 v[143:146], off, off offset:248
	s_waitcnt vmcnt(4)
	v_fma_f64 v[3:4], v[147:148], v[157:158], v[3:4]
	ds_load_b128 v[151:154], v134 offset:704
	ds_load_b128 v[155:158], v134 offset:720
	s_waitcnt lgkmcnt(1)
	v_fma_f64 v[3:4], v[149:150], v[151:152], v[3:4]
	scratch_load_b128 v[147:150], off, off offset:264
	s_waitcnt vmcnt(4)
	v_fma_f64 v[3:4], v[159:160], v[153:154], v[3:4]
	scratch_load_b128 v[151:154], off, off offset:280
	s_waitcnt lgkmcnt(0)
	v_fma_f64 v[3:4], v[161:162], v[155:156], v[3:4]
	s_waitcnt vmcnt(4)
	s_delay_alu instid0(VALU_DEP_1)
	v_fma_f64 v[3:4], v[135:136], v[157:158], v[3:4]
	ds_load_b128 v[155:158], v134 offset:736
	ds_load_b128 v[159:162], v134 offset:752
	s_waitcnt lgkmcnt(1)
	v_fma_f64 v[3:4], v[137:138], v[155:156], v[3:4]
	scratch_load_b128 v[135:138], off, off offset:296
	s_waitcnt vmcnt(4)
	v_fma_f64 v[3:4], v[139:140], v[157:158], v[3:4]
	s_waitcnt lgkmcnt(0)
	s_delay_alu instid0(VALU_DEP_1)
	v_fma_f64 v[3:4], v[141:142], v[159:160], v[3:4]
	scratch_load_b128 v[139:142], off, off offset:312
	s_waitcnt vmcnt(4)
	v_fma_f64 v[3:4], v[143:144], v[161:162], v[3:4]
	ds_load_b128 v[155:158], v134 offset:768
	ds_load_b128 v[159:162], v134 offset:784
	s_waitcnt lgkmcnt(1)
	v_fma_f64 v[3:4], v[145:146], v[155:156], v[3:4]
	scratch_load_b128 v[143:146], off, off offset:328
	s_waitcnt vmcnt(4)
	v_fma_f64 v[3:4], v[147:148], v[157:158], v[3:4]
	s_waitcnt lgkmcnt(0)
	s_delay_alu instid0(VALU_DEP_1)
	v_fma_f64 v[3:4], v[149:150], v[159:160], v[3:4]
	scratch_load_b128 v[147:150], off, off offset:344
	s_waitcnt vmcnt(4)
	;; [unrolled: 13-line block ×6, first 2 shown]
	v_fma_f64 v[3:4], v[143:144], v[161:162], v[3:4]
	ds_load_b128 v[155:158], v134 offset:928
	ds_load_b128 v[159:162], v134 offset:944
	s_waitcnt lgkmcnt(1)
	v_fma_f64 v[3:4], v[145:146], v[155:156], v[3:4]
	scratch_load_b128 v[143:146], off, off offset:488
	s_waitcnt vmcnt(4)
	v_fma_f64 v[3:4], v[147:148], v[157:158], v[3:4]
	s_waitcnt lgkmcnt(0)
	s_delay_alu instid0(VALU_DEP_1)
	v_fma_f64 v[3:4], v[149:150], v[159:160], v[3:4]
	scratch_load_b64 v[159:160], off, off offset:504
	ds_load_b128 v[147:150], v134 offset:960
	ds_load_b128 v[155:158], v134 offset:976
	s_waitcnt vmcnt(4)
	v_fma_f64 v[3:4], v[151:152], v[161:162], v[3:4]
	s_waitcnt lgkmcnt(1)
	s_delay_alu instid0(VALU_DEP_1) | instskip(SKIP_1) | instid1(VALU_DEP_1)
	v_fma_f64 v[3:4], v[153:154], v[147:148], v[3:4]
	s_waitcnt vmcnt(3)
	v_fma_f64 v[3:4], v[135:136], v[149:150], v[3:4]
	s_waitcnt lgkmcnt(0)
	s_delay_alu instid0(VALU_DEP_1)
	v_fma_f64 v[3:4], v[137:138], v[155:156], v[3:4]
	ds_load_b128 v[135:138], v134 offset:992
	ds_load_b128 v[147:150], v134 offset:1008
	s_waitcnt vmcnt(2)
	v_fma_f64 v[3:4], v[139:140], v[157:158], v[3:4]
	s_waitcnt lgkmcnt(1)
	s_delay_alu instid0(VALU_DEP_1) | instskip(SKIP_1) | instid1(VALU_DEP_1)
	v_fma_f64 v[3:4], v[141:142], v[135:136], v[3:4]
	s_waitcnt vmcnt(1)
	v_fma_f64 v[3:4], v[143:144], v[137:138], v[3:4]
	s_waitcnt lgkmcnt(0)
	s_delay_alu instid0(VALU_DEP_1) | instskip(SKIP_1) | instid1(VALU_DEP_1)
	v_fma_f64 v[3:4], v[145:146], v[147:148], v[3:4]
	s_waitcnt vmcnt(0)
	v_fma_f64 v[3:4], v[159:160], v[149:150], v[3:4]
	s_delay_alu instid0(VALU_DEP_1)
	v_add_f64 v[1:2], v[1:2], -v[3:4]
	scratch_store_b64 off, v[1:2], off offset:120
	v_cmpx_lt_u32_e32 14, v0
	s_cbranch_execz .LBB63_365
; %bb.364:
	scratch_load_b64 v[1:2], off, off offset:112
	v_mov_b32_e32 v3, 0
	s_delay_alu instid0(VALU_DEP_1)
	v_mov_b32_e32 v4, v3
	scratch_store_b64 off, v[3:4], off offset:112
	s_waitcnt vmcnt(0)
	ds_store_b64 v5, v[1:2]
.LBB63_365:
	s_or_b32 exec_lo, exec_lo, s0
	s_waitcnt lgkmcnt(0)
	s_waitcnt_vscnt null, 0x0
	s_barrier
	buffer_gl0_inv
	s_clause 0x4
	scratch_load_b128 v[1:4], off, off offset:112
	scratch_load_b128 v[135:138], off, off offset:128
	;; [unrolled: 1-line block ×5, first 2 shown]
	v_mov_b32_e32 v134, 0
	ds_load_2addr_b64 v[151:154], v134 offset0:79 offset1:80
	ds_load_2addr_b64 v[155:158], v134 offset0:81 offset1:82
	scratch_load_b128 v[159:162], off, off offset:192
	s_mov_b32 s0, exec_lo
	s_waitcnt vmcnt(5) lgkmcnt(1)
	v_fma_f64 v[3:4], v[3:4], v[151:152], 0
	s_waitcnt vmcnt(4)
	s_delay_alu instid0(VALU_DEP_1) | instskip(SKIP_1) | instid1(VALU_DEP_1)
	v_fma_f64 v[3:4], v[135:136], v[153:154], v[3:4]
	s_waitcnt lgkmcnt(0)
	v_fma_f64 v[3:4], v[137:138], v[155:156], v[3:4]
	scratch_load_b128 v[135:138], off, off offset:208
	s_waitcnt vmcnt(4)
	v_fma_f64 v[3:4], v[139:140], v[157:158], v[3:4]
	ds_load_2addr_b64 v[151:154], v134 offset0:83 offset1:84
	ds_load_2addr_b64 v[155:158], v134 offset0:85 offset1:86
	s_waitcnt lgkmcnt(1)
	v_fma_f64 v[3:4], v[141:142], v[151:152], v[3:4]
	scratch_load_b128 v[139:142], off, off offset:224
	s_waitcnt vmcnt(4)
	v_fma_f64 v[3:4], v[143:144], v[153:154], v[3:4]
	s_waitcnt lgkmcnt(0)
	s_delay_alu instid0(VALU_DEP_1)
	v_fma_f64 v[3:4], v[145:146], v[155:156], v[3:4]
	scratch_load_b128 v[143:146], off, off offset:240
	s_waitcnt vmcnt(4)
	v_fma_f64 v[3:4], v[147:148], v[157:158], v[3:4]
	ds_load_2addr_b64 v[151:154], v134 offset0:87 offset1:88
	ds_load_2addr_b64 v[155:158], v134 offset0:89 offset1:90
	s_waitcnt lgkmcnt(1)
	v_fma_f64 v[3:4], v[149:150], v[151:152], v[3:4]
	scratch_load_b128 v[147:150], off, off offset:256
	s_waitcnt vmcnt(4)
	v_fma_f64 v[3:4], v[159:160], v[153:154], v[3:4]
	scratch_load_b128 v[151:154], off, off offset:272
	s_waitcnt lgkmcnt(0)
	v_fma_f64 v[3:4], v[161:162], v[155:156], v[3:4]
	s_waitcnt vmcnt(4)
	s_delay_alu instid0(VALU_DEP_1)
	v_fma_f64 v[3:4], v[135:136], v[157:158], v[3:4]
	ds_load_2addr_b64 v[155:158], v134 offset0:91 offset1:92
	ds_load_2addr_b64 v[159:162], v134 offset0:93 offset1:94
	s_waitcnt lgkmcnt(1)
	v_fma_f64 v[3:4], v[137:138], v[155:156], v[3:4]
	scratch_load_b128 v[135:138], off, off offset:288
	s_waitcnt vmcnt(4)
	v_fma_f64 v[3:4], v[139:140], v[157:158], v[3:4]
	s_waitcnt lgkmcnt(0)
	s_delay_alu instid0(VALU_DEP_1)
	v_fma_f64 v[3:4], v[141:142], v[159:160], v[3:4]
	scratch_load_b128 v[139:142], off, off offset:304
	s_waitcnt vmcnt(4)
	v_fma_f64 v[3:4], v[143:144], v[161:162], v[3:4]
	ds_load_2addr_b64 v[155:158], v134 offset0:95 offset1:96
	ds_load_2addr_b64 v[159:162], v134 offset0:97 offset1:98
	s_waitcnt lgkmcnt(1)
	v_fma_f64 v[3:4], v[145:146], v[155:156], v[3:4]
	scratch_load_b128 v[143:146], off, off offset:320
	s_waitcnt vmcnt(4)
	v_fma_f64 v[3:4], v[147:148], v[157:158], v[3:4]
	s_waitcnt lgkmcnt(0)
	s_delay_alu instid0(VALU_DEP_1)
	v_fma_f64 v[3:4], v[149:150], v[159:160], v[3:4]
	scratch_load_b128 v[147:150], off, off offset:336
	s_waitcnt vmcnt(4)
	;; [unrolled: 13-line block ×7, first 2 shown]
	v_fma_f64 v[3:4], v[151:152], v[161:162], v[3:4]
	ds_load_2addr_b64 v[155:158], v134 offset0:119 offset1:120
	ds_load_2addr_b64 v[159:162], v134 offset0:121 offset1:122
	s_waitcnt lgkmcnt(1)
	v_fma_f64 v[3:4], v[153:154], v[155:156], v[3:4]
	s_waitcnt vmcnt(3)
	s_delay_alu instid0(VALU_DEP_1) | instskip(SKIP_1) | instid1(VALU_DEP_1)
	v_fma_f64 v[3:4], v[135:136], v[157:158], v[3:4]
	s_waitcnt lgkmcnt(0)
	v_fma_f64 v[3:4], v[137:138], v[159:160], v[3:4]
	ds_load_2addr_b64 v[135:138], v134 offset0:123 offset1:124
	ds_load_2addr_b64 v[151:154], v134 offset0:125 offset1:126
	s_waitcnt vmcnt(2)
	v_fma_f64 v[3:4], v[139:140], v[161:162], v[3:4]
	s_waitcnt lgkmcnt(1)
	s_delay_alu instid0(VALU_DEP_1) | instskip(SKIP_4) | instid1(VALU_DEP_1)
	v_fma_f64 v[3:4], v[141:142], v[135:136], v[3:4]
	ds_load_b64 v[135:136], v134 offset:1016
	s_waitcnt vmcnt(1)
	v_fma_f64 v[3:4], v[143:144], v[137:138], v[3:4]
	s_waitcnt lgkmcnt(1)
	v_fma_f64 v[3:4], v[145:146], v[151:152], v[3:4]
	s_waitcnt vmcnt(0)
	s_delay_alu instid0(VALU_DEP_1) | instskip(SKIP_1) | instid1(VALU_DEP_1)
	v_fma_f64 v[3:4], v[147:148], v[153:154], v[3:4]
	s_waitcnt lgkmcnt(0)
	v_fma_f64 v[3:4], v[149:150], v[135:136], v[3:4]
	s_delay_alu instid0(VALU_DEP_1)
	v_add_f64 v[1:2], v[1:2], -v[3:4]
	scratch_store_b64 off, v[1:2], off offset:112
	v_cmpx_lt_u32_e32 13, v0
	s_cbranch_execz .LBB63_367
; %bb.366:
	scratch_load_b64 v[1:2], off, off offset:104
	v_mov_b32_e32 v135, v134
	scratch_store_b64 off, v[134:135], off offset:104
	s_waitcnt vmcnt(0)
	ds_store_b64 v5, v[1:2]
.LBB63_367:
	s_or_b32 exec_lo, exec_lo, s0
	s_waitcnt lgkmcnt(0)
	s_waitcnt_vscnt null, 0x0
	s_barrier
	buffer_gl0_inv
	s_clause 0x4
	scratch_load_b128 v[1:4], off, off offset:104
	scratch_load_b128 v[135:138], off, off offset:120
	;; [unrolled: 1-line block ×5, first 2 shown]
	ds_load_b128 v[151:154], v134 offset:624
	ds_load_b128 v[155:158], v134 offset:640
	scratch_load_b128 v[159:162], off, off offset:184
	s_mov_b32 s0, exec_lo
	s_waitcnt vmcnt(5) lgkmcnt(1)
	v_fma_f64 v[3:4], v[3:4], v[151:152], 0
	s_waitcnt vmcnt(4)
	s_delay_alu instid0(VALU_DEP_1) | instskip(SKIP_1) | instid1(VALU_DEP_1)
	v_fma_f64 v[3:4], v[135:136], v[153:154], v[3:4]
	s_waitcnt lgkmcnt(0)
	v_fma_f64 v[3:4], v[137:138], v[155:156], v[3:4]
	scratch_load_b128 v[135:138], off, off offset:200
	s_waitcnt vmcnt(4)
	v_fma_f64 v[3:4], v[139:140], v[157:158], v[3:4]
	ds_load_b128 v[151:154], v134 offset:656
	ds_load_b128 v[155:158], v134 offset:672
	s_waitcnt lgkmcnt(1)
	v_fma_f64 v[3:4], v[141:142], v[151:152], v[3:4]
	scratch_load_b128 v[139:142], off, off offset:216
	s_waitcnt vmcnt(4)
	v_fma_f64 v[3:4], v[143:144], v[153:154], v[3:4]
	s_waitcnt lgkmcnt(0)
	s_delay_alu instid0(VALU_DEP_1)
	v_fma_f64 v[3:4], v[145:146], v[155:156], v[3:4]
	scratch_load_b128 v[143:146], off, off offset:232
	s_waitcnt vmcnt(4)
	v_fma_f64 v[3:4], v[147:148], v[157:158], v[3:4]
	ds_load_b128 v[151:154], v134 offset:688
	ds_load_b128 v[155:158], v134 offset:704
	s_waitcnt lgkmcnt(1)
	v_fma_f64 v[3:4], v[149:150], v[151:152], v[3:4]
	scratch_load_b128 v[147:150], off, off offset:248
	s_waitcnt vmcnt(4)
	v_fma_f64 v[3:4], v[159:160], v[153:154], v[3:4]
	scratch_load_b128 v[151:154], off, off offset:264
	s_waitcnt lgkmcnt(0)
	v_fma_f64 v[3:4], v[161:162], v[155:156], v[3:4]
	s_waitcnt vmcnt(4)
	s_delay_alu instid0(VALU_DEP_1)
	v_fma_f64 v[3:4], v[135:136], v[157:158], v[3:4]
	ds_load_b128 v[155:158], v134 offset:720
	ds_load_b128 v[159:162], v134 offset:736
	s_waitcnt lgkmcnt(1)
	v_fma_f64 v[3:4], v[137:138], v[155:156], v[3:4]
	scratch_load_b128 v[135:138], off, off offset:280
	s_waitcnt vmcnt(4)
	v_fma_f64 v[3:4], v[139:140], v[157:158], v[3:4]
	s_waitcnt lgkmcnt(0)
	s_delay_alu instid0(VALU_DEP_1)
	v_fma_f64 v[3:4], v[141:142], v[159:160], v[3:4]
	scratch_load_b128 v[139:142], off, off offset:296
	s_waitcnt vmcnt(4)
	v_fma_f64 v[3:4], v[143:144], v[161:162], v[3:4]
	ds_load_b128 v[155:158], v134 offset:752
	ds_load_b128 v[159:162], v134 offset:768
	s_waitcnt lgkmcnt(1)
	v_fma_f64 v[3:4], v[145:146], v[155:156], v[3:4]
	scratch_load_b128 v[143:146], off, off offset:312
	s_waitcnt vmcnt(4)
	v_fma_f64 v[3:4], v[147:148], v[157:158], v[3:4]
	s_waitcnt lgkmcnt(0)
	s_delay_alu instid0(VALU_DEP_1)
	v_fma_f64 v[3:4], v[149:150], v[159:160], v[3:4]
	scratch_load_b128 v[147:150], off, off offset:328
	s_waitcnt vmcnt(4)
	v_fma_f64 v[3:4], v[151:152], v[161:162], v[3:4]
	ds_load_b128 v[155:158], v134 offset:784
	ds_load_b128 v[159:162], v134 offset:800
	s_waitcnt lgkmcnt(1)
	v_fma_f64 v[3:4], v[153:154], v[155:156], v[3:4]
	scratch_load_b128 v[151:154], off, off offset:344
	s_waitcnt vmcnt(4)
	v_fma_f64 v[3:4], v[135:136], v[157:158], v[3:4]
	s_waitcnt lgkmcnt(0)
	s_delay_alu instid0(VALU_DEP_1)
	v_fma_f64 v[3:4], v[137:138], v[159:160], v[3:4]
	scratch_load_b128 v[135:138], off, off offset:360
	s_waitcnt vmcnt(4)
	v_fma_f64 v[3:4], v[139:140], v[161:162], v[3:4]
	ds_load_b128 v[155:158], v134 offset:816
	ds_load_b128 v[159:162], v134 offset:832
	s_waitcnt lgkmcnt(1)
	v_fma_f64 v[3:4], v[141:142], v[155:156], v[3:4]
	scratch_load_b128 v[139:142], off, off offset:376
	s_waitcnt vmcnt(4)
	v_fma_f64 v[3:4], v[143:144], v[157:158], v[3:4]
	s_waitcnt lgkmcnt(0)
	s_delay_alu instid0(VALU_DEP_1)
	v_fma_f64 v[3:4], v[145:146], v[159:160], v[3:4]
	scratch_load_b128 v[143:146], off, off offset:392
	s_waitcnt vmcnt(4)
	v_fma_f64 v[3:4], v[147:148], v[161:162], v[3:4]
	ds_load_b128 v[155:158], v134 offset:848
	ds_load_b128 v[159:162], v134 offset:864
	s_waitcnt lgkmcnt(1)
	v_fma_f64 v[3:4], v[149:150], v[155:156], v[3:4]
	scratch_load_b128 v[147:150], off, off offset:408
	s_waitcnt vmcnt(4)
	v_fma_f64 v[3:4], v[151:152], v[157:158], v[3:4]
	s_waitcnt lgkmcnt(0)
	s_delay_alu instid0(VALU_DEP_1)
	v_fma_f64 v[3:4], v[153:154], v[159:160], v[3:4]
	scratch_load_b128 v[151:154], off, off offset:424
	s_waitcnt vmcnt(4)
	v_fma_f64 v[3:4], v[135:136], v[161:162], v[3:4]
	ds_load_b128 v[155:158], v134 offset:880
	ds_load_b128 v[159:162], v134 offset:896
	s_waitcnt lgkmcnt(1)
	v_fma_f64 v[3:4], v[137:138], v[155:156], v[3:4]
	scratch_load_b128 v[135:138], off, off offset:440
	s_waitcnt vmcnt(4)
	v_fma_f64 v[3:4], v[139:140], v[157:158], v[3:4]
	s_waitcnt lgkmcnt(0)
	s_delay_alu instid0(VALU_DEP_1)
	v_fma_f64 v[3:4], v[141:142], v[159:160], v[3:4]
	scratch_load_b128 v[139:142], off, off offset:456
	s_waitcnt vmcnt(4)
	v_fma_f64 v[3:4], v[143:144], v[161:162], v[3:4]
	ds_load_b128 v[155:158], v134 offset:912
	ds_load_b128 v[159:162], v134 offset:928
	s_waitcnt lgkmcnt(1)
	v_fma_f64 v[3:4], v[145:146], v[155:156], v[3:4]
	scratch_load_b128 v[143:146], off, off offset:472
	s_waitcnt vmcnt(4)
	v_fma_f64 v[3:4], v[147:148], v[157:158], v[3:4]
	s_waitcnt lgkmcnt(0)
	s_delay_alu instid0(VALU_DEP_1)
	v_fma_f64 v[3:4], v[149:150], v[159:160], v[3:4]
	scratch_load_b128 v[147:150], off, off offset:488
	s_waitcnt vmcnt(4)
	v_fma_f64 v[3:4], v[151:152], v[161:162], v[3:4]
	ds_load_b128 v[155:158], v134 offset:944
	ds_load_b128 v[159:162], v134 offset:960
	s_waitcnt lgkmcnt(1)
	v_fma_f64 v[3:4], v[153:154], v[155:156], v[3:4]
	scratch_load_b64 v[155:156], off, off offset:504
	s_waitcnt vmcnt(4)
	v_fma_f64 v[3:4], v[135:136], v[157:158], v[3:4]
	s_waitcnt lgkmcnt(0)
	s_delay_alu instid0(VALU_DEP_1)
	v_fma_f64 v[3:4], v[137:138], v[159:160], v[3:4]
	ds_load_b128 v[135:138], v134 offset:976
	ds_load_b128 v[151:154], v134 offset:992
	s_waitcnt vmcnt(3)
	v_fma_f64 v[3:4], v[139:140], v[161:162], v[3:4]
	s_waitcnt lgkmcnt(1)
	s_delay_alu instid0(VALU_DEP_1) | instskip(SKIP_1) | instid1(VALU_DEP_1)
	v_fma_f64 v[3:4], v[141:142], v[135:136], v[3:4]
	s_waitcnt vmcnt(2)
	v_fma_f64 v[3:4], v[143:144], v[137:138], v[3:4]
	ds_load_b128 v[134:137], v134 offset:1008
	s_waitcnt lgkmcnt(1)
	v_fma_f64 v[3:4], v[145:146], v[151:152], v[3:4]
	s_waitcnt vmcnt(1)
	s_delay_alu instid0(VALU_DEP_1) | instskip(SKIP_1) | instid1(VALU_DEP_1)
	v_fma_f64 v[3:4], v[147:148], v[153:154], v[3:4]
	s_waitcnt lgkmcnt(0)
	v_fma_f64 v[3:4], v[149:150], v[134:135], v[3:4]
	s_waitcnt vmcnt(0)
	s_delay_alu instid0(VALU_DEP_1) | instskip(NEXT) | instid1(VALU_DEP_1)
	v_fma_f64 v[3:4], v[155:156], v[136:137], v[3:4]
	v_add_f64 v[1:2], v[1:2], -v[3:4]
	scratch_store_b64 off, v[1:2], off offset:104
	v_cmpx_lt_u32_e32 12, v0
	s_cbranch_execz .LBB63_369
; %bb.368:
	scratch_load_b64 v[1:2], off, off offset:96
	v_mov_b32_e32 v3, 0
	s_delay_alu instid0(VALU_DEP_1)
	v_mov_b32_e32 v4, v3
	scratch_store_b64 off, v[3:4], off offset:96
	s_waitcnt vmcnt(0)
	ds_store_b64 v5, v[1:2]
.LBB63_369:
	s_or_b32 exec_lo, exec_lo, s0
	s_waitcnt lgkmcnt(0)
	s_waitcnt_vscnt null, 0x0
	s_barrier
	buffer_gl0_inv
	s_clause 0x4
	scratch_load_b128 v[1:4], off, off offset:96
	scratch_load_b128 v[135:138], off, off offset:112
	;; [unrolled: 1-line block ×5, first 2 shown]
	v_mov_b32_e32 v134, 0
	ds_load_2addr_b64 v[151:154], v134 offset0:77 offset1:78
	ds_load_2addr_b64 v[155:158], v134 offset0:79 offset1:80
	scratch_load_b128 v[159:162], off, off offset:176
	s_mov_b32 s0, exec_lo
	s_waitcnt vmcnt(5) lgkmcnt(1)
	v_fma_f64 v[3:4], v[3:4], v[151:152], 0
	s_waitcnt vmcnt(4)
	s_delay_alu instid0(VALU_DEP_1) | instskip(SKIP_1) | instid1(VALU_DEP_1)
	v_fma_f64 v[3:4], v[135:136], v[153:154], v[3:4]
	s_waitcnt lgkmcnt(0)
	v_fma_f64 v[3:4], v[137:138], v[155:156], v[3:4]
	scratch_load_b128 v[135:138], off, off offset:192
	s_waitcnt vmcnt(4)
	v_fma_f64 v[3:4], v[139:140], v[157:158], v[3:4]
	ds_load_2addr_b64 v[151:154], v134 offset0:81 offset1:82
	ds_load_2addr_b64 v[155:158], v134 offset0:83 offset1:84
	s_waitcnt lgkmcnt(1)
	v_fma_f64 v[3:4], v[141:142], v[151:152], v[3:4]
	scratch_load_b128 v[139:142], off, off offset:208
	s_waitcnt vmcnt(4)
	v_fma_f64 v[3:4], v[143:144], v[153:154], v[3:4]
	s_waitcnt lgkmcnt(0)
	s_delay_alu instid0(VALU_DEP_1)
	v_fma_f64 v[3:4], v[145:146], v[155:156], v[3:4]
	scratch_load_b128 v[143:146], off, off offset:224
	s_waitcnt vmcnt(4)
	v_fma_f64 v[3:4], v[147:148], v[157:158], v[3:4]
	ds_load_2addr_b64 v[151:154], v134 offset0:85 offset1:86
	ds_load_2addr_b64 v[155:158], v134 offset0:87 offset1:88
	s_waitcnt lgkmcnt(1)
	v_fma_f64 v[3:4], v[149:150], v[151:152], v[3:4]
	scratch_load_b128 v[147:150], off, off offset:240
	s_waitcnt vmcnt(4)
	v_fma_f64 v[3:4], v[159:160], v[153:154], v[3:4]
	scratch_load_b128 v[151:154], off, off offset:256
	s_waitcnt lgkmcnt(0)
	v_fma_f64 v[3:4], v[161:162], v[155:156], v[3:4]
	s_waitcnt vmcnt(4)
	s_delay_alu instid0(VALU_DEP_1)
	v_fma_f64 v[3:4], v[135:136], v[157:158], v[3:4]
	ds_load_2addr_b64 v[155:158], v134 offset0:89 offset1:90
	ds_load_2addr_b64 v[159:162], v134 offset0:91 offset1:92
	s_waitcnt lgkmcnt(1)
	v_fma_f64 v[3:4], v[137:138], v[155:156], v[3:4]
	scratch_load_b128 v[135:138], off, off offset:272
	s_waitcnt vmcnt(4)
	v_fma_f64 v[3:4], v[139:140], v[157:158], v[3:4]
	s_waitcnt lgkmcnt(0)
	s_delay_alu instid0(VALU_DEP_1)
	v_fma_f64 v[3:4], v[141:142], v[159:160], v[3:4]
	scratch_load_b128 v[139:142], off, off offset:288
	s_waitcnt vmcnt(4)
	v_fma_f64 v[3:4], v[143:144], v[161:162], v[3:4]
	ds_load_2addr_b64 v[155:158], v134 offset0:93 offset1:94
	ds_load_2addr_b64 v[159:162], v134 offset0:95 offset1:96
	s_waitcnt lgkmcnt(1)
	v_fma_f64 v[3:4], v[145:146], v[155:156], v[3:4]
	scratch_load_b128 v[143:146], off, off offset:304
	s_waitcnt vmcnt(4)
	v_fma_f64 v[3:4], v[147:148], v[157:158], v[3:4]
	s_waitcnt lgkmcnt(0)
	s_delay_alu instid0(VALU_DEP_1)
	v_fma_f64 v[3:4], v[149:150], v[159:160], v[3:4]
	scratch_load_b128 v[147:150], off, off offset:320
	s_waitcnt vmcnt(4)
	;; [unrolled: 13-line block ×7, first 2 shown]
	v_fma_f64 v[3:4], v[151:152], v[161:162], v[3:4]
	ds_load_2addr_b64 v[155:158], v134 offset0:117 offset1:118
	ds_load_2addr_b64 v[159:162], v134 offset0:119 offset1:120
	s_waitcnt lgkmcnt(1)
	v_fma_f64 v[3:4], v[153:154], v[155:156], v[3:4]
	scratch_load_b128 v[151:154], off, off offset:496
	s_waitcnt vmcnt(4)
	v_fma_f64 v[3:4], v[135:136], v[157:158], v[3:4]
	s_waitcnt lgkmcnt(0)
	s_delay_alu instid0(VALU_DEP_1)
	v_fma_f64 v[3:4], v[137:138], v[159:160], v[3:4]
	ds_load_2addr_b64 v[135:138], v134 offset0:121 offset1:122
	ds_load_2addr_b64 v[155:158], v134 offset0:123 offset1:124
	s_waitcnt vmcnt(3)
	v_fma_f64 v[3:4], v[139:140], v[161:162], v[3:4]
	s_waitcnt lgkmcnt(1)
	s_delay_alu instid0(VALU_DEP_1) | instskip(SKIP_1) | instid1(VALU_DEP_1)
	v_fma_f64 v[3:4], v[141:142], v[135:136], v[3:4]
	s_waitcnt vmcnt(2)
	v_fma_f64 v[3:4], v[143:144], v[137:138], v[3:4]
	ds_load_2addr_b64 v[135:138], v134 offset0:125 offset1:126
	ds_load_b64 v[139:140], v134 offset:1016
	s_waitcnt lgkmcnt(2)
	v_fma_f64 v[3:4], v[145:146], v[155:156], v[3:4]
	s_waitcnt vmcnt(1)
	s_delay_alu instid0(VALU_DEP_1) | instskip(SKIP_1) | instid1(VALU_DEP_1)
	v_fma_f64 v[3:4], v[147:148], v[157:158], v[3:4]
	s_waitcnt lgkmcnt(1)
	v_fma_f64 v[3:4], v[149:150], v[135:136], v[3:4]
	s_waitcnt vmcnt(0)
	s_delay_alu instid0(VALU_DEP_1) | instskip(SKIP_1) | instid1(VALU_DEP_1)
	v_fma_f64 v[3:4], v[151:152], v[137:138], v[3:4]
	s_waitcnt lgkmcnt(0)
	v_fma_f64 v[3:4], v[153:154], v[139:140], v[3:4]
	s_delay_alu instid0(VALU_DEP_1)
	v_add_f64 v[1:2], v[1:2], -v[3:4]
	scratch_store_b64 off, v[1:2], off offset:96
	v_cmpx_lt_u32_e32 11, v0
	s_cbranch_execz .LBB63_371
; %bb.370:
	scratch_load_b64 v[1:2], off, off offset:88
	v_mov_b32_e32 v135, v134
	scratch_store_b64 off, v[134:135], off offset:88
	s_waitcnt vmcnt(0)
	ds_store_b64 v5, v[1:2]
.LBB63_371:
	s_or_b32 exec_lo, exec_lo, s0
	s_waitcnt lgkmcnt(0)
	s_waitcnt_vscnt null, 0x0
	s_barrier
	buffer_gl0_inv
	s_clause 0x4
	scratch_load_b128 v[1:4], off, off offset:88
	scratch_load_b128 v[135:138], off, off offset:104
	;; [unrolled: 1-line block ×5, first 2 shown]
	ds_load_b128 v[151:154], v134 offset:608
	ds_load_b128 v[155:158], v134 offset:624
	scratch_load_b128 v[159:162], off, off offset:168
	s_mov_b32 s0, exec_lo
	s_waitcnt vmcnt(5) lgkmcnt(1)
	v_fma_f64 v[3:4], v[3:4], v[151:152], 0
	s_waitcnt vmcnt(4)
	s_delay_alu instid0(VALU_DEP_1) | instskip(SKIP_1) | instid1(VALU_DEP_1)
	v_fma_f64 v[3:4], v[135:136], v[153:154], v[3:4]
	s_waitcnt lgkmcnt(0)
	v_fma_f64 v[3:4], v[137:138], v[155:156], v[3:4]
	scratch_load_b128 v[135:138], off, off offset:184
	s_waitcnt vmcnt(4)
	v_fma_f64 v[3:4], v[139:140], v[157:158], v[3:4]
	ds_load_b128 v[151:154], v134 offset:640
	ds_load_b128 v[155:158], v134 offset:656
	s_waitcnt lgkmcnt(1)
	v_fma_f64 v[3:4], v[141:142], v[151:152], v[3:4]
	scratch_load_b128 v[139:142], off, off offset:200
	s_waitcnt vmcnt(4)
	v_fma_f64 v[3:4], v[143:144], v[153:154], v[3:4]
	s_waitcnt lgkmcnt(0)
	s_delay_alu instid0(VALU_DEP_1)
	v_fma_f64 v[3:4], v[145:146], v[155:156], v[3:4]
	scratch_load_b128 v[143:146], off, off offset:216
	s_waitcnt vmcnt(4)
	v_fma_f64 v[3:4], v[147:148], v[157:158], v[3:4]
	ds_load_b128 v[151:154], v134 offset:672
	ds_load_b128 v[155:158], v134 offset:688
	s_waitcnt lgkmcnt(1)
	v_fma_f64 v[3:4], v[149:150], v[151:152], v[3:4]
	scratch_load_b128 v[147:150], off, off offset:232
	s_waitcnt vmcnt(4)
	v_fma_f64 v[3:4], v[159:160], v[153:154], v[3:4]
	scratch_load_b128 v[151:154], off, off offset:248
	s_waitcnt lgkmcnt(0)
	v_fma_f64 v[3:4], v[161:162], v[155:156], v[3:4]
	s_waitcnt vmcnt(4)
	s_delay_alu instid0(VALU_DEP_1)
	v_fma_f64 v[3:4], v[135:136], v[157:158], v[3:4]
	ds_load_b128 v[155:158], v134 offset:704
	ds_load_b128 v[159:162], v134 offset:720
	s_waitcnt lgkmcnt(1)
	v_fma_f64 v[3:4], v[137:138], v[155:156], v[3:4]
	scratch_load_b128 v[135:138], off, off offset:264
	s_waitcnt vmcnt(4)
	v_fma_f64 v[3:4], v[139:140], v[157:158], v[3:4]
	s_waitcnt lgkmcnt(0)
	s_delay_alu instid0(VALU_DEP_1)
	v_fma_f64 v[3:4], v[141:142], v[159:160], v[3:4]
	scratch_load_b128 v[139:142], off, off offset:280
	s_waitcnt vmcnt(4)
	v_fma_f64 v[3:4], v[143:144], v[161:162], v[3:4]
	ds_load_b128 v[155:158], v134 offset:736
	ds_load_b128 v[159:162], v134 offset:752
	s_waitcnt lgkmcnt(1)
	v_fma_f64 v[3:4], v[145:146], v[155:156], v[3:4]
	scratch_load_b128 v[143:146], off, off offset:296
	s_waitcnt vmcnt(4)
	v_fma_f64 v[3:4], v[147:148], v[157:158], v[3:4]
	s_waitcnt lgkmcnt(0)
	s_delay_alu instid0(VALU_DEP_1)
	v_fma_f64 v[3:4], v[149:150], v[159:160], v[3:4]
	scratch_load_b128 v[147:150], off, off offset:312
	s_waitcnt vmcnt(4)
	;; [unrolled: 13-line block ×7, first 2 shown]
	v_fma_f64 v[3:4], v[151:152], v[161:162], v[3:4]
	ds_load_b128 v[155:158], v134 offset:928
	ds_load_b128 v[159:162], v134 offset:944
	s_waitcnt lgkmcnt(1)
	v_fma_f64 v[3:4], v[153:154], v[155:156], v[3:4]
	scratch_load_b128 v[151:154], off, off offset:488
	s_waitcnt vmcnt(4)
	v_fma_f64 v[3:4], v[135:136], v[157:158], v[3:4]
	s_waitcnt lgkmcnt(0)
	s_delay_alu instid0(VALU_DEP_1)
	v_fma_f64 v[3:4], v[137:138], v[159:160], v[3:4]
	scratch_load_b64 v[159:160], off, off offset:504
	ds_load_b128 v[135:138], v134 offset:960
	ds_load_b128 v[155:158], v134 offset:976
	s_waitcnt vmcnt(4)
	v_fma_f64 v[3:4], v[139:140], v[161:162], v[3:4]
	s_waitcnt lgkmcnt(1)
	s_delay_alu instid0(VALU_DEP_1) | instskip(SKIP_1) | instid1(VALU_DEP_1)
	v_fma_f64 v[3:4], v[141:142], v[135:136], v[3:4]
	s_waitcnt vmcnt(3)
	v_fma_f64 v[3:4], v[143:144], v[137:138], v[3:4]
	ds_load_b128 v[135:138], v134 offset:992
	ds_load_b128 v[139:142], v134 offset:1008
	s_waitcnt lgkmcnt(2)
	v_fma_f64 v[3:4], v[145:146], v[155:156], v[3:4]
	s_waitcnt vmcnt(2)
	s_delay_alu instid0(VALU_DEP_1) | instskip(SKIP_1) | instid1(VALU_DEP_1)
	v_fma_f64 v[3:4], v[147:148], v[157:158], v[3:4]
	s_waitcnt lgkmcnt(1)
	v_fma_f64 v[3:4], v[149:150], v[135:136], v[3:4]
	s_waitcnt vmcnt(1)
	s_delay_alu instid0(VALU_DEP_1) | instskip(SKIP_1) | instid1(VALU_DEP_1)
	v_fma_f64 v[3:4], v[151:152], v[137:138], v[3:4]
	s_waitcnt lgkmcnt(0)
	v_fma_f64 v[3:4], v[153:154], v[139:140], v[3:4]
	s_waitcnt vmcnt(0)
	s_delay_alu instid0(VALU_DEP_1) | instskip(NEXT) | instid1(VALU_DEP_1)
	v_fma_f64 v[3:4], v[159:160], v[141:142], v[3:4]
	v_add_f64 v[1:2], v[1:2], -v[3:4]
	scratch_store_b64 off, v[1:2], off offset:88
	v_cmpx_lt_u32_e32 10, v0
	s_cbranch_execz .LBB63_373
; %bb.372:
	scratch_load_b64 v[1:2], off, off offset:80
	v_mov_b32_e32 v3, 0
	s_delay_alu instid0(VALU_DEP_1)
	v_mov_b32_e32 v4, v3
	scratch_store_b64 off, v[3:4], off offset:80
	s_waitcnt vmcnt(0)
	ds_store_b64 v5, v[1:2]
.LBB63_373:
	s_or_b32 exec_lo, exec_lo, s0
	s_waitcnt lgkmcnt(0)
	s_waitcnt_vscnt null, 0x0
	s_barrier
	buffer_gl0_inv
	s_clause 0x4
	scratch_load_b128 v[1:4], off, off offset:80
	scratch_load_b128 v[135:138], off, off offset:96
	;; [unrolled: 1-line block ×5, first 2 shown]
	v_mov_b32_e32 v134, 0
	ds_load_2addr_b64 v[151:154], v134 offset0:75 offset1:76
	ds_load_2addr_b64 v[155:158], v134 offset0:77 offset1:78
	scratch_load_b128 v[159:162], off, off offset:160
	s_mov_b32 s0, exec_lo
	s_waitcnt vmcnt(5) lgkmcnt(1)
	v_fma_f64 v[3:4], v[3:4], v[151:152], 0
	s_waitcnt vmcnt(4)
	s_delay_alu instid0(VALU_DEP_1) | instskip(SKIP_1) | instid1(VALU_DEP_1)
	v_fma_f64 v[3:4], v[135:136], v[153:154], v[3:4]
	s_waitcnt lgkmcnt(0)
	v_fma_f64 v[3:4], v[137:138], v[155:156], v[3:4]
	scratch_load_b128 v[135:138], off, off offset:176
	s_waitcnt vmcnt(4)
	v_fma_f64 v[3:4], v[139:140], v[157:158], v[3:4]
	ds_load_2addr_b64 v[151:154], v134 offset0:79 offset1:80
	ds_load_2addr_b64 v[155:158], v134 offset0:81 offset1:82
	s_waitcnt lgkmcnt(1)
	v_fma_f64 v[3:4], v[141:142], v[151:152], v[3:4]
	scratch_load_b128 v[139:142], off, off offset:192
	s_waitcnt vmcnt(4)
	v_fma_f64 v[3:4], v[143:144], v[153:154], v[3:4]
	s_waitcnt lgkmcnt(0)
	s_delay_alu instid0(VALU_DEP_1)
	v_fma_f64 v[3:4], v[145:146], v[155:156], v[3:4]
	scratch_load_b128 v[143:146], off, off offset:208
	s_waitcnt vmcnt(4)
	v_fma_f64 v[3:4], v[147:148], v[157:158], v[3:4]
	ds_load_2addr_b64 v[151:154], v134 offset0:83 offset1:84
	ds_load_2addr_b64 v[155:158], v134 offset0:85 offset1:86
	s_waitcnt lgkmcnt(1)
	v_fma_f64 v[3:4], v[149:150], v[151:152], v[3:4]
	scratch_load_b128 v[147:150], off, off offset:224
	s_waitcnt vmcnt(4)
	v_fma_f64 v[3:4], v[159:160], v[153:154], v[3:4]
	scratch_load_b128 v[151:154], off, off offset:240
	s_waitcnt lgkmcnt(0)
	v_fma_f64 v[3:4], v[161:162], v[155:156], v[3:4]
	s_waitcnt vmcnt(4)
	s_delay_alu instid0(VALU_DEP_1)
	v_fma_f64 v[3:4], v[135:136], v[157:158], v[3:4]
	ds_load_2addr_b64 v[155:158], v134 offset0:87 offset1:88
	ds_load_2addr_b64 v[159:162], v134 offset0:89 offset1:90
	s_waitcnt lgkmcnt(1)
	v_fma_f64 v[3:4], v[137:138], v[155:156], v[3:4]
	scratch_load_b128 v[135:138], off, off offset:256
	s_waitcnt vmcnt(4)
	v_fma_f64 v[3:4], v[139:140], v[157:158], v[3:4]
	s_waitcnt lgkmcnt(0)
	s_delay_alu instid0(VALU_DEP_1)
	v_fma_f64 v[3:4], v[141:142], v[159:160], v[3:4]
	scratch_load_b128 v[139:142], off, off offset:272
	s_waitcnt vmcnt(4)
	v_fma_f64 v[3:4], v[143:144], v[161:162], v[3:4]
	ds_load_2addr_b64 v[155:158], v134 offset0:91 offset1:92
	ds_load_2addr_b64 v[159:162], v134 offset0:93 offset1:94
	s_waitcnt lgkmcnt(1)
	v_fma_f64 v[3:4], v[145:146], v[155:156], v[3:4]
	scratch_load_b128 v[143:146], off, off offset:288
	s_waitcnt vmcnt(4)
	v_fma_f64 v[3:4], v[147:148], v[157:158], v[3:4]
	s_waitcnt lgkmcnt(0)
	s_delay_alu instid0(VALU_DEP_1)
	v_fma_f64 v[3:4], v[149:150], v[159:160], v[3:4]
	scratch_load_b128 v[147:150], off, off offset:304
	s_waitcnt vmcnt(4)
	v_fma_f64 v[3:4], v[151:152], v[161:162], v[3:4]
	ds_load_2addr_b64 v[155:158], v134 offset0:95 offset1:96
	ds_load_2addr_b64 v[159:162], v134 offset0:97 offset1:98
	s_waitcnt lgkmcnt(1)
	v_fma_f64 v[3:4], v[153:154], v[155:156], v[3:4]
	scratch_load_b128 v[151:154], off, off offset:320
	s_waitcnt vmcnt(4)
	v_fma_f64 v[3:4], v[135:136], v[157:158], v[3:4]
	s_waitcnt lgkmcnt(0)
	s_delay_alu instid0(VALU_DEP_1)
	v_fma_f64 v[3:4], v[137:138], v[159:160], v[3:4]
	scratch_load_b128 v[135:138], off, off offset:336
	s_waitcnt vmcnt(4)
	v_fma_f64 v[3:4], v[139:140], v[161:162], v[3:4]
	ds_load_2addr_b64 v[155:158], v134 offset0:99 offset1:100
	ds_load_2addr_b64 v[159:162], v134 offset0:101 offset1:102
	s_waitcnt lgkmcnt(1)
	v_fma_f64 v[3:4], v[141:142], v[155:156], v[3:4]
	scratch_load_b128 v[139:142], off, off offset:352
	s_waitcnt vmcnt(4)
	v_fma_f64 v[3:4], v[143:144], v[157:158], v[3:4]
	s_waitcnt lgkmcnt(0)
	s_delay_alu instid0(VALU_DEP_1)
	v_fma_f64 v[3:4], v[145:146], v[159:160], v[3:4]
	scratch_load_b128 v[143:146], off, off offset:368
	s_waitcnt vmcnt(4)
	v_fma_f64 v[3:4], v[147:148], v[161:162], v[3:4]
	ds_load_2addr_b64 v[155:158], v134 offset0:103 offset1:104
	ds_load_2addr_b64 v[159:162], v134 offset0:105 offset1:106
	s_waitcnt lgkmcnt(1)
	v_fma_f64 v[3:4], v[149:150], v[155:156], v[3:4]
	scratch_load_b128 v[147:150], off, off offset:384
	s_waitcnt vmcnt(4)
	v_fma_f64 v[3:4], v[151:152], v[157:158], v[3:4]
	s_waitcnt lgkmcnt(0)
	s_delay_alu instid0(VALU_DEP_1)
	v_fma_f64 v[3:4], v[153:154], v[159:160], v[3:4]
	scratch_load_b128 v[151:154], off, off offset:400
	s_waitcnt vmcnt(4)
	v_fma_f64 v[3:4], v[135:136], v[161:162], v[3:4]
	ds_load_2addr_b64 v[155:158], v134 offset0:107 offset1:108
	ds_load_2addr_b64 v[159:162], v134 offset0:109 offset1:110
	s_waitcnt lgkmcnt(1)
	v_fma_f64 v[3:4], v[137:138], v[155:156], v[3:4]
	scratch_load_b128 v[135:138], off, off offset:416
	s_waitcnt vmcnt(4)
	v_fma_f64 v[3:4], v[139:140], v[157:158], v[3:4]
	s_waitcnt lgkmcnt(0)
	s_delay_alu instid0(VALU_DEP_1)
	v_fma_f64 v[3:4], v[141:142], v[159:160], v[3:4]
	scratch_load_b128 v[139:142], off, off offset:432
	s_waitcnt vmcnt(4)
	v_fma_f64 v[3:4], v[143:144], v[161:162], v[3:4]
	ds_load_2addr_b64 v[155:158], v134 offset0:111 offset1:112
	ds_load_2addr_b64 v[159:162], v134 offset0:113 offset1:114
	s_waitcnt lgkmcnt(1)
	v_fma_f64 v[3:4], v[145:146], v[155:156], v[3:4]
	scratch_load_b128 v[143:146], off, off offset:448
	s_waitcnt vmcnt(4)
	v_fma_f64 v[3:4], v[147:148], v[157:158], v[3:4]
	s_waitcnt lgkmcnt(0)
	s_delay_alu instid0(VALU_DEP_1)
	v_fma_f64 v[3:4], v[149:150], v[159:160], v[3:4]
	scratch_load_b128 v[147:150], off, off offset:464
	s_waitcnt vmcnt(4)
	v_fma_f64 v[3:4], v[151:152], v[161:162], v[3:4]
	ds_load_2addr_b64 v[155:158], v134 offset0:115 offset1:116
	ds_load_2addr_b64 v[159:162], v134 offset0:117 offset1:118
	s_waitcnt lgkmcnt(1)
	v_fma_f64 v[3:4], v[153:154], v[155:156], v[3:4]
	scratch_load_b128 v[151:154], off, off offset:480
	s_waitcnt vmcnt(4)
	v_fma_f64 v[3:4], v[135:136], v[157:158], v[3:4]
	s_waitcnt lgkmcnt(0)
	s_delay_alu instid0(VALU_DEP_1)
	v_fma_f64 v[3:4], v[137:138], v[159:160], v[3:4]
	scratch_load_b128 v[135:138], off, off offset:496
	s_waitcnt vmcnt(4)
	v_fma_f64 v[3:4], v[139:140], v[161:162], v[3:4]
	ds_load_2addr_b64 v[155:158], v134 offset0:119 offset1:120
	ds_load_2addr_b64 v[159:162], v134 offset0:121 offset1:122
	s_waitcnt lgkmcnt(1)
	v_fma_f64 v[3:4], v[141:142], v[155:156], v[3:4]
	s_waitcnt vmcnt(3)
	s_delay_alu instid0(VALU_DEP_1) | instskip(SKIP_1) | instid1(VALU_DEP_1)
	v_fma_f64 v[3:4], v[143:144], v[157:158], v[3:4]
	s_waitcnt lgkmcnt(0)
	v_fma_f64 v[3:4], v[145:146], v[159:160], v[3:4]
	ds_load_2addr_b64 v[139:142], v134 offset0:123 offset1:124
	ds_load_2addr_b64 v[143:146], v134 offset0:125 offset1:126
	s_waitcnt vmcnt(2)
	v_fma_f64 v[3:4], v[147:148], v[161:162], v[3:4]
	s_waitcnt lgkmcnt(1)
	s_delay_alu instid0(VALU_DEP_1) | instskip(SKIP_1) | instid1(VALU_DEP_1)
	v_fma_f64 v[3:4], v[149:150], v[139:140], v[3:4]
	s_waitcnt vmcnt(1)
	v_fma_f64 v[3:4], v[151:152], v[141:142], v[3:4]
	s_waitcnt lgkmcnt(0)
	s_delay_alu instid0(VALU_DEP_1) | instskip(SKIP_1) | instid1(VALU_DEP_1)
	v_fma_f64 v[3:4], v[153:154], v[143:144], v[3:4]
	s_waitcnt vmcnt(0)
	v_fma_f64 v[3:4], v[135:136], v[145:146], v[3:4]
	ds_load_b64 v[135:136], v134 offset:1016
	s_waitcnt lgkmcnt(0)
	v_fma_f64 v[3:4], v[137:138], v[135:136], v[3:4]
	s_delay_alu instid0(VALU_DEP_1)
	v_add_f64 v[1:2], v[1:2], -v[3:4]
	scratch_store_b64 off, v[1:2], off offset:80
	v_cmpx_lt_u32_e32 9, v0
	s_cbranch_execz .LBB63_375
; %bb.374:
	scratch_load_b64 v[1:2], off, off offset:72
	v_mov_b32_e32 v135, v134
	scratch_store_b64 off, v[134:135], off offset:72
	s_waitcnt vmcnt(0)
	ds_store_b64 v5, v[1:2]
.LBB63_375:
	s_or_b32 exec_lo, exec_lo, s0
	s_waitcnt lgkmcnt(0)
	s_waitcnt_vscnt null, 0x0
	s_barrier
	buffer_gl0_inv
	s_clause 0x4
	scratch_load_b128 v[1:4], off, off offset:72
	scratch_load_b128 v[135:138], off, off offset:88
	;; [unrolled: 1-line block ×5, first 2 shown]
	ds_load_b128 v[151:154], v134 offset:592
	ds_load_b128 v[155:158], v134 offset:608
	scratch_load_b128 v[159:162], off, off offset:152
	s_mov_b32 s0, exec_lo
	s_waitcnt vmcnt(5) lgkmcnt(1)
	v_fma_f64 v[3:4], v[3:4], v[151:152], 0
	s_waitcnt vmcnt(4)
	s_delay_alu instid0(VALU_DEP_1) | instskip(SKIP_1) | instid1(VALU_DEP_1)
	v_fma_f64 v[3:4], v[135:136], v[153:154], v[3:4]
	s_waitcnt lgkmcnt(0)
	v_fma_f64 v[3:4], v[137:138], v[155:156], v[3:4]
	scratch_load_b128 v[135:138], off, off offset:168
	s_waitcnt vmcnt(4)
	v_fma_f64 v[3:4], v[139:140], v[157:158], v[3:4]
	ds_load_b128 v[151:154], v134 offset:624
	ds_load_b128 v[155:158], v134 offset:640
	s_waitcnt lgkmcnt(1)
	v_fma_f64 v[3:4], v[141:142], v[151:152], v[3:4]
	scratch_load_b128 v[139:142], off, off offset:184
	s_waitcnt vmcnt(4)
	v_fma_f64 v[3:4], v[143:144], v[153:154], v[3:4]
	s_waitcnt lgkmcnt(0)
	s_delay_alu instid0(VALU_DEP_1)
	v_fma_f64 v[3:4], v[145:146], v[155:156], v[3:4]
	scratch_load_b128 v[143:146], off, off offset:200
	s_waitcnt vmcnt(4)
	v_fma_f64 v[3:4], v[147:148], v[157:158], v[3:4]
	ds_load_b128 v[151:154], v134 offset:656
	ds_load_b128 v[155:158], v134 offset:672
	s_waitcnt lgkmcnt(1)
	v_fma_f64 v[3:4], v[149:150], v[151:152], v[3:4]
	scratch_load_b128 v[147:150], off, off offset:216
	s_waitcnt vmcnt(4)
	v_fma_f64 v[3:4], v[159:160], v[153:154], v[3:4]
	scratch_load_b128 v[151:154], off, off offset:232
	s_waitcnt lgkmcnt(0)
	v_fma_f64 v[3:4], v[161:162], v[155:156], v[3:4]
	s_waitcnt vmcnt(4)
	s_delay_alu instid0(VALU_DEP_1)
	v_fma_f64 v[3:4], v[135:136], v[157:158], v[3:4]
	ds_load_b128 v[155:158], v134 offset:688
	ds_load_b128 v[159:162], v134 offset:704
	s_waitcnt lgkmcnt(1)
	v_fma_f64 v[3:4], v[137:138], v[155:156], v[3:4]
	scratch_load_b128 v[135:138], off, off offset:248
	s_waitcnt vmcnt(4)
	v_fma_f64 v[3:4], v[139:140], v[157:158], v[3:4]
	s_waitcnt lgkmcnt(0)
	s_delay_alu instid0(VALU_DEP_1)
	v_fma_f64 v[3:4], v[141:142], v[159:160], v[3:4]
	scratch_load_b128 v[139:142], off, off offset:264
	s_waitcnt vmcnt(4)
	v_fma_f64 v[3:4], v[143:144], v[161:162], v[3:4]
	ds_load_b128 v[155:158], v134 offset:720
	ds_load_b128 v[159:162], v134 offset:736
	s_waitcnt lgkmcnt(1)
	v_fma_f64 v[3:4], v[145:146], v[155:156], v[3:4]
	scratch_load_b128 v[143:146], off, off offset:280
	s_waitcnt vmcnt(4)
	v_fma_f64 v[3:4], v[147:148], v[157:158], v[3:4]
	s_waitcnt lgkmcnt(0)
	s_delay_alu instid0(VALU_DEP_1)
	v_fma_f64 v[3:4], v[149:150], v[159:160], v[3:4]
	scratch_load_b128 v[147:150], off, off offset:296
	s_waitcnt vmcnt(4)
	;; [unrolled: 13-line block ×8, first 2 shown]
	v_fma_f64 v[3:4], v[139:140], v[161:162], v[3:4]
	ds_load_b128 v[155:158], v134 offset:944
	ds_load_b128 v[159:162], v134 offset:960
	s_waitcnt lgkmcnt(1)
	v_fma_f64 v[3:4], v[141:142], v[155:156], v[3:4]
	scratch_load_b64 v[155:156], off, off offset:504
	s_waitcnt vmcnt(4)
	v_fma_f64 v[3:4], v[143:144], v[157:158], v[3:4]
	s_waitcnt lgkmcnt(0)
	s_delay_alu instid0(VALU_DEP_1)
	v_fma_f64 v[3:4], v[145:146], v[159:160], v[3:4]
	ds_load_b128 v[139:142], v134 offset:976
	ds_load_b128 v[143:146], v134 offset:992
	s_waitcnt vmcnt(3)
	v_fma_f64 v[3:4], v[147:148], v[161:162], v[3:4]
	s_waitcnt lgkmcnt(1)
	s_delay_alu instid0(VALU_DEP_1) | instskip(SKIP_1) | instid1(VALU_DEP_1)
	v_fma_f64 v[3:4], v[149:150], v[139:140], v[3:4]
	s_waitcnt vmcnt(2)
	v_fma_f64 v[3:4], v[151:152], v[141:142], v[3:4]
	ds_load_b128 v[139:142], v134 offset:1008
	s_waitcnt lgkmcnt(1)
	v_fma_f64 v[3:4], v[153:154], v[143:144], v[3:4]
	s_waitcnt vmcnt(1)
	s_delay_alu instid0(VALU_DEP_1) | instskip(SKIP_1) | instid1(VALU_DEP_1)
	v_fma_f64 v[3:4], v[135:136], v[145:146], v[3:4]
	s_waitcnt lgkmcnt(0)
	v_fma_f64 v[3:4], v[137:138], v[139:140], v[3:4]
	s_waitcnt vmcnt(0)
	s_delay_alu instid0(VALU_DEP_1) | instskip(NEXT) | instid1(VALU_DEP_1)
	v_fma_f64 v[3:4], v[155:156], v[141:142], v[3:4]
	v_add_f64 v[1:2], v[1:2], -v[3:4]
	scratch_store_b64 off, v[1:2], off offset:72
	v_cmpx_lt_u32_e32 8, v0
	s_cbranch_execz .LBB63_377
; %bb.376:
	scratch_load_b64 v[1:2], off, off offset:64
	v_mov_b32_e32 v3, 0
	s_delay_alu instid0(VALU_DEP_1)
	v_mov_b32_e32 v4, v3
	scratch_store_b64 off, v[3:4], off offset:64
	s_waitcnt vmcnt(0)
	ds_store_b64 v5, v[1:2]
.LBB63_377:
	s_or_b32 exec_lo, exec_lo, s0
	s_waitcnt lgkmcnt(0)
	s_waitcnt_vscnt null, 0x0
	s_barrier
	buffer_gl0_inv
	s_clause 0x4
	scratch_load_b128 v[1:4], off, off offset:64
	scratch_load_b128 v[135:138], off, off offset:80
	;; [unrolled: 1-line block ×5, first 2 shown]
	v_mov_b32_e32 v134, 0
	ds_load_2addr_b64 v[151:154], v134 offset0:73 offset1:74
	ds_load_2addr_b64 v[155:158], v134 offset0:75 offset1:76
	scratch_load_b128 v[159:162], off, off offset:144
	s_mov_b32 s0, exec_lo
	s_waitcnt vmcnt(5) lgkmcnt(1)
	v_fma_f64 v[3:4], v[3:4], v[151:152], 0
	s_waitcnt vmcnt(4)
	s_delay_alu instid0(VALU_DEP_1) | instskip(SKIP_1) | instid1(VALU_DEP_1)
	v_fma_f64 v[3:4], v[135:136], v[153:154], v[3:4]
	s_waitcnt lgkmcnt(0)
	v_fma_f64 v[3:4], v[137:138], v[155:156], v[3:4]
	scratch_load_b128 v[135:138], off, off offset:160
	s_waitcnt vmcnt(4)
	v_fma_f64 v[3:4], v[139:140], v[157:158], v[3:4]
	ds_load_2addr_b64 v[151:154], v134 offset0:77 offset1:78
	ds_load_2addr_b64 v[155:158], v134 offset0:79 offset1:80
	s_waitcnt lgkmcnt(1)
	v_fma_f64 v[3:4], v[141:142], v[151:152], v[3:4]
	scratch_load_b128 v[139:142], off, off offset:176
	s_waitcnt vmcnt(4)
	v_fma_f64 v[3:4], v[143:144], v[153:154], v[3:4]
	s_waitcnt lgkmcnt(0)
	s_delay_alu instid0(VALU_DEP_1)
	v_fma_f64 v[3:4], v[145:146], v[155:156], v[3:4]
	scratch_load_b128 v[143:146], off, off offset:192
	s_waitcnt vmcnt(4)
	v_fma_f64 v[3:4], v[147:148], v[157:158], v[3:4]
	ds_load_2addr_b64 v[151:154], v134 offset0:81 offset1:82
	ds_load_2addr_b64 v[155:158], v134 offset0:83 offset1:84
	s_waitcnt lgkmcnt(1)
	v_fma_f64 v[3:4], v[149:150], v[151:152], v[3:4]
	scratch_load_b128 v[147:150], off, off offset:208
	s_waitcnt vmcnt(4)
	v_fma_f64 v[3:4], v[159:160], v[153:154], v[3:4]
	scratch_load_b128 v[151:154], off, off offset:224
	s_waitcnt lgkmcnt(0)
	v_fma_f64 v[3:4], v[161:162], v[155:156], v[3:4]
	s_waitcnt vmcnt(4)
	s_delay_alu instid0(VALU_DEP_1)
	v_fma_f64 v[3:4], v[135:136], v[157:158], v[3:4]
	ds_load_2addr_b64 v[155:158], v134 offset0:85 offset1:86
	ds_load_2addr_b64 v[159:162], v134 offset0:87 offset1:88
	s_waitcnt lgkmcnt(1)
	v_fma_f64 v[3:4], v[137:138], v[155:156], v[3:4]
	scratch_load_b128 v[135:138], off, off offset:240
	s_waitcnt vmcnt(4)
	v_fma_f64 v[3:4], v[139:140], v[157:158], v[3:4]
	s_waitcnt lgkmcnt(0)
	s_delay_alu instid0(VALU_DEP_1)
	v_fma_f64 v[3:4], v[141:142], v[159:160], v[3:4]
	scratch_load_b128 v[139:142], off, off offset:256
	s_waitcnt vmcnt(4)
	v_fma_f64 v[3:4], v[143:144], v[161:162], v[3:4]
	ds_load_2addr_b64 v[155:158], v134 offset0:89 offset1:90
	ds_load_2addr_b64 v[159:162], v134 offset0:91 offset1:92
	s_waitcnt lgkmcnt(1)
	v_fma_f64 v[3:4], v[145:146], v[155:156], v[3:4]
	scratch_load_b128 v[143:146], off, off offset:272
	s_waitcnt vmcnt(4)
	v_fma_f64 v[3:4], v[147:148], v[157:158], v[3:4]
	s_waitcnt lgkmcnt(0)
	s_delay_alu instid0(VALU_DEP_1)
	v_fma_f64 v[3:4], v[149:150], v[159:160], v[3:4]
	scratch_load_b128 v[147:150], off, off offset:288
	s_waitcnt vmcnt(4)
	;; [unrolled: 13-line block ×8, first 2 shown]
	v_fma_f64 v[3:4], v[139:140], v[161:162], v[3:4]
	ds_load_2addr_b64 v[155:158], v134 offset0:117 offset1:118
	ds_load_2addr_b64 v[159:162], v134 offset0:119 offset1:120
	s_waitcnt lgkmcnt(1)
	v_fma_f64 v[3:4], v[141:142], v[155:156], v[3:4]
	scratch_load_b128 v[139:142], off, off offset:496
	s_waitcnt vmcnt(4)
	v_fma_f64 v[3:4], v[143:144], v[157:158], v[3:4]
	s_waitcnt lgkmcnt(0)
	s_delay_alu instid0(VALU_DEP_1)
	v_fma_f64 v[3:4], v[145:146], v[159:160], v[3:4]
	ds_load_2addr_b64 v[143:146], v134 offset0:121 offset1:122
	ds_load_2addr_b64 v[155:158], v134 offset0:123 offset1:124
	s_waitcnt vmcnt(3)
	v_fma_f64 v[3:4], v[147:148], v[161:162], v[3:4]
	s_waitcnt lgkmcnt(1)
	s_delay_alu instid0(VALU_DEP_1) | instskip(SKIP_1) | instid1(VALU_DEP_1)
	v_fma_f64 v[3:4], v[149:150], v[143:144], v[3:4]
	s_waitcnt vmcnt(2)
	v_fma_f64 v[3:4], v[151:152], v[145:146], v[3:4]
	s_waitcnt lgkmcnt(0)
	s_delay_alu instid0(VALU_DEP_1) | instskip(SKIP_1) | instid1(VALU_DEP_1)
	v_fma_f64 v[3:4], v[153:154], v[155:156], v[3:4]
	s_waitcnt vmcnt(1)
	v_fma_f64 v[3:4], v[135:136], v[157:158], v[3:4]
	ds_load_2addr_b64 v[143:146], v134 offset0:125 offset1:126
	ds_load_b64 v[135:136], v134 offset:1016
	s_waitcnt lgkmcnt(1)
	v_fma_f64 v[3:4], v[137:138], v[143:144], v[3:4]
	s_waitcnt vmcnt(0)
	s_delay_alu instid0(VALU_DEP_1) | instskip(SKIP_1) | instid1(VALU_DEP_1)
	v_fma_f64 v[3:4], v[139:140], v[145:146], v[3:4]
	s_waitcnt lgkmcnt(0)
	v_fma_f64 v[3:4], v[141:142], v[135:136], v[3:4]
	s_delay_alu instid0(VALU_DEP_1)
	v_add_f64 v[1:2], v[1:2], -v[3:4]
	scratch_store_b64 off, v[1:2], off offset:64
	v_cmpx_lt_u32_e32 7, v0
	s_cbranch_execz .LBB63_379
; %bb.378:
	scratch_load_b64 v[1:2], off, off offset:56
	v_mov_b32_e32 v135, v134
	scratch_store_b64 off, v[134:135], off offset:56
	s_waitcnt vmcnt(0)
	ds_store_b64 v5, v[1:2]
.LBB63_379:
	s_or_b32 exec_lo, exec_lo, s0
	s_waitcnt lgkmcnt(0)
	s_waitcnt_vscnt null, 0x0
	s_barrier
	buffer_gl0_inv
	s_clause 0x4
	scratch_load_b128 v[1:4], off, off offset:56
	scratch_load_b128 v[135:138], off, off offset:72
	;; [unrolled: 1-line block ×5, first 2 shown]
	ds_load_b128 v[151:154], v134 offset:576
	ds_load_b128 v[155:158], v134 offset:592
	scratch_load_b128 v[159:162], off, off offset:136
	s_mov_b32 s0, exec_lo
	s_waitcnt vmcnt(5) lgkmcnt(1)
	v_fma_f64 v[3:4], v[3:4], v[151:152], 0
	s_waitcnt vmcnt(4)
	s_delay_alu instid0(VALU_DEP_1) | instskip(SKIP_1) | instid1(VALU_DEP_1)
	v_fma_f64 v[3:4], v[135:136], v[153:154], v[3:4]
	s_waitcnt lgkmcnt(0)
	v_fma_f64 v[3:4], v[137:138], v[155:156], v[3:4]
	scratch_load_b128 v[135:138], off, off offset:152
	s_waitcnt vmcnt(4)
	v_fma_f64 v[3:4], v[139:140], v[157:158], v[3:4]
	ds_load_b128 v[151:154], v134 offset:608
	ds_load_b128 v[155:158], v134 offset:624
	s_waitcnt lgkmcnt(1)
	v_fma_f64 v[3:4], v[141:142], v[151:152], v[3:4]
	scratch_load_b128 v[139:142], off, off offset:168
	s_waitcnt vmcnt(4)
	v_fma_f64 v[3:4], v[143:144], v[153:154], v[3:4]
	s_waitcnt lgkmcnt(0)
	s_delay_alu instid0(VALU_DEP_1)
	v_fma_f64 v[3:4], v[145:146], v[155:156], v[3:4]
	scratch_load_b128 v[143:146], off, off offset:184
	s_waitcnt vmcnt(4)
	v_fma_f64 v[3:4], v[147:148], v[157:158], v[3:4]
	ds_load_b128 v[151:154], v134 offset:640
	ds_load_b128 v[155:158], v134 offset:656
	s_waitcnt lgkmcnt(1)
	v_fma_f64 v[3:4], v[149:150], v[151:152], v[3:4]
	scratch_load_b128 v[147:150], off, off offset:200
	s_waitcnt vmcnt(4)
	v_fma_f64 v[3:4], v[159:160], v[153:154], v[3:4]
	scratch_load_b128 v[151:154], off, off offset:216
	s_waitcnt lgkmcnt(0)
	v_fma_f64 v[3:4], v[161:162], v[155:156], v[3:4]
	s_waitcnt vmcnt(4)
	s_delay_alu instid0(VALU_DEP_1)
	v_fma_f64 v[3:4], v[135:136], v[157:158], v[3:4]
	ds_load_b128 v[155:158], v134 offset:672
	ds_load_b128 v[159:162], v134 offset:688
	s_waitcnt lgkmcnt(1)
	v_fma_f64 v[3:4], v[137:138], v[155:156], v[3:4]
	scratch_load_b128 v[135:138], off, off offset:232
	s_waitcnt vmcnt(4)
	v_fma_f64 v[3:4], v[139:140], v[157:158], v[3:4]
	s_waitcnt lgkmcnt(0)
	s_delay_alu instid0(VALU_DEP_1)
	v_fma_f64 v[3:4], v[141:142], v[159:160], v[3:4]
	scratch_load_b128 v[139:142], off, off offset:248
	s_waitcnt vmcnt(4)
	v_fma_f64 v[3:4], v[143:144], v[161:162], v[3:4]
	ds_load_b128 v[155:158], v134 offset:704
	ds_load_b128 v[159:162], v134 offset:720
	s_waitcnt lgkmcnt(1)
	v_fma_f64 v[3:4], v[145:146], v[155:156], v[3:4]
	scratch_load_b128 v[143:146], off, off offset:264
	s_waitcnt vmcnt(4)
	v_fma_f64 v[3:4], v[147:148], v[157:158], v[3:4]
	s_waitcnt lgkmcnt(0)
	s_delay_alu instid0(VALU_DEP_1)
	v_fma_f64 v[3:4], v[149:150], v[159:160], v[3:4]
	scratch_load_b128 v[147:150], off, off offset:280
	s_waitcnt vmcnt(4)
	;; [unrolled: 13-line block ×8, first 2 shown]
	v_fma_f64 v[3:4], v[139:140], v[161:162], v[3:4]
	ds_load_b128 v[155:158], v134 offset:928
	ds_load_b128 v[159:162], v134 offset:944
	s_waitcnt lgkmcnt(1)
	v_fma_f64 v[3:4], v[141:142], v[155:156], v[3:4]
	scratch_load_b128 v[139:142], off, off offset:488
	s_waitcnt vmcnt(4)
	v_fma_f64 v[3:4], v[143:144], v[157:158], v[3:4]
	s_waitcnt lgkmcnt(0)
	s_delay_alu instid0(VALU_DEP_1)
	v_fma_f64 v[3:4], v[145:146], v[159:160], v[3:4]
	scratch_load_b64 v[159:160], off, off offset:504
	ds_load_b128 v[143:146], v134 offset:960
	ds_load_b128 v[155:158], v134 offset:976
	s_waitcnt vmcnt(4)
	v_fma_f64 v[3:4], v[147:148], v[161:162], v[3:4]
	s_waitcnt lgkmcnt(1)
	s_delay_alu instid0(VALU_DEP_1) | instskip(SKIP_1) | instid1(VALU_DEP_1)
	v_fma_f64 v[3:4], v[149:150], v[143:144], v[3:4]
	s_waitcnt vmcnt(3)
	v_fma_f64 v[3:4], v[151:152], v[145:146], v[3:4]
	ds_load_b128 v[143:146], v134 offset:992
	ds_load_b128 v[147:150], v134 offset:1008
	s_waitcnt lgkmcnt(2)
	v_fma_f64 v[3:4], v[153:154], v[155:156], v[3:4]
	s_waitcnt vmcnt(2)
	s_delay_alu instid0(VALU_DEP_1) | instskip(SKIP_1) | instid1(VALU_DEP_1)
	v_fma_f64 v[3:4], v[135:136], v[157:158], v[3:4]
	s_waitcnt lgkmcnt(1)
	v_fma_f64 v[3:4], v[137:138], v[143:144], v[3:4]
	s_waitcnt vmcnt(1)
	s_delay_alu instid0(VALU_DEP_1) | instskip(SKIP_1) | instid1(VALU_DEP_1)
	v_fma_f64 v[3:4], v[139:140], v[145:146], v[3:4]
	s_waitcnt lgkmcnt(0)
	v_fma_f64 v[3:4], v[141:142], v[147:148], v[3:4]
	s_waitcnt vmcnt(0)
	s_delay_alu instid0(VALU_DEP_1) | instskip(NEXT) | instid1(VALU_DEP_1)
	v_fma_f64 v[3:4], v[159:160], v[149:150], v[3:4]
	v_add_f64 v[1:2], v[1:2], -v[3:4]
	scratch_store_b64 off, v[1:2], off offset:56
	v_cmpx_lt_u32_e32 6, v0
	s_cbranch_execz .LBB63_381
; %bb.380:
	scratch_load_b64 v[1:2], off, off offset:48
	v_mov_b32_e32 v3, 0
	s_delay_alu instid0(VALU_DEP_1)
	v_mov_b32_e32 v4, v3
	scratch_store_b64 off, v[3:4], off offset:48
	s_waitcnt vmcnt(0)
	ds_store_b64 v5, v[1:2]
.LBB63_381:
	s_or_b32 exec_lo, exec_lo, s0
	s_waitcnt lgkmcnt(0)
	s_waitcnt_vscnt null, 0x0
	s_barrier
	buffer_gl0_inv
	s_clause 0x4
	scratch_load_b128 v[1:4], off, off offset:48
	scratch_load_b128 v[135:138], off, off offset:64
	;; [unrolled: 1-line block ×5, first 2 shown]
	v_mov_b32_e32 v134, 0
	ds_load_2addr_b64 v[151:154], v134 offset0:71 offset1:72
	ds_load_2addr_b64 v[155:158], v134 offset0:73 offset1:74
	scratch_load_b128 v[159:162], off, off offset:128
	s_mov_b32 s0, exec_lo
	s_waitcnt vmcnt(5) lgkmcnt(1)
	v_fma_f64 v[3:4], v[3:4], v[151:152], 0
	s_waitcnt vmcnt(4)
	s_delay_alu instid0(VALU_DEP_1) | instskip(SKIP_1) | instid1(VALU_DEP_1)
	v_fma_f64 v[3:4], v[135:136], v[153:154], v[3:4]
	s_waitcnt lgkmcnt(0)
	v_fma_f64 v[3:4], v[137:138], v[155:156], v[3:4]
	scratch_load_b128 v[135:138], off, off offset:144
	s_waitcnt vmcnt(4)
	v_fma_f64 v[3:4], v[139:140], v[157:158], v[3:4]
	ds_load_2addr_b64 v[151:154], v134 offset0:75 offset1:76
	ds_load_2addr_b64 v[155:158], v134 offset0:77 offset1:78
	s_waitcnt lgkmcnt(1)
	v_fma_f64 v[3:4], v[141:142], v[151:152], v[3:4]
	scratch_load_b128 v[139:142], off, off offset:160
	s_waitcnt vmcnt(4)
	v_fma_f64 v[3:4], v[143:144], v[153:154], v[3:4]
	s_waitcnt lgkmcnt(0)
	s_delay_alu instid0(VALU_DEP_1)
	v_fma_f64 v[3:4], v[145:146], v[155:156], v[3:4]
	scratch_load_b128 v[143:146], off, off offset:176
	s_waitcnt vmcnt(4)
	v_fma_f64 v[3:4], v[147:148], v[157:158], v[3:4]
	ds_load_2addr_b64 v[151:154], v134 offset0:79 offset1:80
	ds_load_2addr_b64 v[155:158], v134 offset0:81 offset1:82
	s_waitcnt lgkmcnt(1)
	v_fma_f64 v[3:4], v[149:150], v[151:152], v[3:4]
	scratch_load_b128 v[147:150], off, off offset:192
	s_waitcnt vmcnt(4)
	v_fma_f64 v[3:4], v[159:160], v[153:154], v[3:4]
	scratch_load_b128 v[151:154], off, off offset:208
	s_waitcnt lgkmcnt(0)
	v_fma_f64 v[3:4], v[161:162], v[155:156], v[3:4]
	s_waitcnt vmcnt(4)
	s_delay_alu instid0(VALU_DEP_1)
	v_fma_f64 v[3:4], v[135:136], v[157:158], v[3:4]
	ds_load_2addr_b64 v[155:158], v134 offset0:83 offset1:84
	ds_load_2addr_b64 v[159:162], v134 offset0:85 offset1:86
	s_waitcnt lgkmcnt(1)
	v_fma_f64 v[3:4], v[137:138], v[155:156], v[3:4]
	scratch_load_b128 v[135:138], off, off offset:224
	s_waitcnt vmcnt(4)
	v_fma_f64 v[3:4], v[139:140], v[157:158], v[3:4]
	s_waitcnt lgkmcnt(0)
	s_delay_alu instid0(VALU_DEP_1)
	v_fma_f64 v[3:4], v[141:142], v[159:160], v[3:4]
	scratch_load_b128 v[139:142], off, off offset:240
	s_waitcnt vmcnt(4)
	v_fma_f64 v[3:4], v[143:144], v[161:162], v[3:4]
	ds_load_2addr_b64 v[155:158], v134 offset0:87 offset1:88
	ds_load_2addr_b64 v[159:162], v134 offset0:89 offset1:90
	s_waitcnt lgkmcnt(1)
	v_fma_f64 v[3:4], v[145:146], v[155:156], v[3:4]
	scratch_load_b128 v[143:146], off, off offset:256
	s_waitcnt vmcnt(4)
	v_fma_f64 v[3:4], v[147:148], v[157:158], v[3:4]
	s_waitcnt lgkmcnt(0)
	s_delay_alu instid0(VALU_DEP_1)
	v_fma_f64 v[3:4], v[149:150], v[159:160], v[3:4]
	scratch_load_b128 v[147:150], off, off offset:272
	s_waitcnt vmcnt(4)
	;; [unrolled: 13-line block ×9, first 2 shown]
	v_fma_f64 v[3:4], v[147:148], v[161:162], v[3:4]
	ds_load_2addr_b64 v[155:158], v134 offset0:119 offset1:120
	ds_load_2addr_b64 v[159:162], v134 offset0:121 offset1:122
	s_waitcnt lgkmcnt(1)
	v_fma_f64 v[3:4], v[149:150], v[155:156], v[3:4]
	s_waitcnt vmcnt(3)
	s_delay_alu instid0(VALU_DEP_1) | instskip(SKIP_1) | instid1(VALU_DEP_1)
	v_fma_f64 v[3:4], v[151:152], v[157:158], v[3:4]
	s_waitcnt lgkmcnt(0)
	v_fma_f64 v[3:4], v[153:154], v[159:160], v[3:4]
	ds_load_2addr_b64 v[147:150], v134 offset0:123 offset1:124
	ds_load_2addr_b64 v[151:154], v134 offset0:125 offset1:126
	s_waitcnt vmcnt(2)
	v_fma_f64 v[3:4], v[135:136], v[161:162], v[3:4]
	ds_load_b64 v[135:136], v134 offset:1016
	s_waitcnt lgkmcnt(2)
	v_fma_f64 v[3:4], v[137:138], v[147:148], v[3:4]
	s_waitcnt vmcnt(1)
	s_delay_alu instid0(VALU_DEP_1) | instskip(SKIP_1) | instid1(VALU_DEP_1)
	v_fma_f64 v[3:4], v[139:140], v[149:150], v[3:4]
	s_waitcnt lgkmcnt(1)
	v_fma_f64 v[3:4], v[141:142], v[151:152], v[3:4]
	s_waitcnt vmcnt(0)
	s_delay_alu instid0(VALU_DEP_1) | instskip(SKIP_1) | instid1(VALU_DEP_1)
	v_fma_f64 v[3:4], v[143:144], v[153:154], v[3:4]
	s_waitcnt lgkmcnt(0)
	v_fma_f64 v[3:4], v[145:146], v[135:136], v[3:4]
	s_delay_alu instid0(VALU_DEP_1)
	v_add_f64 v[1:2], v[1:2], -v[3:4]
	scratch_store_b64 off, v[1:2], off offset:48
	v_cmpx_lt_u32_e32 5, v0
	s_cbranch_execz .LBB63_383
; %bb.382:
	scratch_load_b64 v[1:2], off, off offset:40
	v_mov_b32_e32 v135, v134
	scratch_store_b64 off, v[134:135], off offset:40
	s_waitcnt vmcnt(0)
	ds_store_b64 v5, v[1:2]
.LBB63_383:
	s_or_b32 exec_lo, exec_lo, s0
	s_waitcnt lgkmcnt(0)
	s_waitcnt_vscnt null, 0x0
	s_barrier
	buffer_gl0_inv
	s_clause 0x4
	scratch_load_b128 v[1:4], off, off offset:40
	scratch_load_b128 v[135:138], off, off offset:56
	;; [unrolled: 1-line block ×5, first 2 shown]
	ds_load_b128 v[151:154], v134 offset:560
	ds_load_b128 v[155:158], v134 offset:576
	scratch_load_b128 v[159:162], off, off offset:120
	s_mov_b32 s0, exec_lo
	s_waitcnt vmcnt(5) lgkmcnt(1)
	v_fma_f64 v[3:4], v[3:4], v[151:152], 0
	s_waitcnt vmcnt(4)
	s_delay_alu instid0(VALU_DEP_1) | instskip(SKIP_1) | instid1(VALU_DEP_1)
	v_fma_f64 v[3:4], v[135:136], v[153:154], v[3:4]
	s_waitcnt lgkmcnt(0)
	v_fma_f64 v[3:4], v[137:138], v[155:156], v[3:4]
	scratch_load_b128 v[135:138], off, off offset:136
	s_waitcnt vmcnt(4)
	v_fma_f64 v[3:4], v[139:140], v[157:158], v[3:4]
	ds_load_b128 v[151:154], v134 offset:592
	ds_load_b128 v[155:158], v134 offset:608
	s_waitcnt lgkmcnt(1)
	v_fma_f64 v[3:4], v[141:142], v[151:152], v[3:4]
	scratch_load_b128 v[139:142], off, off offset:152
	s_waitcnt vmcnt(4)
	v_fma_f64 v[3:4], v[143:144], v[153:154], v[3:4]
	s_waitcnt lgkmcnt(0)
	s_delay_alu instid0(VALU_DEP_1)
	v_fma_f64 v[3:4], v[145:146], v[155:156], v[3:4]
	scratch_load_b128 v[143:146], off, off offset:168
	s_waitcnt vmcnt(4)
	v_fma_f64 v[3:4], v[147:148], v[157:158], v[3:4]
	ds_load_b128 v[151:154], v134 offset:624
	ds_load_b128 v[155:158], v134 offset:640
	s_waitcnt lgkmcnt(1)
	v_fma_f64 v[3:4], v[149:150], v[151:152], v[3:4]
	scratch_load_b128 v[147:150], off, off offset:184
	s_waitcnt vmcnt(4)
	v_fma_f64 v[3:4], v[159:160], v[153:154], v[3:4]
	scratch_load_b128 v[151:154], off, off offset:200
	s_waitcnt lgkmcnt(0)
	v_fma_f64 v[3:4], v[161:162], v[155:156], v[3:4]
	s_waitcnt vmcnt(4)
	s_delay_alu instid0(VALU_DEP_1)
	v_fma_f64 v[3:4], v[135:136], v[157:158], v[3:4]
	ds_load_b128 v[155:158], v134 offset:656
	ds_load_b128 v[159:162], v134 offset:672
	s_waitcnt lgkmcnt(1)
	v_fma_f64 v[3:4], v[137:138], v[155:156], v[3:4]
	scratch_load_b128 v[135:138], off, off offset:216
	s_waitcnt vmcnt(4)
	v_fma_f64 v[3:4], v[139:140], v[157:158], v[3:4]
	s_waitcnt lgkmcnt(0)
	s_delay_alu instid0(VALU_DEP_1)
	v_fma_f64 v[3:4], v[141:142], v[159:160], v[3:4]
	scratch_load_b128 v[139:142], off, off offset:232
	s_waitcnt vmcnt(4)
	v_fma_f64 v[3:4], v[143:144], v[161:162], v[3:4]
	ds_load_b128 v[155:158], v134 offset:688
	ds_load_b128 v[159:162], v134 offset:704
	s_waitcnt lgkmcnt(1)
	v_fma_f64 v[3:4], v[145:146], v[155:156], v[3:4]
	scratch_load_b128 v[143:146], off, off offset:248
	s_waitcnt vmcnt(4)
	v_fma_f64 v[3:4], v[147:148], v[157:158], v[3:4]
	s_waitcnt lgkmcnt(0)
	s_delay_alu instid0(VALU_DEP_1)
	v_fma_f64 v[3:4], v[149:150], v[159:160], v[3:4]
	scratch_load_b128 v[147:150], off, off offset:264
	s_waitcnt vmcnt(4)
	;; [unrolled: 13-line block ×9, first 2 shown]
	v_fma_f64 v[3:4], v[147:148], v[161:162], v[3:4]
	ds_load_b128 v[155:158], v134 offset:944
	ds_load_b128 v[159:162], v134 offset:960
	s_waitcnt lgkmcnt(1)
	v_fma_f64 v[3:4], v[149:150], v[155:156], v[3:4]
	scratch_load_b64 v[155:156], off, off offset:504
	s_waitcnt vmcnt(4)
	v_fma_f64 v[3:4], v[151:152], v[157:158], v[3:4]
	s_waitcnt lgkmcnt(0)
	s_delay_alu instid0(VALU_DEP_1)
	v_fma_f64 v[3:4], v[153:154], v[159:160], v[3:4]
	ds_load_b128 v[147:150], v134 offset:976
	ds_load_b128 v[151:154], v134 offset:992
	s_waitcnt vmcnt(3)
	v_fma_f64 v[3:4], v[135:136], v[161:162], v[3:4]
	s_waitcnt lgkmcnt(1)
	s_delay_alu instid0(VALU_DEP_1) | instskip(SKIP_4) | instid1(VALU_DEP_1)
	v_fma_f64 v[3:4], v[137:138], v[147:148], v[3:4]
	ds_load_b128 v[134:137], v134 offset:1008
	s_waitcnt vmcnt(2)
	v_fma_f64 v[3:4], v[139:140], v[149:150], v[3:4]
	s_waitcnt lgkmcnt(1)
	v_fma_f64 v[3:4], v[141:142], v[151:152], v[3:4]
	s_waitcnt vmcnt(1)
	s_delay_alu instid0(VALU_DEP_1) | instskip(SKIP_1) | instid1(VALU_DEP_1)
	v_fma_f64 v[3:4], v[143:144], v[153:154], v[3:4]
	s_waitcnt lgkmcnt(0)
	v_fma_f64 v[3:4], v[145:146], v[134:135], v[3:4]
	s_waitcnt vmcnt(0)
	s_delay_alu instid0(VALU_DEP_1) | instskip(NEXT) | instid1(VALU_DEP_1)
	v_fma_f64 v[3:4], v[155:156], v[136:137], v[3:4]
	v_add_f64 v[1:2], v[1:2], -v[3:4]
	scratch_store_b64 off, v[1:2], off offset:40
	v_cmpx_lt_u32_e32 4, v0
	s_cbranch_execz .LBB63_385
; %bb.384:
	scratch_load_b64 v[1:2], off, off offset:32
	v_mov_b32_e32 v3, 0
	s_delay_alu instid0(VALU_DEP_1)
	v_mov_b32_e32 v4, v3
	scratch_store_b64 off, v[3:4], off offset:32
	s_waitcnt vmcnt(0)
	ds_store_b64 v5, v[1:2]
.LBB63_385:
	s_or_b32 exec_lo, exec_lo, s0
	s_waitcnt lgkmcnt(0)
	s_waitcnt_vscnt null, 0x0
	s_barrier
	buffer_gl0_inv
	s_clause 0x4
	scratch_load_b128 v[1:4], off, off offset:32
	scratch_load_b128 v[135:138], off, off offset:48
	;; [unrolled: 1-line block ×5, first 2 shown]
	v_mov_b32_e32 v134, 0
	ds_load_2addr_b64 v[151:154], v134 offset0:69 offset1:70
	ds_load_2addr_b64 v[155:158], v134 offset0:71 offset1:72
	scratch_load_b128 v[159:162], off, off offset:112
	s_mov_b32 s0, exec_lo
	s_waitcnt vmcnt(5) lgkmcnt(1)
	v_fma_f64 v[3:4], v[3:4], v[151:152], 0
	s_waitcnt vmcnt(4)
	s_delay_alu instid0(VALU_DEP_1) | instskip(SKIP_1) | instid1(VALU_DEP_1)
	v_fma_f64 v[3:4], v[135:136], v[153:154], v[3:4]
	s_waitcnt lgkmcnt(0)
	v_fma_f64 v[3:4], v[137:138], v[155:156], v[3:4]
	scratch_load_b128 v[135:138], off, off offset:128
	s_waitcnt vmcnt(4)
	v_fma_f64 v[3:4], v[139:140], v[157:158], v[3:4]
	ds_load_2addr_b64 v[151:154], v134 offset0:73 offset1:74
	ds_load_2addr_b64 v[155:158], v134 offset0:75 offset1:76
	s_waitcnt lgkmcnt(1)
	v_fma_f64 v[3:4], v[141:142], v[151:152], v[3:4]
	scratch_load_b128 v[139:142], off, off offset:144
	s_waitcnt vmcnt(4)
	v_fma_f64 v[3:4], v[143:144], v[153:154], v[3:4]
	s_waitcnt lgkmcnt(0)
	s_delay_alu instid0(VALU_DEP_1)
	v_fma_f64 v[3:4], v[145:146], v[155:156], v[3:4]
	scratch_load_b128 v[143:146], off, off offset:160
	s_waitcnt vmcnt(4)
	v_fma_f64 v[3:4], v[147:148], v[157:158], v[3:4]
	ds_load_2addr_b64 v[151:154], v134 offset0:77 offset1:78
	ds_load_2addr_b64 v[155:158], v134 offset0:79 offset1:80
	s_waitcnt lgkmcnt(1)
	v_fma_f64 v[3:4], v[149:150], v[151:152], v[3:4]
	scratch_load_b128 v[147:150], off, off offset:176
	s_waitcnt vmcnt(4)
	v_fma_f64 v[3:4], v[159:160], v[153:154], v[3:4]
	scratch_load_b128 v[151:154], off, off offset:192
	s_waitcnt lgkmcnt(0)
	v_fma_f64 v[3:4], v[161:162], v[155:156], v[3:4]
	s_waitcnt vmcnt(4)
	s_delay_alu instid0(VALU_DEP_1)
	v_fma_f64 v[3:4], v[135:136], v[157:158], v[3:4]
	ds_load_2addr_b64 v[155:158], v134 offset0:81 offset1:82
	ds_load_2addr_b64 v[159:162], v134 offset0:83 offset1:84
	s_waitcnt lgkmcnt(1)
	v_fma_f64 v[3:4], v[137:138], v[155:156], v[3:4]
	scratch_load_b128 v[135:138], off, off offset:208
	s_waitcnt vmcnt(4)
	v_fma_f64 v[3:4], v[139:140], v[157:158], v[3:4]
	s_waitcnt lgkmcnt(0)
	s_delay_alu instid0(VALU_DEP_1)
	v_fma_f64 v[3:4], v[141:142], v[159:160], v[3:4]
	scratch_load_b128 v[139:142], off, off offset:224
	s_waitcnt vmcnt(4)
	v_fma_f64 v[3:4], v[143:144], v[161:162], v[3:4]
	ds_load_2addr_b64 v[155:158], v134 offset0:85 offset1:86
	ds_load_2addr_b64 v[159:162], v134 offset0:87 offset1:88
	s_waitcnt lgkmcnt(1)
	v_fma_f64 v[3:4], v[145:146], v[155:156], v[3:4]
	scratch_load_b128 v[143:146], off, off offset:240
	s_waitcnt vmcnt(4)
	v_fma_f64 v[3:4], v[147:148], v[157:158], v[3:4]
	s_waitcnt lgkmcnt(0)
	s_delay_alu instid0(VALU_DEP_1)
	v_fma_f64 v[3:4], v[149:150], v[159:160], v[3:4]
	scratch_load_b128 v[147:150], off, off offset:256
	s_waitcnt vmcnt(4)
	;; [unrolled: 13-line block ×9, first 2 shown]
	v_fma_f64 v[3:4], v[147:148], v[161:162], v[3:4]
	ds_load_2addr_b64 v[155:158], v134 offset0:117 offset1:118
	ds_load_2addr_b64 v[159:162], v134 offset0:119 offset1:120
	s_waitcnt lgkmcnt(1)
	v_fma_f64 v[3:4], v[149:150], v[155:156], v[3:4]
	scratch_load_b128 v[147:150], off, off offset:496
	s_waitcnt vmcnt(4)
	v_fma_f64 v[3:4], v[151:152], v[157:158], v[3:4]
	s_waitcnt lgkmcnt(0)
	s_delay_alu instid0(VALU_DEP_1)
	v_fma_f64 v[3:4], v[153:154], v[159:160], v[3:4]
	ds_load_2addr_b64 v[151:154], v134 offset0:121 offset1:122
	ds_load_2addr_b64 v[155:158], v134 offset0:123 offset1:124
	s_waitcnt vmcnt(3)
	v_fma_f64 v[3:4], v[135:136], v[161:162], v[3:4]
	s_waitcnt lgkmcnt(1)
	s_delay_alu instid0(VALU_DEP_1) | instskip(SKIP_1) | instid1(VALU_DEP_1)
	v_fma_f64 v[3:4], v[137:138], v[151:152], v[3:4]
	s_waitcnt vmcnt(2)
	v_fma_f64 v[3:4], v[139:140], v[153:154], v[3:4]
	ds_load_2addr_b64 v[135:138], v134 offset0:125 offset1:126
	ds_load_b64 v[139:140], v134 offset:1016
	s_waitcnt lgkmcnt(2)
	v_fma_f64 v[3:4], v[141:142], v[155:156], v[3:4]
	s_waitcnt vmcnt(1)
	s_delay_alu instid0(VALU_DEP_1) | instskip(SKIP_1) | instid1(VALU_DEP_1)
	v_fma_f64 v[3:4], v[143:144], v[157:158], v[3:4]
	s_waitcnt lgkmcnt(1)
	v_fma_f64 v[3:4], v[145:146], v[135:136], v[3:4]
	s_waitcnt vmcnt(0)
	s_delay_alu instid0(VALU_DEP_1) | instskip(SKIP_1) | instid1(VALU_DEP_1)
	v_fma_f64 v[3:4], v[147:148], v[137:138], v[3:4]
	s_waitcnt lgkmcnt(0)
	v_fma_f64 v[3:4], v[149:150], v[139:140], v[3:4]
	s_delay_alu instid0(VALU_DEP_1)
	v_add_f64 v[1:2], v[1:2], -v[3:4]
	scratch_store_b64 off, v[1:2], off offset:32
	v_cmpx_lt_u32_e32 3, v0
	s_cbranch_execz .LBB63_387
; %bb.386:
	scratch_load_b64 v[1:2], off, off offset:24
	v_mov_b32_e32 v135, v134
	scratch_store_b64 off, v[134:135], off offset:24
	s_waitcnt vmcnt(0)
	ds_store_b64 v5, v[1:2]
.LBB63_387:
	s_or_b32 exec_lo, exec_lo, s0
	s_waitcnt lgkmcnt(0)
	s_waitcnt_vscnt null, 0x0
	s_barrier
	buffer_gl0_inv
	s_clause 0x4
	scratch_load_b128 v[1:4], off, off offset:24
	scratch_load_b128 v[135:138], off, off offset:40
	;; [unrolled: 1-line block ×5, first 2 shown]
	ds_load_b128 v[151:154], v134 offset:544
	ds_load_b128 v[155:158], v134 offset:560
	scratch_load_b128 v[159:162], off, off offset:104
	s_mov_b32 s0, exec_lo
	s_waitcnt vmcnt(5) lgkmcnt(1)
	v_fma_f64 v[3:4], v[3:4], v[151:152], 0
	s_waitcnt vmcnt(4)
	s_delay_alu instid0(VALU_DEP_1) | instskip(SKIP_1) | instid1(VALU_DEP_1)
	v_fma_f64 v[3:4], v[135:136], v[153:154], v[3:4]
	s_waitcnt lgkmcnt(0)
	v_fma_f64 v[3:4], v[137:138], v[155:156], v[3:4]
	scratch_load_b128 v[135:138], off, off offset:120
	s_waitcnt vmcnt(4)
	v_fma_f64 v[3:4], v[139:140], v[157:158], v[3:4]
	ds_load_b128 v[151:154], v134 offset:576
	ds_load_b128 v[155:158], v134 offset:592
	s_waitcnt lgkmcnt(1)
	v_fma_f64 v[3:4], v[141:142], v[151:152], v[3:4]
	scratch_load_b128 v[139:142], off, off offset:136
	s_waitcnt vmcnt(4)
	v_fma_f64 v[3:4], v[143:144], v[153:154], v[3:4]
	s_waitcnt lgkmcnt(0)
	s_delay_alu instid0(VALU_DEP_1)
	v_fma_f64 v[3:4], v[145:146], v[155:156], v[3:4]
	scratch_load_b128 v[143:146], off, off offset:152
	s_waitcnt vmcnt(4)
	v_fma_f64 v[3:4], v[147:148], v[157:158], v[3:4]
	ds_load_b128 v[151:154], v134 offset:608
	ds_load_b128 v[155:158], v134 offset:624
	s_waitcnt lgkmcnt(1)
	v_fma_f64 v[3:4], v[149:150], v[151:152], v[3:4]
	scratch_load_b128 v[147:150], off, off offset:168
	s_waitcnt vmcnt(4)
	v_fma_f64 v[3:4], v[159:160], v[153:154], v[3:4]
	scratch_load_b128 v[151:154], off, off offset:184
	s_waitcnt lgkmcnt(0)
	v_fma_f64 v[3:4], v[161:162], v[155:156], v[3:4]
	s_waitcnt vmcnt(4)
	s_delay_alu instid0(VALU_DEP_1)
	v_fma_f64 v[3:4], v[135:136], v[157:158], v[3:4]
	ds_load_b128 v[155:158], v134 offset:640
	ds_load_b128 v[159:162], v134 offset:656
	s_waitcnt lgkmcnt(1)
	v_fma_f64 v[3:4], v[137:138], v[155:156], v[3:4]
	scratch_load_b128 v[135:138], off, off offset:200
	s_waitcnt vmcnt(4)
	v_fma_f64 v[3:4], v[139:140], v[157:158], v[3:4]
	s_waitcnt lgkmcnt(0)
	s_delay_alu instid0(VALU_DEP_1)
	v_fma_f64 v[3:4], v[141:142], v[159:160], v[3:4]
	scratch_load_b128 v[139:142], off, off offset:216
	s_waitcnt vmcnt(4)
	v_fma_f64 v[3:4], v[143:144], v[161:162], v[3:4]
	ds_load_b128 v[155:158], v134 offset:672
	ds_load_b128 v[159:162], v134 offset:688
	s_waitcnt lgkmcnt(1)
	v_fma_f64 v[3:4], v[145:146], v[155:156], v[3:4]
	scratch_load_b128 v[143:146], off, off offset:232
	s_waitcnt vmcnt(4)
	v_fma_f64 v[3:4], v[147:148], v[157:158], v[3:4]
	s_waitcnt lgkmcnt(0)
	s_delay_alu instid0(VALU_DEP_1)
	v_fma_f64 v[3:4], v[149:150], v[159:160], v[3:4]
	scratch_load_b128 v[147:150], off, off offset:248
	s_waitcnt vmcnt(4)
	;; [unrolled: 13-line block ×9, first 2 shown]
	v_fma_f64 v[3:4], v[147:148], v[161:162], v[3:4]
	ds_load_b128 v[155:158], v134 offset:928
	ds_load_b128 v[159:162], v134 offset:944
	s_waitcnt lgkmcnt(1)
	v_fma_f64 v[3:4], v[149:150], v[155:156], v[3:4]
	scratch_load_b128 v[147:150], off, off offset:488
	s_waitcnt vmcnt(4)
	v_fma_f64 v[3:4], v[151:152], v[157:158], v[3:4]
	s_waitcnt lgkmcnt(0)
	s_delay_alu instid0(VALU_DEP_1)
	v_fma_f64 v[3:4], v[153:154], v[159:160], v[3:4]
	scratch_load_b64 v[159:160], off, off offset:504
	ds_load_b128 v[151:154], v134 offset:960
	ds_load_b128 v[155:158], v134 offset:976
	s_waitcnt vmcnt(4)
	v_fma_f64 v[3:4], v[135:136], v[161:162], v[3:4]
	s_waitcnt lgkmcnt(1)
	s_delay_alu instid0(VALU_DEP_1) | instskip(SKIP_1) | instid1(VALU_DEP_1)
	v_fma_f64 v[3:4], v[137:138], v[151:152], v[3:4]
	s_waitcnt vmcnt(3)
	v_fma_f64 v[3:4], v[139:140], v[153:154], v[3:4]
	s_waitcnt lgkmcnt(0)
	s_delay_alu instid0(VALU_DEP_1)
	v_fma_f64 v[3:4], v[141:142], v[155:156], v[3:4]
	ds_load_b128 v[135:138], v134 offset:992
	ds_load_b128 v[139:142], v134 offset:1008
	s_waitcnt vmcnt(2)
	v_fma_f64 v[3:4], v[143:144], v[157:158], v[3:4]
	s_waitcnt lgkmcnt(1)
	s_delay_alu instid0(VALU_DEP_1) | instskip(SKIP_1) | instid1(VALU_DEP_1)
	v_fma_f64 v[3:4], v[145:146], v[135:136], v[3:4]
	s_waitcnt vmcnt(1)
	v_fma_f64 v[3:4], v[147:148], v[137:138], v[3:4]
	s_waitcnt lgkmcnt(0)
	s_delay_alu instid0(VALU_DEP_1) | instskip(SKIP_1) | instid1(VALU_DEP_1)
	v_fma_f64 v[3:4], v[149:150], v[139:140], v[3:4]
	s_waitcnt vmcnt(0)
	v_fma_f64 v[3:4], v[159:160], v[141:142], v[3:4]
	s_delay_alu instid0(VALU_DEP_1)
	v_add_f64 v[1:2], v[1:2], -v[3:4]
	scratch_store_b64 off, v[1:2], off offset:24
	v_cmpx_lt_u32_e32 2, v0
	s_cbranch_execz .LBB63_389
; %bb.388:
	scratch_load_b64 v[1:2], off, off offset:16
	v_mov_b32_e32 v3, 0
	s_delay_alu instid0(VALU_DEP_1)
	v_mov_b32_e32 v4, v3
	scratch_store_b64 off, v[3:4], off offset:16
	s_waitcnt vmcnt(0)
	ds_store_b64 v5, v[1:2]
.LBB63_389:
	s_or_b32 exec_lo, exec_lo, s0
	s_waitcnt lgkmcnt(0)
	s_waitcnt_vscnt null, 0x0
	s_barrier
	buffer_gl0_inv
	s_clause 0x4
	scratch_load_b128 v[1:4], off, off offset:16
	scratch_load_b128 v[135:138], off, off offset:32
	scratch_load_b128 v[139:142], off, off offset:48
	scratch_load_b128 v[143:146], off, off offset:64
	scratch_load_b128 v[147:150], off, off offset:80
	v_mov_b32_e32 v134, 0
	ds_load_2addr_b64 v[151:154], v134 offset0:67 offset1:68
	ds_load_2addr_b64 v[155:158], v134 offset0:69 offset1:70
	scratch_load_b128 v[159:162], off, off offset:96
	s_mov_b32 s0, exec_lo
	s_waitcnt vmcnt(5) lgkmcnt(1)
	v_fma_f64 v[3:4], v[3:4], v[151:152], 0
	s_waitcnt vmcnt(4)
	s_delay_alu instid0(VALU_DEP_1) | instskip(SKIP_1) | instid1(VALU_DEP_1)
	v_fma_f64 v[3:4], v[135:136], v[153:154], v[3:4]
	s_waitcnt lgkmcnt(0)
	v_fma_f64 v[3:4], v[137:138], v[155:156], v[3:4]
	scratch_load_b128 v[135:138], off, off offset:112
	s_waitcnt vmcnt(4)
	v_fma_f64 v[3:4], v[139:140], v[157:158], v[3:4]
	ds_load_2addr_b64 v[151:154], v134 offset0:71 offset1:72
	ds_load_2addr_b64 v[155:158], v134 offset0:73 offset1:74
	s_waitcnt lgkmcnt(1)
	v_fma_f64 v[3:4], v[141:142], v[151:152], v[3:4]
	scratch_load_b128 v[139:142], off, off offset:128
	s_waitcnt vmcnt(4)
	v_fma_f64 v[3:4], v[143:144], v[153:154], v[3:4]
	s_waitcnt lgkmcnt(0)
	s_delay_alu instid0(VALU_DEP_1)
	v_fma_f64 v[3:4], v[145:146], v[155:156], v[3:4]
	scratch_load_b128 v[143:146], off, off offset:144
	s_waitcnt vmcnt(4)
	v_fma_f64 v[3:4], v[147:148], v[157:158], v[3:4]
	ds_load_2addr_b64 v[151:154], v134 offset0:75 offset1:76
	ds_load_2addr_b64 v[155:158], v134 offset0:77 offset1:78
	s_waitcnt lgkmcnt(1)
	v_fma_f64 v[3:4], v[149:150], v[151:152], v[3:4]
	scratch_load_b128 v[147:150], off, off offset:160
	s_waitcnt vmcnt(4)
	v_fma_f64 v[3:4], v[159:160], v[153:154], v[3:4]
	scratch_load_b128 v[151:154], off, off offset:176
	s_waitcnt lgkmcnt(0)
	v_fma_f64 v[3:4], v[161:162], v[155:156], v[3:4]
	s_waitcnt vmcnt(4)
	s_delay_alu instid0(VALU_DEP_1)
	v_fma_f64 v[3:4], v[135:136], v[157:158], v[3:4]
	ds_load_2addr_b64 v[155:158], v134 offset0:79 offset1:80
	ds_load_2addr_b64 v[159:162], v134 offset0:81 offset1:82
	s_waitcnt lgkmcnt(1)
	v_fma_f64 v[3:4], v[137:138], v[155:156], v[3:4]
	scratch_load_b128 v[135:138], off, off offset:192
	s_waitcnt vmcnt(4)
	v_fma_f64 v[3:4], v[139:140], v[157:158], v[3:4]
	s_waitcnt lgkmcnt(0)
	s_delay_alu instid0(VALU_DEP_1)
	v_fma_f64 v[3:4], v[141:142], v[159:160], v[3:4]
	scratch_load_b128 v[139:142], off, off offset:208
	s_waitcnt vmcnt(4)
	v_fma_f64 v[3:4], v[143:144], v[161:162], v[3:4]
	ds_load_2addr_b64 v[155:158], v134 offset0:83 offset1:84
	ds_load_2addr_b64 v[159:162], v134 offset0:85 offset1:86
	s_waitcnt lgkmcnt(1)
	v_fma_f64 v[3:4], v[145:146], v[155:156], v[3:4]
	scratch_load_b128 v[143:146], off, off offset:224
	s_waitcnt vmcnt(4)
	v_fma_f64 v[3:4], v[147:148], v[157:158], v[3:4]
	s_waitcnt lgkmcnt(0)
	s_delay_alu instid0(VALU_DEP_1)
	v_fma_f64 v[3:4], v[149:150], v[159:160], v[3:4]
	scratch_load_b128 v[147:150], off, off offset:240
	s_waitcnt vmcnt(4)
	;; [unrolled: 13-line block ×10, first 2 shown]
	v_fma_f64 v[3:4], v[135:136], v[161:162], v[3:4]
	ds_load_2addr_b64 v[155:158], v134 offset0:119 offset1:120
	ds_load_2addr_b64 v[159:162], v134 offset0:121 offset1:122
	s_waitcnt lgkmcnt(1)
	v_fma_f64 v[3:4], v[137:138], v[155:156], v[3:4]
	s_waitcnt vmcnt(3)
	s_delay_alu instid0(VALU_DEP_1) | instskip(SKIP_1) | instid1(VALU_DEP_1)
	v_fma_f64 v[3:4], v[139:140], v[157:158], v[3:4]
	s_waitcnt lgkmcnt(0)
	v_fma_f64 v[3:4], v[141:142], v[159:160], v[3:4]
	ds_load_2addr_b64 v[135:138], v134 offset0:123 offset1:124
	ds_load_2addr_b64 v[139:142], v134 offset0:125 offset1:126
	s_waitcnt vmcnt(2)
	v_fma_f64 v[3:4], v[143:144], v[161:162], v[3:4]
	s_waitcnt lgkmcnt(1)
	s_delay_alu instid0(VALU_DEP_1) | instskip(SKIP_4) | instid1(VALU_DEP_1)
	v_fma_f64 v[3:4], v[145:146], v[135:136], v[3:4]
	ds_load_b64 v[135:136], v134 offset:1016
	s_waitcnt vmcnt(1)
	v_fma_f64 v[3:4], v[147:148], v[137:138], v[3:4]
	s_waitcnt lgkmcnt(1)
	v_fma_f64 v[3:4], v[149:150], v[139:140], v[3:4]
	s_waitcnt vmcnt(0)
	s_delay_alu instid0(VALU_DEP_1) | instskip(SKIP_1) | instid1(VALU_DEP_1)
	v_fma_f64 v[3:4], v[151:152], v[141:142], v[3:4]
	s_waitcnt lgkmcnt(0)
	v_fma_f64 v[3:4], v[153:154], v[135:136], v[3:4]
	s_delay_alu instid0(VALU_DEP_1)
	v_add_f64 v[1:2], v[1:2], -v[3:4]
	scratch_store_b64 off, v[1:2], off offset:16
	v_cmpx_lt_u32_e32 1, v0
	s_cbranch_execz .LBB63_391
; %bb.390:
	scratch_load_b64 v[1:2], off, off offset:8
	v_mov_b32_e32 v135, v134
	scratch_store_b64 off, v[134:135], off offset:8
	s_waitcnt vmcnt(0)
	ds_store_b64 v5, v[1:2]
.LBB63_391:
	s_or_b32 exec_lo, exec_lo, s0
	s_waitcnt lgkmcnt(0)
	s_waitcnt_vscnt null, 0x0
	s_barrier
	buffer_gl0_inv
	s_clause 0x4
	scratch_load_b128 v[1:4], off, off offset:8
	scratch_load_b128 v[135:138], off, off offset:24
	scratch_load_b128 v[139:142], off, off offset:40
	scratch_load_b128 v[143:146], off, off offset:56
	scratch_load_b128 v[147:150], off, off offset:72
	ds_load_b128 v[151:154], v134 offset:528
	ds_load_b128 v[155:158], v134 offset:544
	scratch_load_b128 v[159:162], off, off offset:88
	s_mov_b32 s0, exec_lo
	s_waitcnt vmcnt(5) lgkmcnt(1)
	v_fma_f64 v[3:4], v[3:4], v[151:152], 0
	s_waitcnt vmcnt(4)
	s_delay_alu instid0(VALU_DEP_1) | instskip(SKIP_1) | instid1(VALU_DEP_1)
	v_fma_f64 v[3:4], v[135:136], v[153:154], v[3:4]
	s_waitcnt lgkmcnt(0)
	v_fma_f64 v[3:4], v[137:138], v[155:156], v[3:4]
	scratch_load_b128 v[135:138], off, off offset:104
	s_waitcnt vmcnt(4)
	v_fma_f64 v[3:4], v[139:140], v[157:158], v[3:4]
	ds_load_b128 v[151:154], v134 offset:560
	ds_load_b128 v[155:158], v134 offset:576
	s_waitcnt lgkmcnt(1)
	v_fma_f64 v[3:4], v[141:142], v[151:152], v[3:4]
	scratch_load_b128 v[139:142], off, off offset:120
	s_waitcnt vmcnt(4)
	v_fma_f64 v[3:4], v[143:144], v[153:154], v[3:4]
	s_waitcnt lgkmcnt(0)
	s_delay_alu instid0(VALU_DEP_1)
	v_fma_f64 v[3:4], v[145:146], v[155:156], v[3:4]
	scratch_load_b128 v[143:146], off, off offset:136
	s_waitcnt vmcnt(4)
	v_fma_f64 v[3:4], v[147:148], v[157:158], v[3:4]
	ds_load_b128 v[151:154], v134 offset:592
	ds_load_b128 v[155:158], v134 offset:608
	s_waitcnt lgkmcnt(1)
	v_fma_f64 v[3:4], v[149:150], v[151:152], v[3:4]
	scratch_load_b128 v[147:150], off, off offset:152
	s_waitcnt vmcnt(4)
	v_fma_f64 v[3:4], v[159:160], v[153:154], v[3:4]
	scratch_load_b128 v[151:154], off, off offset:168
	s_waitcnt lgkmcnt(0)
	v_fma_f64 v[3:4], v[161:162], v[155:156], v[3:4]
	s_waitcnt vmcnt(4)
	s_delay_alu instid0(VALU_DEP_1)
	v_fma_f64 v[3:4], v[135:136], v[157:158], v[3:4]
	ds_load_b128 v[155:158], v134 offset:624
	ds_load_b128 v[159:162], v134 offset:640
	s_waitcnt lgkmcnt(1)
	v_fma_f64 v[3:4], v[137:138], v[155:156], v[3:4]
	scratch_load_b128 v[135:138], off, off offset:184
	s_waitcnt vmcnt(4)
	v_fma_f64 v[3:4], v[139:140], v[157:158], v[3:4]
	s_waitcnt lgkmcnt(0)
	s_delay_alu instid0(VALU_DEP_1)
	v_fma_f64 v[3:4], v[141:142], v[159:160], v[3:4]
	scratch_load_b128 v[139:142], off, off offset:200
	s_waitcnt vmcnt(4)
	v_fma_f64 v[3:4], v[143:144], v[161:162], v[3:4]
	ds_load_b128 v[155:158], v134 offset:656
	ds_load_b128 v[159:162], v134 offset:672
	s_waitcnt lgkmcnt(1)
	v_fma_f64 v[3:4], v[145:146], v[155:156], v[3:4]
	scratch_load_b128 v[143:146], off, off offset:216
	s_waitcnt vmcnt(4)
	v_fma_f64 v[3:4], v[147:148], v[157:158], v[3:4]
	s_waitcnt lgkmcnt(0)
	s_delay_alu instid0(VALU_DEP_1)
	v_fma_f64 v[3:4], v[149:150], v[159:160], v[3:4]
	scratch_load_b128 v[147:150], off, off offset:232
	s_waitcnt vmcnt(4)
	;; [unrolled: 13-line block ×10, first 2 shown]
	v_fma_f64 v[3:4], v[135:136], v[161:162], v[3:4]
	ds_load_b128 v[155:158], v134 offset:944
	ds_load_b128 v[159:162], v134 offset:960
	s_waitcnt lgkmcnt(1)
	v_fma_f64 v[3:4], v[137:138], v[155:156], v[3:4]
	scratch_load_b64 v[155:156], off, off offset:504
	s_waitcnt vmcnt(4)
	v_fma_f64 v[3:4], v[139:140], v[157:158], v[3:4]
	s_waitcnt lgkmcnt(0)
	s_delay_alu instid0(VALU_DEP_1)
	v_fma_f64 v[3:4], v[141:142], v[159:160], v[3:4]
	ds_load_b128 v[135:138], v134 offset:976
	ds_load_b128 v[139:142], v134 offset:992
	s_waitcnt vmcnt(3)
	v_fma_f64 v[3:4], v[143:144], v[161:162], v[3:4]
	s_waitcnt lgkmcnt(1)
	s_delay_alu instid0(VALU_DEP_1) | instskip(SKIP_1) | instid1(VALU_DEP_1)
	v_fma_f64 v[3:4], v[145:146], v[135:136], v[3:4]
	s_waitcnt vmcnt(2)
	v_fma_f64 v[3:4], v[147:148], v[137:138], v[3:4]
	ds_load_b128 v[134:137], v134 offset:1008
	s_waitcnt lgkmcnt(1)
	v_fma_f64 v[3:4], v[149:150], v[139:140], v[3:4]
	s_waitcnt vmcnt(1)
	s_delay_alu instid0(VALU_DEP_1) | instskip(SKIP_1) | instid1(VALU_DEP_1)
	v_fma_f64 v[3:4], v[151:152], v[141:142], v[3:4]
	s_waitcnt lgkmcnt(0)
	v_fma_f64 v[3:4], v[153:154], v[134:135], v[3:4]
	s_waitcnt vmcnt(0)
	s_delay_alu instid0(VALU_DEP_1) | instskip(NEXT) | instid1(VALU_DEP_1)
	v_fma_f64 v[3:4], v[155:156], v[136:137], v[3:4]
	v_add_f64 v[1:2], v[1:2], -v[3:4]
	scratch_store_b64 off, v[1:2], off offset:8
	v_cmpx_ne_u32_e32 0, v0
	s_cbranch_execz .LBB63_393
; %bb.392:
	scratch_load_b64 v[0:1], off, off
	v_mov_b32_e32 v2, 0
	s_delay_alu instid0(VALU_DEP_1)
	v_mov_b32_e32 v3, v2
	scratch_store_b64 off, v[2:3], off
	s_waitcnt vmcnt(0)
	ds_store_b64 v5, v[0:1]
.LBB63_393:
	s_or_b32 exec_lo, exec_lo, s0
	s_waitcnt lgkmcnt(0)
	s_waitcnt_vscnt null, 0x0
	s_barrier
	buffer_gl0_inv
	s_clause 0x4
	scratch_load_b128 v[0:3], off, off
	scratch_load_b128 v[135:138], off, off offset:16
	scratch_load_b128 v[139:142], off, off offset:32
	;; [unrolled: 1-line block ×4, first 2 shown]
	v_mov_b32_e32 v134, 0
	ds_load_2addr_b64 v[151:154], v134 offset0:65 offset1:66
	ds_load_2addr_b64 v[155:158], v134 offset0:67 offset1:68
	s_and_b32 vcc_lo, exec_lo, s16
	s_waitcnt vmcnt(4) lgkmcnt(1)
	v_fma_f64 v[151:152], v[2:3], v[151:152], 0
	scratch_load_b128 v[2:5], off, off offset:80
	s_waitcnt vmcnt(4)
	v_fma_f64 v[135:136], v[135:136], v[153:154], v[151:152]
	s_waitcnt lgkmcnt(0)
	s_delay_alu instid0(VALU_DEP_1)
	v_fma_f64 v[151:152], v[137:138], v[155:156], v[135:136]
	scratch_load_b128 v[135:138], off, off offset:96
	s_waitcnt vmcnt(4)
	v_fma_f64 v[139:140], v[139:140], v[157:158], v[151:152]
	ds_load_2addr_b64 v[151:154], v134 offset0:69 offset1:70
	ds_load_2addr_b64 v[155:158], v134 offset0:71 offset1:72
	s_waitcnt lgkmcnt(1)
	v_fma_f64 v[151:152], v[141:142], v[151:152], v[139:140]
	scratch_load_b128 v[139:142], off, off offset:112
	s_waitcnt vmcnt(4)
	v_fma_f64 v[143:144], v[143:144], v[153:154], v[151:152]
	s_waitcnt lgkmcnt(0)
	s_delay_alu instid0(VALU_DEP_1)
	v_fma_f64 v[151:152], v[145:146], v[155:156], v[143:144]
	scratch_load_b128 v[143:146], off, off offset:128
	s_waitcnt vmcnt(4)
	v_fma_f64 v[147:148], v[147:148], v[157:158], v[151:152]
	ds_load_2addr_b64 v[151:154], v134 offset0:73 offset1:74
	ds_load_2addr_b64 v[155:158], v134 offset0:75 offset1:76
	s_waitcnt lgkmcnt(1)
	;; [unrolled: 13-line block ×12, first 2 shown]
	v_fma_f64 v[151:152], v[149:150], v[151:152], v[147:148]
	scratch_load_b128 v[147:150], off, off offset:464
	s_waitcnt vmcnt(4)
	v_fma_f64 v[2:3], v[2:3], v[153:154], v[151:152]
	scratch_load_b128 v[151:154], off, off offset:480
	s_waitcnt lgkmcnt(0)
	v_fma_f64 v[2:3], v[4:5], v[155:156], v[2:3]
	s_waitcnt vmcnt(4)
	s_delay_alu instid0(VALU_DEP_1)
	v_fma_f64 v[2:3], v[135:136], v[157:158], v[2:3]
	ds_load_2addr_b64 v[155:158], v134 offset0:117 offset1:118
	ds_load_2addr_b64 v[159:162], v134 offset0:119 offset1:120
	s_waitcnt lgkmcnt(1)
	v_fma_f64 v[135:136], v[137:138], v[155:156], v[2:3]
	scratch_load_b128 v[2:5], off, off offset:496
	s_waitcnt vmcnt(4)
	v_fma_f64 v[135:136], v[139:140], v[157:158], v[135:136]
	s_waitcnt lgkmcnt(0)
	s_delay_alu instid0(VALU_DEP_1) | instskip(SKIP_1) | instid1(VALU_DEP_1)
	v_fma_f64 v[135:136], v[141:142], v[159:160], v[135:136]
	s_waitcnt vmcnt(3)
	v_fma_f64 v[143:144], v[143:144], v[161:162], v[135:136]
	ds_load_2addr_b64 v[135:138], v134 offset0:121 offset1:122
	ds_load_2addr_b64 v[139:142], v134 offset0:123 offset1:124
	s_waitcnt lgkmcnt(1)
	v_fma_f64 v[135:136], v[145:146], v[135:136], v[143:144]
	s_waitcnt vmcnt(2)
	s_delay_alu instid0(VALU_DEP_1) | instskip(SKIP_1) | instid1(VALU_DEP_1)
	v_fma_f64 v[135:136], v[147:148], v[137:138], v[135:136]
	s_waitcnt lgkmcnt(0)
	v_fma_f64 v[135:136], v[149:150], v[139:140], v[135:136]
	s_waitcnt vmcnt(1)
	s_delay_alu instid0(VALU_DEP_1)
	v_fma_f64 v[139:140], v[151:152], v[141:142], v[135:136]
	ds_load_2addr_b64 v[135:138], v134 offset0:125 offset1:126
	ds_load_b64 v[141:142], v134 offset:1016
	s_waitcnt lgkmcnt(1)
	v_fma_f64 v[134:135], v[153:154], v[135:136], v[139:140]
	s_waitcnt vmcnt(0)
	s_delay_alu instid0(VALU_DEP_1) | instskip(SKIP_1) | instid1(VALU_DEP_1)
	v_fma_f64 v[134:135], v[2:3], v[137:138], v[134:135]
	s_waitcnt lgkmcnt(0)
	v_fma_f64 v[4:5], v[4:5], v[141:142], v[134:135]
	s_delay_alu instid0(VALU_DEP_1)
	v_add_f64 v[0:1], v[0:1], -v[4:5]
	scratch_store_b64 off, v[0:1], off
	s_cbranch_vccz .LBB63_521
; %bb.394:
	v_dual_mov_b32 v0, s12 :: v_dual_mov_b32 v1, s13
	s_mov_b32 s0, exec_lo
	flat_load_b32 v0, v[0:1] offset:248
	s_waitcnt vmcnt(0) lgkmcnt(0)
	v_cmpx_ne_u32_e32 63, v0
	s_cbranch_execz .LBB63_396
; %bb.395:
	v_lshl_add_u32 v4, v0, 3, 0
	scratch_load_b64 v[0:1], v4, off offset:-8
	s_waitcnt vmcnt(0)
	scratch_store_b64 off, v[0:1], off offset:496
	scratch_store_b64 v4, v[2:3], off offset:-8
.LBB63_396:
	s_or_b32 exec_lo, exec_lo, s0
	v_dual_mov_b32 v0, s12 :: v_dual_mov_b32 v1, s13
	s_mov_b32 s0, exec_lo
	flat_load_b32 v0, v[0:1] offset:244
	s_waitcnt vmcnt(0) lgkmcnt(0)
	v_cmpx_ne_u32_e32 62, v0
	s_cbranch_execz .LBB63_398
; %bb.397:
	v_lshl_add_u32 v4, v0, 3, 0
	scratch_load_b64 v[0:1], v4, off offset:-8
	scratch_load_b64 v[2:3], off, off offset:488
	s_waitcnt vmcnt(1)
	scratch_store_b64 off, v[0:1], off offset:488
	s_waitcnt vmcnt(0)
	scratch_store_b64 v4, v[2:3], off offset:-8
.LBB63_398:
	s_or_b32 exec_lo, exec_lo, s0
	v_dual_mov_b32 v0, s12 :: v_dual_mov_b32 v1, s13
	s_mov_b32 s0, exec_lo
	flat_load_b32 v0, v[0:1] offset:240
	s_waitcnt vmcnt(0) lgkmcnt(0)
	v_cmpx_ne_u32_e32 61, v0
	s_cbranch_execz .LBB63_400
; %bb.399:
	v_lshl_add_u32 v4, v0, 3, 0
	scratch_load_b64 v[0:1], v4, off offset:-8
	scratch_load_b64 v[2:3], off, off offset:480
	s_waitcnt vmcnt(1)
	scratch_store_b64 off, v[0:1], off offset:480
	s_waitcnt vmcnt(0)
	scratch_store_b64 v4, v[2:3], off offset:-8
.LBB63_400:
	;; [unrolled: 16-line block ×61, first 2 shown]
	s_or_b32 exec_lo, exec_lo, s0
	v_dual_mov_b32 v0, s12 :: v_dual_mov_b32 v1, s13
	s_mov_b32 s0, exec_lo
	flat_load_b32 v2, v[0:1]
	scratch_load_b64 v[0:1], off, off
	s_waitcnt vmcnt(1) lgkmcnt(0)
	v_cmpx_ne_u32_e32 1, v2
	s_cbranch_execz .LBB63_520
; %bb.519:
	v_lshl_add_u32 v4, v2, 3, 0
	scratch_load_b64 v[2:3], v4, off offset:-8
	s_waitcnt vmcnt(0)
	scratch_store_b64 off, v[2:3], off
	scratch_store_b64 v4, v[0:1], off offset:-8
	scratch_load_b64 v[0:1], off, off
.LBB63_520:
	s_or_b32 exec_lo, exec_lo, s0
.LBB63_521:
	s_clause 0x7
	scratch_load_b128 v[2:5], off, off offset:8
	scratch_load_b128 v[134:137], off, off offset:24
	;; [unrolled: 1-line block ×8, first 2 shown]
	s_waitcnt vmcnt(8)
	global_store_b64 v[36:37], v[0:1], off
	s_clause 0x3
	scratch_load_b128 v[162:165], off, off offset:136
	scratch_load_b128 v[166:169], off, off offset:184
	;; [unrolled: 1-line block ×4, first 2 shown]
	s_waitcnt vmcnt(11)
	global_store_b64 v[24:25], v[2:3], off
	scratch_load_b128 v[0:3], off, off offset:152
	global_store_b64 v[26:27], v[4:5], off
	scratch_load_b128 v[24:27], off, off offset:168
	s_waitcnt vmcnt(12)
	s_clause 0x1
	global_store_b64 v[16:17], v[134:135], off
	global_store_b64 v[18:19], v[136:137], off
	s_waitcnt vmcnt(11)
	s_clause 0x1
	global_store_b64 v[10:11], v[138:139], off
	global_store_b64 v[66:67], v[140:141], off
	;; [unrolled: 4-line block ×8, first 2 shown]
	s_clause 0xd
	scratch_load_b128 v[16:19], off, off offset:200
	scratch_load_b128 v[134:137], off, off offset:216
	;; [unrolled: 1-line block ×14, first 2 shown]
	s_waitcnt vmcnt(15)
	s_clause 0x1
	global_store_b64 v[28:29], v[0:1], off
	global_store_b64 v[30:31], v[2:3], off
	s_waitcnt vmcnt(14)
	s_clause 0x1
	global_store_b64 v[20:21], v[24:25], off
	global_store_b64 v[22:23], v[26:27], off
	s_clause 0x3
	scratch_load_b128 v[0:3], off, off offset:456
	scratch_load_b128 v[28:31], off, off offset:472
	;; [unrolled: 1-line block ×3, first 2 shown]
	scratch_load_b64 v[4:5], off, off offset:504
	s_clause 0x1
	global_store_b64 v[8:9], v[166:167], off
	global_store_b64 v[12:13], v[168:169], off
	s_waitcnt vmcnt(17)
	s_clause 0x1
	global_store_b64 v[14:15], v[16:17], off
	global_store_b64 v[38:39], v[18:19], off
	s_waitcnt vmcnt(16)
	;; [unrolled: 4-line block ×5, first 2 shown]
	s_clause 0x3
	global_store_b64 v[74:75], v[142:143], off
	global_store_b64 v[76:77], v[144:145], off
	global_store_b64 v[78:79], v[170:171], off
	global_store_b64 v[80:81], v[172:173], off
	s_waitcnt vmcnt(12)
	s_clause 0x1
	global_store_b64 v[82:83], v[58:59], off
	global_store_b64 v[84:85], v[60:61], off
	s_waitcnt vmcnt(11)
	s_clause 0x1
	global_store_b64 v[86:87], v[146:147], off
	global_store_b64 v[88:89], v[148:149], off
	s_waitcnt vmcnt(10)
	s_clause 0x1
	global_store_b64 v[90:91], v[150:151], off
	global_store_b64 v[92:93], v[152:153], off
	s_waitcnt vmcnt(9)
	s_clause 0x1
	global_store_b64 v[94:95], v[52:53], off
	global_store_b64 v[96:97], v[54:55], off
	s_waitcnt vmcnt(8)
	s_clause 0x1
	global_store_b64 v[98:99], v[154:155], off
	global_store_b64 v[100:101], v[156:157], off
	s_waitcnt vmcnt(7)
	s_clause 0x1
	global_store_b64 v[102:103], v[34:35], off
	global_store_b64 v[104:105], v[36:37], off
	s_waitcnt vmcnt(6)
	s_clause 0x1
	global_store_b64 v[106:107], v[42:43], off
	global_store_b64 v[108:109], v[44:45], off
	s_waitcnt vmcnt(5)
	s_clause 0x1
	global_store_b64 v[110:111], v[158:159], off
	global_store_b64 v[112:113], v[160:161], off
	s_waitcnt vmcnt(4)
	s_clause 0x3
	global_store_b64 v[114:115], v[162:163], off
	global_store_b64 v[116:117], v[164:165], off
	global_store_b64 v[118:119], v[174:175], off
	global_store_b64 v[120:121], v[176:177], off
	s_waitcnt vmcnt(3)
	s_clause 0x1
	global_store_b64 v[122:123], v[0:1], off
	global_store_b64 v[124:125], v[2:3], off
	s_waitcnt vmcnt(2)
	s_clause 0x1
	;; [unrolled: 4-line block ×3, first 2 shown]
	global_store_b64 v[130:131], v[20:21], off
	global_store_b64 v[132:133], v[22:23], off
	s_waitcnt vmcnt(0)
	global_store_b64 v[6:7], v[4:5], off
	s_endpgm
	.section	.rodata,"a",@progbits
	.p2align	6, 0x0
	.amdhsa_kernel _ZN9rocsolver6v33100L18getri_kernel_smallILi64EdPdEEvT1_iilPiilS4_bb
		.amdhsa_group_segment_fixed_size 1032
		.amdhsa_private_segment_fixed_size 528
		.amdhsa_kernarg_size 60
		.amdhsa_user_sgpr_count 15
		.amdhsa_user_sgpr_dispatch_ptr 0
		.amdhsa_user_sgpr_queue_ptr 0
		.amdhsa_user_sgpr_kernarg_segment_ptr 1
		.amdhsa_user_sgpr_dispatch_id 0
		.amdhsa_user_sgpr_private_segment_size 0
		.amdhsa_wavefront_size32 1
		.amdhsa_uses_dynamic_stack 0
		.amdhsa_enable_private_segment 1
		.amdhsa_system_sgpr_workgroup_id_x 1
		.amdhsa_system_sgpr_workgroup_id_y 0
		.amdhsa_system_sgpr_workgroup_id_z 0
		.amdhsa_system_sgpr_workgroup_info 0
		.amdhsa_system_vgpr_workitem_id 0
		.amdhsa_next_free_vgpr 184
		.amdhsa_next_free_sgpr 18
		.amdhsa_reserve_vcc 1
		.amdhsa_float_round_mode_32 0
		.amdhsa_float_round_mode_16_64 0
		.amdhsa_float_denorm_mode_32 3
		.amdhsa_float_denorm_mode_16_64 3
		.amdhsa_dx10_clamp 1
		.amdhsa_ieee_mode 1
		.amdhsa_fp16_overflow 0
		.amdhsa_workgroup_processor_mode 1
		.amdhsa_memory_ordered 1
		.amdhsa_forward_progress 0
		.amdhsa_shared_vgpr_count 0
		.amdhsa_exception_fp_ieee_invalid_op 0
		.amdhsa_exception_fp_denorm_src 0
		.amdhsa_exception_fp_ieee_div_zero 0
		.amdhsa_exception_fp_ieee_overflow 0
		.amdhsa_exception_fp_ieee_underflow 0
		.amdhsa_exception_fp_ieee_inexact 0
		.amdhsa_exception_int_div_zero 0
	.end_amdhsa_kernel
	.section	.text._ZN9rocsolver6v33100L18getri_kernel_smallILi64EdPdEEvT1_iilPiilS4_bb,"axG",@progbits,_ZN9rocsolver6v33100L18getri_kernel_smallILi64EdPdEEvT1_iilPiilS4_bb,comdat
.Lfunc_end63:
	.size	_ZN9rocsolver6v33100L18getri_kernel_smallILi64EdPdEEvT1_iilPiilS4_bb, .Lfunc_end63-_ZN9rocsolver6v33100L18getri_kernel_smallILi64EdPdEEvT1_iilPiilS4_bb
                                        ; -- End function
	.section	.AMDGPU.csdata,"",@progbits
; Kernel info:
; codeLenInByte = 71148
; NumSgprs: 20
; NumVgprs: 184
; ScratchSize: 528
; MemoryBound: 0
; FloatMode: 240
; IeeeMode: 1
; LDSByteSize: 1032 bytes/workgroup (compile time only)
; SGPRBlocks: 2
; VGPRBlocks: 22
; NumSGPRsForWavesPerEU: 20
; NumVGPRsForWavesPerEU: 184
; Occupancy: 8
; WaveLimiterHint : 1
; COMPUTE_PGM_RSRC2:SCRATCH_EN: 1
; COMPUTE_PGM_RSRC2:USER_SGPR: 15
; COMPUTE_PGM_RSRC2:TRAP_HANDLER: 0
; COMPUTE_PGM_RSRC2:TGID_X_EN: 1
; COMPUTE_PGM_RSRC2:TGID_Y_EN: 0
; COMPUTE_PGM_RSRC2:TGID_Z_EN: 0
; COMPUTE_PGM_RSRC2:TIDIG_COMP_CNT: 0
	.section	.text._ZN9rocsolver6v33100L18getri_kernel_smallILi1EdPKPdEEvT1_iilPiilS6_bb,"axG",@progbits,_ZN9rocsolver6v33100L18getri_kernel_smallILi1EdPKPdEEvT1_iilPiilS6_bb,comdat
	.globl	_ZN9rocsolver6v33100L18getri_kernel_smallILi1EdPKPdEEvT1_iilPiilS6_bb ; -- Begin function _ZN9rocsolver6v33100L18getri_kernel_smallILi1EdPKPdEEvT1_iilPiilS6_bb
	.p2align	8
	.type	_ZN9rocsolver6v33100L18getri_kernel_smallILi1EdPKPdEEvT1_iilPiilS6_bb,@function
_ZN9rocsolver6v33100L18getri_kernel_smallILi1EdPKPdEEvT1_iilPiilS6_bb: ; @_ZN9rocsolver6v33100L18getri_kernel_smallILi1EdPKPdEEvT1_iilPiilS6_bb
; %bb.0:
	s_mov_b32 s10, 0
	s_mov_b32 s2, exec_lo
	v_cmpx_eq_u32_e32 0, v0
	s_cbranch_execz .LBB64_12
; %bb.1:
	s_clause 0x3
	s_load_b32 s2, s[0:1], 0x8
	s_load_b32 s5, s[0:1], 0x38
	s_load_b64 s[8:9], s[0:1], 0x0
	s_load_b64 s[6:7], s[0:1], 0x30
	s_mov_b32 s4, s15
	s_waitcnt lgkmcnt(0)
	s_ashr_i32 s3, s2, 31
	s_bitcmp1_b32 s5, 0
	s_cselect_b32 s11, -1, 0
	s_ashr_i32 s5, s15, 31
	s_delay_alu instid0(SALU_CYCLE_1) | instskip(NEXT) | instid1(SALU_CYCLE_1)
	s_lshl_b64 s[0:1], s[4:5], 3
	s_add_u32 s0, s8, s0
	s_addc_u32 s1, s9, s1
	s_lshl_b64 s[2:3], s[2:3], 3
	s_load_b64 s[0:1], s[0:1], 0x0
	s_waitcnt lgkmcnt(0)
	s_add_u32 s2, s0, s2
	s_addc_u32 s3, s1, s3
	s_and_b32 vcc_lo, exec_lo, s11
	s_load_b64 s[8:9], s[2:3], 0x0
	s_cbranch_vccnz .LBB64_4
; %bb.2:
	s_lshl_b64 s[0:1], s[4:5], 2
	s_mov_b32 s10, -1
	s_add_u32 s0, s6, s0
	s_addc_u32 s1, s7, s1
	s_load_b32 s0, s[0:1], 0x0
	s_waitcnt lgkmcnt(0)
	s_cmp_eq_u32 s0, 0
	s_cselect_b32 s0, -1, 0
	s_cbranch_execz .LBB64_5
; %bb.3:
	s_waitcnt lgkmcnt(0)
	v_dual_mov_b32 v0, s8 :: v_dual_mov_b32 v1, s9
	s_and_b32 vcc_lo, exec_lo, s10
	s_cbranch_vccz .LBB64_12
	s_branch .LBB64_14
.LBB64_4:
                                        ; implicit-def: $sgpr0
.LBB64_5:
	s_waitcnt lgkmcnt(0)
	v_cmp_neq_f64_e64 s0, s[8:9], 0
	v_mov_b32_e32 v0, 0
	ds_store_b32 v0, v0
	s_waitcnt lgkmcnt(0)
	s_barrier
	buffer_gl0_inv
	s_and_b32 vcc_lo, exec_lo, s0
	s_cbranch_vccnz .LBB64_10
; %bb.6:
	ds_load_b32 v1, v0
	s_mov_b32 s1, 0
	s_waitcnt lgkmcnt(0)
	v_cmp_ne_u32_e32 vcc_lo, 0, v1
	v_cmp_gt_i32_e64 s0, 2, v1
	s_delay_alu instid0(VALU_DEP_1) | instskip(NEXT) | instid1(SALU_CYCLE_1)
	s_and_b32 s0, vcc_lo, s0
	s_and_b32 vcc_lo, exec_lo, s0
	s_cbranch_vccnz .LBB64_10
; %bb.7:
	v_dual_mov_b32 v2, 1 :: v_dual_mov_b32 v3, 0
.LBB64_8:                               ; =>This Inner Loop Header: Depth=1
	ds_cmpstore_rtn_b32 v1, v3, v2, v1
	s_waitcnt lgkmcnt(0)
	v_cmp_ne_u32_e32 vcc_lo, 0, v1
	v_cmp_gt_i32_e64 s0, 2, v1
	s_delay_alu instid0(VALU_DEP_1) | instskip(NEXT) | instid1(SALU_CYCLE_1)
	s_and_b32 s0, vcc_lo, s0
	s_and_b32 s0, exec_lo, s0
	s_delay_alu instid0(SALU_CYCLE_1) | instskip(NEXT) | instid1(SALU_CYCLE_1)
	s_or_b32 s1, s0, s1
	s_and_not1_b32 exec_lo, exec_lo, s1
	s_cbranch_execnz .LBB64_8
; %bb.9:
	s_or_b32 exec_lo, exec_lo, s1
.LBB64_10:
	s_barrier
	buffer_gl0_inv
	ds_load_b32 v1, v0
	s_lshl_b64 s[0:1], s[4:5], 2
	s_delay_alu instid0(SALU_CYCLE_1)
	s_add_u32 s0, s6, s0
	s_addc_u32 s1, s7, s1
	s_waitcnt lgkmcnt(0)
	v_cmp_ne_u32_e32 vcc_lo, 0, v1
	global_store_b32 v0, v1, s[0:1]
	s_cbranch_vccz .LBB64_13
; %bb.11:
                                        ; implicit-def: $vgpr0_vgpr1
                                        ; implicit-def: $sgpr0
	s_and_b32 vcc_lo, exec_lo, s10
	s_cbranch_vccnz .LBB64_14
.LBB64_12:
	s_nop 0
	s_sendmsg sendmsg(MSG_DEALLOC_VGPRS)
	s_endpgm
.LBB64_13:
	v_div_scale_f64 v[0:1], null, s[8:9], s[8:9], 1.0
	s_mov_b32 s0, -1
	s_delay_alu instid0(VALU_DEP_1) | instskip(SKIP_2) | instid1(VALU_DEP_1)
	v_rcp_f64_e32 v[2:3], v[0:1]
	s_waitcnt_depctr 0xfff
	v_fma_f64 v[4:5], -v[0:1], v[2:3], 1.0
	v_fma_f64 v[2:3], v[2:3], v[4:5], v[2:3]
	s_delay_alu instid0(VALU_DEP_1) | instskip(NEXT) | instid1(VALU_DEP_1)
	v_fma_f64 v[4:5], -v[0:1], v[2:3], 1.0
	v_fma_f64 v[2:3], v[2:3], v[4:5], v[2:3]
	v_div_scale_f64 v[4:5], vcc_lo, 1.0, s[8:9], 1.0
	s_delay_alu instid0(VALU_DEP_1) | instskip(NEXT) | instid1(VALU_DEP_1)
	v_mul_f64 v[6:7], v[4:5], v[2:3]
	v_fma_f64 v[0:1], -v[0:1], v[6:7], v[4:5]
	s_delay_alu instid0(VALU_DEP_1) | instskip(NEXT) | instid1(VALU_DEP_1)
	v_div_fmas_f64 v[0:1], v[0:1], v[2:3], v[6:7]
	v_div_fixup_f64 v[0:1], v[0:1], s[8:9], 1.0
	s_cbranch_execz .LBB64_12
.LBB64_14:
	s_and_not1_b32 vcc_lo, exec_lo, s0
	s_cbranch_vccnz .LBB64_12
; %bb.15:
	v_mov_b32_e32 v2, 0
	global_store_b64 v2, v[0:1], s[2:3]
	s_nop 0
	s_sendmsg sendmsg(MSG_DEALLOC_VGPRS)
	s_endpgm
	.section	.rodata,"a",@progbits
	.p2align	6, 0x0
	.amdhsa_kernel _ZN9rocsolver6v33100L18getri_kernel_smallILi1EdPKPdEEvT1_iilPiilS6_bb
		.amdhsa_group_segment_fixed_size 4
		.amdhsa_private_segment_fixed_size 0
		.amdhsa_kernarg_size 60
		.amdhsa_user_sgpr_count 15
		.amdhsa_user_sgpr_dispatch_ptr 0
		.amdhsa_user_sgpr_queue_ptr 0
		.amdhsa_user_sgpr_kernarg_segment_ptr 1
		.amdhsa_user_sgpr_dispatch_id 0
		.amdhsa_user_sgpr_private_segment_size 0
		.amdhsa_wavefront_size32 1
		.amdhsa_uses_dynamic_stack 0
		.amdhsa_enable_private_segment 0
		.amdhsa_system_sgpr_workgroup_id_x 1
		.amdhsa_system_sgpr_workgroup_id_y 0
		.amdhsa_system_sgpr_workgroup_id_z 0
		.amdhsa_system_sgpr_workgroup_info 0
		.amdhsa_system_vgpr_workitem_id 0
		.amdhsa_next_free_vgpr 8
		.amdhsa_next_free_sgpr 16
		.amdhsa_reserve_vcc 1
		.amdhsa_float_round_mode_32 0
		.amdhsa_float_round_mode_16_64 0
		.amdhsa_float_denorm_mode_32 3
		.amdhsa_float_denorm_mode_16_64 3
		.amdhsa_dx10_clamp 1
		.amdhsa_ieee_mode 1
		.amdhsa_fp16_overflow 0
		.amdhsa_workgroup_processor_mode 1
		.amdhsa_memory_ordered 1
		.amdhsa_forward_progress 0
		.amdhsa_shared_vgpr_count 0
		.amdhsa_exception_fp_ieee_invalid_op 0
		.amdhsa_exception_fp_denorm_src 0
		.amdhsa_exception_fp_ieee_div_zero 0
		.amdhsa_exception_fp_ieee_overflow 0
		.amdhsa_exception_fp_ieee_underflow 0
		.amdhsa_exception_fp_ieee_inexact 0
		.amdhsa_exception_int_div_zero 0
	.end_amdhsa_kernel
	.section	.text._ZN9rocsolver6v33100L18getri_kernel_smallILi1EdPKPdEEvT1_iilPiilS6_bb,"axG",@progbits,_ZN9rocsolver6v33100L18getri_kernel_smallILi1EdPKPdEEvT1_iilPiilS6_bb,comdat
.Lfunc_end64:
	.size	_ZN9rocsolver6v33100L18getri_kernel_smallILi1EdPKPdEEvT1_iilPiilS6_bb, .Lfunc_end64-_ZN9rocsolver6v33100L18getri_kernel_smallILi1EdPKPdEEvT1_iilPiilS6_bb
                                        ; -- End function
	.section	.AMDGPU.csdata,"",@progbits
; Kernel info:
; codeLenInByte = 572
; NumSgprs: 18
; NumVgprs: 8
; ScratchSize: 0
; MemoryBound: 0
; FloatMode: 240
; IeeeMode: 1
; LDSByteSize: 4 bytes/workgroup (compile time only)
; SGPRBlocks: 2
; VGPRBlocks: 0
; NumSGPRsForWavesPerEU: 18
; NumVGPRsForWavesPerEU: 8
; Occupancy: 16
; WaveLimiterHint : 1
; COMPUTE_PGM_RSRC2:SCRATCH_EN: 0
; COMPUTE_PGM_RSRC2:USER_SGPR: 15
; COMPUTE_PGM_RSRC2:TRAP_HANDLER: 0
; COMPUTE_PGM_RSRC2:TGID_X_EN: 1
; COMPUTE_PGM_RSRC2:TGID_Y_EN: 0
; COMPUTE_PGM_RSRC2:TGID_Z_EN: 0
; COMPUTE_PGM_RSRC2:TIDIG_COMP_CNT: 0
	.section	.text._ZN9rocsolver6v33100L18getri_kernel_smallILi2EdPKPdEEvT1_iilPiilS6_bb,"axG",@progbits,_ZN9rocsolver6v33100L18getri_kernel_smallILi2EdPKPdEEvT1_iilPiilS6_bb,comdat
	.globl	_ZN9rocsolver6v33100L18getri_kernel_smallILi2EdPKPdEEvT1_iilPiilS6_bb ; -- Begin function _ZN9rocsolver6v33100L18getri_kernel_smallILi2EdPKPdEEvT1_iilPiilS6_bb
	.p2align	8
	.type	_ZN9rocsolver6v33100L18getri_kernel_smallILi2EdPKPdEEvT1_iilPiilS6_bb,@function
_ZN9rocsolver6v33100L18getri_kernel_smallILi2EdPKPdEEvT1_iilPiilS6_bb: ; @_ZN9rocsolver6v33100L18getri_kernel_smallILi2EdPKPdEEvT1_iilPiilS6_bb
; %bb.0:
	s_mov_b32 s2, exec_lo
	v_cmpx_gt_u32_e32 2, v0
	s_cbranch_execz .LBB65_16
; %bb.1:
	s_clause 0x1
	s_load_b32 s13, s[0:1], 0x38
	s_load_b64 s[2:3], s[0:1], 0x0
	s_mov_b32 s8, s15
	s_load_b128 s[4:7], s[0:1], 0x28
	s_waitcnt lgkmcnt(0)
	s_bitcmp1_b32 s13, 8
	s_cselect_b32 s12, -1, 0
	s_ashr_i32 s9, s15, 31
	s_delay_alu instid0(SALU_CYCLE_1) | instskip(NEXT) | instid1(SALU_CYCLE_1)
	s_lshl_b64 s[10:11], s[8:9], 3
	s_add_u32 s2, s2, s10
	s_addc_u32 s3, s3, s11
	s_load_b64 s[10:11], s[2:3], 0x0
	s_bfe_u32 s2, s13, 0x10008
	s_delay_alu instid0(SALU_CYCLE_1)
	s_cmp_eq_u32 s2, 0
                                        ; implicit-def: $sgpr2_sgpr3
	s_cbranch_scc1 .LBB65_3
; %bb.2:
	s_clause 0x1
	s_load_b32 s2, s[0:1], 0x20
	s_load_b64 s[14:15], s[0:1], 0x18
	s_mul_i32 s3, s8, s5
	s_mul_hi_u32 s5, s8, s4
	s_mul_i32 s16, s9, s4
	s_add_i32 s3, s5, s3
	s_mul_i32 s4, s8, s4
	s_add_i32 s5, s3, s16
	s_delay_alu instid0(SALU_CYCLE_1)
	s_lshl_b64 s[4:5], s[4:5], 2
	s_waitcnt lgkmcnt(0)
	s_ashr_i32 s3, s2, 31
	s_add_u32 s4, s14, s4
	s_addc_u32 s5, s15, s5
	s_lshl_b64 s[2:3], s[2:3], 2
	s_delay_alu instid0(SALU_CYCLE_1)
	s_add_u32 s2, s4, s2
	s_addc_u32 s3, s5, s3
.LBB65_3:
	s_load_b64 s[0:1], s[0:1], 0x8
	v_lshlrev_b32_e32 v11, 3, v0
	s_waitcnt lgkmcnt(0)
	s_ashr_i32 s5, s0, 31
	s_mov_b32 s4, s0
	s_mov_b32 s0, s1
	s_lshl_b64 s[4:5], s[4:5], 3
	s_delay_alu instid0(SALU_CYCLE_1)
	s_add_u32 s4, s10, s4
	s_addc_u32 s5, s11, s5
	v_add_co_u32 v7, s10, s4, v11
	s_ashr_i32 s1, s1, 31
	v_add_co_ci_u32_e64 v8, null, s5, 0, s10
	s_lshl_b64 s[0:1], s[0:1], 3
	s_bitcmp0_b32 s13, 0
	v_add_co_u32 v5, vcc_lo, v7, s0
	s_delay_alu instid0(VALU_DEP_2)
	v_add_co_ci_u32_e32 v6, vcc_lo, s1, v8, vcc_lo
	s_clause 0x1
	global_load_b64 v[1:2], v11, s[4:5]
	global_load_b64 v[3:4], v[5:6], off
	s_mov_b32 s0, -1
	s_cbranch_scc1 .LBB65_14
; %bb.4:
	v_cmp_eq_u32_e64 s0, 0, v0
	s_delay_alu instid0(VALU_DEP_1)
	s_and_saveexec_b32 s1, s0
	s_cbranch_execz .LBB65_6
; %bb.5:
	v_mov_b32_e32 v9, 0
	ds_store_b32 v9, v9 offset:32
.LBB65_6:
	s_or_b32 exec_lo, exec_lo, s1
	v_cmp_eq_u32_e32 vcc_lo, 1, v0
	s_mov_b32 s4, exec_lo
	s_waitcnt vmcnt(0) lgkmcnt(0)
	s_barrier
	buffer_gl0_inv
	v_dual_cndmask_b32 v10, v2, v4 :: v_dual_cndmask_b32 v9, v1, v3
	s_delay_alu instid0(VALU_DEP_1)
	v_cmpx_eq_f64_e32 0, v[9:10]
	s_cbranch_execz .LBB65_10
; %bb.7:
	v_mov_b32_e32 v12, 0
	s_mov_b32 s5, 0
	ds_load_b32 v13, v12 offset:32
	s_waitcnt lgkmcnt(0)
	v_readfirstlane_b32 s1, v13
	v_add_nc_u32_e32 v13, 1, v0
	s_delay_alu instid0(VALU_DEP_2) | instskip(NEXT) | instid1(VALU_DEP_1)
	s_cmp_eq_u32 s1, 0
	v_cmp_gt_i32_e32 vcc_lo, s1, v13
	s_cselect_b32 s10, -1, 0
	s_delay_alu instid0(SALU_CYCLE_1) | instskip(NEXT) | instid1(SALU_CYCLE_1)
	s_or_b32 s10, s10, vcc_lo
	s_and_b32 exec_lo, exec_lo, s10
	s_cbranch_execz .LBB65_10
; %bb.8:
	v_mov_b32_e32 v14, s1
.LBB65_9:                               ; =>This Inner Loop Header: Depth=1
	ds_cmpstore_rtn_b32 v14, v12, v13, v14 offset:32
	s_waitcnt lgkmcnt(0)
	v_cmp_ne_u32_e32 vcc_lo, 0, v14
	v_cmp_le_i32_e64 s1, v14, v13
	s_delay_alu instid0(VALU_DEP_1) | instskip(NEXT) | instid1(SALU_CYCLE_1)
	s_and_b32 s1, vcc_lo, s1
	s_and_b32 s1, exec_lo, s1
	s_delay_alu instid0(SALU_CYCLE_1) | instskip(NEXT) | instid1(SALU_CYCLE_1)
	s_or_b32 s5, s1, s5
	s_and_not1_b32 exec_lo, exec_lo, s5
	s_cbranch_execnz .LBB65_9
.LBB65_10:
	s_or_b32 exec_lo, exec_lo, s4
	v_mov_b32_e32 v12, 0
	s_barrier
	buffer_gl0_inv
	ds_load_b32 v13, v12 offset:32
	s_and_saveexec_b32 s1, s0
	s_cbranch_execz .LBB65_12
; %bb.11:
	s_lshl_b64 s[4:5], s[8:9], 2
	s_delay_alu instid0(SALU_CYCLE_1)
	s_add_u32 s4, s6, s4
	s_addc_u32 s5, s7, s5
	s_waitcnt lgkmcnt(0)
	global_store_b32 v12, v13, s[4:5]
.LBB65_12:
	s_or_b32 exec_lo, exec_lo, s1
	s_waitcnt lgkmcnt(0)
	v_cmp_ne_u32_e32 vcc_lo, 0, v13
	s_cbranch_vccz .LBB65_17
; %bb.13:
	s_mov_b32 s0, 0
                                        ; implicit-def: $vgpr1_vgpr2_vgpr3_vgpr4
.LBB65_14:
	s_delay_alu instid0(SALU_CYCLE_1)
	s_and_b32 vcc_lo, exec_lo, s0
	s_cbranch_vccz .LBB65_16
.LBB65_15:
	s_lshl_b64 s[0:1], s[8:9], 2
	v_mov_b32_e32 v9, 0
	s_add_u32 s0, s6, s0
	s_addc_u32 s1, s7, s1
	global_load_b32 v9, v9, s[0:1]
	s_waitcnt vmcnt(0)
	v_cmp_ne_u32_e32 vcc_lo, 0, v9
	s_cbranch_vccz .LBB65_20
.LBB65_16:
	s_nop 0
	s_sendmsg sendmsg(MSG_DEALLOC_VGPRS)
	s_endpgm
.LBB65_17:
	v_div_scale_f64 v[12:13], null, v[9:10], v[9:10], 1.0
	v_div_scale_f64 v[18:19], vcc_lo, 1.0, v[9:10], 1.0
	s_delay_alu instid0(VALU_DEP_2) | instskip(SKIP_2) | instid1(VALU_DEP_1)
	v_rcp_f64_e32 v[14:15], v[12:13]
	s_waitcnt_depctr 0xfff
	v_fma_f64 v[16:17], -v[12:13], v[14:15], 1.0
	v_fma_f64 v[14:15], v[14:15], v[16:17], v[14:15]
	s_delay_alu instid0(VALU_DEP_1) | instskip(NEXT) | instid1(VALU_DEP_1)
	v_fma_f64 v[16:17], -v[12:13], v[14:15], 1.0
	v_fma_f64 v[14:15], v[14:15], v[16:17], v[14:15]
	s_delay_alu instid0(VALU_DEP_1) | instskip(NEXT) | instid1(VALU_DEP_1)
	v_mul_f64 v[16:17], v[18:19], v[14:15]
	v_fma_f64 v[12:13], -v[12:13], v[16:17], v[18:19]
	s_delay_alu instid0(VALU_DEP_1) | instskip(SKIP_1) | instid1(VALU_DEP_2)
	v_div_fmas_f64 v[12:13], v[12:13], v[14:15], v[16:17]
	v_cmp_eq_u32_e32 vcc_lo, 1, v0
	v_div_fixup_f64 v[9:10], v[12:13], v[9:10], 1.0
	s_delay_alu instid0(VALU_DEP_1)
	v_dual_cndmask_b32 v4, v4, v10 :: v_dual_cndmask_b32 v3, v3, v9
	v_cmp_eq_u32_e32 vcc_lo, 0, v0
	v_dual_cndmask_b32 v2, v2, v10 :: v_dual_cndmask_b32 v1, v1, v9
	v_xor_b32_e32 v10, 0x80000000, v10
	ds_store_2addr_b64 v11, v[9:10], v[3:4] offset1:2
	s_waitcnt lgkmcnt(0)
	s_waitcnt_vscnt null, 0x0
	s_barrier
	buffer_gl0_inv
	s_and_saveexec_b32 s1, s0
	s_cbranch_execz .LBB65_19
; %bb.18:
	v_mov_b32_e32 v3, 0
	ds_load_2addr_b64 v[9:12], v3 offset0:1 offset1:2
	s_waitcnt lgkmcnt(0)
	v_fma_f64 v[3:4], v[1:2], v[11:12], 0
	s_delay_alu instid0(VALU_DEP_1)
	v_mul_f64 v[3:4], v[3:4], v[9:10]
.LBB65_19:
	s_or_b32 exec_lo, exec_lo, s1
	s_barrier
	buffer_gl0_inv
	s_cbranch_execnz .LBB65_15
	s_branch .LBB65_16
.LBB65_20:
	s_mov_b32 s0, exec_lo
	v_cmpx_eq_u32_e32 1, v0
	s_cbranch_execz .LBB65_22
; %bb.21:
	s_mov_b32 s1, 0
	v_dual_mov_b32 v12, v4 :: v_dual_mov_b32 v11, v3
	v_dual_mov_b32 v10, v2 :: v_dual_mov_b32 v9, v1
	;; [unrolled: 1-line block ×3, first 2 shown]
	v_mov_b32_e32 v10, s1
	ds_store_b64 v0, v[1:2] offset:24
	v_dual_mov_b32 v1, v9 :: v_dual_mov_b32 v2, v10
	v_dual_mov_b32 v3, v11 :: v_dual_mov_b32 v4, v12
.LBB65_22:
	s_or_b32 exec_lo, exec_lo, s0
	v_mov_b32_e32 v0, 0
	s_waitcnt lgkmcnt(0)
	s_waitcnt_vscnt null, 0x0
	s_barrier
	buffer_gl0_inv
	s_and_not1_b32 vcc_lo, exec_lo, s12
	ds_load_b64 v[9:10], v0 offset:24
	s_waitcnt lgkmcnt(0)
	v_fma_f64 v[9:10], v[3:4], v[9:10], 0
	s_delay_alu instid0(VALU_DEP_1)
	v_add_f64 v[1:2], v[1:2], -v[9:10]
	s_cbranch_vccnz .LBB65_24
; %bb.23:
	v_dual_mov_b32 v10, s3 :: v_dual_mov_b32 v9, s2
	flat_load_b32 v0, v[9:10]
	s_waitcnt vmcnt(0) lgkmcnt(0)
	v_add_nc_u32_e32 v0, -1, v0
	s_delay_alu instid0(VALU_DEP_1) | instskip(SKIP_4) | instid1(VALU_DEP_2)
	v_cmp_eq_u32_e32 vcc_lo, 1, v0
	v_cndmask_b32_e32 v11, v4, v2, vcc_lo
	v_dual_cndmask_b32 v9, v2, v4 :: v_dual_cndmask_b32 v10, v1, v3
	v_cmp_eq_u32_e64 s0, 0, v0
	v_cndmask_b32_e32 v0, v3, v1, vcc_lo
	v_cndmask_b32_e64 v10, v10, v1, s0
	s_delay_alu instid0(VALU_DEP_4) | instskip(SKIP_1) | instid1(VALU_DEP_4)
	v_cndmask_b32_e64 v9, v9, v2, s0
	v_cndmask_b32_e64 v4, v11, v4, s0
	;; [unrolled: 1-line block ×3, first 2 shown]
	s_delay_alu instid0(VALU_DEP_4) | instskip(NEXT) | instid1(VALU_DEP_4)
	v_cndmask_b32_e64 v1, v10, v1, s0
	v_cndmask_b32_e64 v2, v9, v2, s0
.LBB65_24:
	s_clause 0x1
	global_store_b64 v[7:8], v[1:2], off
	global_store_b64 v[5:6], v[3:4], off
	s_nop 0
	s_sendmsg sendmsg(MSG_DEALLOC_VGPRS)
	s_endpgm
	.section	.rodata,"a",@progbits
	.p2align	6, 0x0
	.amdhsa_kernel _ZN9rocsolver6v33100L18getri_kernel_smallILi2EdPKPdEEvT1_iilPiilS6_bb
		.amdhsa_group_segment_fixed_size 40
		.amdhsa_private_segment_fixed_size 0
		.amdhsa_kernarg_size 60
		.amdhsa_user_sgpr_count 15
		.amdhsa_user_sgpr_dispatch_ptr 0
		.amdhsa_user_sgpr_queue_ptr 0
		.amdhsa_user_sgpr_kernarg_segment_ptr 1
		.amdhsa_user_sgpr_dispatch_id 0
		.amdhsa_user_sgpr_private_segment_size 0
		.amdhsa_wavefront_size32 1
		.amdhsa_uses_dynamic_stack 0
		.amdhsa_enable_private_segment 0
		.amdhsa_system_sgpr_workgroup_id_x 1
		.amdhsa_system_sgpr_workgroup_id_y 0
		.amdhsa_system_sgpr_workgroup_id_z 0
		.amdhsa_system_sgpr_workgroup_info 0
		.amdhsa_system_vgpr_workitem_id 0
		.amdhsa_next_free_vgpr 20
		.amdhsa_next_free_sgpr 17
		.amdhsa_reserve_vcc 1
		.amdhsa_float_round_mode_32 0
		.amdhsa_float_round_mode_16_64 0
		.amdhsa_float_denorm_mode_32 3
		.amdhsa_float_denorm_mode_16_64 3
		.amdhsa_dx10_clamp 1
		.amdhsa_ieee_mode 1
		.amdhsa_fp16_overflow 0
		.amdhsa_workgroup_processor_mode 1
		.amdhsa_memory_ordered 1
		.amdhsa_forward_progress 0
		.amdhsa_shared_vgpr_count 0
		.amdhsa_exception_fp_ieee_invalid_op 0
		.amdhsa_exception_fp_denorm_src 0
		.amdhsa_exception_fp_ieee_div_zero 0
		.amdhsa_exception_fp_ieee_overflow 0
		.amdhsa_exception_fp_ieee_underflow 0
		.amdhsa_exception_fp_ieee_inexact 0
		.amdhsa_exception_int_div_zero 0
	.end_amdhsa_kernel
	.section	.text._ZN9rocsolver6v33100L18getri_kernel_smallILi2EdPKPdEEvT1_iilPiilS6_bb,"axG",@progbits,_ZN9rocsolver6v33100L18getri_kernel_smallILi2EdPKPdEEvT1_iilPiilS6_bb,comdat
.Lfunc_end65:
	.size	_ZN9rocsolver6v33100L18getri_kernel_smallILi2EdPKPdEEvT1_iilPiilS6_bb, .Lfunc_end65-_ZN9rocsolver6v33100L18getri_kernel_smallILi2EdPKPdEEvT1_iilPiilS6_bb
                                        ; -- End function
	.section	.AMDGPU.csdata,"",@progbits
; Kernel info:
; codeLenInByte = 1160
; NumSgprs: 19
; NumVgprs: 20
; ScratchSize: 0
; MemoryBound: 0
; FloatMode: 240
; IeeeMode: 1
; LDSByteSize: 40 bytes/workgroup (compile time only)
; SGPRBlocks: 2
; VGPRBlocks: 2
; NumSGPRsForWavesPerEU: 19
; NumVGPRsForWavesPerEU: 20
; Occupancy: 16
; WaveLimiterHint : 1
; COMPUTE_PGM_RSRC2:SCRATCH_EN: 0
; COMPUTE_PGM_RSRC2:USER_SGPR: 15
; COMPUTE_PGM_RSRC2:TRAP_HANDLER: 0
; COMPUTE_PGM_RSRC2:TGID_X_EN: 1
; COMPUTE_PGM_RSRC2:TGID_Y_EN: 0
; COMPUTE_PGM_RSRC2:TGID_Z_EN: 0
; COMPUTE_PGM_RSRC2:TIDIG_COMP_CNT: 0
	.section	.text._ZN9rocsolver6v33100L18getri_kernel_smallILi3EdPKPdEEvT1_iilPiilS6_bb,"axG",@progbits,_ZN9rocsolver6v33100L18getri_kernel_smallILi3EdPKPdEEvT1_iilPiilS6_bb,comdat
	.globl	_ZN9rocsolver6v33100L18getri_kernel_smallILi3EdPKPdEEvT1_iilPiilS6_bb ; -- Begin function _ZN9rocsolver6v33100L18getri_kernel_smallILi3EdPKPdEEvT1_iilPiilS6_bb
	.p2align	8
	.type	_ZN9rocsolver6v33100L18getri_kernel_smallILi3EdPKPdEEvT1_iilPiilS6_bb,@function
_ZN9rocsolver6v33100L18getri_kernel_smallILi3EdPKPdEEvT1_iilPiilS6_bb: ; @_ZN9rocsolver6v33100L18getri_kernel_smallILi3EdPKPdEEvT1_iilPiilS6_bb
; %bb.0:
	s_mov_b32 s2, exec_lo
	v_cmpx_gt_u32_e32 3, v0
	s_cbranch_execz .LBB66_16
; %bb.1:
	s_clause 0x1
	s_load_b32 s13, s[0:1], 0x38
	s_load_b64 s[2:3], s[0:1], 0x0
	s_mov_b32 s10, s15
	s_load_b128 s[4:7], s[0:1], 0x28
	s_waitcnt lgkmcnt(0)
	s_bitcmp1_b32 s13, 8
	s_cselect_b32 s12, -1, 0
	s_ashr_i32 s11, s15, 31
	s_delay_alu instid0(SALU_CYCLE_1) | instskip(NEXT) | instid1(SALU_CYCLE_1)
	s_lshl_b64 s[8:9], s[10:11], 3
	s_add_u32 s2, s2, s8
	s_addc_u32 s3, s3, s9
	s_bfe_u32 s8, s13, 0x10008
	s_load_b64 s[2:3], s[2:3], 0x0
	s_cmp_eq_u32 s8, 0
                                        ; implicit-def: $sgpr8_sgpr9
	s_cbranch_scc1 .LBB66_3
; %bb.2:
	s_clause 0x1
	s_load_b32 s8, s[0:1], 0x20
	s_load_b64 s[14:15], s[0:1], 0x18
	s_mul_i32 s5, s10, s5
	s_mul_hi_u32 s9, s10, s4
	s_mul_i32 s16, s11, s4
	s_add_i32 s5, s9, s5
	s_mul_i32 s4, s10, s4
	s_add_i32 s5, s5, s16
	s_delay_alu instid0(SALU_CYCLE_1)
	s_lshl_b64 s[4:5], s[4:5], 2
	s_waitcnt lgkmcnt(0)
	s_ashr_i32 s9, s8, 31
	s_add_u32 s14, s14, s4
	s_addc_u32 s15, s15, s5
	s_lshl_b64 s[4:5], s[8:9], 2
	s_delay_alu instid0(SALU_CYCLE_1)
	s_add_u32 s8, s14, s4
	s_addc_u32 s9, s15, s5
.LBB66_3:
	s_load_b64 s[0:1], s[0:1], 0x8
	v_lshlrev_b32_e32 v15, 3, v0
	s_waitcnt lgkmcnt(0)
	v_add3_u32 v1, s1, s1, v0
	s_ashr_i32 s5, s0, 31
	s_mov_b32 s4, s0
	s_mov_b32 s0, s1
	s_lshl_b64 s[4:5], s[4:5], 3
	v_ashrrev_i32_e32 v2, 31, v1
	s_add_u32 s2, s2, s4
	s_addc_u32 s3, s3, s5
	v_add_co_u32 v9, s4, s2, v15
	s_ashr_i32 s1, s1, 31
	v_add_co_ci_u32_e64 v10, null, s3, 0, s4
	v_lshlrev_b64 v[1:2], 3, v[1:2]
	s_lshl_b64 s[0:1], s[0:1], 3
	s_bitcmp0_b32 s13, 0
	v_add_co_u32 v11, vcc_lo, v9, s0
	v_add_co_ci_u32_e32 v12, vcc_lo, s1, v10, vcc_lo
	s_delay_alu instid0(VALU_DEP_3)
	v_add_co_u32 v7, vcc_lo, s2, v1
	v_add_co_ci_u32_e32 v8, vcc_lo, s3, v2, vcc_lo
	s_clause 0x2
	global_load_b64 v[3:4], v[11:12], off
	global_load_b64 v[1:2], v15, s[2:3]
	global_load_b64 v[5:6], v[7:8], off
	s_mov_b32 s0, -1
	s_cbranch_scc1 .LBB66_14
; %bb.4:
	v_cmp_eq_u32_e64 s0, 0, v0
	s_delay_alu instid0(VALU_DEP_1)
	s_and_saveexec_b32 s1, s0
	s_cbranch_execz .LBB66_6
; %bb.5:
	v_mov_b32_e32 v13, 0
	ds_store_b32 v13, v13 offset:24
.LBB66_6:
	s_or_b32 exec_lo, exec_lo, s1
	v_cmp_eq_u32_e32 vcc_lo, 1, v0
	s_mov_b32 s2, exec_lo
	s_waitcnt vmcnt(0) lgkmcnt(0)
	s_barrier
	buffer_gl0_inv
	v_dual_cndmask_b32 v13, v2, v4 :: v_dual_cndmask_b32 v16, v1, v3
	v_cmp_eq_u32_e32 vcc_lo, 2, v0
	s_delay_alu instid0(VALU_DEP_2) | instskip(NEXT) | instid1(VALU_DEP_1)
	v_dual_cndmask_b32 v14, v13, v6 :: v_dual_cndmask_b32 v13, v16, v5
	v_cmpx_eq_f64_e32 0, v[13:14]
	s_cbranch_execz .LBB66_10
; %bb.7:
	v_mov_b32_e32 v16, 0
	s_mov_b32 s3, 0
	ds_load_b32 v17, v16 offset:24
	s_waitcnt lgkmcnt(0)
	v_readfirstlane_b32 s1, v17
	v_add_nc_u32_e32 v17, 1, v0
	s_delay_alu instid0(VALU_DEP_2) | instskip(NEXT) | instid1(VALU_DEP_1)
	s_cmp_eq_u32 s1, 0
	v_cmp_gt_i32_e32 vcc_lo, s1, v17
	s_cselect_b32 s4, -1, 0
	s_delay_alu instid0(SALU_CYCLE_1) | instskip(NEXT) | instid1(SALU_CYCLE_1)
	s_or_b32 s4, s4, vcc_lo
	s_and_b32 exec_lo, exec_lo, s4
	s_cbranch_execz .LBB66_10
; %bb.8:
	v_mov_b32_e32 v18, s1
.LBB66_9:                               ; =>This Inner Loop Header: Depth=1
	ds_cmpstore_rtn_b32 v18, v16, v17, v18 offset:24
	s_waitcnt lgkmcnt(0)
	v_cmp_ne_u32_e32 vcc_lo, 0, v18
	v_cmp_le_i32_e64 s1, v18, v17
	s_delay_alu instid0(VALU_DEP_1) | instskip(NEXT) | instid1(SALU_CYCLE_1)
	s_and_b32 s1, vcc_lo, s1
	s_and_b32 s1, exec_lo, s1
	s_delay_alu instid0(SALU_CYCLE_1) | instskip(NEXT) | instid1(SALU_CYCLE_1)
	s_or_b32 s3, s1, s3
	s_and_not1_b32 exec_lo, exec_lo, s3
	s_cbranch_execnz .LBB66_9
.LBB66_10:
	s_or_b32 exec_lo, exec_lo, s2
	v_mov_b32_e32 v16, 0
	s_barrier
	buffer_gl0_inv
	ds_load_b32 v17, v16 offset:24
	s_and_saveexec_b32 s1, s0
	s_cbranch_execz .LBB66_12
; %bb.11:
	s_lshl_b64 s[2:3], s[10:11], 2
	s_delay_alu instid0(SALU_CYCLE_1)
	s_add_u32 s2, s6, s2
	s_addc_u32 s3, s7, s3
	s_waitcnt lgkmcnt(0)
	global_store_b32 v16, v17, s[2:3]
.LBB66_12:
	s_or_b32 exec_lo, exec_lo, s1
	s_waitcnt lgkmcnt(0)
	v_cmp_ne_u32_e32 vcc_lo, 0, v17
	s_cbranch_vccz .LBB66_17
; %bb.13:
	s_mov_b32 s0, 0
                                        ; implicit-def: $vgpr1_vgpr2_vgpr3_vgpr4_vgpr5_vgpr6
.LBB66_14:
	s_delay_alu instid0(SALU_CYCLE_1)
	s_and_b32 vcc_lo, exec_lo, s0
	s_cbranch_vccz .LBB66_16
.LBB66_15:
	s_lshl_b64 s[0:1], s[10:11], 2
	v_mov_b32_e32 v13, 0
	s_add_u32 s0, s6, s0
	s_addc_u32 s1, s7, s1
	global_load_b32 v13, v13, s[0:1]
	s_waitcnt vmcnt(0)
	v_cmp_ne_u32_e32 vcc_lo, 0, v13
	s_cbranch_vccz .LBB66_24
.LBB66_16:
	s_nop 0
	s_sendmsg sendmsg(MSG_DEALLOC_VGPRS)
	s_endpgm
.LBB66_17:
	v_div_scale_f64 v[16:17], null, v[13:14], v[13:14], 1.0
	v_div_scale_f64 v[22:23], vcc_lo, 1.0, v[13:14], 1.0
	v_cmp_eq_u32_e64 s1, 0, v0
	v_cmp_eq_u32_e64 s2, 2, v0
	s_delay_alu instid0(VALU_DEP_4) | instskip(SKIP_2) | instid1(VALU_DEP_1)
	v_rcp_f64_e32 v[18:19], v[16:17]
	s_waitcnt_depctr 0xfff
	v_fma_f64 v[20:21], -v[16:17], v[18:19], 1.0
	v_fma_f64 v[18:19], v[18:19], v[20:21], v[18:19]
	s_delay_alu instid0(VALU_DEP_1) | instskip(NEXT) | instid1(VALU_DEP_1)
	v_fma_f64 v[20:21], -v[16:17], v[18:19], 1.0
	v_fma_f64 v[18:19], v[18:19], v[20:21], v[18:19]
	s_delay_alu instid0(VALU_DEP_1) | instskip(NEXT) | instid1(VALU_DEP_1)
	v_mul_f64 v[20:21], v[22:23], v[18:19]
	v_fma_f64 v[16:17], -v[16:17], v[20:21], v[22:23]
	s_delay_alu instid0(VALU_DEP_1) | instskip(SKIP_1) | instid1(VALU_DEP_2)
	v_div_fmas_f64 v[16:17], v[16:17], v[18:19], v[20:21]
	v_cmp_eq_u32_e32 vcc_lo, 1, v0
	v_div_fixup_f64 v[13:14], v[16:17], v[13:14], 1.0
	s_delay_alu instid0(VALU_DEP_1) | instskip(NEXT) | instid1(VALU_DEP_2)
	v_dual_cndmask_b32 v3, v3, v13 :: v_dual_add_nc_u32 v16, 32, v15
	v_dual_cndmask_b32 v4, v4, v14 :: v_dual_mov_b32 v17, v13
	v_xor_b32_e32 v18, 0x80000000, v14
	v_cndmask_b32_e64 v6, v6, v14, s2
	v_cndmask_b32_e64 v5, v5, v13, s2
	;; [unrolled: 1-line block ×4, first 2 shown]
	ds_store_2addr_b64 v15, v[17:18], v[3:4] offset1:4
	s_waitcnt lgkmcnt(0)
	s_waitcnt_vscnt null, 0x0
	s_barrier
	buffer_gl0_inv
	s_and_saveexec_b32 s1, s0
	s_cbranch_execz .LBB66_19
; %bb.18:
	ds_load_b64 v[3:4], v16
	v_mov_b32_e32 v15, 0
	ds_load_b64 v[17:18], v15 offset:8
	s_waitcnt lgkmcnt(1)
	v_fma_f64 v[3:4], v[13:14], v[3:4], 0
	s_waitcnt lgkmcnt(0)
	s_delay_alu instid0(VALU_DEP_1)
	v_mul_f64 v[3:4], v[3:4], v[17:18]
.LBB66_19:
	s_or_b32 exec_lo, exec_lo, s1
	s_delay_alu instid0(SALU_CYCLE_1)
	s_mov_b32 s1, exec_lo
	s_barrier
	buffer_gl0_inv
	ds_store_b64 v16, v[5:6]
	s_waitcnt lgkmcnt(0)
	s_barrier
	buffer_gl0_inv
	v_cmpx_ne_u32_e32 2, v0
	s_cbranch_execz .LBB66_23
; %bb.20:
	ds_load_b64 v[13:14], v16
	v_cmp_eq_u32_e32 vcc_lo, 1, v0
	v_dual_cndmask_b32 v15, v2, v4 :: v_dual_cndmask_b32 v16, v1, v3
	v_cmp_eq_u32_e32 vcc_lo, 2, v0
	s_delay_alu instid0(VALU_DEP_2) | instskip(SKIP_1) | instid1(VALU_DEP_1)
	v_dual_cndmask_b32 v6, v15, v6 :: v_dual_cndmask_b32 v5, v16, v5
	s_waitcnt lgkmcnt(0)
	v_fma_f64 v[5:6], v[5:6], v[13:14], 0
	s_and_saveexec_b32 s2, s0
	s_cbranch_execz .LBB66_22
; %bb.21:
	v_mov_b32_e32 v13, 0
	ds_load_b64 v[13:14], v13 offset:40
	s_waitcnt lgkmcnt(0)
	v_fma_f64 v[5:6], v[3:4], v[13:14], v[5:6]
.LBB66_22:
	s_or_b32 exec_lo, exec_lo, s2
	v_mov_b32_e32 v13, 0
	ds_load_b64 v[13:14], v13 offset:16
	s_waitcnt lgkmcnt(0)
	v_mul_f64 v[5:6], v[5:6], v[13:14]
.LBB66_23:
	s_or_b32 exec_lo, exec_lo, s1
	s_barrier
	buffer_gl0_inv
	s_cbranch_execnz .LBB66_15
	s_branch .LBB66_16
.LBB66_24:
	v_lshl_add_u32 v13, v0, 3, 32
	s_mov_b32 s0, exec_lo
	v_cmpx_eq_u32_e32 2, v0
	s_cbranch_execz .LBB66_26
; %bb.25:
	s_mov_b32 s1, 0
	v_dual_mov_b32 v19, v6 :: v_dual_mov_b32 v18, v5
	v_dual_mov_b32 v17, v4 :: v_dual_mov_b32 v16, v3
	;; [unrolled: 1-line block ×4, first 2 shown]
	ds_store_b64 v13, v[3:4]
	v_dual_mov_b32 v1, v14 :: v_dual_mov_b32 v2, v15
	v_dual_mov_b32 v3, v16 :: v_dual_mov_b32 v4, v17
	;; [unrolled: 1-line block ×3, first 2 shown]
.LBB66_26:
	s_or_b32 exec_lo, exec_lo, s0
	v_mov_b32_e32 v14, 0
	s_waitcnt lgkmcnt(0)
	s_waitcnt_vscnt null, 0x0
	s_barrier
	buffer_gl0_inv
	s_mov_b32 s1, 0
	ds_load_b64 v[15:16], v14 offset:48
	s_mov_b32 s0, exec_lo
	s_waitcnt lgkmcnt(0)
	v_fma_f64 v[15:16], v[5:6], v[15:16], 0
	s_delay_alu instid0(VALU_DEP_1)
	v_add_f64 v[3:4], v[3:4], -v[15:16]
	v_cmpx_ne_u32_e32 0, v0
	s_cbranch_execz .LBB66_28
; %bb.27:
	v_dual_mov_b32 v20, v6 :: v_dual_mov_b32 v19, v5
	v_dual_mov_b32 v16, v2 :: v_dual_mov_b32 v15, v1
	;; [unrolled: 1-line block ×4, first 2 shown]
	ds_store_b64 v13, v[1:2]
	v_dual_mov_b32 v1, v15 :: v_dual_mov_b32 v2, v16
	v_dual_mov_b32 v4, v18 :: v_dual_mov_b32 v3, v17
	;; [unrolled: 1-line block ×3, first 2 shown]
.LBB66_28:
	s_or_b32 exec_lo, exec_lo, s0
	s_waitcnt lgkmcnt(0)
	s_barrier
	buffer_gl0_inv
	ds_load_2addr_b64 v[13:16], v14 offset0:5 offset1:6
	s_and_b32 vcc_lo, exec_lo, s12
	s_waitcnt lgkmcnt(0)
	v_fma_f64 v[13:14], v[3:4], v[13:14], 0
	s_delay_alu instid0(VALU_DEP_1) | instskip(NEXT) | instid1(VALU_DEP_1)
	v_fma_f64 v[13:14], v[5:6], v[15:16], v[13:14]
	v_add_f64 v[1:2], v[1:2], -v[13:14]
	s_cbranch_vccz .LBB66_34
; %bb.29:
	v_dual_mov_b32 v14, s9 :: v_dual_mov_b32 v13, s8
	s_mov_b32 s2, exec_lo
	flat_load_b32 v0, v[13:14] offset:4
	s_waitcnt vmcnt(0) lgkmcnt(0)
	v_add_nc_u32_e32 v0, -1, v0
	s_delay_alu instid0(VALU_DEP_1)
	v_cmpx_ne_u32_e32 1, v0
	s_cbranch_execz .LBB66_31
; %bb.30:
	v_cmp_eq_u32_e32 vcc_lo, 1, v0
	v_cmp_eq_u32_e64 s0, 2, v0
	v_cmp_eq_u32_e64 s1, 0, v0
	v_dual_cndmask_b32 v13, v1, v3 :: v_dual_cndmask_b32 v14, v2, v4
	s_delay_alu instid0(VALU_DEP_3) | instskip(SKIP_1) | instid1(VALU_DEP_3)
	v_cndmask_b32_e64 v18, v6, v4, s0
	v_cndmask_b32_e64 v17, v5, v3, s0
	;; [unrolled: 1-line block ×3, first 2 shown]
	s_delay_alu instid0(VALU_DEP_4) | instskip(SKIP_1) | instid1(VALU_DEP_2)
	v_cndmask_b32_e64 v16, v14, v6, s0
	v_cndmask_b32_e64 v14, v2, v4, s1
	v_dual_cndmask_b32 v15, v13, v3 :: v_dual_cndmask_b32 v16, v16, v4
	v_cndmask_b32_e64 v13, v1, v3, s1
	s_delay_alu instid0(VALU_DEP_1) | instskip(NEXT) | instid1(VALU_DEP_3)
	v_dual_mov_b32 v1, v13 :: v_dual_mov_b32 v2, v14
	v_dual_mov_b32 v3, v15 :: v_dual_mov_b32 v4, v16
	;; [unrolled: 1-line block ×3, first 2 shown]
.LBB66_31:
	s_or_b32 exec_lo, exec_lo, s2
	v_dual_mov_b32 v14, s9 :: v_dual_mov_b32 v13, s8
	s_mov_b32 s2, exec_lo
	flat_load_b32 v0, v[13:14]
	s_waitcnt vmcnt(0) lgkmcnt(0)
	v_add_nc_u32_e32 v0, -1, v0
	s_delay_alu instid0(VALU_DEP_1)
	v_cmpx_ne_u32_e32 0, v0
	s_cbranch_execz .LBB66_33
; %bb.32:
	v_cmp_eq_u32_e32 vcc_lo, 1, v0
	v_cmp_eq_u32_e64 s0, 2, v0
	v_cmp_eq_u32_e64 s1, 0, v0
	v_dual_cndmask_b32 v13, v1, v3 :: v_dual_cndmask_b32 v14, v2, v4
	s_delay_alu instid0(VALU_DEP_3) | instskip(SKIP_2) | instid1(VALU_DEP_4)
	v_cndmask_b32_e64 v18, v6, v2, s0
	v_cndmask_b32_e64 v17, v5, v1, s0
	v_dual_cndmask_b32 v16, v4, v2 :: v_dual_cndmask_b32 v15, v3, v1
	v_cndmask_b32_e64 v13, v13, v5, s0
	v_cndmask_b32_e64 v14, v14, v6, s0
	s_delay_alu instid0(VALU_DEP_2) | instskip(NEXT) | instid1(VALU_DEP_2)
	v_cndmask_b32_e64 v13, v13, v1, s1
	v_cndmask_b32_e64 v14, v14, v2, s1
	s_delay_alu instid0(VALU_DEP_1)
	v_dual_mov_b32 v1, v13 :: v_dual_mov_b32 v2, v14
	v_dual_mov_b32 v3, v15 :: v_dual_mov_b32 v4, v16
	;; [unrolled: 1-line block ×3, first 2 shown]
.LBB66_33:
	s_or_b32 exec_lo, exec_lo, s2
.LBB66_34:
	s_clause 0x2
	global_store_b64 v[9:10], v[1:2], off
	global_store_b64 v[11:12], v[3:4], off
	;; [unrolled: 1-line block ×3, first 2 shown]
	s_nop 0
	s_sendmsg sendmsg(MSG_DEALLOC_VGPRS)
	s_endpgm
	.section	.rodata,"a",@progbits
	.p2align	6, 0x0
	.amdhsa_kernel _ZN9rocsolver6v33100L18getri_kernel_smallILi3EdPKPdEEvT1_iilPiilS6_bb
		.amdhsa_group_segment_fixed_size 56
		.amdhsa_private_segment_fixed_size 0
		.amdhsa_kernarg_size 60
		.amdhsa_user_sgpr_count 15
		.amdhsa_user_sgpr_dispatch_ptr 0
		.amdhsa_user_sgpr_queue_ptr 0
		.amdhsa_user_sgpr_kernarg_segment_ptr 1
		.amdhsa_user_sgpr_dispatch_id 0
		.amdhsa_user_sgpr_private_segment_size 0
		.amdhsa_wavefront_size32 1
		.amdhsa_uses_dynamic_stack 0
		.amdhsa_enable_private_segment 0
		.amdhsa_system_sgpr_workgroup_id_x 1
		.amdhsa_system_sgpr_workgroup_id_y 0
		.amdhsa_system_sgpr_workgroup_id_z 0
		.amdhsa_system_sgpr_workgroup_info 0
		.amdhsa_system_vgpr_workitem_id 0
		.amdhsa_next_free_vgpr 24
		.amdhsa_next_free_sgpr 17
		.amdhsa_reserve_vcc 1
		.amdhsa_float_round_mode_32 0
		.amdhsa_float_round_mode_16_64 0
		.amdhsa_float_denorm_mode_32 3
		.amdhsa_float_denorm_mode_16_64 3
		.amdhsa_dx10_clamp 1
		.amdhsa_ieee_mode 1
		.amdhsa_fp16_overflow 0
		.amdhsa_workgroup_processor_mode 1
		.amdhsa_memory_ordered 1
		.amdhsa_forward_progress 0
		.amdhsa_shared_vgpr_count 0
		.amdhsa_exception_fp_ieee_invalid_op 0
		.amdhsa_exception_fp_denorm_src 0
		.amdhsa_exception_fp_ieee_div_zero 0
		.amdhsa_exception_fp_ieee_overflow 0
		.amdhsa_exception_fp_ieee_underflow 0
		.amdhsa_exception_fp_ieee_inexact 0
		.amdhsa_exception_int_div_zero 0
	.end_amdhsa_kernel
	.section	.text._ZN9rocsolver6v33100L18getri_kernel_smallILi3EdPKPdEEvT1_iilPiilS6_bb,"axG",@progbits,_ZN9rocsolver6v33100L18getri_kernel_smallILi3EdPKPdEEvT1_iilPiilS6_bb,comdat
.Lfunc_end66:
	.size	_ZN9rocsolver6v33100L18getri_kernel_smallILi3EdPKPdEEvT1_iilPiilS6_bb, .Lfunc_end66-_ZN9rocsolver6v33100L18getri_kernel_smallILi3EdPKPdEEvT1_iilPiilS6_bb
                                        ; -- End function
	.section	.AMDGPU.csdata,"",@progbits
; Kernel info:
; codeLenInByte = 1808
; NumSgprs: 19
; NumVgprs: 24
; ScratchSize: 0
; MemoryBound: 0
; FloatMode: 240
; IeeeMode: 1
; LDSByteSize: 56 bytes/workgroup (compile time only)
; SGPRBlocks: 2
; VGPRBlocks: 2
; NumSGPRsForWavesPerEU: 19
; NumVGPRsForWavesPerEU: 24
; Occupancy: 16
; WaveLimiterHint : 1
; COMPUTE_PGM_RSRC2:SCRATCH_EN: 0
; COMPUTE_PGM_RSRC2:USER_SGPR: 15
; COMPUTE_PGM_RSRC2:TRAP_HANDLER: 0
; COMPUTE_PGM_RSRC2:TGID_X_EN: 1
; COMPUTE_PGM_RSRC2:TGID_Y_EN: 0
; COMPUTE_PGM_RSRC2:TGID_Z_EN: 0
; COMPUTE_PGM_RSRC2:TIDIG_COMP_CNT: 0
	.section	.text._ZN9rocsolver6v33100L18getri_kernel_smallILi4EdPKPdEEvT1_iilPiilS6_bb,"axG",@progbits,_ZN9rocsolver6v33100L18getri_kernel_smallILi4EdPKPdEEvT1_iilPiilS6_bb,comdat
	.globl	_ZN9rocsolver6v33100L18getri_kernel_smallILi4EdPKPdEEvT1_iilPiilS6_bb ; -- Begin function _ZN9rocsolver6v33100L18getri_kernel_smallILi4EdPKPdEEvT1_iilPiilS6_bb
	.p2align	8
	.type	_ZN9rocsolver6v33100L18getri_kernel_smallILi4EdPKPdEEvT1_iilPiilS6_bb,@function
_ZN9rocsolver6v33100L18getri_kernel_smallILi4EdPKPdEEvT1_iilPiilS6_bb: ; @_ZN9rocsolver6v33100L18getri_kernel_smallILi4EdPKPdEEvT1_iilPiilS6_bb
; %bb.0:
	s_mov_b32 s2, exec_lo
	v_cmpx_gt_u32_e32 4, v0
	s_cbranch_execz .LBB67_16
; %bb.1:
	s_clause 0x1
	s_load_b32 s13, s[0:1], 0x38
	s_load_b64 s[2:3], s[0:1], 0x0
	s_mov_b32 s10, s15
	s_load_b128 s[4:7], s[0:1], 0x28
	s_waitcnt lgkmcnt(0)
	s_bitcmp1_b32 s13, 8
	s_cselect_b32 s12, -1, 0
	s_ashr_i32 s11, s15, 31
	s_delay_alu instid0(SALU_CYCLE_1) | instskip(NEXT) | instid1(SALU_CYCLE_1)
	s_lshl_b64 s[8:9], s[10:11], 3
	s_add_u32 s2, s2, s8
	s_addc_u32 s3, s3, s9
	s_bfe_u32 s8, s13, 0x10008
	s_load_b64 s[2:3], s[2:3], 0x0
	s_cmp_eq_u32 s8, 0
                                        ; implicit-def: $sgpr8_sgpr9
	s_cbranch_scc1 .LBB67_3
; %bb.2:
	s_clause 0x1
	s_load_b32 s8, s[0:1], 0x20
	s_load_b64 s[14:15], s[0:1], 0x18
	s_mul_i32 s5, s10, s5
	s_mul_hi_u32 s9, s10, s4
	s_mul_i32 s16, s11, s4
	s_add_i32 s5, s9, s5
	s_mul_i32 s4, s10, s4
	s_add_i32 s5, s5, s16
	s_delay_alu instid0(SALU_CYCLE_1)
	s_lshl_b64 s[4:5], s[4:5], 2
	s_waitcnt lgkmcnt(0)
	s_ashr_i32 s9, s8, 31
	s_add_u32 s14, s14, s4
	s_addc_u32 s15, s15, s5
	s_lshl_b64 s[4:5], s[8:9], 2
	s_delay_alu instid0(SALU_CYCLE_1)
	s_add_u32 s8, s14, s4
	s_addc_u32 s9, s15, s5
.LBB67_3:
	s_load_b64 s[0:1], s[0:1], 0x8
	v_lshlrev_b32_e32 v20, 3, v0
	s_waitcnt lgkmcnt(0)
	v_add3_u32 v1, s1, s1, v0
	s_ashr_i32 s5, s0, 31
	s_mov_b32 s4, s0
	s_mov_b32 s14, s1
	s_lshl_b64 s[4:5], s[4:5], 3
	v_add_nc_u32_e32 v3, s1, v1
	v_ashrrev_i32_e32 v2, 31, v1
	s_add_u32 s2, s2, s4
	s_addc_u32 s3, s3, s5
	v_add_co_u32 v12, s0, s2, v20
	v_ashrrev_i32_e32 v4, 31, v3
	s_ashr_i32 s15, s1, 31
	v_add_co_ci_u32_e64 v13, null, s3, 0, s0
	v_lshlrev_b64 v[1:2], 3, v[1:2]
	s_lshl_b64 s[0:1], s[14:15], 3
	v_lshlrev_b64 v[3:4], 3, v[3:4]
	v_add_co_u32 v14, vcc_lo, v12, s0
	v_add_co_ci_u32_e32 v15, vcc_lo, s1, v13, vcc_lo
	s_delay_alu instid0(VALU_DEP_4)
	v_add_co_u32 v16, vcc_lo, s2, v1
	v_mov_b32_e32 v1, 0
	v_add_co_ci_u32_e32 v17, vcc_lo, s3, v2, vcc_lo
	v_add_co_u32 v10, vcc_lo, s2, v3
	v_add_co_ci_u32_e32 v11, vcc_lo, s3, v4, vcc_lo
	s_clause 0x3
	global_load_b64 v[4:5], v[14:15], off
	global_load_b64 v[6:7], v[16:17], off
	global_load_b64 v[2:3], v20, s[2:3]
	global_load_b64 v[8:9], v[10:11], off
	s_bitcmp0_b32 s13, 0
	s_mov_b32 s0, -1
	s_cbranch_scc1 .LBB67_14
; %bb.4:
	v_cmp_eq_u32_e64 s0, 0, v0
	s_delay_alu instid0(VALU_DEP_1)
	s_and_saveexec_b32 s1, s0
	s_cbranch_execz .LBB67_6
; %bb.5:
	v_mov_b32_e32 v18, 0
	ds_store_b32 v18, v18 offset:64
.LBB67_6:
	s_or_b32 exec_lo, exec_lo, s1
	v_cmp_eq_u32_e32 vcc_lo, 1, v0
	s_mov_b32 s2, exec_lo
	s_waitcnt vmcnt(0) lgkmcnt(0)
	s_barrier
	buffer_gl0_inv
	v_dual_cndmask_b32 v18, v3, v5 :: v_dual_cndmask_b32 v19, v2, v4
	v_cmp_eq_u32_e32 vcc_lo, 2, v0
	s_delay_alu instid0(VALU_DEP_2) | instskip(SKIP_1) | instid1(VALU_DEP_2)
	v_dual_cndmask_b32 v18, v18, v7 :: v_dual_cndmask_b32 v21, v19, v6
	v_cmp_eq_u32_e32 vcc_lo, 3, v0
	v_dual_cndmask_b32 v19, v18, v9 :: v_dual_cndmask_b32 v18, v21, v8
	s_delay_alu instid0(VALU_DEP_1)
	v_cmpx_eq_f64_e32 0, v[18:19]
	s_cbranch_execz .LBB67_10
; %bb.7:
	v_mov_b32_e32 v21, 0
	s_mov_b32 s3, 0
	ds_load_b32 v22, v21 offset:64
	s_waitcnt lgkmcnt(0)
	v_readfirstlane_b32 s1, v22
	v_add_nc_u32_e32 v22, 1, v0
	s_delay_alu instid0(VALU_DEP_2) | instskip(NEXT) | instid1(VALU_DEP_1)
	s_cmp_eq_u32 s1, 0
	v_cmp_gt_i32_e32 vcc_lo, s1, v22
	s_cselect_b32 s4, -1, 0
	s_delay_alu instid0(SALU_CYCLE_1) | instskip(NEXT) | instid1(SALU_CYCLE_1)
	s_or_b32 s4, s4, vcc_lo
	s_and_b32 exec_lo, exec_lo, s4
	s_cbranch_execz .LBB67_10
; %bb.8:
	v_mov_b32_e32 v23, s1
.LBB67_9:                               ; =>This Inner Loop Header: Depth=1
	ds_cmpstore_rtn_b32 v23, v21, v22, v23 offset:64
	s_waitcnt lgkmcnt(0)
	v_cmp_ne_u32_e32 vcc_lo, 0, v23
	v_cmp_le_i32_e64 s1, v23, v22
	s_delay_alu instid0(VALU_DEP_1) | instskip(NEXT) | instid1(SALU_CYCLE_1)
	s_and_b32 s1, vcc_lo, s1
	s_and_b32 s1, exec_lo, s1
	s_delay_alu instid0(SALU_CYCLE_1) | instskip(NEXT) | instid1(SALU_CYCLE_1)
	s_or_b32 s3, s1, s3
	s_and_not1_b32 exec_lo, exec_lo, s3
	s_cbranch_execnz .LBB67_9
.LBB67_10:
	s_or_b32 exec_lo, exec_lo, s2
	v_mov_b32_e32 v21, 0
	s_barrier
	buffer_gl0_inv
	ds_load_b32 v22, v21 offset:64
	s_and_saveexec_b32 s1, s0
	s_cbranch_execz .LBB67_12
; %bb.11:
	s_lshl_b64 s[2:3], s[10:11], 2
	s_delay_alu instid0(SALU_CYCLE_1)
	s_add_u32 s2, s6, s2
	s_addc_u32 s3, s7, s3
	s_waitcnt lgkmcnt(0)
	global_store_b32 v21, v22, s[2:3]
.LBB67_12:
	s_or_b32 exec_lo, exec_lo, s1
	s_waitcnt lgkmcnt(0)
	v_cmp_ne_u32_e32 vcc_lo, 0, v22
	s_cbranch_vccz .LBB67_17
; %bb.13:
	s_mov_b32 s0, 0
                                        ; implicit-def: $vgpr2_vgpr3_vgpr4_vgpr5_vgpr6_vgpr7_vgpr8_vgpr9
.LBB67_14:
	s_delay_alu instid0(SALU_CYCLE_1)
	s_and_b32 vcc_lo, exec_lo, s0
	s_cbranch_vccz .LBB67_16
.LBB67_15:
	s_lshl_b64 s[0:1], s[10:11], 2
	v_mov_b32_e32 v1, 0
	s_add_u32 s0, s6, s0
	s_addc_u32 s1, s7, s1
	global_load_b32 v1, v1, s[0:1]
	s_waitcnt vmcnt(0)
	v_cmp_ne_u32_e32 vcc_lo, 0, v1
	s_cbranch_vccz .LBB67_28
.LBB67_16:
	s_nop 0
	s_sendmsg sendmsg(MSG_DEALLOC_VGPRS)
	s_endpgm
.LBB67_17:
	v_div_scale_f64 v[21:22], null, v[18:19], v[18:19], 1.0
	v_div_scale_f64 v[27:28], vcc_lo, 1.0, v[18:19], 1.0
	v_cmp_eq_u32_e64 s1, 1, v0
	v_cmp_eq_u32_e64 s2, 0, v0
	s_delay_alu instid0(VALU_DEP_4) | instskip(SKIP_2) | instid1(VALU_DEP_1)
	v_rcp_f64_e32 v[23:24], v[21:22]
	s_waitcnt_depctr 0xfff
	v_fma_f64 v[25:26], -v[21:22], v[23:24], 1.0
	v_fma_f64 v[23:24], v[23:24], v[25:26], v[23:24]
	s_delay_alu instid0(VALU_DEP_1) | instskip(NEXT) | instid1(VALU_DEP_1)
	v_fma_f64 v[25:26], -v[21:22], v[23:24], 1.0
	v_fma_f64 v[23:24], v[23:24], v[25:26], v[23:24]
	s_delay_alu instid0(VALU_DEP_1) | instskip(NEXT) | instid1(VALU_DEP_1)
	v_mul_f64 v[25:26], v[27:28], v[23:24]
	v_fma_f64 v[21:22], -v[21:22], v[25:26], v[27:28]
	s_delay_alu instid0(VALU_DEP_1) | instskip(SKIP_1) | instid1(VALU_DEP_2)
	v_div_fmas_f64 v[21:22], v[21:22], v[23:24], v[25:26]
	v_cmp_eq_u32_e32 vcc_lo, 3, v0
	v_div_fixup_f64 v[18:19], v[21:22], v[18:19], 1.0
	s_delay_alu instid0(VALU_DEP_1) | instskip(NEXT) | instid1(VALU_DEP_2)
	v_dual_cndmask_b32 v8, v8, v18 :: v_dual_add_nc_u32 v21, 32, v20
	v_dual_cndmask_b32 v9, v9, v19 :: v_dual_mov_b32 v22, v18
	v_cmp_eq_u32_e32 vcc_lo, 2, v0
	v_cndmask_b32_e64 v5, v5, v19, s1
	v_cndmask_b32_e64 v4, v4, v18, s1
	v_xor_b32_e32 v23, 0x80000000, v19
	v_cndmask_b32_e64 v3, v3, v19, s2
	v_dual_cndmask_b32 v7, v7, v19 :: v_dual_cndmask_b32 v6, v6, v18
	v_cndmask_b32_e64 v2, v2, v18, s2
	ds_store_2addr_b64 v20, v[22:23], v[4:5] offset1:4
	s_waitcnt lgkmcnt(0)
	s_waitcnt_vscnt null, 0x0
	s_barrier
	buffer_gl0_inv
	s_and_saveexec_b32 s1, s0
	s_cbranch_execz .LBB67_19
; %bb.18:
	ds_load_b64 v[4:5], v21
	v_mov_b32_e32 v20, 0
	ds_load_b64 v[22:23], v20 offset:8
	s_waitcnt lgkmcnt(1)
	v_fma_f64 v[4:5], v[18:19], v[4:5], 0
	s_waitcnt lgkmcnt(0)
	s_delay_alu instid0(VALU_DEP_1)
	v_mul_f64 v[4:5], v[4:5], v[22:23]
.LBB67_19:
	s_or_b32 exec_lo, exec_lo, s1
	s_delay_alu instid0(SALU_CYCLE_1)
	s_mov_b32 s1, exec_lo
	s_barrier
	buffer_gl0_inv
	ds_store_b64 v21, v[6:7]
	s_waitcnt lgkmcnt(0)
	s_barrier
	buffer_gl0_inv
	v_cmpx_gt_u32_e32 2, v0
	s_cbranch_execz .LBB67_23
; %bb.20:
	v_cmp_eq_u32_e32 vcc_lo, 1, v0
	ds_load_b64 v[18:19], v21
	v_cndmask_b32_e32 v20, v3, v5, vcc_lo
	v_cndmask_b32_e32 v22, v2, v4, vcc_lo
	v_cmp_eq_u32_e32 vcc_lo, 2, v0
	s_delay_alu instid0(VALU_DEP_2) | instskip(SKIP_1) | instid1(VALU_DEP_2)
	v_dual_cndmask_b32 v7, v20, v7 :: v_dual_cndmask_b32 v6, v22, v6
	v_cmp_eq_u32_e32 vcc_lo, 3, v0
	v_dual_cndmask_b32 v7, v7, v9 :: v_dual_cndmask_b32 v6, v6, v8
	s_waitcnt lgkmcnt(0)
	s_delay_alu instid0(VALU_DEP_1)
	v_fma_f64 v[6:7], v[6:7], v[18:19], 0
	s_and_saveexec_b32 s2, s0
	s_cbranch_execz .LBB67_22
; %bb.21:
	v_mov_b32_e32 v18, 0
	ds_load_b64 v[18:19], v18 offset:40
	s_waitcnt lgkmcnt(0)
	v_fma_f64 v[6:7], v[4:5], v[18:19], v[6:7]
.LBB67_22:
	s_or_b32 exec_lo, exec_lo, s2
	v_mov_b32_e32 v18, 0
	ds_load_b64 v[18:19], v18 offset:16
	s_waitcnt lgkmcnt(0)
	v_mul_f64 v[6:7], v[6:7], v[18:19]
.LBB67_23:
	s_or_b32 exec_lo, exec_lo, s1
	s_delay_alu instid0(SALU_CYCLE_1)
	s_mov_b32 s1, exec_lo
	s_barrier
	buffer_gl0_inv
	ds_store_b64 v21, v[8:9]
	s_waitcnt lgkmcnt(0)
	s_barrier
	buffer_gl0_inv
	v_cmpx_ne_u32_e32 3, v0
	s_cbranch_execz .LBB67_27
; %bb.24:
	v_dual_mov_b32 v18, 0 :: v_dual_mov_b32 v21, v1
	v_lshl_add_u32 v22, v0, 3, 32
	v_dual_mov_b32 v19, 0 :: v_dual_mov_b32 v20, v0
	s_mov_b32 s2, 0
	.p2align	6
.LBB67_25:                              ; =>This Inner Loop Header: Depth=1
	s_delay_alu instid0(VALU_DEP_1) | instskip(SKIP_3) | instid1(VALU_DEP_1)
	v_cmp_eq_u32_e32 vcc_lo, 1, v20
	ds_load_b64 v[23:24], v22
	v_cmp_eq_u32_e64 s0, 2, v20
	v_dual_cndmask_b32 v1, v3, v5 :: v_dual_add_nc_u32 v22, 8, v22
	v_cndmask_b32_e64 v1, v1, v7, s0
	v_cndmask_b32_e32 v25, v2, v4, vcc_lo
	v_cmp_eq_u32_e32 vcc_lo, 3, v20
	s_delay_alu instid0(VALU_DEP_3) | instskip(NEXT) | instid1(VALU_DEP_3)
	v_cndmask_b32_e32 v26, v1, v9, vcc_lo
	v_cndmask_b32_e64 v25, v25, v6, s0
	s_delay_alu instid0(VALU_DEP_1) | instskip(SKIP_3) | instid1(VALU_DEP_3)
	v_cndmask_b32_e32 v25, v25, v8, vcc_lo
	v_add_co_u32 v20, vcc_lo, v20, 1
	v_add_co_ci_u32_e32 v21, vcc_lo, 0, v21, vcc_lo
	s_waitcnt lgkmcnt(0)
	v_fma_f64 v[18:19], v[25:26], v[23:24], v[18:19]
	s_delay_alu instid0(VALU_DEP_3) | instskip(NEXT) | instid1(VALU_DEP_1)
	v_add_nc_u32_e32 v1, -1, v20
	v_cmp_lt_u32_e32 vcc_lo, 1, v1
	s_or_b32 s2, vcc_lo, s2
	s_delay_alu instid0(SALU_CYCLE_1)
	s_and_not1_b32 exec_lo, exec_lo, s2
	s_cbranch_execnz .LBB67_25
; %bb.26:
	s_or_b32 exec_lo, exec_lo, s2
	v_mov_b32_e32 v1, 0
	ds_load_b64 v[8:9], v1 offset:24
	s_waitcnt lgkmcnt(0)
	v_mul_f64 v[8:9], v[18:19], v[8:9]
.LBB67_27:
	s_or_b32 exec_lo, exec_lo, s1
	s_barrier
	buffer_gl0_inv
	s_cbranch_execnz .LBB67_15
	s_branch .LBB67_16
.LBB67_28:
	v_lshl_add_u32 v1, v0, 3, 32
	s_mov_b32 s0, exec_lo
	v_cmpx_eq_u32_e32 3, v0
	s_cbranch_execz .LBB67_30
; %bb.29:
	s_mov_b32 s1, 0
	v_dual_mov_b32 v25, v9 :: v_dual_mov_b32 v24, v8
	v_dual_mov_b32 v23, v7 :: v_dual_mov_b32 v22, v6
	;; [unrolled: 1-line block ×5, first 2 shown]
	ds_store_b64 v1, v[6:7]
	v_dual_mov_b32 v2, v18 :: v_dual_mov_b32 v3, v19
	v_dual_mov_b32 v4, v20 :: v_dual_mov_b32 v5, v21
	;; [unrolled: 1-line block ×4, first 2 shown]
.LBB67_30:
	s_or_b32 exec_lo, exec_lo, s0
	v_mov_b32_e32 v18, 0
	s_waitcnt lgkmcnt(0)
	s_waitcnt_vscnt null, 0x0
	s_barrier
	buffer_gl0_inv
	s_mov_b32 s0, exec_lo
	ds_load_b64 v[19:20], v18 offset:56
	s_waitcnt lgkmcnt(0)
	v_fma_f64 v[19:20], v[8:9], v[19:20], 0
	s_delay_alu instid0(VALU_DEP_1)
	v_add_f64 v[6:7], v[6:7], -v[19:20]
	v_cmpx_lt_u32_e32 1, v0
	s_cbranch_execz .LBB67_32
; %bb.31:
	s_mov_b32 s1, 0
	v_dual_mov_b32 v26, v9 :: v_dual_mov_b32 v25, v8
	v_dual_mov_b32 v22, v5 :: v_dual_mov_b32 v21, v4
	;; [unrolled: 1-line block ×5, first 2 shown]
	ds_store_b64 v1, v[4:5]
	v_dual_mov_b32 v2, v19 :: v_dual_mov_b32 v3, v20
	v_dual_mov_b32 v4, v21 :: v_dual_mov_b32 v5, v22
	v_dual_mov_b32 v6, v23 :: v_dual_mov_b32 v7, v24
	v_dual_mov_b32 v8, v25 :: v_dual_mov_b32 v9, v26
.LBB67_32:
	s_or_b32 exec_lo, exec_lo, s0
	s_waitcnt lgkmcnt(0)
	s_barrier
	buffer_gl0_inv
	ds_load_b128 v[18:21], v18 offset:48
	s_mov_b32 s1, 0
	s_mov_b32 s0, exec_lo
	s_waitcnt lgkmcnt(0)
	v_fma_f64 v[18:19], v[6:7], v[18:19], 0
	s_delay_alu instid0(VALU_DEP_1) | instskip(NEXT) | instid1(VALU_DEP_1)
	v_fma_f64 v[18:19], v[8:9], v[20:21], v[18:19]
	v_add_f64 v[4:5], v[4:5], -v[18:19]
	v_cmpx_ne_u32_e32 0, v0
	s_cbranch_execz .LBB67_34
; %bb.33:
	v_dual_mov_b32 v25, v9 :: v_dual_mov_b32 v24, v8
	v_dual_mov_b32 v19, v3 :: v_dual_mov_b32 v18, v2
	;; [unrolled: 1-line block ×5, first 2 shown]
	ds_store_b64 v1, v[2:3]
	v_dual_mov_b32 v2, v18 :: v_dual_mov_b32 v3, v19
	v_dual_mov_b32 v5, v21 :: v_dual_mov_b32 v4, v20
	v_dual_mov_b32 v6, v22 :: v_dual_mov_b32 v7, v23
	v_dual_mov_b32 v8, v24 :: v_dual_mov_b32 v9, v25
.LBB67_34:
	s_or_b32 exec_lo, exec_lo, s0
	v_mov_b32_e32 v0, 0
	s_waitcnt lgkmcnt(0)
	s_barrier
	buffer_gl0_inv
	s_and_b32 vcc_lo, exec_lo, s12
	ds_load_2addr_b64 v[18:21], v0 offset0:5 offset1:6
	ds_load_b64 v[0:1], v0 offset:56
	s_waitcnt lgkmcnt(1)
	v_fma_f64 v[18:19], v[4:5], v[18:19], 0
	s_delay_alu instid0(VALU_DEP_1) | instskip(SKIP_1) | instid1(VALU_DEP_1)
	v_fma_f64 v[18:19], v[6:7], v[20:21], v[18:19]
	s_waitcnt lgkmcnt(0)
	v_fma_f64 v[0:1], v[8:9], v[0:1], v[18:19]
	s_delay_alu instid0(VALU_DEP_1)
	v_add_f64 v[2:3], v[2:3], -v[0:1]
	s_cbranch_vccz .LBB67_42
; %bb.35:
	v_dual_mov_b32 v0, s8 :: v_dual_mov_b32 v1, s9
	s_mov_b32 s3, exec_lo
	flat_load_b32 v0, v[0:1] offset:8
	s_waitcnt vmcnt(0) lgkmcnt(0)
	v_add_nc_u32_e32 v0, -1, v0
	s_delay_alu instid0(VALU_DEP_1)
	v_cmpx_ne_u32_e32 2, v0
	s_cbranch_execz .LBB67_37
; %bb.36:
	v_cmp_eq_u32_e32 vcc_lo, 1, v0
	v_cmp_eq_u32_e64 s0, 2, v0
	v_cmp_eq_u32_e64 s1, 3, v0
	;; [unrolled: 1-line block ×3, first 2 shown]
	v_dual_cndmask_b32 v1, v2, v4 :: v_dual_cndmask_b32 v18, v3, v5
	v_dual_cndmask_b32 v21, v5, v7 :: v_dual_cndmask_b32 v20, v4, v6
	s_delay_alu instid0(VALU_DEP_3) | instskip(NEXT) | instid1(VALU_DEP_3)
	v_cndmask_b32_e64 v19, v3, v7, s2
	v_cndmask_b32_e64 v1, v1, v6, s0
	s_delay_alu instid0(VALU_DEP_4) | instskip(SKIP_2) | instid1(VALU_DEP_4)
	v_cndmask_b32_e64 v18, v18, v7, s0
	v_cndmask_b32_e64 v25, v9, v7, s1
	;; [unrolled: 1-line block ×4, first 2 shown]
	s_delay_alu instid0(VALU_DEP_4) | instskip(SKIP_1) | instid1(VALU_DEP_3)
	v_cndmask_b32_e64 v1, v18, v9, s1
	v_cndmask_b32_e64 v18, v2, v6, s2
	;; [unrolled: 1-line block ×3, first 2 shown]
	s_delay_alu instid0(VALU_DEP_3) | instskip(NEXT) | instid1(VALU_DEP_3)
	v_cndmask_b32_e64 v23, v1, v7, s0
	v_dual_mov_b32 v2, v18 :: v_dual_mov_b32 v3, v19
	v_dual_mov_b32 v4, v20 :: v_dual_mov_b32 v5, v21
	s_delay_alu instid0(VALU_DEP_3)
	v_dual_mov_b32 v6, v22 :: v_dual_mov_b32 v7, v23
	v_dual_mov_b32 v8, v24 :: v_dual_mov_b32 v9, v25
.LBB67_37:
	s_or_b32 exec_lo, exec_lo, s3
	v_dual_mov_b32 v0, s8 :: v_dual_mov_b32 v1, s9
	s_mov_b32 s3, exec_lo
	flat_load_b32 v0, v[0:1] offset:4
	s_waitcnt vmcnt(0) lgkmcnt(0)
	v_add_nc_u32_e32 v0, -1, v0
	s_delay_alu instid0(VALU_DEP_1)
	v_cmpx_ne_u32_e32 1, v0
	s_cbranch_execz .LBB67_39
; %bb.38:
	v_cmp_eq_u32_e32 vcc_lo, 1, v0
	v_cmp_eq_u32_e64 s0, 2, v0
	v_cmp_eq_u32_e64 s1, 3, v0
	;; [unrolled: 1-line block ×3, first 2 shown]
	v_dual_cndmask_b32 v1, v2, v4 :: v_dual_cndmask_b32 v18, v3, v5
	s_delay_alu instid0(VALU_DEP_4) | instskip(NEXT) | instid1(VALU_DEP_3)
	v_cndmask_b32_e64 v23, v7, v5, s0
	v_cndmask_b32_e64 v19, v3, v5, s2
	;; [unrolled: 1-line block ×3, first 2 shown]
	s_delay_alu instid0(VALU_DEP_4) | instskip(SKIP_3) | instid1(VALU_DEP_4)
	v_cndmask_b32_e64 v1, v1, v6, s0
	v_cndmask_b32_e64 v18, v18, v7, s0
	;; [unrolled: 1-line block ×5, first 2 shown]
	s_delay_alu instid0(VALU_DEP_4) | instskip(SKIP_1) | instid1(VALU_DEP_2)
	v_cndmask_b32_e64 v1, v18, v9, s1
	v_cndmask_b32_e64 v18, v2, v4, s2
	v_dual_cndmask_b32 v20, v0, v4 :: v_dual_cndmask_b32 v21, v1, v5
	s_delay_alu instid0(VALU_DEP_2) | instskip(SKIP_1) | instid1(VALU_DEP_3)
	v_dual_mov_b32 v2, v18 :: v_dual_mov_b32 v3, v19
	v_dual_mov_b32 v6, v22 :: v_dual_mov_b32 v7, v23
	;; [unrolled: 1-line block ×4, first 2 shown]
.LBB67_39:
	s_or_b32 exec_lo, exec_lo, s3
	v_dual_mov_b32 v0, s8 :: v_dual_mov_b32 v1, s9
	s_mov_b32 s2, exec_lo
	flat_load_b32 v0, v[0:1]
	s_waitcnt vmcnt(0) lgkmcnt(0)
	v_add_nc_u32_e32 v0, -1, v0
	s_delay_alu instid0(VALU_DEP_1)
	v_cmpx_ne_u32_e32 0, v0
	s_cbranch_execz .LBB67_41
; %bb.40:
	v_cmp_eq_u32_e32 vcc_lo, 1, v0
	v_cmp_eq_u32_e64 s0, 2, v0
	v_cmp_eq_u32_e64 s1, 3, v0
	v_dual_cndmask_b32 v1, v2, v4 :: v_dual_cndmask_b32 v18, v3, v5
	s_delay_alu instid0(VALU_DEP_3) | instskip(SKIP_2) | instid1(VALU_DEP_4)
	v_cndmask_b32_e64 v23, v7, v3, s0
	v_cndmask_b32_e64 v22, v6, v2, s0
	v_dual_cndmask_b32 v21, v5, v3 :: v_dual_cndmask_b32 v20, v4, v2
	v_cndmask_b32_e64 v1, v1, v6, s0
	v_cndmask_b32_e64 v18, v18, v7, s0
	v_cmp_eq_u32_e64 s0, 0, v0
	v_cndmask_b32_e64 v25, v9, v3, s1
	v_cndmask_b32_e64 v24, v8, v2, s1
	;; [unrolled: 1-line block ×4, first 2 shown]
	s_delay_alu instid0(VALU_DEP_2) | instskip(NEXT) | instid1(VALU_DEP_2)
	v_cndmask_b32_e64 v18, v1, v2, s0
	v_cndmask_b32_e64 v19, v6, v3, s0
	s_delay_alu instid0(VALU_DEP_1)
	v_dual_mov_b32 v2, v18 :: v_dual_mov_b32 v3, v19
	v_dual_mov_b32 v4, v20 :: v_dual_mov_b32 v5, v21
	;; [unrolled: 1-line block ×4, first 2 shown]
.LBB67_41:
	s_or_b32 exec_lo, exec_lo, s2
.LBB67_42:
	s_clause 0x3
	global_store_b64 v[12:13], v[2:3], off
	global_store_b64 v[14:15], v[4:5], off
	;; [unrolled: 1-line block ×4, first 2 shown]
	s_nop 0
	s_sendmsg sendmsg(MSG_DEALLOC_VGPRS)
	s_endpgm
	.section	.rodata,"a",@progbits
	.p2align	6, 0x0
	.amdhsa_kernel _ZN9rocsolver6v33100L18getri_kernel_smallILi4EdPKPdEEvT1_iilPiilS6_bb
		.amdhsa_group_segment_fixed_size 72
		.amdhsa_private_segment_fixed_size 0
		.amdhsa_kernarg_size 60
		.amdhsa_user_sgpr_count 15
		.amdhsa_user_sgpr_dispatch_ptr 0
		.amdhsa_user_sgpr_queue_ptr 0
		.amdhsa_user_sgpr_kernarg_segment_ptr 1
		.amdhsa_user_sgpr_dispatch_id 0
		.amdhsa_user_sgpr_private_segment_size 0
		.amdhsa_wavefront_size32 1
		.amdhsa_uses_dynamic_stack 0
		.amdhsa_enable_private_segment 0
		.amdhsa_system_sgpr_workgroup_id_x 1
		.amdhsa_system_sgpr_workgroup_id_y 0
		.amdhsa_system_sgpr_workgroup_id_z 0
		.amdhsa_system_sgpr_workgroup_info 0
		.amdhsa_system_vgpr_workitem_id 0
		.amdhsa_next_free_vgpr 29
		.amdhsa_next_free_sgpr 17
		.amdhsa_reserve_vcc 1
		.amdhsa_float_round_mode_32 0
		.amdhsa_float_round_mode_16_64 0
		.amdhsa_float_denorm_mode_32 3
		.amdhsa_float_denorm_mode_16_64 3
		.amdhsa_dx10_clamp 1
		.amdhsa_ieee_mode 1
		.amdhsa_fp16_overflow 0
		.amdhsa_workgroup_processor_mode 1
		.amdhsa_memory_ordered 1
		.amdhsa_forward_progress 0
		.amdhsa_shared_vgpr_count 0
		.amdhsa_exception_fp_ieee_invalid_op 0
		.amdhsa_exception_fp_denorm_src 0
		.amdhsa_exception_fp_ieee_div_zero 0
		.amdhsa_exception_fp_ieee_overflow 0
		.amdhsa_exception_fp_ieee_underflow 0
		.amdhsa_exception_fp_ieee_inexact 0
		.amdhsa_exception_int_div_zero 0
	.end_amdhsa_kernel
	.section	.text._ZN9rocsolver6v33100L18getri_kernel_smallILi4EdPKPdEEvT1_iilPiilS6_bb,"axG",@progbits,_ZN9rocsolver6v33100L18getri_kernel_smallILi4EdPKPdEEvT1_iilPiilS6_bb,comdat
.Lfunc_end67:
	.size	_ZN9rocsolver6v33100L18getri_kernel_smallILi4EdPKPdEEvT1_iilPiilS6_bb, .Lfunc_end67-_ZN9rocsolver6v33100L18getri_kernel_smallILi4EdPKPdEEvT1_iilPiilS6_bb
                                        ; -- End function
	.section	.AMDGPU.csdata,"",@progbits
; Kernel info:
; codeLenInByte = 2672
; NumSgprs: 19
; NumVgprs: 29
; ScratchSize: 0
; MemoryBound: 0
; FloatMode: 240
; IeeeMode: 1
; LDSByteSize: 72 bytes/workgroup (compile time only)
; SGPRBlocks: 2
; VGPRBlocks: 3
; NumSGPRsForWavesPerEU: 19
; NumVGPRsForWavesPerEU: 29
; Occupancy: 16
; WaveLimiterHint : 1
; COMPUTE_PGM_RSRC2:SCRATCH_EN: 0
; COMPUTE_PGM_RSRC2:USER_SGPR: 15
; COMPUTE_PGM_RSRC2:TRAP_HANDLER: 0
; COMPUTE_PGM_RSRC2:TGID_X_EN: 1
; COMPUTE_PGM_RSRC2:TGID_Y_EN: 0
; COMPUTE_PGM_RSRC2:TGID_Z_EN: 0
; COMPUTE_PGM_RSRC2:TIDIG_COMP_CNT: 0
	.section	.text._ZN9rocsolver6v33100L18getri_kernel_smallILi5EdPKPdEEvT1_iilPiilS6_bb,"axG",@progbits,_ZN9rocsolver6v33100L18getri_kernel_smallILi5EdPKPdEEvT1_iilPiilS6_bb,comdat
	.globl	_ZN9rocsolver6v33100L18getri_kernel_smallILi5EdPKPdEEvT1_iilPiilS6_bb ; -- Begin function _ZN9rocsolver6v33100L18getri_kernel_smallILi5EdPKPdEEvT1_iilPiilS6_bb
	.p2align	8
	.type	_ZN9rocsolver6v33100L18getri_kernel_smallILi5EdPKPdEEvT1_iilPiilS6_bb,@function
_ZN9rocsolver6v33100L18getri_kernel_smallILi5EdPKPdEEvT1_iilPiilS6_bb: ; @_ZN9rocsolver6v33100L18getri_kernel_smallILi5EdPKPdEEvT1_iilPiilS6_bb
; %bb.0:
	s_mov_b32 s2, exec_lo
	v_cmpx_gt_u32_e32 5, v0
	s_cbranch_execz .LBB68_16
; %bb.1:
	s_clause 0x1
	s_load_b32 s13, s[0:1], 0x38
	s_load_b64 s[2:3], s[0:1], 0x0
	s_mov_b32 s10, s15
	s_load_b128 s[4:7], s[0:1], 0x28
	s_waitcnt lgkmcnt(0)
	s_bitcmp1_b32 s13, 8
	s_cselect_b32 s12, -1, 0
	s_ashr_i32 s11, s15, 31
	s_delay_alu instid0(SALU_CYCLE_1) | instskip(NEXT) | instid1(SALU_CYCLE_1)
	s_lshl_b64 s[8:9], s[10:11], 3
	s_add_u32 s2, s2, s8
	s_addc_u32 s3, s3, s9
	s_bfe_u32 s8, s13, 0x10008
	s_load_b64 s[2:3], s[2:3], 0x0
	s_cmp_eq_u32 s8, 0
                                        ; implicit-def: $sgpr8_sgpr9
	s_cbranch_scc1 .LBB68_3
; %bb.2:
	s_clause 0x1
	s_load_b32 s8, s[0:1], 0x20
	s_load_b64 s[14:15], s[0:1], 0x18
	s_mul_i32 s5, s10, s5
	s_mul_hi_u32 s9, s10, s4
	s_mul_i32 s16, s11, s4
	s_add_i32 s5, s9, s5
	s_mul_i32 s4, s10, s4
	s_add_i32 s5, s5, s16
	s_delay_alu instid0(SALU_CYCLE_1)
	s_lshl_b64 s[4:5], s[4:5], 2
	s_waitcnt lgkmcnt(0)
	s_ashr_i32 s9, s8, 31
	s_add_u32 s14, s14, s4
	s_addc_u32 s15, s15, s5
	s_lshl_b64 s[4:5], s[8:9], 2
	s_delay_alu instid0(SALU_CYCLE_1)
	s_add_u32 s8, s14, s4
	s_addc_u32 s9, s15, s5
.LBB68_3:
	s_load_b64 s[0:1], s[0:1], 0x8
	v_lshlrev_b32_e32 v14, 3, v0
	s_waitcnt lgkmcnt(0)
	v_add3_u32 v1, s1, s1, v0
	s_ashr_i32 s5, s0, 31
	s_mov_b32 s4, s0
	s_mov_b32 s14, s1
	s_lshl_b64 s[4:5], s[4:5], 3
	v_add_nc_u32_e32 v3, s1, v1
	v_ashrrev_i32_e32 v2, 31, v1
	s_add_u32 s2, s2, s4
	s_addc_u32 s3, s3, s5
	v_add_co_u32 v28, s0, s2, v14
	v_add_nc_u32_e32 v5, s1, v3
	s_ashr_i32 s15, s1, 31
	v_add_co_ci_u32_e64 v29, null, s3, 0, s0
	v_lshlrev_b64 v[1:2], 3, v[1:2]
	v_ashrrev_i32_e32 v4, 31, v3
	s_lshl_b64 s[4:5], s[14:15], 3
	v_ashrrev_i32_e32 v6, 31, v5
	v_add_co_u32 v36, vcc_lo, v28, s4
	v_add_co_ci_u32_e32 v37, vcc_lo, s5, v29, vcc_lo
	v_lshlrev_b64 v[3:4], 3, v[3:4]
	v_add_co_u32 v32, vcc_lo, s2, v1
	v_add_co_ci_u32_e32 v33, vcc_lo, s3, v2, vcc_lo
	v_lshlrev_b64 v[1:2], 3, v[5:6]
	s_delay_alu instid0(VALU_DEP_4) | instskip(SKIP_2) | instid1(VALU_DEP_3)
	v_add_co_u32 v34, vcc_lo, s2, v3
	v_add_co_ci_u32_e32 v35, vcc_lo, s3, v4, vcc_lo
	s_bitcmp0_b32 s13, 0
	v_add_co_u32 v30, vcc_lo, s2, v1
	v_mov_b32_e32 v1, 0
	v_add_co_ci_u32_e32 v31, vcc_lo, s3, v2, vcc_lo
	s_clause 0x4
	global_load_b64 v[2:3], v14, s[2:3]
	global_load_b64 v[4:5], v[36:37], off
	global_load_b64 v[6:7], v[32:33], off
	;; [unrolled: 1-line block ×4, first 2 shown]
	s_mov_b32 s0, -1
	s_cbranch_scc1 .LBB68_14
; %bb.4:
	v_cmp_eq_u32_e64 s0, 0, v0
	s_delay_alu instid0(VALU_DEP_1)
	s_and_saveexec_b32 s1, s0
	s_cbranch_execz .LBB68_6
; %bb.5:
	v_mov_b32_e32 v12, 0
	ds_store_b32 v12, v12 offset:40
.LBB68_6:
	s_or_b32 exec_lo, exec_lo, s1
	v_cmp_eq_u32_e32 vcc_lo, 1, v0
	s_mov_b32 s2, exec_lo
	s_waitcnt vmcnt(0) lgkmcnt(0)
	s_barrier
	buffer_gl0_inv
	v_dual_cndmask_b32 v12, v3, v5 :: v_dual_cndmask_b32 v13, v2, v4
	v_cmp_eq_u32_e32 vcc_lo, 2, v0
	s_delay_alu instid0(VALU_DEP_2) | instskip(SKIP_1) | instid1(VALU_DEP_2)
	v_dual_cndmask_b32 v12, v12, v7 :: v_dual_cndmask_b32 v13, v13, v6
	v_cmp_eq_u32_e32 vcc_lo, 3, v0
	v_dual_cndmask_b32 v12, v12, v9 :: v_dual_cndmask_b32 v15, v13, v8
	v_cmp_eq_u32_e32 vcc_lo, 4, v0
	s_delay_alu instid0(VALU_DEP_2) | instskip(NEXT) | instid1(VALU_DEP_1)
	v_dual_cndmask_b32 v13, v12, v11 :: v_dual_cndmask_b32 v12, v15, v10
	v_cmpx_eq_f64_e32 0, v[12:13]
	s_cbranch_execz .LBB68_10
; %bb.7:
	v_mov_b32_e32 v15, 0
	s_mov_b32 s3, 0
	ds_load_b32 v16, v15 offset:40
	s_waitcnt lgkmcnt(0)
	v_readfirstlane_b32 s1, v16
	v_add_nc_u32_e32 v16, 1, v0
	s_delay_alu instid0(VALU_DEP_2) | instskip(NEXT) | instid1(VALU_DEP_1)
	s_cmp_eq_u32 s1, 0
	v_cmp_gt_i32_e32 vcc_lo, s1, v16
	s_cselect_b32 s4, -1, 0
	s_delay_alu instid0(SALU_CYCLE_1) | instskip(NEXT) | instid1(SALU_CYCLE_1)
	s_or_b32 s4, s4, vcc_lo
	s_and_b32 exec_lo, exec_lo, s4
	s_cbranch_execz .LBB68_10
; %bb.8:
	v_mov_b32_e32 v17, s1
.LBB68_9:                               ; =>This Inner Loop Header: Depth=1
	ds_cmpstore_rtn_b32 v17, v15, v16, v17 offset:40
	s_waitcnt lgkmcnt(0)
	v_cmp_ne_u32_e32 vcc_lo, 0, v17
	v_cmp_le_i32_e64 s1, v17, v16
	s_delay_alu instid0(VALU_DEP_1) | instskip(NEXT) | instid1(SALU_CYCLE_1)
	s_and_b32 s1, vcc_lo, s1
	s_and_b32 s1, exec_lo, s1
	s_delay_alu instid0(SALU_CYCLE_1) | instskip(NEXT) | instid1(SALU_CYCLE_1)
	s_or_b32 s3, s1, s3
	s_and_not1_b32 exec_lo, exec_lo, s3
	s_cbranch_execnz .LBB68_9
.LBB68_10:
	s_or_b32 exec_lo, exec_lo, s2
	v_mov_b32_e32 v15, 0
	s_barrier
	buffer_gl0_inv
	ds_load_b32 v16, v15 offset:40
	s_and_saveexec_b32 s1, s0
	s_cbranch_execz .LBB68_12
; %bb.11:
	s_lshl_b64 s[2:3], s[10:11], 2
	s_delay_alu instid0(SALU_CYCLE_1)
	s_add_u32 s2, s6, s2
	s_addc_u32 s3, s7, s3
	s_waitcnt lgkmcnt(0)
	global_store_b32 v15, v16, s[2:3]
.LBB68_12:
	s_or_b32 exec_lo, exec_lo, s1
	s_waitcnt lgkmcnt(0)
	v_cmp_ne_u32_e32 vcc_lo, 0, v16
	s_cbranch_vccz .LBB68_17
; %bb.13:
	s_mov_b32 s0, 0
                                        ; implicit-def: $vgpr2_vgpr3_vgpr4_vgpr5_vgpr6_vgpr7_vgpr8_vgpr9_vgpr10_vgpr11_vgpr12_vgpr13_vgpr14_vgpr15_vgpr16_vgpr17
.LBB68_14:
	s_delay_alu instid0(SALU_CYCLE_1)
	s_and_b32 vcc_lo, exec_lo, s0
	s_cbranch_vccz .LBB68_16
.LBB68_15:
	s_lshl_b64 s[0:1], s[10:11], 2
	v_mov_b32_e32 v1, 0
	s_add_u32 s0, s6, s0
	s_addc_u32 s1, s7, s1
	global_load_b32 v1, v1, s[0:1]
	s_waitcnt vmcnt(0)
	v_cmp_ne_u32_e32 vcc_lo, 0, v1
	s_cbranch_vccz .LBB68_32
.LBB68_16:
	s_nop 0
	s_sendmsg sendmsg(MSG_DEALLOC_VGPRS)
	s_endpgm
.LBB68_17:
	v_div_scale_f64 v[15:16], null, v[12:13], v[12:13], 1.0
	v_div_scale_f64 v[21:22], vcc_lo, 1.0, v[12:13], 1.0
	v_cmp_eq_u32_e64 s1, 3, v0
	v_cmp_eq_u32_e64 s2, 1, v0
	;; [unrolled: 1-line block ×3, first 2 shown]
	v_rcp_f64_e32 v[17:18], v[15:16]
	s_waitcnt_depctr 0xfff
	v_fma_f64 v[19:20], -v[15:16], v[17:18], 1.0
	s_delay_alu instid0(VALU_DEP_1) | instskip(NEXT) | instid1(VALU_DEP_1)
	v_fma_f64 v[17:18], v[17:18], v[19:20], v[17:18]
	v_fma_f64 v[19:20], -v[15:16], v[17:18], 1.0
	s_delay_alu instid0(VALU_DEP_1) | instskip(NEXT) | instid1(VALU_DEP_1)
	v_fma_f64 v[17:18], v[17:18], v[19:20], v[17:18]
	v_mul_f64 v[19:20], v[21:22], v[17:18]
	s_delay_alu instid0(VALU_DEP_1) | instskip(NEXT) | instid1(VALU_DEP_1)
	v_fma_f64 v[15:16], -v[15:16], v[19:20], v[21:22]
	v_div_fmas_f64 v[15:16], v[15:16], v[17:18], v[19:20]
	v_cmp_eq_u32_e32 vcc_lo, 4, v0
	s_delay_alu instid0(VALU_DEP_2) | instskip(NEXT) | instid1(VALU_DEP_1)
	v_div_fixup_f64 v[12:13], v[15:16], v[12:13], 1.0
	v_dual_cndmask_b32 v11, v11, v13 :: v_dual_add_nc_u32 v16, 48, v14
	s_delay_alu instid0(VALU_DEP_2)
	v_dual_cndmask_b32 v10, v10, v12 :: v_dual_mov_b32 v17, v12
	v_cmp_eq_u32_e32 vcc_lo, 2, v0
	v_cndmask_b32_e64 v9, v9, v13, s1
	v_cndmask_b32_e64 v8, v8, v12, s1
	;; [unrolled: 1-line block ×4, first 2 shown]
	v_xor_b32_e32 v18, 0x80000000, v13
	v_dual_cndmask_b32 v7, v7, v13 :: v_dual_cndmask_b32 v6, v6, v12
	v_cndmask_b32_e64 v3, v3, v13, s3
	v_cndmask_b32_e64 v2, v2, v12, s3
	ds_store_2addr_b64 v14, v[17:18], v[4:5] offset1:6
	s_waitcnt lgkmcnt(0)
	s_waitcnt_vscnt null, 0x0
	s_barrier
	buffer_gl0_inv
	s_and_saveexec_b32 s1, s0
	s_cbranch_execz .LBB68_19
; %bb.18:
	ds_load_b64 v[4:5], v16
	v_mov_b32_e32 v14, 0
	ds_load_b64 v[14:15], v14 offset:8
	s_waitcnt lgkmcnt(1)
	v_fma_f64 v[4:5], v[12:13], v[4:5], 0
	s_waitcnt lgkmcnt(0)
	s_delay_alu instid0(VALU_DEP_1)
	v_mul_f64 v[4:5], v[4:5], v[14:15]
.LBB68_19:
	s_or_b32 exec_lo, exec_lo, s1
	s_delay_alu instid0(SALU_CYCLE_1)
	s_mov_b32 s1, exec_lo
	s_barrier
	buffer_gl0_inv
	ds_store_b64 v16, v[6:7]
	s_waitcnt lgkmcnt(0)
	s_barrier
	buffer_gl0_inv
	v_cmpx_gt_u32_e32 2, v0
	s_cbranch_execz .LBB68_23
; %bb.20:
	v_cmp_eq_u32_e32 vcc_lo, 1, v0
	ds_load_b64 v[12:13], v16
	v_dual_cndmask_b32 v14, v3, v5 :: v_dual_cndmask_b32 v15, v2, v4
	v_cmp_eq_u32_e32 vcc_lo, 2, v0
	s_delay_alu instid0(VALU_DEP_2) | instskip(SKIP_1) | instid1(VALU_DEP_2)
	v_dual_cndmask_b32 v7, v14, v7 :: v_dual_cndmask_b32 v6, v15, v6
	v_cmp_eq_u32_e32 vcc_lo, 3, v0
	v_dual_cndmask_b32 v7, v7, v9 :: v_dual_cndmask_b32 v6, v6, v8
	v_cmp_eq_u32_e32 vcc_lo, 4, v0
	s_delay_alu instid0(VALU_DEP_2) | instskip(SKIP_1) | instid1(VALU_DEP_1)
	v_dual_cndmask_b32 v7, v7, v11 :: v_dual_cndmask_b32 v6, v6, v10
	s_waitcnt lgkmcnt(0)
	v_fma_f64 v[6:7], v[6:7], v[12:13], 0
	s_and_saveexec_b32 s2, s0
	s_cbranch_execz .LBB68_22
; %bb.21:
	v_mov_b32_e32 v12, 0
	ds_load_b64 v[12:13], v12 offset:56
	s_waitcnt lgkmcnt(0)
	v_fma_f64 v[6:7], v[4:5], v[12:13], v[6:7]
.LBB68_22:
	s_or_b32 exec_lo, exec_lo, s2
	v_mov_b32_e32 v12, 0
	ds_load_b64 v[12:13], v12 offset:16
	s_waitcnt lgkmcnt(0)
	v_mul_f64 v[6:7], v[6:7], v[12:13]
.LBB68_23:
	s_or_b32 exec_lo, exec_lo, s1
	s_delay_alu instid0(SALU_CYCLE_1)
	s_mov_b32 s1, exec_lo
	s_barrier
	buffer_gl0_inv
	ds_store_b64 v16, v[8:9]
	s_waitcnt lgkmcnt(0)
	s_barrier
	buffer_gl0_inv
	v_cmpx_gt_u32_e32 3, v0
	s_cbranch_execz .LBB68_27
; %bb.24:
	v_dual_mov_b32 v12, 0 :: v_dual_mov_b32 v15, v1
	v_lshl_add_u32 v17, v0, 3, 48
	v_dual_mov_b32 v13, 0 :: v_dual_mov_b32 v14, v0
	s_mov_b32 s2, 0
	.p2align	6
.LBB68_25:                              ; =>This Inner Loop Header: Depth=1
	s_delay_alu instid0(VALU_DEP_1)
	v_cmp_eq_u32_e32 vcc_lo, 1, v14
	ds_load_b64 v[18:19], v17
	v_cmp_eq_u32_e64 s0, 2, v14
	v_add_nc_u32_e32 v17, 8, v17
	v_dual_cndmask_b32 v20, v3, v5 :: v_dual_cndmask_b32 v21, v2, v4
	v_cmp_eq_u32_e32 vcc_lo, 3, v14
	s_delay_alu instid0(VALU_DEP_2) | instskip(NEXT) | instid1(VALU_DEP_3)
	v_cndmask_b32_e64 v20, v20, v7, s0
	v_cndmask_b32_e64 v21, v21, v6, s0
	v_cmp_eq_u32_e64 s0, 4, v14
	s_delay_alu instid0(VALU_DEP_3) | instskip(NEXT) | instid1(VALU_DEP_3)
	v_cndmask_b32_e32 v20, v20, v9, vcc_lo
	v_cndmask_b32_e32 v22, v21, v8, vcc_lo
	v_add_co_u32 v14, vcc_lo, v14, 1
	v_add_co_ci_u32_e32 v15, vcc_lo, 0, v15, vcc_lo
	s_delay_alu instid0(VALU_DEP_4) | instskip(NEXT) | instid1(VALU_DEP_4)
	v_cndmask_b32_e64 v21, v20, v11, s0
	v_cndmask_b32_e64 v20, v22, v10, s0
	s_waitcnt lgkmcnt(0)
	s_delay_alu instid0(VALU_DEP_1) | instskip(SKIP_1) | instid1(VALU_DEP_1)
	v_fma_f64 v[12:13], v[20:21], v[18:19], v[12:13]
	v_add_nc_u32_e32 v18, -1, v14
	v_cmp_lt_u32_e32 vcc_lo, 1, v18
	s_or_b32 s2, vcc_lo, s2
	s_delay_alu instid0(SALU_CYCLE_1)
	s_and_not1_b32 exec_lo, exec_lo, s2
	s_cbranch_execnz .LBB68_25
; %bb.26:
	s_or_b32 exec_lo, exec_lo, s2
	v_mov_b32_e32 v8, 0
	ds_load_b64 v[8:9], v8 offset:24
	s_waitcnt lgkmcnt(0)
	v_mul_f64 v[8:9], v[12:13], v[8:9]
.LBB68_27:
	s_or_b32 exec_lo, exec_lo, s1
	s_delay_alu instid0(SALU_CYCLE_1)
	s_mov_b32 s1, exec_lo
	s_barrier
	buffer_gl0_inv
	ds_store_b64 v16, v[10:11]
	s_waitcnt lgkmcnt(0)
	s_barrier
	buffer_gl0_inv
	v_cmpx_ne_u32_e32 4, v0
	s_cbranch_execz .LBB68_31
; %bb.28:
	v_dual_mov_b32 v12, 0 :: v_dual_mov_b32 v15, v1
	v_lshl_add_u32 v16, v0, 3, 48
	v_dual_mov_b32 v13, 0 :: v_dual_mov_b32 v14, v0
	s_mov_b32 s2, 0
	.p2align	6
.LBB68_29:                              ; =>This Inner Loop Header: Depth=1
	s_delay_alu instid0(VALU_DEP_1)
	v_cmp_eq_u32_e32 vcc_lo, 1, v14
	ds_load_b64 v[17:18], v16
	v_cmp_eq_u32_e64 s0, 2, v14
	v_dual_cndmask_b32 v1, v3, v5 :: v_dual_add_nc_u32 v16, 8, v16
	v_cndmask_b32_e32 v19, v2, v4, vcc_lo
	v_cmp_eq_u32_e32 vcc_lo, 3, v14
	s_delay_alu instid0(VALU_DEP_3) | instskip(NEXT) | instid1(VALU_DEP_3)
	v_cndmask_b32_e64 v1, v1, v7, s0
	v_cndmask_b32_e64 v19, v19, v6, s0
	v_cmp_eq_u32_e64 s0, 4, v14
	s_delay_alu instid0(VALU_DEP_3) | instskip(NEXT) | instid1(VALU_DEP_3)
	v_cndmask_b32_e32 v1, v1, v9, vcc_lo
	v_cndmask_b32_e32 v19, v19, v8, vcc_lo
	v_add_co_u32 v14, vcc_lo, v14, 1
	v_add_co_ci_u32_e32 v15, vcc_lo, 0, v15, vcc_lo
	s_delay_alu instid0(VALU_DEP_4) | instskip(NEXT) | instid1(VALU_DEP_4)
	v_cndmask_b32_e64 v20, v1, v11, s0
	v_cndmask_b32_e64 v19, v19, v10, s0
	s_delay_alu instid0(VALU_DEP_4) | instskip(SKIP_1) | instid1(VALU_DEP_2)
	v_add_nc_u32_e32 v1, -1, v14
	s_waitcnt lgkmcnt(0)
	v_fma_f64 v[12:13], v[19:20], v[17:18], v[12:13]
	s_delay_alu instid0(VALU_DEP_2) | instskip(SKIP_1) | instid1(SALU_CYCLE_1)
	v_cmp_lt_u32_e32 vcc_lo, 2, v1
	s_or_b32 s2, vcc_lo, s2
	s_and_not1_b32 exec_lo, exec_lo, s2
	s_cbranch_execnz .LBB68_29
; %bb.30:
	s_or_b32 exec_lo, exec_lo, s2
	v_mov_b32_e32 v1, 0
	ds_load_b64 v[10:11], v1 offset:32
	s_waitcnt lgkmcnt(0)
	v_mul_f64 v[10:11], v[12:13], v[10:11]
.LBB68_31:
	s_or_b32 exec_lo, exec_lo, s1
	s_barrier
	buffer_gl0_inv
	s_cbranch_execnz .LBB68_15
	s_branch .LBB68_16
.LBB68_32:
	v_lshl_add_u32 v1, v0, 3, 48
	s_mov_b32 s0, exec_lo
	v_cmpx_eq_u32_e32 4, v0
	s_cbranch_execz .LBB68_34
; %bb.33:
	v_dual_mov_b32 v18, 0 :: v_dual_mov_b32 v13, v3
	v_dual_mov_b32 v12, v2 :: v_dual_mov_b32 v15, v5
	;; [unrolled: 1-line block ×3, first 2 shown]
	s_delay_alu instid0(VALU_DEP_3)
	v_mov_b32_e32 v19, v18
	v_mov_b32_e32 v20, v10
	v_dual_mov_b32 v14, v4 :: v_dual_mov_b32 v17, v7
	ds_store_b64 v1, v[8:9]
	v_mov_b32_e32 v2, v12
	v_dual_mov_b32 v3, v13 :: v_dual_mov_b32 v4, v14
	v_dual_mov_b32 v5, v15 :: v_dual_mov_b32 v6, v16
	v_dual_mov_b32 v7, v17 :: v_dual_mov_b32 v8, v18
	v_dual_mov_b32 v9, v19 :: v_dual_mov_b32 v10, v20
	v_dual_mov_b32 v11, v21 :: v_dual_mov_b32 v12, v22
	v_mov_b32_e32 v13, v23
	v_mov_b32_e32 v14, v24
	;; [unrolled: 1-line block ×5, first 2 shown]
.LBB68_34:
	s_or_b32 exec_lo, exec_lo, s0
	v_mov_b32_e32 v18, 0
	s_waitcnt lgkmcnt(0)
	s_waitcnt_vscnt null, 0x0
	s_barrier
	buffer_gl0_inv
	s_mov_b32 s0, exec_lo
	ds_load_b64 v[12:13], v18 offset:80
	s_waitcnt lgkmcnt(0)
	v_fma_f64 v[12:13], v[10:11], v[12:13], 0
	s_delay_alu instid0(VALU_DEP_1)
	v_add_f64 v[8:9], v[8:9], -v[12:13]
	v_cmpx_lt_u32_e32 2, v0
	s_cbranch_execz .LBB68_36
; %bb.35:
	v_dual_mov_b32 v14, v2 :: v_dual_mov_b32 v15, v3
	s_delay_alu instid0(VALU_DEP_3) | instskip(NEXT) | instid1(VALU_DEP_4)
	v_dual_mov_b32 v19, v18 :: v_dual_mov_b32 v20, v8
	v_dual_mov_b32 v21, v9 :: v_dual_mov_b32 v22, v10
	;; [unrolled: 1-line block ×3, first 2 shown]
	v_mov_b32_e32 v17, v5
	ds_store_b64 v1, v[6:7]
	v_mov_b32_e32 v2, v14
	v_dual_mov_b32 v3, v15 :: v_dual_mov_b32 v4, v16
	v_dual_mov_b32 v5, v17 :: v_dual_mov_b32 v6, v18
	;; [unrolled: 1-line block ×6, first 2 shown]
	v_mov_b32_e32 v15, v27
	v_mov_b32_e32 v16, v28
	;; [unrolled: 1-line block ×3, first 2 shown]
.LBB68_36:
	s_or_b32 exec_lo, exec_lo, s0
	s_waitcnt lgkmcnt(0)
	s_barrier
	buffer_gl0_inv
	ds_load_2addr_b64 v[12:15], v18 offset0:9 offset1:10
	s_mov_b32 s0, exec_lo
	s_waitcnt lgkmcnt(0)
	v_fma_f64 v[12:13], v[8:9], v[12:13], 0
	s_delay_alu instid0(VALU_DEP_1) | instskip(NEXT) | instid1(VALU_DEP_1)
	v_fma_f64 v[12:13], v[10:11], v[14:15], v[12:13]
	v_add_f64 v[6:7], v[6:7], -v[12:13]
	v_cmpx_lt_u32_e32 1, v0
	s_cbranch_execz .LBB68_38
; %bb.37:
	v_dual_mov_b32 v14, 0 :: v_dual_mov_b32 v13, v3
	s_delay_alu instid0(VALU_DEP_3) | instskip(NEXT) | instid1(VALU_DEP_4)
	v_dual_mov_b32 v12, v2 :: v_dual_mov_b32 v17, v7
	v_dual_mov_b32 v16, v6 :: v_dual_mov_b32 v19, v9
	s_delay_alu instid0(VALU_DEP_3)
	v_dual_mov_b32 v15, v14 :: v_dual_mov_b32 v18, v8
	v_dual_mov_b32 v20, v10 :: v_dual_mov_b32 v21, v11
	ds_store_b64 v1, v[4:5]
	v_mov_b32_e32 v2, v12
	v_dual_mov_b32 v3, v13 :: v_dual_mov_b32 v4, v14
	v_dual_mov_b32 v5, v15 :: v_dual_mov_b32 v6, v16
	;; [unrolled: 1-line block ×5, first 2 shown]
	v_mov_b32_e32 v13, v23
	v_mov_b32_e32 v14, v24
	;; [unrolled: 1-line block ×5, first 2 shown]
.LBB68_38:
	s_or_b32 exec_lo, exec_lo, s0
	v_mov_b32_e32 v18, 0
	s_waitcnt lgkmcnt(0)
	s_barrier
	buffer_gl0_inv
	s_mov_b32 s0, exec_lo
	ds_load_b128 v[12:15], v18 offset:64
	ds_load_b64 v[16:17], v18 offset:80
	s_waitcnt lgkmcnt(1)
	v_fma_f64 v[12:13], v[6:7], v[12:13], 0
	s_delay_alu instid0(VALU_DEP_1) | instskip(SKIP_1) | instid1(VALU_DEP_1)
	v_fma_f64 v[12:13], v[8:9], v[14:15], v[12:13]
	s_waitcnt lgkmcnt(0)
	v_fma_f64 v[12:13], v[10:11], v[16:17], v[12:13]
	s_delay_alu instid0(VALU_DEP_1)
	v_add_f64 v[4:5], v[4:5], -v[12:13]
	v_cmpx_ne_u32_e32 0, v0
	s_cbranch_execz .LBB68_40
; %bb.39:
	s_delay_alu instid0(VALU_DEP_2) | instskip(NEXT) | instid1(VALU_DEP_3)
	v_dual_mov_b32 v19, v18 :: v_dual_mov_b32 v20, v4
	v_dual_mov_b32 v21, v5 :: v_dual_mov_b32 v22, v6
	;; [unrolled: 1-line block ×4, first 2 shown]
	v_mov_b32_e32 v27, v11
	ds_store_b64 v1, v[2:3]
	v_dual_mov_b32 v2, v18 :: v_dual_mov_b32 v3, v19
	v_dual_mov_b32 v4, v20 :: v_dual_mov_b32 v5, v21
	;; [unrolled: 1-line block ×8, first 2 shown]
.LBB68_40:
	s_or_b32 exec_lo, exec_lo, s0
	s_waitcnt lgkmcnt(0)
	s_barrier
	buffer_gl0_inv
	ds_load_2addr_b64 v[12:15], v18 offset0:7 offset1:8
	ds_load_2addr_b64 v[16:19], v18 offset0:9 offset1:10
	s_and_b32 vcc_lo, exec_lo, s12
	s_waitcnt lgkmcnt(1)
	v_fma_f64 v[0:1], v[4:5], v[12:13], 0
	s_delay_alu instid0(VALU_DEP_1) | instskip(SKIP_1) | instid1(VALU_DEP_1)
	v_fma_f64 v[0:1], v[6:7], v[14:15], v[0:1]
	s_waitcnt lgkmcnt(0)
	v_fma_f64 v[0:1], v[8:9], v[16:17], v[0:1]
	s_delay_alu instid0(VALU_DEP_1) | instskip(NEXT) | instid1(VALU_DEP_1)
	v_fma_f64 v[0:1], v[10:11], v[18:19], v[0:1]
	v_add_f64 v[2:3], v[2:3], -v[0:1]
	s_cbranch_vccz .LBB68_50
; %bb.41:
	v_dual_mov_b32 v0, s8 :: v_dual_mov_b32 v1, s9
	s_mov_b32 s4, exec_lo
	flat_load_b32 v0, v[0:1] offset:12
	s_waitcnt vmcnt(0) lgkmcnt(0)
	v_add_nc_u32_e32 v0, -1, v0
	s_delay_alu instid0(VALU_DEP_1)
	v_cmpx_ne_u32_e32 3, v0
	s_cbranch_execz .LBB68_43
; %bb.42:
	v_cmp_eq_u32_e32 vcc_lo, 1, v0
	v_cmp_eq_u32_e64 s0, 2, v0
	v_cmp_eq_u32_e64 s1, 3, v0
	;; [unrolled: 1-line block ×4, first 2 shown]
	v_dual_cndmask_b32 v1, v2, v4 :: v_dual_cndmask_b32 v12, v3, v5
	v_cndmask_b32_e64 v16, v7, v9, s0
	v_cndmask_b32_e64 v15, v6, v8, s0
	s_delay_alu instid0(VALU_DEP_4) | instskip(NEXT) | instid1(VALU_DEP_4)
	v_cndmask_b32_e64 v20, v11, v9, s3
	v_cndmask_b32_e64 v1, v1, v6, s0
	;; [unrolled: 1-line block ×5, first 2 shown]
	v_cndmask_b32_e32 v14, v5, v9, vcc_lo
	v_cndmask_b32_e64 v1, v1, v8, s1
	v_cndmask_b32_e64 v3, v13, v9, s1
	v_cndmask_b32_e32 v13, v4, v8, vcc_lo
	s_delay_alu instid0(VALU_DEP_3) | instskip(NEXT) | instid1(VALU_DEP_3)
	v_cndmask_b32_e64 v0, v1, v10, s3
	v_cndmask_b32_e64 v1, v3, v11, s3
	;; [unrolled: 1-line block ×3, first 2 shown]
	s_delay_alu instid0(VALU_DEP_3) | instskip(NEXT) | instid1(VALU_DEP_3)
	v_cndmask_b32_e64 v17, v0, v8, s1
	v_cndmask_b32_e64 v18, v1, v9, s1
	s_delay_alu instid0(VALU_DEP_3)
	v_mov_b32_e32 v2, v11
	v_dual_mov_b32 v3, v12 :: v_dual_mov_b32 v4, v13
	v_dual_mov_b32 v5, v14 :: v_dual_mov_b32 v6, v15
	;; [unrolled: 1-line block ×4, first 2 shown]
	v_mov_b32_e32 v11, v20
	v_mov_b32_e32 v12, v21
	;; [unrolled: 1-line block ×7, first 2 shown]
.LBB68_43:
	s_or_b32 exec_lo, exec_lo, s4
	v_dual_mov_b32 v0, s8 :: v_dual_mov_b32 v1, s9
	s_mov_b32 s4, exec_lo
	flat_load_b32 v0, v[0:1] offset:8
	s_waitcnt vmcnt(0) lgkmcnt(0)
	v_add_nc_u32_e32 v0, -1, v0
	s_delay_alu instid0(VALU_DEP_1)
	v_cmpx_ne_u32_e32 2, v0
	s_cbranch_execz .LBB68_45
; %bb.44:
	v_cmp_eq_u32_e32 vcc_lo, 1, v0
	v_cmp_eq_u32_e64 s0, 2, v0
	v_cmp_eq_u32_e64 s1, 3, v0
	;; [unrolled: 1-line block ×4, first 2 shown]
	v_dual_cndmask_b32 v1, v2, v4 :: v_dual_cndmask_b32 v12, v3, v5
	s_delay_alu instid0(VALU_DEP_4) | instskip(SKIP_1) | instid1(VALU_DEP_4)
	v_cndmask_b32_e64 v18, v9, v7, s1
	v_cndmask_b32_e32 v14, v5, v7, vcc_lo
	v_cndmask_b32_e64 v20, v11, v7, s3
	s_delay_alu instid0(VALU_DEP_4)
	v_cndmask_b32_e64 v1, v1, v6, s0
	v_cndmask_b32_e64 v13, v12, v7, s0
	;; [unrolled: 1-line block ×7, first 2 shown]
	v_cndmask_b32_e32 v13, v4, v6, vcc_lo
	s_delay_alu instid0(VALU_DEP_3) | instskip(NEXT) | instid1(VALU_DEP_3)
	v_cndmask_b32_e64 v0, v1, v10, s3
	v_cndmask_b32_e64 v1, v3, v11, s3
	;; [unrolled: 1-line block ×3, first 2 shown]
	s_delay_alu instid0(VALU_DEP_3) | instskip(NEXT) | instid1(VALU_DEP_3)
	v_cndmask_b32_e64 v15, v0, v6, s0
	v_cndmask_b32_e64 v16, v1, v7, s0
	s_delay_alu instid0(VALU_DEP_3) | instskip(SKIP_1) | instid1(VALU_DEP_4)
	v_mov_b32_e32 v2, v11
	v_dual_mov_b32 v3, v12 :: v_dual_mov_b32 v4, v13
	v_dual_mov_b32 v5, v14 :: v_dual_mov_b32 v6, v15
	s_delay_alu instid0(VALU_DEP_4)
	v_dual_mov_b32 v7, v16 :: v_dual_mov_b32 v8, v17
	v_dual_mov_b32 v9, v18 :: v_dual_mov_b32 v10, v19
	v_mov_b32_e32 v11, v20
	v_mov_b32_e32 v12, v21
	;; [unrolled: 1-line block ×7, first 2 shown]
.LBB68_45:
	s_or_b32 exec_lo, exec_lo, s4
	v_dual_mov_b32 v0, s8 :: v_dual_mov_b32 v1, s9
	s_mov_b32 s4, exec_lo
	flat_load_b32 v0, v[0:1] offset:4
	s_waitcnt vmcnt(0) lgkmcnt(0)
	v_add_nc_u32_e32 v0, -1, v0
	s_delay_alu instid0(VALU_DEP_1)
	v_cmpx_ne_u32_e32 1, v0
	s_cbranch_execz .LBB68_47
; %bb.46:
	v_cmp_eq_u32_e32 vcc_lo, 1, v0
	v_cmp_eq_u32_e64 s0, 2, v0
	v_cmp_eq_u32_e64 s1, 3, v0
	;; [unrolled: 1-line block ×4, first 2 shown]
	v_dual_cndmask_b32 v1, v2, v4 :: v_dual_cndmask_b32 v12, v3, v5
	s_delay_alu instid0(VALU_DEP_4) | instskip(SKIP_1) | instid1(VALU_DEP_4)
	v_cndmask_b32_e64 v18, v9, v5, s1
	v_cndmask_b32_e64 v16, v7, v5, s0
	;; [unrolled: 1-line block ×3, first 2 shown]
	s_delay_alu instid0(VALU_DEP_4)
	v_cndmask_b32_e64 v1, v1, v6, s0
	v_cndmask_b32_e64 v13, v12, v7, s0
	;; [unrolled: 1-line block ×8, first 2 shown]
	s_delay_alu instid0(VALU_DEP_3) | instskip(NEXT) | instid1(VALU_DEP_3)
	v_cndmask_b32_e64 v0, v1, v10, s3
	v_cndmask_b32_e64 v1, v3, v11, s3
	;; [unrolled: 1-line block ×3, first 2 shown]
	s_delay_alu instid0(VALU_DEP_2) | instskip(NEXT) | instid1(VALU_DEP_2)
	v_dual_cndmask_b32 v13, v0, v4 :: v_dual_cndmask_b32 v14, v1, v5
	v_mov_b32_e32 v2, v11
	s_delay_alu instid0(VALU_DEP_2) | instskip(NEXT) | instid1(VALU_DEP_3)
	v_dual_mov_b32 v3, v12 :: v_dual_mov_b32 v4, v13
	v_dual_mov_b32 v5, v14 :: v_dual_mov_b32 v6, v15
	;; [unrolled: 1-line block ×4, first 2 shown]
	v_mov_b32_e32 v11, v20
	v_mov_b32_e32 v12, v21
	;; [unrolled: 1-line block ×7, first 2 shown]
.LBB68_47:
	s_or_b32 exec_lo, exec_lo, s4
	v_dual_mov_b32 v0, s8 :: v_dual_mov_b32 v1, s9
	s_mov_b32 s3, exec_lo
	flat_load_b32 v0, v[0:1]
	s_waitcnt vmcnt(0) lgkmcnt(0)
	v_add_nc_u32_e32 v0, -1, v0
	s_delay_alu instid0(VALU_DEP_1)
	v_cmpx_ne_u32_e32 0, v0
	s_cbranch_execz .LBB68_49
; %bb.48:
	v_cmp_eq_u32_e32 vcc_lo, 1, v0
	v_cmp_eq_u32_e64 s0, 2, v0
	v_cmp_eq_u32_e64 s1, 3, v0
	;; [unrolled: 1-line block ×3, first 2 shown]
	v_dual_cndmask_b32 v1, v2, v4 :: v_dual_cndmask_b32 v12, v3, v5
	s_delay_alu instid0(VALU_DEP_4) | instskip(SKIP_2) | instid1(VALU_DEP_4)
	v_cndmask_b32_e64 v14, v7, v3, s0
	v_cndmask_b32_e64 v13, v6, v2, s0
	;; [unrolled: 1-line block ×5, first 2 shown]
	v_cmp_eq_u32_e64 s0, 0, v0
	v_cndmask_b32_e64 v18, v11, v3, s2
	v_cndmask_b32_e64 v15, v8, v2, s1
	;; [unrolled: 1-line block ×4, first 2 shown]
	v_cndmask_b32_e32 v12, v5, v3, vcc_lo
	v_cndmask_b32_e64 v17, v10, v2, s2
	s_delay_alu instid0(VALU_DEP_4) | instskip(NEXT) | instid1(VALU_DEP_4)
	v_cndmask_b32_e64 v1, v1, v10, s2
	v_cndmask_b32_e64 v5, v7, v11, s2
	v_cndmask_b32_e32 v11, v4, v2, vcc_lo
	s_delay_alu instid0(VALU_DEP_3) | instskip(NEXT) | instid1(VALU_DEP_3)
	v_cndmask_b32_e64 v9, v1, v2, s0
	v_cndmask_b32_e64 v10, v5, v3, s0
	s_delay_alu instid0(VALU_DEP_2) | instskip(NEXT) | instid1(VALU_DEP_2)
	v_mov_b32_e32 v2, v9
	v_dual_mov_b32 v3, v10 :: v_dual_mov_b32 v4, v11
	v_dual_mov_b32 v5, v12 :: v_dual_mov_b32 v6, v13
	;; [unrolled: 1-line block ×3, first 2 shown]
	v_mov_b32_e32 v9, v16
	v_mov_b32_e32 v10, v17
	;; [unrolled: 1-line block ×9, first 2 shown]
.LBB68_49:
	s_or_b32 exec_lo, exec_lo, s3
.LBB68_50:
	s_clause 0x4
	global_store_b64 v[28:29], v[2:3], off
	global_store_b64 v[36:37], v[4:5], off
	global_store_b64 v[32:33], v[6:7], off
	global_store_b64 v[34:35], v[8:9], off
	global_store_b64 v[30:31], v[10:11], off
	s_nop 0
	s_sendmsg sendmsg(MSG_DEALLOC_VGPRS)
	s_endpgm
	.section	.rodata,"a",@progbits
	.p2align	6, 0x0
	.amdhsa_kernel _ZN9rocsolver6v33100L18getri_kernel_smallILi5EdPKPdEEvT1_iilPiilS6_bb
		.amdhsa_group_segment_fixed_size 88
		.amdhsa_private_segment_fixed_size 0
		.amdhsa_kernarg_size 60
		.amdhsa_user_sgpr_count 15
		.amdhsa_user_sgpr_dispatch_ptr 0
		.amdhsa_user_sgpr_queue_ptr 0
		.amdhsa_user_sgpr_kernarg_segment_ptr 1
		.amdhsa_user_sgpr_dispatch_id 0
		.amdhsa_user_sgpr_private_segment_size 0
		.amdhsa_wavefront_size32 1
		.amdhsa_uses_dynamic_stack 0
		.amdhsa_enable_private_segment 0
		.amdhsa_system_sgpr_workgroup_id_x 1
		.amdhsa_system_sgpr_workgroup_id_y 0
		.amdhsa_system_sgpr_workgroup_id_z 0
		.amdhsa_system_sgpr_workgroup_info 0
		.amdhsa_system_vgpr_workitem_id 0
		.amdhsa_next_free_vgpr 38
		.amdhsa_next_free_sgpr 17
		.amdhsa_reserve_vcc 1
		.amdhsa_float_round_mode_32 0
		.amdhsa_float_round_mode_16_64 0
		.amdhsa_float_denorm_mode_32 3
		.amdhsa_float_denorm_mode_16_64 3
		.amdhsa_dx10_clamp 1
		.amdhsa_ieee_mode 1
		.amdhsa_fp16_overflow 0
		.amdhsa_workgroup_processor_mode 1
		.amdhsa_memory_ordered 1
		.amdhsa_forward_progress 0
		.amdhsa_shared_vgpr_count 0
		.amdhsa_exception_fp_ieee_invalid_op 0
		.amdhsa_exception_fp_denorm_src 0
		.amdhsa_exception_fp_ieee_div_zero 0
		.amdhsa_exception_fp_ieee_overflow 0
		.amdhsa_exception_fp_ieee_underflow 0
		.amdhsa_exception_fp_ieee_inexact 0
		.amdhsa_exception_int_div_zero 0
	.end_amdhsa_kernel
	.section	.text._ZN9rocsolver6v33100L18getri_kernel_smallILi5EdPKPdEEvT1_iilPiilS6_bb,"axG",@progbits,_ZN9rocsolver6v33100L18getri_kernel_smallILi5EdPKPdEEvT1_iilPiilS6_bb,comdat
.Lfunc_end68:
	.size	_ZN9rocsolver6v33100L18getri_kernel_smallILi5EdPKPdEEvT1_iilPiilS6_bb, .Lfunc_end68-_ZN9rocsolver6v33100L18getri_kernel_smallILi5EdPKPdEEvT1_iilPiilS6_bb
                                        ; -- End function
	.section	.AMDGPU.csdata,"",@progbits
; Kernel info:
; codeLenInByte = 3884
; NumSgprs: 19
; NumVgprs: 38
; ScratchSize: 0
; MemoryBound: 0
; FloatMode: 240
; IeeeMode: 1
; LDSByteSize: 88 bytes/workgroup (compile time only)
; SGPRBlocks: 2
; VGPRBlocks: 4
; NumSGPRsForWavesPerEU: 19
; NumVGPRsForWavesPerEU: 38
; Occupancy: 16
; WaveLimiterHint : 1
; COMPUTE_PGM_RSRC2:SCRATCH_EN: 0
; COMPUTE_PGM_RSRC2:USER_SGPR: 15
; COMPUTE_PGM_RSRC2:TRAP_HANDLER: 0
; COMPUTE_PGM_RSRC2:TGID_X_EN: 1
; COMPUTE_PGM_RSRC2:TGID_Y_EN: 0
; COMPUTE_PGM_RSRC2:TGID_Z_EN: 0
; COMPUTE_PGM_RSRC2:TIDIG_COMP_CNT: 0
	.section	.text._ZN9rocsolver6v33100L18getri_kernel_smallILi6EdPKPdEEvT1_iilPiilS6_bb,"axG",@progbits,_ZN9rocsolver6v33100L18getri_kernel_smallILi6EdPKPdEEvT1_iilPiilS6_bb,comdat
	.globl	_ZN9rocsolver6v33100L18getri_kernel_smallILi6EdPKPdEEvT1_iilPiilS6_bb ; -- Begin function _ZN9rocsolver6v33100L18getri_kernel_smallILi6EdPKPdEEvT1_iilPiilS6_bb
	.p2align	8
	.type	_ZN9rocsolver6v33100L18getri_kernel_smallILi6EdPKPdEEvT1_iilPiilS6_bb,@function
_ZN9rocsolver6v33100L18getri_kernel_smallILi6EdPKPdEEvT1_iilPiilS6_bb: ; @_ZN9rocsolver6v33100L18getri_kernel_smallILi6EdPKPdEEvT1_iilPiilS6_bb
; %bb.0:
	s_mov_b32 s2, exec_lo
	v_cmpx_gt_u32_e32 6, v0
	s_cbranch_execz .LBB69_16
; %bb.1:
	s_clause 0x1
	s_load_b32 s13, s[0:1], 0x38
	s_load_b64 s[2:3], s[0:1], 0x0
	s_mov_b32 s10, s15
	s_load_b128 s[4:7], s[0:1], 0x28
	s_waitcnt lgkmcnt(0)
	s_bitcmp1_b32 s13, 8
	s_cselect_b32 s12, -1, 0
	s_ashr_i32 s11, s15, 31
	s_delay_alu instid0(SALU_CYCLE_1) | instskip(NEXT) | instid1(SALU_CYCLE_1)
	s_lshl_b64 s[8:9], s[10:11], 3
	s_add_u32 s2, s2, s8
	s_addc_u32 s3, s3, s9
	s_bfe_u32 s8, s13, 0x10008
	s_load_b64 s[2:3], s[2:3], 0x0
	s_cmp_eq_u32 s8, 0
                                        ; implicit-def: $sgpr8_sgpr9
	s_cbranch_scc1 .LBB69_3
; %bb.2:
	s_clause 0x1
	s_load_b32 s8, s[0:1], 0x20
	s_load_b64 s[14:15], s[0:1], 0x18
	s_mul_i32 s5, s10, s5
	s_mul_hi_u32 s9, s10, s4
	s_mul_i32 s16, s11, s4
	s_add_i32 s5, s9, s5
	s_mul_i32 s4, s10, s4
	s_add_i32 s5, s5, s16
	s_delay_alu instid0(SALU_CYCLE_1)
	s_lshl_b64 s[4:5], s[4:5], 2
	s_waitcnt lgkmcnt(0)
	s_ashr_i32 s9, s8, 31
	s_add_u32 s14, s14, s4
	s_addc_u32 s15, s15, s5
	s_lshl_b64 s[4:5], s[8:9], 2
	s_delay_alu instid0(SALU_CYCLE_1)
	s_add_u32 s8, s14, s4
	s_addc_u32 s9, s15, s5
.LBB69_3:
	s_load_b64 s[0:1], s[0:1], 0x8
	v_lshlrev_b32_e32 v16, 3, v0
	s_waitcnt lgkmcnt(0)
	v_add3_u32 v1, s1, s1, v0
	s_ashr_i32 s5, s0, 31
	s_mov_b32 s4, s0
	s_mov_b32 s14, s1
	s_lshl_b64 s[4:5], s[4:5], 3
	v_add_nc_u32_e32 v3, s1, v1
	v_ashrrev_i32_e32 v2, 31, v1
	s_add_u32 s2, s2, s4
	s_addc_u32 s3, s3, s5
	v_add_co_u32 v28, s0, s2, v16
	v_add_nc_u32_e32 v5, s1, v3
	v_ashrrev_i32_e32 v4, 31, v3
	s_ashr_i32 s15, s1, 31
	v_add_co_ci_u32_e64 v29, null, s3, 0, s0
	v_lshlrev_b64 v[1:2], 3, v[1:2]
	s_lshl_b64 s[4:5], s[14:15], 3
	v_add_nc_u32_e32 v7, s1, v5
	v_add_co_u32 v30, vcc_lo, v28, s4
	v_lshlrev_b64 v[3:4], 3, v[3:4]
	v_ashrrev_i32_e32 v6, 31, v5
	v_add_co_ci_u32_e32 v31, vcc_lo, s5, v29, vcc_lo
	v_add_co_u32 v38, vcc_lo, s2, v1
	v_ashrrev_i32_e32 v8, 31, v7
	v_add_co_ci_u32_e32 v39, vcc_lo, s3, v2, vcc_lo
	v_lshlrev_b64 v[1:2], 3, v[5:6]
	v_add_co_u32 v34, vcc_lo, s2, v3
	v_add_co_ci_u32_e32 v35, vcc_lo, s3, v4, vcc_lo
	v_lshlrev_b64 v[3:4], 3, v[7:8]
	s_delay_alu instid0(VALU_DEP_4) | instskip(SKIP_2) | instid1(VALU_DEP_4)
	v_add_co_u32 v36, vcc_lo, s2, v1
	v_mov_b32_e32 v1, 0
	v_add_co_ci_u32_e32 v37, vcc_lo, s3, v2, vcc_lo
	v_add_co_u32 v32, vcc_lo, s2, v3
	v_add_co_ci_u32_e32 v33, vcc_lo, s3, v4, vcc_lo
	s_clause 0x5
	global_load_b64 v[4:5], v[30:31], off
	global_load_b64 v[6:7], v[38:39], off
	;; [unrolled: 1-line block ×4, first 2 shown]
	global_load_b64 v[2:3], v16, s[2:3]
	global_load_b64 v[12:13], v[32:33], off
	s_bitcmp0_b32 s13, 0
	s_mov_b32 s0, -1
	s_cbranch_scc1 .LBB69_14
; %bb.4:
	v_cmp_eq_u32_e64 s0, 0, v0
	s_delay_alu instid0(VALU_DEP_1)
	s_and_saveexec_b32 s1, s0
	s_cbranch_execz .LBB69_6
; %bb.5:
	v_mov_b32_e32 v14, 0
	ds_store_b32 v14, v14 offset:96
.LBB69_6:
	s_or_b32 exec_lo, exec_lo, s1
	v_cmp_eq_u32_e32 vcc_lo, 1, v0
	s_mov_b32 s2, exec_lo
	s_waitcnt vmcnt(0) lgkmcnt(0)
	s_barrier
	buffer_gl0_inv
	v_dual_cndmask_b32 v14, v3, v5 :: v_dual_cndmask_b32 v15, v2, v4
	v_cmp_eq_u32_e32 vcc_lo, 2, v0
	s_delay_alu instid0(VALU_DEP_2) | instskip(SKIP_1) | instid1(VALU_DEP_2)
	v_dual_cndmask_b32 v14, v14, v7 :: v_dual_cndmask_b32 v15, v15, v6
	v_cmp_eq_u32_e32 vcc_lo, 3, v0
	v_dual_cndmask_b32 v14, v14, v9 :: v_dual_cndmask_b32 v15, v15, v8
	v_cmp_eq_u32_e32 vcc_lo, 4, v0
	s_delay_alu instid0(VALU_DEP_2) | instskip(SKIP_1) | instid1(VALU_DEP_2)
	v_dual_cndmask_b32 v14, v14, v11 :: v_dual_cndmask_b32 v17, v15, v10
	v_cmp_eq_u32_e32 vcc_lo, 5, v0
	v_dual_cndmask_b32 v15, v14, v13 :: v_dual_cndmask_b32 v14, v17, v12
	s_delay_alu instid0(VALU_DEP_1)
	v_cmpx_eq_f64_e32 0, v[14:15]
	s_cbranch_execz .LBB69_10
; %bb.7:
	v_mov_b32_e32 v17, 0
	s_mov_b32 s3, 0
	ds_load_b32 v18, v17 offset:96
	s_waitcnt lgkmcnt(0)
	v_readfirstlane_b32 s1, v18
	v_add_nc_u32_e32 v18, 1, v0
	s_delay_alu instid0(VALU_DEP_2) | instskip(NEXT) | instid1(VALU_DEP_1)
	s_cmp_eq_u32 s1, 0
	v_cmp_gt_i32_e32 vcc_lo, s1, v18
	s_cselect_b32 s4, -1, 0
	s_delay_alu instid0(SALU_CYCLE_1) | instskip(NEXT) | instid1(SALU_CYCLE_1)
	s_or_b32 s4, s4, vcc_lo
	s_and_b32 exec_lo, exec_lo, s4
	s_cbranch_execz .LBB69_10
; %bb.8:
	v_mov_b32_e32 v19, s1
.LBB69_9:                               ; =>This Inner Loop Header: Depth=1
	ds_cmpstore_rtn_b32 v19, v17, v18, v19 offset:96
	s_waitcnt lgkmcnt(0)
	v_cmp_ne_u32_e32 vcc_lo, 0, v19
	v_cmp_le_i32_e64 s1, v19, v18
	s_delay_alu instid0(VALU_DEP_1) | instskip(NEXT) | instid1(SALU_CYCLE_1)
	s_and_b32 s1, vcc_lo, s1
	s_and_b32 s1, exec_lo, s1
	s_delay_alu instid0(SALU_CYCLE_1) | instskip(NEXT) | instid1(SALU_CYCLE_1)
	s_or_b32 s3, s1, s3
	s_and_not1_b32 exec_lo, exec_lo, s3
	s_cbranch_execnz .LBB69_9
.LBB69_10:
	s_or_b32 exec_lo, exec_lo, s2
	v_mov_b32_e32 v17, 0
	s_barrier
	buffer_gl0_inv
	ds_load_b32 v18, v17 offset:96
	s_and_saveexec_b32 s1, s0
	s_cbranch_execz .LBB69_12
; %bb.11:
	s_lshl_b64 s[2:3], s[10:11], 2
	s_delay_alu instid0(SALU_CYCLE_1)
	s_add_u32 s2, s6, s2
	s_addc_u32 s3, s7, s3
	s_waitcnt lgkmcnt(0)
	global_store_b32 v17, v18, s[2:3]
.LBB69_12:
	s_or_b32 exec_lo, exec_lo, s1
	s_waitcnt lgkmcnt(0)
	v_cmp_ne_u32_e32 vcc_lo, 0, v18
	s_cbranch_vccz .LBB69_17
; %bb.13:
	s_mov_b32 s0, 0
                                        ; implicit-def: $vgpr2_vgpr3_vgpr4_vgpr5_vgpr6_vgpr7_vgpr8_vgpr9_vgpr10_vgpr11_vgpr12_vgpr13_vgpr14_vgpr15_vgpr16_vgpr17
.LBB69_14:
	s_delay_alu instid0(SALU_CYCLE_1)
	s_and_b32 vcc_lo, exec_lo, s0
	s_cbranch_vccz .LBB69_16
.LBB69_15:
	s_lshl_b64 s[0:1], s[10:11], 2
	v_mov_b32_e32 v1, 0
	s_add_u32 s0, s6, s0
	s_addc_u32 s1, s7, s1
	global_load_b32 v1, v1, s[0:1]
	s_waitcnt vmcnt(0)
	v_cmp_ne_u32_e32 vcc_lo, 0, v1
	s_cbranch_vccz .LBB69_36
.LBB69_16:
	s_nop 0
	s_sendmsg sendmsg(MSG_DEALLOC_VGPRS)
	s_endpgm
.LBB69_17:
	v_div_scale_f64 v[17:18], null, v[14:15], v[14:15], 1.0
	v_div_scale_f64 v[23:24], vcc_lo, 1.0, v[14:15], 1.0
	v_cmp_eq_u32_e64 s1, 5, v0
	v_cmp_eq_u32_e64 s2, 3, v0
	;; [unrolled: 1-line block ×4, first 2 shown]
	v_rcp_f64_e32 v[19:20], v[17:18]
	s_waitcnt_depctr 0xfff
	v_fma_f64 v[21:22], -v[17:18], v[19:20], 1.0
	s_delay_alu instid0(VALU_DEP_1) | instskip(NEXT) | instid1(VALU_DEP_1)
	v_fma_f64 v[19:20], v[19:20], v[21:22], v[19:20]
	v_fma_f64 v[21:22], -v[17:18], v[19:20], 1.0
	s_delay_alu instid0(VALU_DEP_1) | instskip(NEXT) | instid1(VALU_DEP_1)
	v_fma_f64 v[19:20], v[19:20], v[21:22], v[19:20]
	v_mul_f64 v[21:22], v[23:24], v[19:20]
	s_delay_alu instid0(VALU_DEP_1) | instskip(NEXT) | instid1(VALU_DEP_1)
	v_fma_f64 v[17:18], -v[17:18], v[21:22], v[23:24]
	v_div_fmas_f64 v[17:18], v[17:18], v[19:20], v[21:22]
	v_cmp_eq_u32_e32 vcc_lo, 4, v0
	s_delay_alu instid0(VALU_DEP_2) | instskip(NEXT) | instid1(VALU_DEP_1)
	v_div_fixup_f64 v[14:15], v[17:18], v[14:15], 1.0
	v_dual_cndmask_b32 v11, v11, v15 :: v_dual_add_nc_u32 v18, 48, v16
	s_delay_alu instid0(VALU_DEP_2)
	v_cndmask_b32_e32 v10, v10, v14, vcc_lo
	v_cmp_eq_u32_e32 vcc_lo, 2, v0
	v_cndmask_b32_e64 v13, v13, v15, s1
	v_cndmask_b32_e64 v12, v12, v14, s1
	v_cndmask_b32_e64 v9, v9, v15, s2
	v_cndmask_b32_e64 v8, v8, v14, s2
	v_cndmask_b32_e32 v7, v7, v15, vcc_lo
	v_cndmask_b32_e64 v5, v5, v15, s3
	v_cndmask_b32_e64 v4, v4, v14, s3
	v_xor_b32_e32 v20, 0x80000000, v15
	v_mov_b32_e32 v19, v14
	v_cndmask_b32_e32 v6, v6, v14, vcc_lo
	v_cndmask_b32_e64 v3, v3, v15, s4
	v_cndmask_b32_e64 v2, v2, v14, s4
	ds_store_2addr_b64 v16, v[19:20], v[4:5] offset1:6
	s_waitcnt lgkmcnt(0)
	s_waitcnt_vscnt null, 0x0
	s_barrier
	buffer_gl0_inv
	s_and_saveexec_b32 s1, s0
	s_cbranch_execz .LBB69_19
; %bb.18:
	ds_load_b64 v[4:5], v18
	v_mov_b32_e32 v16, 0
	ds_load_b64 v[16:17], v16 offset:8
	s_waitcnt lgkmcnt(1)
	v_fma_f64 v[4:5], v[14:15], v[4:5], 0
	s_waitcnt lgkmcnt(0)
	s_delay_alu instid0(VALU_DEP_1)
	v_mul_f64 v[4:5], v[4:5], v[16:17]
.LBB69_19:
	s_or_b32 exec_lo, exec_lo, s1
	s_delay_alu instid0(SALU_CYCLE_1)
	s_mov_b32 s1, exec_lo
	s_barrier
	buffer_gl0_inv
	ds_store_b64 v18, v[6:7]
	s_waitcnt lgkmcnt(0)
	s_barrier
	buffer_gl0_inv
	v_cmpx_gt_u32_e32 2, v0
	s_cbranch_execz .LBB69_23
; %bb.20:
	v_cmp_eq_u32_e32 vcc_lo, 1, v0
	v_dual_cndmask_b32 v14, v3, v5 :: v_dual_cndmask_b32 v15, v2, v4
	v_cmp_eq_u32_e32 vcc_lo, 2, v0
	s_delay_alu instid0(VALU_DEP_2) | instskip(SKIP_4) | instid1(VALU_DEP_2)
	v_dual_cndmask_b32 v14, v14, v7 :: v_dual_cndmask_b32 v15, v15, v6
	v_cmp_eq_u32_e32 vcc_lo, 3, v0
	ds_load_b64 v[6:7], v18
	v_dual_cndmask_b32 v14, v14, v9 :: v_dual_cndmask_b32 v15, v15, v8
	v_cmp_eq_u32_e32 vcc_lo, 4, v0
	v_cndmask_b32_e32 v14, v14, v11, vcc_lo
	s_delay_alu instid0(VALU_DEP_3) | instskip(SKIP_1) | instid1(VALU_DEP_2)
	v_cndmask_b32_e32 v16, v15, v10, vcc_lo
	v_cmp_eq_u32_e32 vcc_lo, 5, v0
	v_dual_cndmask_b32 v15, v14, v13 :: v_dual_cndmask_b32 v14, v16, v12
	s_waitcnt lgkmcnt(0)
	s_delay_alu instid0(VALU_DEP_1)
	v_fma_f64 v[6:7], v[14:15], v[6:7], 0
	s_and_saveexec_b32 s2, s0
	s_cbranch_execz .LBB69_22
; %bb.21:
	v_mov_b32_e32 v14, 0
	ds_load_b64 v[14:15], v14 offset:56
	s_waitcnt lgkmcnt(0)
	v_fma_f64 v[6:7], v[4:5], v[14:15], v[6:7]
.LBB69_22:
	s_or_b32 exec_lo, exec_lo, s2
	v_mov_b32_e32 v14, 0
	ds_load_b64 v[14:15], v14 offset:16
	s_waitcnt lgkmcnt(0)
	v_mul_f64 v[6:7], v[6:7], v[14:15]
.LBB69_23:
	s_or_b32 exec_lo, exec_lo, s1
	s_delay_alu instid0(SALU_CYCLE_1)
	s_mov_b32 s1, exec_lo
	s_barrier
	buffer_gl0_inv
	ds_store_b64 v18, v[8:9]
	s_waitcnt lgkmcnt(0)
	s_barrier
	buffer_gl0_inv
	v_cmpx_gt_u32_e32 3, v0
	s_cbranch_execz .LBB69_27
; %bb.24:
	v_dual_mov_b32 v14, 0 :: v_dual_mov_b32 v17, v1
	v_lshl_add_u32 v19, v0, 3, 48
	v_dual_mov_b32 v15, 0 :: v_dual_mov_b32 v16, v0
	s_mov_b32 s2, 0
	s_set_inst_prefetch_distance 0x1
	.p2align	6
.LBB69_25:                              ; =>This Inner Loop Header: Depth=1
	s_delay_alu instid0(VALU_DEP_1)
	v_cmp_eq_u32_e32 vcc_lo, 1, v16
	v_cmp_eq_u32_e64 s0, 2, v16
	ds_load_b64 v[20:21], v19
	v_dual_cndmask_b32 v22, v3, v5 :: v_dual_add_nc_u32 v19, 8, v19
	v_cndmask_b32_e32 v23, v2, v4, vcc_lo
	v_cmp_eq_u32_e32 vcc_lo, 3, v16
	s_delay_alu instid0(VALU_DEP_3) | instskip(NEXT) | instid1(VALU_DEP_3)
	v_cndmask_b32_e64 v22, v22, v7, s0
	v_cndmask_b32_e64 v23, v23, v6, s0
	v_cmp_eq_u32_e64 s0, 4, v16
	s_delay_alu instid0(VALU_DEP_2) | instskip(SKIP_1) | instid1(VALU_DEP_2)
	v_dual_cndmask_b32 v22, v22, v9 :: v_dual_cndmask_b32 v23, v23, v8
	v_cmp_eq_u32_e32 vcc_lo, 5, v16
	v_cndmask_b32_e64 v22, v22, v11, s0
	s_delay_alu instid0(VALU_DEP_3) | instskip(NEXT) | instid1(VALU_DEP_1)
	v_cndmask_b32_e64 v24, v23, v10, s0
	v_dual_cndmask_b32 v23, v22, v13 :: v_dual_cndmask_b32 v22, v24, v12
	v_add_co_u32 v16, vcc_lo, v16, 1
	v_add_co_ci_u32_e32 v17, vcc_lo, 0, v17, vcc_lo
	s_waitcnt lgkmcnt(0)
	s_delay_alu instid0(VALU_DEP_3) | instskip(NEXT) | instid1(VALU_DEP_3)
	v_fma_f64 v[14:15], v[22:23], v[20:21], v[14:15]
	v_add_nc_u32_e32 v20, -1, v16
	s_delay_alu instid0(VALU_DEP_1) | instskip(SKIP_1) | instid1(SALU_CYCLE_1)
	v_cmp_lt_u32_e32 vcc_lo, 1, v20
	s_or_b32 s2, vcc_lo, s2
	s_and_not1_b32 exec_lo, exec_lo, s2
	s_cbranch_execnz .LBB69_25
; %bb.26:
	s_set_inst_prefetch_distance 0x2
	s_or_b32 exec_lo, exec_lo, s2
	v_mov_b32_e32 v8, 0
	ds_load_b64 v[8:9], v8 offset:24
	s_waitcnt lgkmcnt(0)
	v_mul_f64 v[8:9], v[14:15], v[8:9]
.LBB69_27:
	s_or_b32 exec_lo, exec_lo, s1
	s_delay_alu instid0(SALU_CYCLE_1)
	s_mov_b32 s1, exec_lo
	s_barrier
	buffer_gl0_inv
	ds_store_b64 v18, v[10:11]
	s_waitcnt lgkmcnt(0)
	s_barrier
	buffer_gl0_inv
	v_cmpx_gt_u32_e32 4, v0
	s_cbranch_execz .LBB69_31
; %bb.28:
	v_dual_mov_b32 v14, 0 :: v_dual_mov_b32 v17, v1
	v_lshl_add_u32 v19, v0, 3, 48
	v_dual_mov_b32 v15, 0 :: v_dual_mov_b32 v16, v0
	s_mov_b32 s2, 0
	s_set_inst_prefetch_distance 0x1
	.p2align	6
.LBB69_29:                              ; =>This Inner Loop Header: Depth=1
	s_delay_alu instid0(VALU_DEP_1)
	v_cmp_eq_u32_e32 vcc_lo, 1, v16
	v_cmp_eq_u32_e64 s0, 2, v16
	ds_load_b64 v[20:21], v19
	v_dual_cndmask_b32 v22, v3, v5 :: v_dual_add_nc_u32 v19, 8, v19
	v_cndmask_b32_e32 v23, v2, v4, vcc_lo
	v_cmp_eq_u32_e32 vcc_lo, 3, v16
	s_delay_alu instid0(VALU_DEP_3) | instskip(NEXT) | instid1(VALU_DEP_3)
	v_cndmask_b32_e64 v22, v22, v7, s0
	v_cndmask_b32_e64 v23, v23, v6, s0
	v_cmp_eq_u32_e64 s0, 4, v16
	s_delay_alu instid0(VALU_DEP_2) | instskip(SKIP_1) | instid1(VALU_DEP_2)
	v_dual_cndmask_b32 v22, v22, v9 :: v_dual_cndmask_b32 v23, v23, v8
	v_cmp_eq_u32_e32 vcc_lo, 5, v16
	v_cndmask_b32_e64 v22, v22, v11, s0
	s_delay_alu instid0(VALU_DEP_3) | instskip(NEXT) | instid1(VALU_DEP_1)
	v_cndmask_b32_e64 v24, v23, v10, s0
	v_dual_cndmask_b32 v23, v22, v13 :: v_dual_cndmask_b32 v22, v24, v12
	v_add_co_u32 v16, vcc_lo, v16, 1
	v_add_co_ci_u32_e32 v17, vcc_lo, 0, v17, vcc_lo
	s_waitcnt lgkmcnt(0)
	s_delay_alu instid0(VALU_DEP_3) | instskip(NEXT) | instid1(VALU_DEP_3)
	v_fma_f64 v[14:15], v[22:23], v[20:21], v[14:15]
	v_add_nc_u32_e32 v20, -1, v16
	s_delay_alu instid0(VALU_DEP_1) | instskip(SKIP_1) | instid1(SALU_CYCLE_1)
	v_cmp_lt_u32_e32 vcc_lo, 2, v20
	s_or_b32 s2, vcc_lo, s2
	s_and_not1_b32 exec_lo, exec_lo, s2
	s_cbranch_execnz .LBB69_29
; %bb.30:
	s_set_inst_prefetch_distance 0x2
	s_or_b32 exec_lo, exec_lo, s2
	v_mov_b32_e32 v10, 0
	ds_load_b64 v[10:11], v10 offset:32
	s_waitcnt lgkmcnt(0)
	v_mul_f64 v[10:11], v[14:15], v[10:11]
.LBB69_31:
	s_or_b32 exec_lo, exec_lo, s1
	s_delay_alu instid0(SALU_CYCLE_1)
	s_mov_b32 s1, exec_lo
	s_barrier
	buffer_gl0_inv
	ds_store_b64 v18, v[12:13]
	s_waitcnt lgkmcnt(0)
	s_barrier
	buffer_gl0_inv
	v_cmpx_ne_u32_e32 5, v0
	s_cbranch_execz .LBB69_35
; %bb.32:
	v_dual_mov_b32 v14, 0 :: v_dual_mov_b32 v17, v1
	v_lshl_add_u32 v18, v0, 3, 48
	v_dual_mov_b32 v15, 0 :: v_dual_mov_b32 v16, v0
	s_mov_b32 s2, 0
	s_set_inst_prefetch_distance 0x1
	.p2align	6
.LBB69_33:                              ; =>This Inner Loop Header: Depth=1
	s_delay_alu instid0(VALU_DEP_1)
	v_cmp_eq_u32_e32 vcc_lo, 1, v16
	v_cmp_eq_u32_e64 s0, 2, v16
	ds_load_b64 v[19:20], v18
	v_dual_cndmask_b32 v1, v3, v5 :: v_dual_add_nc_u32 v18, 8, v18
	v_cndmask_b32_e32 v21, v2, v4, vcc_lo
	v_cmp_eq_u32_e32 vcc_lo, 3, v16
	s_delay_alu instid0(VALU_DEP_3) | instskip(NEXT) | instid1(VALU_DEP_3)
	v_cndmask_b32_e64 v1, v1, v7, s0
	v_cndmask_b32_e64 v21, v21, v6, s0
	v_cmp_eq_u32_e64 s0, 4, v16
	s_delay_alu instid0(VALU_DEP_3) | instskip(NEXT) | instid1(VALU_DEP_3)
	v_cndmask_b32_e32 v1, v1, v9, vcc_lo
	v_cndmask_b32_e32 v21, v21, v8, vcc_lo
	v_cmp_eq_u32_e32 vcc_lo, 5, v16
	s_delay_alu instid0(VALU_DEP_3) | instskip(NEXT) | instid1(VALU_DEP_3)
	v_cndmask_b32_e64 v1, v1, v11, s0
	v_cndmask_b32_e64 v21, v21, v10, s0
	s_delay_alu instid0(VALU_DEP_2) | instskip(NEXT) | instid1(VALU_DEP_2)
	v_cndmask_b32_e32 v22, v1, v13, vcc_lo
	v_cndmask_b32_e32 v21, v21, v12, vcc_lo
	v_add_co_u32 v16, vcc_lo, v16, 1
	v_add_co_ci_u32_e32 v17, vcc_lo, 0, v17, vcc_lo
	s_waitcnt lgkmcnt(0)
	s_delay_alu instid0(VALU_DEP_3) | instskip(NEXT) | instid1(VALU_DEP_3)
	v_fma_f64 v[14:15], v[21:22], v[19:20], v[14:15]
	v_add_nc_u32_e32 v1, -1, v16
	s_delay_alu instid0(VALU_DEP_1) | instskip(SKIP_1) | instid1(SALU_CYCLE_1)
	v_cmp_lt_u32_e32 vcc_lo, 3, v1
	s_or_b32 s2, vcc_lo, s2
	s_and_not1_b32 exec_lo, exec_lo, s2
	s_cbranch_execnz .LBB69_33
; %bb.34:
	s_set_inst_prefetch_distance 0x2
	s_or_b32 exec_lo, exec_lo, s2
	v_mov_b32_e32 v1, 0
	ds_load_b64 v[12:13], v1 offset:40
	s_waitcnt lgkmcnt(0)
	v_mul_f64 v[12:13], v[14:15], v[12:13]
.LBB69_35:
	s_or_b32 exec_lo, exec_lo, s1
	s_barrier
	buffer_gl0_inv
	s_cbranch_execnz .LBB69_15
	s_branch .LBB69_16
.LBB69_36:
	v_lshl_add_u32 v1, v0, 3, 48
	s_mov_b32 s0, exec_lo
	v_cmpx_eq_u32_e32 5, v0
	s_cbranch_execz .LBB69_38
; %bb.37:
	v_dual_mov_b32 v22, 0 :: v_dual_mov_b32 v15, v3
	v_dual_mov_b32 v14, v2 :: v_dual_mov_b32 v17, v5
	;; [unrolled: 1-line block ×4, first 2 shown]
	s_delay_alu instid0(VALU_DEP_4)
	v_dual_mov_b32 v20, v8 :: v_dual_mov_b32 v23, v22
	v_dual_mov_b32 v24, v12 :: v_dual_mov_b32 v25, v13
	ds_store_b64 v1, v[10:11]
	v_mov_b32_e32 v2, v14
	v_dual_mov_b32 v3, v15 :: v_dual_mov_b32 v4, v16
	v_dual_mov_b32 v5, v17 :: v_dual_mov_b32 v6, v18
	;; [unrolled: 1-line block ×6, first 2 shown]
	v_mov_b32_e32 v15, v27
	v_mov_b32_e32 v16, v28
	;; [unrolled: 1-line block ×3, first 2 shown]
.LBB69_38:
	s_or_b32 exec_lo, exec_lo, s0
	v_mov_b32_e32 v20, 0
	s_waitcnt lgkmcnt(0)
	s_waitcnt_vscnt null, 0x0
	s_barrier
	buffer_gl0_inv
	s_mov_b32 s0, exec_lo
	ds_load_b64 v[14:15], v20 offset:88
	s_waitcnt lgkmcnt(0)
	v_fma_f64 v[14:15], v[12:13], v[14:15], 0
	s_delay_alu instid0(VALU_DEP_1)
	v_add_f64 v[10:11], v[10:11], -v[14:15]
	v_cmpx_lt_u32_e32 3, v0
	s_cbranch_execz .LBB69_40
; %bb.39:
	v_dual_mov_b32 v14, v2 :: v_dual_mov_b32 v15, v3
	v_dual_mov_b32 v18, v6 :: v_dual_mov_b32 v19, v7
	s_delay_alu instid0(VALU_DEP_4)
	v_dual_mov_b32 v21, v20 :: v_dual_mov_b32 v22, v10
	v_dual_mov_b32 v23, v11 :: v_dual_mov_b32 v24, v12
	;; [unrolled: 1-line block ×3, first 2 shown]
	v_mov_b32_e32 v17, v5
	ds_store_b64 v1, v[8:9]
	v_mov_b32_e32 v2, v14
	v_dual_mov_b32 v3, v15 :: v_dual_mov_b32 v4, v16
	v_dual_mov_b32 v5, v17 :: v_dual_mov_b32 v6, v18
	;; [unrolled: 1-line block ×6, first 2 shown]
	v_mov_b32_e32 v15, v27
	v_mov_b32_e32 v16, v28
	;; [unrolled: 1-line block ×3, first 2 shown]
.LBB69_40:
	s_or_b32 exec_lo, exec_lo, s0
	s_waitcnt lgkmcnt(0)
	s_barrier
	buffer_gl0_inv
	ds_load_b128 v[14:17], v20 offset:80
	s_mov_b32 s0, exec_lo
	s_waitcnt lgkmcnt(0)
	v_fma_f64 v[14:15], v[10:11], v[14:15], 0
	s_delay_alu instid0(VALU_DEP_1) | instskip(NEXT) | instid1(VALU_DEP_1)
	v_fma_f64 v[14:15], v[12:13], v[16:17], v[14:15]
	v_add_f64 v[8:9], v[8:9], -v[14:15]
	v_cmpx_lt_u32_e32 2, v0
	s_cbranch_execz .LBB69_42
; %bb.41:
	v_dual_mov_b32 v18, 0 :: v_dual_mov_b32 v15, v3
	v_dual_mov_b32 v14, v2 :: v_dual_mov_b32 v17, v5
	s_delay_alu instid0(VALU_DEP_2)
	v_dual_mov_b32 v16, v4 :: v_dual_mov_b32 v19, v18
	v_dual_mov_b32 v20, v8 :: v_dual_mov_b32 v21, v9
	;; [unrolled: 1-line block ×4, first 2 shown]
	ds_store_b64 v1, v[6:7]
	v_mov_b32_e32 v2, v14
	v_dual_mov_b32 v3, v15 :: v_dual_mov_b32 v4, v16
	v_dual_mov_b32 v5, v17 :: v_dual_mov_b32 v6, v18
	;; [unrolled: 1-line block ×6, first 2 shown]
	v_mov_b32_e32 v15, v27
	v_mov_b32_e32 v16, v28
	;; [unrolled: 1-line block ×3, first 2 shown]
.LBB69_42:
	s_or_b32 exec_lo, exec_lo, s0
	v_mov_b32_e32 v18, 0
	s_waitcnt lgkmcnt(0)
	s_barrier
	buffer_gl0_inv
	s_mov_b32 s0, exec_lo
	ds_load_2addr_b64 v[14:17], v18 offset0:9 offset1:10
	ds_load_b64 v[19:20], v18 offset:88
	s_waitcnt lgkmcnt(1)
	v_fma_f64 v[14:15], v[8:9], v[14:15], 0
	s_delay_alu instid0(VALU_DEP_1) | instskip(SKIP_1) | instid1(VALU_DEP_1)
	v_fma_f64 v[14:15], v[10:11], v[16:17], v[14:15]
	s_waitcnt lgkmcnt(0)
	v_fma_f64 v[14:15], v[12:13], v[19:20], v[14:15]
	s_delay_alu instid0(VALU_DEP_1)
	v_add_f64 v[6:7], v[6:7], -v[14:15]
	v_cmpx_lt_u32_e32 1, v0
	s_cbranch_execz .LBB69_44
; %bb.43:
	v_dual_mov_b32 v16, v2 :: v_dual_mov_b32 v17, v3
	v_dual_mov_b32 v19, v18 :: v_dual_mov_b32 v22, v8
	s_delay_alu instid0(VALU_DEP_4)
	v_dual_mov_b32 v20, v6 :: v_dual_mov_b32 v21, v7
	v_dual_mov_b32 v23, v9 :: v_dual_mov_b32 v24, v10
	;; [unrolled: 1-line block ×3, first 2 shown]
	v_mov_b32_e32 v27, v13
	ds_store_b64 v1, v[4:5]
	v_mov_b32_e32 v2, v16
	v_dual_mov_b32 v3, v17 :: v_dual_mov_b32 v4, v18
	v_dual_mov_b32 v5, v19 :: v_dual_mov_b32 v6, v20
	;; [unrolled: 1-line block ×7, first 2 shown]
	v_mov_b32_e32 v17, v31
.LBB69_44:
	s_or_b32 exec_lo, exec_lo, s0
	s_waitcnt lgkmcnt(0)
	s_barrier
	buffer_gl0_inv
	ds_load_b128 v[14:17], v18 offset:64
	ds_load_b128 v[18:21], v18 offset:80
	s_mov_b32 s0, exec_lo
	s_waitcnt lgkmcnt(1)
	v_fma_f64 v[14:15], v[6:7], v[14:15], 0
	s_delay_alu instid0(VALU_DEP_1) | instskip(SKIP_1) | instid1(VALU_DEP_1)
	v_fma_f64 v[14:15], v[8:9], v[16:17], v[14:15]
	s_waitcnt lgkmcnt(0)
	v_fma_f64 v[14:15], v[10:11], v[18:19], v[14:15]
	s_delay_alu instid0(VALU_DEP_1) | instskip(NEXT) | instid1(VALU_DEP_1)
	v_fma_f64 v[14:15], v[12:13], v[20:21], v[14:15]
	v_add_f64 v[4:5], v[4:5], -v[14:15]
	v_cmpx_ne_u32_e32 0, v0
	s_cbranch_execz .LBB69_46
; %bb.45:
	s_delay_alu instid0(VALU_DEP_2) | instskip(NEXT) | instid1(VALU_DEP_3)
	v_dual_mov_b32 v14, 0 :: v_dual_mov_b32 v17, v5
	v_dual_mov_b32 v16, v4 :: v_dual_mov_b32 v19, v7
	;; [unrolled: 1-line block ×3, first 2 shown]
	s_delay_alu instid0(VALU_DEP_3)
	v_dual_mov_b32 v15, v14 :: v_dual_mov_b32 v20, v8
	v_dual_mov_b32 v22, v10 :: v_dual_mov_b32 v23, v11
	;; [unrolled: 1-line block ×3, first 2 shown]
	ds_store_b64 v1, v[2:3]
	v_mov_b32_e32 v2, v14
	v_dual_mov_b32 v3, v15 :: v_dual_mov_b32 v4, v16
	v_dual_mov_b32 v5, v17 :: v_dual_mov_b32 v6, v18
	;; [unrolled: 1-line block ×6, first 2 shown]
	v_mov_b32_e32 v15, v27
	v_mov_b32_e32 v16, v28
	;; [unrolled: 1-line block ×3, first 2 shown]
.LBB69_46:
	s_or_b32 exec_lo, exec_lo, s0
	v_mov_b32_e32 v22, 0
	s_waitcnt lgkmcnt(0)
	s_barrier
	buffer_gl0_inv
	s_and_b32 vcc_lo, exec_lo, s12
	ds_load_2addr_b64 v[14:17], v22 offset0:7 offset1:8
	ds_load_2addr_b64 v[18:21], v22 offset0:9 offset1:10
	s_waitcnt lgkmcnt(1)
	v_fma_f64 v[0:1], v[4:5], v[14:15], 0
	ds_load_b64 v[14:15], v22 offset:88
	v_fma_f64 v[0:1], v[6:7], v[16:17], v[0:1]
	s_waitcnt lgkmcnt(1)
	s_delay_alu instid0(VALU_DEP_1) | instskip(NEXT) | instid1(VALU_DEP_1)
	v_fma_f64 v[0:1], v[8:9], v[18:19], v[0:1]
	v_fma_f64 v[0:1], v[10:11], v[20:21], v[0:1]
	s_waitcnt lgkmcnt(0)
	s_delay_alu instid0(VALU_DEP_1) | instskip(NEXT) | instid1(VALU_DEP_1)
	v_fma_f64 v[0:1], v[12:13], v[14:15], v[0:1]
	v_add_f64 v[2:3], v[2:3], -v[0:1]
	s_cbranch_vccz .LBB69_58
; %bb.47:
	v_dual_mov_b32 v0, s8 :: v_dual_mov_b32 v1, s9
	s_mov_b32 s4, exec_lo
	flat_load_b32 v0, v[0:1] offset:16
	s_waitcnt vmcnt(0) lgkmcnt(0)
	v_add_nc_u32_e32 v0, -1, v0
	s_delay_alu instid0(VALU_DEP_1)
	v_cmpx_ne_u32_e32 4, v0
	s_cbranch_execz .LBB69_49
; %bb.48:
	v_cmp_eq_u32_e32 vcc_lo, 1, v0
	v_cmp_eq_u32_e64 s0, 2, v0
	v_cmp_eq_u32_e64 s1, 3, v0
	;; [unrolled: 1-line block ×4, first 2 shown]
	v_dual_cndmask_b32 v1, v2, v4 :: v_dual_cndmask_b32 v14, v3, v5
	v_cndmask_b32_e64 v18, v7, v11, s0
	v_cndmask_b32_e64 v17, v6, v10, s0
	;; [unrolled: 1-line block ×3, first 2 shown]
	s_delay_alu instid0(VALU_DEP_4)
	v_cndmask_b32_e64 v1, v1, v6, s0
	v_cndmask_b32_e64 v14, v14, v7, s0
	v_cmp_eq_u32_e64 s0, 5, v0
	v_cndmask_b32_e64 v19, v8, v10, s1
	v_cndmask_b32_e32 v16, v5, v11, vcc_lo
	v_cndmask_b32_e64 v1, v1, v8, s1
	v_cndmask_b32_e64 v15, v14, v9, s1
	;; [unrolled: 1-line block ×7, first 2 shown]
	v_cndmask_b32_e32 v15, v4, v10, vcc_lo
	s_delay_alu instid0(VALU_DEP_3) | instskip(NEXT) | instid1(VALU_DEP_3)
	v_cndmask_b32_e64 v0, v1, v12, s0
	v_cndmask_b32_e64 v1, v3, v13, s0
	;; [unrolled: 1-line block ×3, first 2 shown]
	s_delay_alu instid0(VALU_DEP_3) | instskip(NEXT) | instid1(VALU_DEP_3)
	v_cndmask_b32_e64 v21, v0, v10, s2
	v_cndmask_b32_e64 v22, v1, v11, s2
	s_delay_alu instid0(VALU_DEP_3)
	v_mov_b32_e32 v2, v13
	v_dual_mov_b32 v3, v14 :: v_dual_mov_b32 v4, v15
	v_dual_mov_b32 v5, v16 :: v_dual_mov_b32 v6, v17
	;; [unrolled: 1-line block ×5, first 2 shown]
	v_mov_b32_e32 v13, v24
	v_mov_b32_e32 v14, v25
	;; [unrolled: 1-line block ×5, first 2 shown]
.LBB69_49:
	s_or_b32 exec_lo, exec_lo, s4
	v_dual_mov_b32 v0, s8 :: v_dual_mov_b32 v1, s9
	s_mov_b32 s4, exec_lo
	flat_load_b32 v0, v[0:1] offset:12
	s_waitcnt vmcnt(0) lgkmcnt(0)
	v_add_nc_u32_e32 v0, -1, v0
	s_delay_alu instid0(VALU_DEP_1)
	v_cmpx_ne_u32_e32 3, v0
	s_cbranch_execz .LBB69_51
; %bb.50:
	v_cmp_eq_u32_e32 vcc_lo, 1, v0
	v_cmp_eq_u32_e64 s0, 2, v0
	v_cmp_eq_u32_e64 s1, 3, v0
	;; [unrolled: 1-line block ×4, first 2 shown]
	v_dual_cndmask_b32 v1, v2, v4 :: v_dual_cndmask_b32 v14, v3, v5
	v_cndmask_b32_e64 v18, v7, v9, s0
	v_cndmask_b32_e64 v17, v6, v8, s0
	;; [unrolled: 1-line block ×3, first 2 shown]
	s_delay_alu instid0(VALU_DEP_4)
	v_cndmask_b32_e64 v1, v1, v6, s0
	v_cndmask_b32_e64 v14, v14, v7, s0
	v_cmp_eq_u32_e64 s0, 5, v0
	v_cndmask_b32_e64 v21, v10, v8, s2
	v_cndmask_b32_e32 v16, v5, v9, vcc_lo
	v_cndmask_b32_e64 v1, v1, v8, s1
	v_cndmask_b32_e64 v15, v14, v9, s1
	;; [unrolled: 1-line block ×7, first 2 shown]
	v_cndmask_b32_e32 v15, v4, v8, vcc_lo
	s_delay_alu instid0(VALU_DEP_3) | instskip(NEXT) | instid1(VALU_DEP_3)
	v_cndmask_b32_e64 v0, v1, v12, s0
	v_cndmask_b32_e64 v1, v3, v13, s0
	;; [unrolled: 1-line block ×3, first 2 shown]
	s_delay_alu instid0(VALU_DEP_3) | instskip(NEXT) | instid1(VALU_DEP_3)
	v_cndmask_b32_e64 v19, v0, v8, s1
	v_cndmask_b32_e64 v20, v1, v9, s1
	s_delay_alu instid0(VALU_DEP_3)
	v_mov_b32_e32 v2, v13
	v_dual_mov_b32 v3, v14 :: v_dual_mov_b32 v4, v15
	v_dual_mov_b32 v5, v16 :: v_dual_mov_b32 v6, v17
	;; [unrolled: 1-line block ×5, first 2 shown]
	v_mov_b32_e32 v13, v24
	v_mov_b32_e32 v14, v25
	;; [unrolled: 1-line block ×5, first 2 shown]
.LBB69_51:
	s_or_b32 exec_lo, exec_lo, s4
	v_dual_mov_b32 v0, s8 :: v_dual_mov_b32 v1, s9
	s_mov_b32 s4, exec_lo
	flat_load_b32 v0, v[0:1] offset:8
	s_waitcnt vmcnt(0) lgkmcnt(0)
	v_add_nc_u32_e32 v0, -1, v0
	s_delay_alu instid0(VALU_DEP_1)
	v_cmpx_ne_u32_e32 2, v0
	s_cbranch_execz .LBB69_53
; %bb.52:
	v_cmp_eq_u32_e32 vcc_lo, 1, v0
	v_cmp_eq_u32_e64 s0, 2, v0
	v_cmp_eq_u32_e64 s1, 3, v0
	;; [unrolled: 1-line block ×4, first 2 shown]
	v_dual_cndmask_b32 v1, v2, v4 :: v_dual_cndmask_b32 v14, v3, v5
	v_dual_cndmask_b32 v16, v5, v7 :: v_dual_cndmask_b32 v15, v4, v6
	v_cmp_eq_u32_e32 vcc_lo, 5, v0
	s_delay_alu instid0(VALU_DEP_3) | instskip(NEXT) | instid1(VALU_DEP_4)
	v_cndmask_b32_e64 v1, v1, v6, s0
	v_cndmask_b32_e64 v14, v14, v7, s0
	;; [unrolled: 1-line block ×4, first 2 shown]
	v_dual_cndmask_b32 v24, v13, v7 :: v_dual_cndmask_b32 v23, v12, v6
	v_cndmask_b32_e64 v1, v1, v8, s1
	v_cndmask_b32_e64 v17, v14, v9, s1
	;; [unrolled: 1-line block ×7, first 2 shown]
	s_delay_alu instid0(VALU_DEP_1) | instskip(SKIP_1) | instid1(VALU_DEP_2)
	v_dual_cndmask_b32 v0, v1, v12 :: v_dual_cndmask_b32 v1, v3, v13
	v_cndmask_b32_e64 v13, v2, v6, s3
	v_cndmask_b32_e64 v17, v0, v6, s0
	s_delay_alu instid0(VALU_DEP_3) | instskip(NEXT) | instid1(VALU_DEP_3)
	v_cndmask_b32_e64 v18, v1, v7, s0
	v_mov_b32_e32 v2, v13
	v_dual_mov_b32 v3, v14 :: v_dual_mov_b32 v4, v15
	s_delay_alu instid0(VALU_DEP_4) | instskip(NEXT) | instid1(VALU_DEP_4)
	v_dual_mov_b32 v5, v16 :: v_dual_mov_b32 v6, v17
	v_dual_mov_b32 v7, v18 :: v_dual_mov_b32 v8, v19
	;; [unrolled: 1-line block ×4, first 2 shown]
	v_mov_b32_e32 v13, v24
	v_mov_b32_e32 v14, v25
	;; [unrolled: 1-line block ×5, first 2 shown]
.LBB69_53:
	s_or_b32 exec_lo, exec_lo, s4
	v_dual_mov_b32 v0, s8 :: v_dual_mov_b32 v1, s9
	s_mov_b32 s4, exec_lo
	flat_load_b32 v0, v[0:1] offset:4
	s_waitcnt vmcnt(0) lgkmcnt(0)
	v_add_nc_u32_e32 v0, -1, v0
	s_delay_alu instid0(VALU_DEP_1)
	v_cmpx_ne_u32_e32 1, v0
	s_cbranch_execz .LBB69_55
; %bb.54:
	v_cmp_eq_u32_e32 vcc_lo, 1, v0
	v_cmp_eq_u32_e64 s0, 2, v0
	v_cmp_eq_u32_e64 s1, 3, v0
	;; [unrolled: 1-line block ×4, first 2 shown]
	v_dual_cndmask_b32 v1, v2, v4 :: v_dual_cndmask_b32 v14, v3, v5
	v_cndmask_b32_e64 v18, v7, v5, s0
	v_cndmask_b32_e64 v17, v6, v4, s0
	;; [unrolled: 1-line block ×3, first 2 shown]
	s_delay_alu instid0(VALU_DEP_4)
	v_cndmask_b32_e64 v1, v1, v6, s0
	v_cndmask_b32_e64 v14, v14, v7, s0
	v_cmp_eq_u32_e64 s0, 5, v0
	v_cndmask_b32_e64 v19, v8, v4, s1
	v_cndmask_b32_e64 v22, v11, v5, s2
	v_cndmask_b32_e64 v1, v1, v8, s1
	v_cndmask_b32_e64 v15, v14, v9, s1
	v_cndmask_b32_e64 v14, v3, v5, s3
	v_cndmask_b32_e64 v24, v13, v5, s0
	v_cndmask_b32_e64 v21, v10, v4, s2
	v_cndmask_b32_e64 v1, v1, v10, s2
	v_cndmask_b32_e64 v3, v15, v11, s2
	v_cndmask_b32_e64 v23, v12, v4, s0
	s_delay_alu instid0(VALU_DEP_3) | instskip(NEXT) | instid1(VALU_DEP_3)
	v_cndmask_b32_e64 v0, v1, v12, s0
	v_cndmask_b32_e64 v1, v3, v13, s0
	;; [unrolled: 1-line block ×3, first 2 shown]
	s_delay_alu instid0(VALU_DEP_2) | instskip(NEXT) | instid1(VALU_DEP_2)
	v_dual_cndmask_b32 v15, v0, v4 :: v_dual_cndmask_b32 v16, v1, v5
	v_mov_b32_e32 v2, v13
	s_delay_alu instid0(VALU_DEP_2) | instskip(NEXT) | instid1(VALU_DEP_3)
	v_dual_mov_b32 v3, v14 :: v_dual_mov_b32 v4, v15
	v_dual_mov_b32 v5, v16 :: v_dual_mov_b32 v6, v17
	;; [unrolled: 1-line block ×5, first 2 shown]
	v_mov_b32_e32 v13, v24
	v_mov_b32_e32 v14, v25
	;; [unrolled: 1-line block ×5, first 2 shown]
.LBB69_55:
	s_or_b32 exec_lo, exec_lo, s4
	v_dual_mov_b32 v0, s8 :: v_dual_mov_b32 v1, s9
	s_mov_b32 s3, exec_lo
	flat_load_b32 v0, v[0:1]
	s_waitcnt vmcnt(0) lgkmcnt(0)
	v_add_nc_u32_e32 v0, -1, v0
	s_delay_alu instid0(VALU_DEP_1)
	v_cmpx_ne_u32_e32 0, v0
	s_cbranch_execz .LBB69_57
; %bb.56:
	v_cmp_eq_u32_e32 vcc_lo, 1, v0
	v_cmp_eq_u32_e64 s0, 2, v0
	v_cmp_eq_u32_e64 s1, 3, v0
	;; [unrolled: 1-line block ×3, first 2 shown]
	v_dual_cndmask_b32 v1, v2, v4 :: v_dual_cndmask_b32 v14, v3, v5
	s_delay_alu instid0(VALU_DEP_4) | instskip(SKIP_2) | instid1(VALU_DEP_4)
	v_cndmask_b32_e64 v16, v7, v3, s0
	v_cndmask_b32_e64 v15, v6, v2, s0
	;; [unrolled: 1-line block ×5, first 2 shown]
	v_cmp_eq_u32_e64 s0, 5, v0
	v_cndmask_b32_e64 v20, v11, v3, s2
	v_cndmask_b32_e64 v19, v10, v2, s2
	;; [unrolled: 1-line block ×4, first 2 shown]
	v_cndmask_b32_e32 v14, v5, v3, vcc_lo
	v_cndmask_b32_e64 v22, v13, v3, s0
	v_cndmask_b32_e64 v21, v12, v2, s0
	;; [unrolled: 1-line block ×5, first 2 shown]
	v_cmp_eq_u32_e64 s1, 0, v0
	s_delay_alu instid0(VALU_DEP_4) | instskip(NEXT) | instid1(VALU_DEP_4)
	v_cndmask_b32_e64 v1, v1, v12, s0
	v_cndmask_b32_e64 v5, v5, v13, s0
	v_cndmask_b32_e32 v13, v4, v2, vcc_lo
	s_delay_alu instid0(VALU_DEP_3) | instskip(NEXT) | instid1(VALU_DEP_3)
	v_cndmask_b32_e64 v11, v1, v2, s1
	v_cndmask_b32_e64 v12, v5, v3, s1
	s_delay_alu instid0(VALU_DEP_2) | instskip(NEXT) | instid1(VALU_DEP_2)
	v_mov_b32_e32 v2, v11
	v_dual_mov_b32 v3, v12 :: v_dual_mov_b32 v4, v13
	v_dual_mov_b32 v5, v14 :: v_dual_mov_b32 v6, v15
	;; [unrolled: 1-line block ×4, first 2 shown]
	v_mov_b32_e32 v11, v20
	v_mov_b32_e32 v12, v21
	;; [unrolled: 1-line block ×7, first 2 shown]
.LBB69_57:
	s_or_b32 exec_lo, exec_lo, s3
.LBB69_58:
	s_clause 0x5
	global_store_b64 v[28:29], v[2:3], off
	global_store_b64 v[30:31], v[4:5], off
	;; [unrolled: 1-line block ×6, first 2 shown]
	s_nop 0
	s_sendmsg sendmsg(MSG_DEALLOC_VGPRS)
	s_endpgm
	.section	.rodata,"a",@progbits
	.p2align	6, 0x0
	.amdhsa_kernel _ZN9rocsolver6v33100L18getri_kernel_smallILi6EdPKPdEEvT1_iilPiilS6_bb
		.amdhsa_group_segment_fixed_size 104
		.amdhsa_private_segment_fixed_size 0
		.amdhsa_kernarg_size 60
		.amdhsa_user_sgpr_count 15
		.amdhsa_user_sgpr_dispatch_ptr 0
		.amdhsa_user_sgpr_queue_ptr 0
		.amdhsa_user_sgpr_kernarg_segment_ptr 1
		.amdhsa_user_sgpr_dispatch_id 0
		.amdhsa_user_sgpr_private_segment_size 0
		.amdhsa_wavefront_size32 1
		.amdhsa_uses_dynamic_stack 0
		.amdhsa_enable_private_segment 0
		.amdhsa_system_sgpr_workgroup_id_x 1
		.amdhsa_system_sgpr_workgroup_id_y 0
		.amdhsa_system_sgpr_workgroup_id_z 0
		.amdhsa_system_sgpr_workgroup_info 0
		.amdhsa_system_vgpr_workitem_id 0
		.amdhsa_next_free_vgpr 40
		.amdhsa_next_free_sgpr 17
		.amdhsa_reserve_vcc 1
		.amdhsa_float_round_mode_32 0
		.amdhsa_float_round_mode_16_64 0
		.amdhsa_float_denorm_mode_32 3
		.amdhsa_float_denorm_mode_16_64 3
		.amdhsa_dx10_clamp 1
		.amdhsa_ieee_mode 1
		.amdhsa_fp16_overflow 0
		.amdhsa_workgroup_processor_mode 1
		.amdhsa_memory_ordered 1
		.amdhsa_forward_progress 0
		.amdhsa_shared_vgpr_count 0
		.amdhsa_exception_fp_ieee_invalid_op 0
		.amdhsa_exception_fp_denorm_src 0
		.amdhsa_exception_fp_ieee_div_zero 0
		.amdhsa_exception_fp_ieee_overflow 0
		.amdhsa_exception_fp_ieee_underflow 0
		.amdhsa_exception_fp_ieee_inexact 0
		.amdhsa_exception_int_div_zero 0
	.end_amdhsa_kernel
	.section	.text._ZN9rocsolver6v33100L18getri_kernel_smallILi6EdPKPdEEvT1_iilPiilS6_bb,"axG",@progbits,_ZN9rocsolver6v33100L18getri_kernel_smallILi6EdPKPdEEvT1_iilPiilS6_bb,comdat
.Lfunc_end69:
	.size	_ZN9rocsolver6v33100L18getri_kernel_smallILi6EdPKPdEEvT1_iilPiilS6_bb, .Lfunc_end69-_ZN9rocsolver6v33100L18getri_kernel_smallILi6EdPKPdEEvT1_iilPiilS6_bb
                                        ; -- End function
	.section	.AMDGPU.csdata,"",@progbits
; Kernel info:
; codeLenInByte = 5052
; NumSgprs: 19
; NumVgprs: 40
; ScratchSize: 0
; MemoryBound: 0
; FloatMode: 240
; IeeeMode: 1
; LDSByteSize: 104 bytes/workgroup (compile time only)
; SGPRBlocks: 2
; VGPRBlocks: 4
; NumSGPRsForWavesPerEU: 19
; NumVGPRsForWavesPerEU: 40
; Occupancy: 16
; WaveLimiterHint : 1
; COMPUTE_PGM_RSRC2:SCRATCH_EN: 0
; COMPUTE_PGM_RSRC2:USER_SGPR: 15
; COMPUTE_PGM_RSRC2:TRAP_HANDLER: 0
; COMPUTE_PGM_RSRC2:TGID_X_EN: 1
; COMPUTE_PGM_RSRC2:TGID_Y_EN: 0
; COMPUTE_PGM_RSRC2:TGID_Z_EN: 0
; COMPUTE_PGM_RSRC2:TIDIG_COMP_CNT: 0
	.section	.text._ZN9rocsolver6v33100L18getri_kernel_smallILi7EdPKPdEEvT1_iilPiilS6_bb,"axG",@progbits,_ZN9rocsolver6v33100L18getri_kernel_smallILi7EdPKPdEEvT1_iilPiilS6_bb,comdat
	.globl	_ZN9rocsolver6v33100L18getri_kernel_smallILi7EdPKPdEEvT1_iilPiilS6_bb ; -- Begin function _ZN9rocsolver6v33100L18getri_kernel_smallILi7EdPKPdEEvT1_iilPiilS6_bb
	.p2align	8
	.type	_ZN9rocsolver6v33100L18getri_kernel_smallILi7EdPKPdEEvT1_iilPiilS6_bb,@function
_ZN9rocsolver6v33100L18getri_kernel_smallILi7EdPKPdEEvT1_iilPiilS6_bb: ; @_ZN9rocsolver6v33100L18getri_kernel_smallILi7EdPKPdEEvT1_iilPiilS6_bb
; %bb.0:
	s_mov_b32 s2, exec_lo
	v_cmpx_gt_u32_e32 7, v0
	s_cbranch_execz .LBB70_16
; %bb.1:
	s_clause 0x1
	s_load_b32 s13, s[0:1], 0x38
	s_load_b64 s[2:3], s[0:1], 0x0
	s_mov_b32 s10, s15
	s_load_b128 s[4:7], s[0:1], 0x28
	s_waitcnt lgkmcnt(0)
	s_bitcmp1_b32 s13, 8
	s_cselect_b32 s12, -1, 0
	s_ashr_i32 s11, s15, 31
	s_delay_alu instid0(SALU_CYCLE_1) | instskip(NEXT) | instid1(SALU_CYCLE_1)
	s_lshl_b64 s[8:9], s[10:11], 3
	s_add_u32 s2, s2, s8
	s_addc_u32 s3, s3, s9
	s_bfe_u32 s8, s13, 0x10008
	s_load_b64 s[2:3], s[2:3], 0x0
	s_cmp_eq_u32 s8, 0
                                        ; implicit-def: $sgpr8_sgpr9
	s_cbranch_scc1 .LBB70_3
; %bb.2:
	s_clause 0x1
	s_load_b32 s8, s[0:1], 0x20
	s_load_b64 s[14:15], s[0:1], 0x18
	s_mul_i32 s5, s10, s5
	s_mul_hi_u32 s9, s10, s4
	s_mul_i32 s16, s11, s4
	s_add_i32 s5, s9, s5
	s_mul_i32 s4, s10, s4
	s_add_i32 s5, s5, s16
	s_delay_alu instid0(SALU_CYCLE_1)
	s_lshl_b64 s[4:5], s[4:5], 2
	s_waitcnt lgkmcnt(0)
	s_ashr_i32 s9, s8, 31
	s_add_u32 s14, s14, s4
	s_addc_u32 s15, s15, s5
	s_lshl_b64 s[4:5], s[8:9], 2
	s_delay_alu instid0(SALU_CYCLE_1)
	s_add_u32 s8, s14, s4
	s_addc_u32 s9, s15, s5
.LBB70_3:
	s_load_b64 s[0:1], s[0:1], 0x8
	v_lshlrev_b32_e32 v18, 3, v0
	s_waitcnt lgkmcnt(0)
	v_add3_u32 v1, s1, s1, v0
	s_ashr_i32 s5, s0, 31
	s_mov_b32 s4, s0
	s_mov_b32 s14, s1
	s_lshl_b64 s[4:5], s[4:5], 3
	v_add_nc_u32_e32 v3, s1, v1
	v_ashrrev_i32_e32 v2, 31, v1
	s_add_u32 s2, s2, s4
	s_addc_u32 s3, s3, s5
	v_add_co_u32 v32, s0, s2, v18
	v_add_nc_u32_e32 v5, s1, v3
	s_ashr_i32 s15, s1, 31
	v_add_co_ci_u32_e64 v33, null, s3, 0, s0
	v_lshlrev_b64 v[1:2], 3, v[1:2]
	s_lshl_b64 s[4:5], s[14:15], 3
	v_ashrrev_i32_e32 v4, 31, v3
	v_add_co_u32 v34, vcc_lo, v32, s4
	v_ashrrev_i32_e32 v6, 31, v5
	v_add_nc_u32_e32 v7, s1, v5
	v_add_co_ci_u32_e32 v35, vcc_lo, s5, v33, vcc_lo
	v_add_co_u32 v36, vcc_lo, s2, v1
	v_lshlrev_b64 v[3:4], 3, v[3:4]
	v_add_co_ci_u32_e32 v37, vcc_lo, s3, v2, vcc_lo
	v_lshlrev_b64 v[1:2], 3, v[5:6]
	v_add_nc_u32_e32 v5, s1, v7
	v_ashrrev_i32_e32 v8, 31, v7
	v_add_co_u32 v44, vcc_lo, s2, v3
	v_add_co_ci_u32_e32 v45, vcc_lo, s3, v4, vcc_lo
	s_delay_alu instid0(VALU_DEP_4) | instskip(NEXT) | instid1(VALU_DEP_4)
	v_ashrrev_i32_e32 v6, 31, v5
	v_lshlrev_b64 v[3:4], 3, v[7:8]
	v_add_co_u32 v40, vcc_lo, s2, v1
	v_add_co_ci_u32_e32 v41, vcc_lo, s3, v2, vcc_lo
	s_delay_alu instid0(VALU_DEP_4) | instskip(NEXT) | instid1(VALU_DEP_4)
	v_lshlrev_b64 v[1:2], 3, v[5:6]
	v_add_co_u32 v42, vcc_lo, s2, v3
	v_add_co_ci_u32_e32 v43, vcc_lo, s3, v4, vcc_lo
	s_bitcmp0_b32 s13, 0
	s_delay_alu instid0(VALU_DEP_3)
	v_add_co_u32 v38, vcc_lo, s2, v1
	v_mov_b32_e32 v1, 0
	v_add_co_ci_u32_e32 v39, vcc_lo, s3, v2, vcc_lo
	s_clause 0x6
	global_load_b64 v[4:5], v[34:35], off
	global_load_b64 v[6:7], v[36:37], off
	;; [unrolled: 1-line block ×5, first 2 shown]
	global_load_b64 v[2:3], v18, s[2:3]
	global_load_b64 v[14:15], v[38:39], off
	s_mov_b32 s0, -1
	s_cbranch_scc1 .LBB70_14
; %bb.4:
	v_cmp_eq_u32_e64 s0, 0, v0
	s_delay_alu instid0(VALU_DEP_1)
	s_and_saveexec_b32 s1, s0
	s_cbranch_execz .LBB70_6
; %bb.5:
	v_mov_b32_e32 v16, 0
	ds_store_b32 v16, v16 offset:56
.LBB70_6:
	s_or_b32 exec_lo, exec_lo, s1
	v_cmp_eq_u32_e32 vcc_lo, 1, v0
	s_mov_b32 s2, exec_lo
	s_waitcnt vmcnt(0) lgkmcnt(0)
	s_barrier
	buffer_gl0_inv
	v_dual_cndmask_b32 v16, v3, v5 :: v_dual_cndmask_b32 v17, v2, v4
	v_cmp_eq_u32_e32 vcc_lo, 2, v0
	s_delay_alu instid0(VALU_DEP_2) | instskip(SKIP_1) | instid1(VALU_DEP_2)
	v_dual_cndmask_b32 v16, v16, v7 :: v_dual_cndmask_b32 v17, v17, v6
	v_cmp_eq_u32_e32 vcc_lo, 3, v0
	v_dual_cndmask_b32 v16, v16, v9 :: v_dual_cndmask_b32 v17, v17, v8
	v_cmp_eq_u32_e32 vcc_lo, 4, v0
	s_delay_alu instid0(VALU_DEP_2) | instskip(SKIP_1) | instid1(VALU_DEP_2)
	v_dual_cndmask_b32 v16, v16, v11 :: v_dual_cndmask_b32 v17, v17, v10
	v_cmp_eq_u32_e32 vcc_lo, 5, v0
	v_dual_cndmask_b32 v16, v16, v13 :: v_dual_cndmask_b32 v19, v17, v12
	v_cmp_eq_u32_e32 vcc_lo, 6, v0
	s_delay_alu instid0(VALU_DEP_2) | instskip(NEXT) | instid1(VALU_DEP_1)
	v_dual_cndmask_b32 v17, v16, v15 :: v_dual_cndmask_b32 v16, v19, v14
	v_cmpx_eq_f64_e32 0, v[16:17]
	s_cbranch_execz .LBB70_10
; %bb.7:
	v_mov_b32_e32 v19, 0
	s_mov_b32 s3, 0
	ds_load_b32 v20, v19 offset:56
	s_waitcnt lgkmcnt(0)
	v_readfirstlane_b32 s1, v20
	v_add_nc_u32_e32 v20, 1, v0
	s_delay_alu instid0(VALU_DEP_2) | instskip(NEXT) | instid1(VALU_DEP_1)
	s_cmp_eq_u32 s1, 0
	v_cmp_gt_i32_e32 vcc_lo, s1, v20
	s_cselect_b32 s4, -1, 0
	s_delay_alu instid0(SALU_CYCLE_1) | instskip(NEXT) | instid1(SALU_CYCLE_1)
	s_or_b32 s4, s4, vcc_lo
	s_and_b32 exec_lo, exec_lo, s4
	s_cbranch_execz .LBB70_10
; %bb.8:
	v_mov_b32_e32 v21, s1
.LBB70_9:                               ; =>This Inner Loop Header: Depth=1
	ds_cmpstore_rtn_b32 v21, v19, v20, v21 offset:56
	s_waitcnt lgkmcnt(0)
	v_cmp_ne_u32_e32 vcc_lo, 0, v21
	v_cmp_le_i32_e64 s1, v21, v20
	s_delay_alu instid0(VALU_DEP_1) | instskip(NEXT) | instid1(SALU_CYCLE_1)
	s_and_b32 s1, vcc_lo, s1
	s_and_b32 s1, exec_lo, s1
	s_delay_alu instid0(SALU_CYCLE_1) | instskip(NEXT) | instid1(SALU_CYCLE_1)
	s_or_b32 s3, s1, s3
	s_and_not1_b32 exec_lo, exec_lo, s3
	s_cbranch_execnz .LBB70_9
.LBB70_10:
	s_or_b32 exec_lo, exec_lo, s2
	v_mov_b32_e32 v19, 0
	s_barrier
	buffer_gl0_inv
	ds_load_b32 v20, v19 offset:56
	s_and_saveexec_b32 s1, s0
	s_cbranch_execz .LBB70_12
; %bb.11:
	s_lshl_b64 s[2:3], s[10:11], 2
	s_delay_alu instid0(SALU_CYCLE_1)
	s_add_u32 s2, s6, s2
	s_addc_u32 s3, s7, s3
	s_waitcnt lgkmcnt(0)
	global_store_b32 v19, v20, s[2:3]
.LBB70_12:
	s_or_b32 exec_lo, exec_lo, s1
	s_waitcnt lgkmcnt(0)
	v_cmp_ne_u32_e32 vcc_lo, 0, v20
	s_cbranch_vccz .LBB70_17
; %bb.13:
	s_mov_b32 s0, 0
                                        ; implicit-def: $vgpr2_vgpr3_vgpr4_vgpr5_vgpr6_vgpr7_vgpr8_vgpr9_vgpr10_vgpr11_vgpr12_vgpr13_vgpr14_vgpr15_vgpr16_vgpr17
.LBB70_14:
	s_delay_alu instid0(SALU_CYCLE_1)
	s_and_b32 vcc_lo, exec_lo, s0
	s_cbranch_vccz .LBB70_16
.LBB70_15:
	s_lshl_b64 s[0:1], s[10:11], 2
	v_mov_b32_e32 v1, 0
	s_add_u32 s0, s6, s0
	s_addc_u32 s1, s7, s1
	global_load_b32 v1, v1, s[0:1]
	s_waitcnt vmcnt(0)
	v_cmp_ne_u32_e32 vcc_lo, 0, v1
	s_cbranch_vccz .LBB70_40
.LBB70_16:
	s_nop 0
	s_sendmsg sendmsg(MSG_DEALLOC_VGPRS)
	s_endpgm
.LBB70_17:
	v_div_scale_f64 v[19:20], null, v[16:17], v[16:17], 1.0
	v_div_scale_f64 v[25:26], vcc_lo, 1.0, v[16:17], 1.0
	v_cmp_eq_u32_e64 s1, 4, v0
	v_cmp_eq_u32_e64 s2, 6, v0
	;; [unrolled: 1-line block ×5, first 2 shown]
	v_rcp_f64_e32 v[21:22], v[19:20]
	s_waitcnt_depctr 0xfff
	v_fma_f64 v[23:24], -v[19:20], v[21:22], 1.0
	s_delay_alu instid0(VALU_DEP_1) | instskip(NEXT) | instid1(VALU_DEP_1)
	v_fma_f64 v[21:22], v[21:22], v[23:24], v[21:22]
	v_fma_f64 v[23:24], -v[19:20], v[21:22], 1.0
	s_delay_alu instid0(VALU_DEP_1) | instskip(NEXT) | instid1(VALU_DEP_1)
	v_fma_f64 v[21:22], v[21:22], v[23:24], v[21:22]
	v_mul_f64 v[23:24], v[25:26], v[21:22]
	s_delay_alu instid0(VALU_DEP_1) | instskip(NEXT) | instid1(VALU_DEP_1)
	v_fma_f64 v[19:20], -v[19:20], v[23:24], v[25:26]
	v_div_fmas_f64 v[19:20], v[19:20], v[21:22], v[23:24]
	v_cmp_eq_u32_e32 vcc_lo, 5, v0
	s_delay_alu instid0(VALU_DEP_2) | instskip(NEXT) | instid1(VALU_DEP_1)
	v_div_fixup_f64 v[16:17], v[19:20], v[16:17], 1.0
	v_dual_cndmask_b32 v13, v13, v17 :: v_dual_add_nc_u32 v20, 64, v18
	s_delay_alu instid0(VALU_DEP_2)
	v_cndmask_b32_e32 v12, v12, v16, vcc_lo
	v_cmp_eq_u32_e32 vcc_lo, 2, v0
	v_cndmask_b32_e64 v15, v15, v17, s2
	v_cndmask_b32_e64 v14, v14, v16, s2
	;; [unrolled: 1-line block ×4, first 2 shown]
	v_cndmask_b32_e32 v7, v7, v17, vcc_lo
	v_cndmask_b32_e64 v9, v9, v17, s3
	v_cndmask_b32_e64 v8, v8, v16, s3
	;; [unrolled: 1-line block ×4, first 2 shown]
	v_xor_b32_e32 v22, 0x80000000, v17
	v_dual_mov_b32 v21, v16 :: v_dual_cndmask_b32 v6, v6, v16
	v_cndmask_b32_e64 v3, v3, v17, s5
	v_cndmask_b32_e64 v2, v2, v16, s5
	ds_store_2addr_b64 v18, v[21:22], v[4:5] offset1:8
	s_waitcnt lgkmcnt(0)
	s_waitcnt_vscnt null, 0x0
	s_barrier
	buffer_gl0_inv
	s_and_saveexec_b32 s1, s0
	s_cbranch_execz .LBB70_19
; %bb.18:
	ds_load_b64 v[4:5], v20
	v_mov_b32_e32 v18, 0
	ds_load_b64 v[18:19], v18 offset:8
	s_waitcnt lgkmcnt(1)
	v_fma_f64 v[4:5], v[16:17], v[4:5], 0
	s_waitcnt lgkmcnt(0)
	s_delay_alu instid0(VALU_DEP_1)
	v_mul_f64 v[4:5], v[4:5], v[18:19]
.LBB70_19:
	s_or_b32 exec_lo, exec_lo, s1
	s_delay_alu instid0(SALU_CYCLE_1)
	s_mov_b32 s1, exec_lo
	s_barrier
	buffer_gl0_inv
	ds_store_b64 v20, v[6:7]
	s_waitcnt lgkmcnt(0)
	s_barrier
	buffer_gl0_inv
	v_cmpx_gt_u32_e32 2, v0
	s_cbranch_execz .LBB70_23
; %bb.20:
	v_cmp_eq_u32_e32 vcc_lo, 1, v0
	v_dual_cndmask_b32 v16, v3, v5 :: v_dual_cndmask_b32 v17, v2, v4
	v_cmp_eq_u32_e32 vcc_lo, 2, v0
	s_delay_alu instid0(VALU_DEP_2) | instskip(SKIP_1) | instid1(VALU_DEP_2)
	v_dual_cndmask_b32 v7, v16, v7 :: v_dual_cndmask_b32 v6, v17, v6
	v_cmp_eq_u32_e32 vcc_lo, 3, v0
	v_dual_cndmask_b32 v16, v7, v9 :: v_dual_cndmask_b32 v17, v6, v8
	v_cmp_eq_u32_e32 vcc_lo, 4, v0
	ds_load_b64 v[6:7], v20
	v_dual_cndmask_b32 v16, v16, v11 :: v_dual_cndmask_b32 v17, v17, v10
	v_cmp_eq_u32_e32 vcc_lo, 5, v0
	s_delay_alu instid0(VALU_DEP_2) | instskip(NEXT) | instid1(VALU_DEP_3)
	v_cndmask_b32_e32 v16, v16, v13, vcc_lo
	v_cndmask_b32_e32 v18, v17, v12, vcc_lo
	v_cmp_eq_u32_e32 vcc_lo, 6, v0
	s_delay_alu instid0(VALU_DEP_2) | instskip(SKIP_1) | instid1(VALU_DEP_1)
	v_dual_cndmask_b32 v17, v16, v15 :: v_dual_cndmask_b32 v16, v18, v14
	s_waitcnt lgkmcnt(0)
	v_fma_f64 v[6:7], v[16:17], v[6:7], 0
	s_and_saveexec_b32 s2, s0
	s_cbranch_execz .LBB70_22
; %bb.21:
	v_mov_b32_e32 v16, 0
	ds_load_b64 v[16:17], v16 offset:72
	s_waitcnt lgkmcnt(0)
	v_fma_f64 v[6:7], v[4:5], v[16:17], v[6:7]
.LBB70_22:
	s_or_b32 exec_lo, exec_lo, s2
	v_mov_b32_e32 v16, 0
	ds_load_b64 v[16:17], v16 offset:16
	s_waitcnt lgkmcnt(0)
	v_mul_f64 v[6:7], v[6:7], v[16:17]
.LBB70_23:
	s_or_b32 exec_lo, exec_lo, s1
	s_delay_alu instid0(SALU_CYCLE_1)
	s_mov_b32 s1, exec_lo
	s_barrier
	buffer_gl0_inv
	ds_store_b64 v20, v[8:9]
	s_waitcnt lgkmcnt(0)
	s_barrier
	buffer_gl0_inv
	v_cmpx_gt_u32_e32 3, v0
	s_cbranch_execz .LBB70_27
; %bb.24:
	v_dual_mov_b32 v16, 0 :: v_dual_mov_b32 v19, v1
	v_lshl_add_u32 v21, v0, 3, 64
	v_dual_mov_b32 v17, 0 :: v_dual_mov_b32 v18, v0
	s_mov_b32 s2, 0
	s_set_inst_prefetch_distance 0x1
	.p2align	6
.LBB70_25:                              ; =>This Inner Loop Header: Depth=1
	s_delay_alu instid0(VALU_DEP_1) | instskip(SKIP_3) | instid1(VALU_DEP_2)
	v_cmp_eq_u32_e32 vcc_lo, 1, v18
	v_cmp_eq_u32_e64 s0, 2, v18
	v_dual_cndmask_b32 v22, v3, v5 :: v_dual_cndmask_b32 v23, v2, v4
	v_cmp_eq_u32_e32 vcc_lo, 3, v18
	v_cndmask_b32_e64 v24, v22, v7, s0
	s_delay_alu instid0(VALU_DEP_3)
	v_cndmask_b32_e64 v25, v23, v6, s0
	ds_load_b64 v[22:23], v21
	v_cmp_eq_u32_e64 s0, 4, v18
	v_add_nc_u32_e32 v21, 8, v21
	v_dual_cndmask_b32 v24, v24, v9 :: v_dual_cndmask_b32 v25, v25, v8
	v_cmp_eq_u32_e32 vcc_lo, 5, v18
	s_delay_alu instid0(VALU_DEP_2) | instskip(NEXT) | instid1(VALU_DEP_3)
	v_cndmask_b32_e64 v24, v24, v11, s0
	v_cndmask_b32_e64 v25, v25, v10, s0
	v_cmp_eq_u32_e64 s0, 6, v18
	s_delay_alu instid0(VALU_DEP_3) | instskip(NEXT) | instid1(VALU_DEP_3)
	v_cndmask_b32_e32 v24, v24, v13, vcc_lo
	v_cndmask_b32_e32 v26, v25, v12, vcc_lo
	v_add_co_u32 v18, vcc_lo, v18, 1
	v_add_co_ci_u32_e32 v19, vcc_lo, 0, v19, vcc_lo
	s_delay_alu instid0(VALU_DEP_4) | instskip(NEXT) | instid1(VALU_DEP_4)
	v_cndmask_b32_e64 v25, v24, v15, s0
	v_cndmask_b32_e64 v24, v26, v14, s0
	s_waitcnt lgkmcnt(0)
	s_delay_alu instid0(VALU_DEP_1) | instskip(SKIP_1) | instid1(VALU_DEP_1)
	v_fma_f64 v[16:17], v[24:25], v[22:23], v[16:17]
	v_add_nc_u32_e32 v22, -1, v18
	v_cmp_lt_u32_e32 vcc_lo, 1, v22
	s_or_b32 s2, vcc_lo, s2
	s_delay_alu instid0(SALU_CYCLE_1)
	s_and_not1_b32 exec_lo, exec_lo, s2
	s_cbranch_execnz .LBB70_25
; %bb.26:
	s_set_inst_prefetch_distance 0x2
	s_or_b32 exec_lo, exec_lo, s2
	v_mov_b32_e32 v8, 0
	ds_load_b64 v[8:9], v8 offset:24
	s_waitcnt lgkmcnt(0)
	v_mul_f64 v[8:9], v[16:17], v[8:9]
.LBB70_27:
	s_or_b32 exec_lo, exec_lo, s1
	s_delay_alu instid0(SALU_CYCLE_1)
	s_mov_b32 s1, exec_lo
	s_barrier
	buffer_gl0_inv
	ds_store_b64 v20, v[10:11]
	s_waitcnt lgkmcnt(0)
	s_barrier
	buffer_gl0_inv
	v_cmpx_gt_u32_e32 4, v0
	s_cbranch_execz .LBB70_31
; %bb.28:
	v_dual_mov_b32 v16, 0 :: v_dual_mov_b32 v19, v1
	v_lshl_add_u32 v21, v0, 3, 64
	v_dual_mov_b32 v17, 0 :: v_dual_mov_b32 v18, v0
	s_mov_b32 s2, 0
	s_set_inst_prefetch_distance 0x1
	.p2align	6
.LBB70_29:                              ; =>This Inner Loop Header: Depth=1
	s_delay_alu instid0(VALU_DEP_1) | instskip(SKIP_3) | instid1(VALU_DEP_2)
	v_cmp_eq_u32_e32 vcc_lo, 1, v18
	v_cmp_eq_u32_e64 s0, 2, v18
	v_dual_cndmask_b32 v22, v3, v5 :: v_dual_cndmask_b32 v23, v2, v4
	v_cmp_eq_u32_e32 vcc_lo, 3, v18
	v_cndmask_b32_e64 v24, v22, v7, s0
	s_delay_alu instid0(VALU_DEP_3)
	v_cndmask_b32_e64 v25, v23, v6, s0
	ds_load_b64 v[22:23], v21
	v_cmp_eq_u32_e64 s0, 4, v18
	v_add_nc_u32_e32 v21, 8, v21
	v_dual_cndmask_b32 v24, v24, v9 :: v_dual_cndmask_b32 v25, v25, v8
	v_cmp_eq_u32_e32 vcc_lo, 5, v18
	s_delay_alu instid0(VALU_DEP_2) | instskip(NEXT) | instid1(VALU_DEP_3)
	v_cndmask_b32_e64 v24, v24, v11, s0
	v_cndmask_b32_e64 v25, v25, v10, s0
	v_cmp_eq_u32_e64 s0, 6, v18
	s_delay_alu instid0(VALU_DEP_3) | instskip(NEXT) | instid1(VALU_DEP_3)
	v_cndmask_b32_e32 v24, v24, v13, vcc_lo
	v_cndmask_b32_e32 v26, v25, v12, vcc_lo
	v_add_co_u32 v18, vcc_lo, v18, 1
	v_add_co_ci_u32_e32 v19, vcc_lo, 0, v19, vcc_lo
	s_delay_alu instid0(VALU_DEP_4) | instskip(NEXT) | instid1(VALU_DEP_4)
	v_cndmask_b32_e64 v25, v24, v15, s0
	v_cndmask_b32_e64 v24, v26, v14, s0
	s_waitcnt lgkmcnt(0)
	s_delay_alu instid0(VALU_DEP_1) | instskip(SKIP_1) | instid1(VALU_DEP_1)
	v_fma_f64 v[16:17], v[24:25], v[22:23], v[16:17]
	v_add_nc_u32_e32 v22, -1, v18
	v_cmp_lt_u32_e32 vcc_lo, 2, v22
	s_or_b32 s2, vcc_lo, s2
	s_delay_alu instid0(SALU_CYCLE_1)
	s_and_not1_b32 exec_lo, exec_lo, s2
	s_cbranch_execnz .LBB70_29
; %bb.30:
	s_set_inst_prefetch_distance 0x2
	s_or_b32 exec_lo, exec_lo, s2
	v_mov_b32_e32 v10, 0
	ds_load_b64 v[10:11], v10 offset:32
	s_waitcnt lgkmcnt(0)
	v_mul_f64 v[10:11], v[16:17], v[10:11]
.LBB70_31:
	s_or_b32 exec_lo, exec_lo, s1
	s_delay_alu instid0(SALU_CYCLE_1)
	s_mov_b32 s1, exec_lo
	s_barrier
	buffer_gl0_inv
	ds_store_b64 v20, v[12:13]
	s_waitcnt lgkmcnt(0)
	s_barrier
	buffer_gl0_inv
	v_cmpx_gt_u32_e32 5, v0
	s_cbranch_execz .LBB70_35
; %bb.32:
	v_dual_mov_b32 v16, 0 :: v_dual_mov_b32 v19, v1
	v_lshl_add_u32 v21, v0, 3, 64
	v_dual_mov_b32 v17, 0 :: v_dual_mov_b32 v18, v0
	s_mov_b32 s2, 0
	s_set_inst_prefetch_distance 0x1
	.p2align	6
.LBB70_33:                              ; =>This Inner Loop Header: Depth=1
	s_delay_alu instid0(VALU_DEP_1) | instskip(SKIP_3) | instid1(VALU_DEP_2)
	v_cmp_eq_u32_e32 vcc_lo, 1, v18
	v_cmp_eq_u32_e64 s0, 2, v18
	v_dual_cndmask_b32 v22, v3, v5 :: v_dual_cndmask_b32 v23, v2, v4
	v_cmp_eq_u32_e32 vcc_lo, 3, v18
	v_cndmask_b32_e64 v24, v22, v7, s0
	s_delay_alu instid0(VALU_DEP_3)
	v_cndmask_b32_e64 v25, v23, v6, s0
	ds_load_b64 v[22:23], v21
	v_cmp_eq_u32_e64 s0, 4, v18
	v_add_nc_u32_e32 v21, 8, v21
	v_dual_cndmask_b32 v24, v24, v9 :: v_dual_cndmask_b32 v25, v25, v8
	v_cmp_eq_u32_e32 vcc_lo, 5, v18
	s_delay_alu instid0(VALU_DEP_2) | instskip(NEXT) | instid1(VALU_DEP_3)
	v_cndmask_b32_e64 v24, v24, v11, s0
	v_cndmask_b32_e64 v25, v25, v10, s0
	v_cmp_eq_u32_e64 s0, 6, v18
	s_delay_alu instid0(VALU_DEP_3) | instskip(NEXT) | instid1(VALU_DEP_3)
	v_cndmask_b32_e32 v24, v24, v13, vcc_lo
	v_cndmask_b32_e32 v26, v25, v12, vcc_lo
	v_add_co_u32 v18, vcc_lo, v18, 1
	v_add_co_ci_u32_e32 v19, vcc_lo, 0, v19, vcc_lo
	s_delay_alu instid0(VALU_DEP_4) | instskip(NEXT) | instid1(VALU_DEP_4)
	v_cndmask_b32_e64 v25, v24, v15, s0
	v_cndmask_b32_e64 v24, v26, v14, s0
	s_waitcnt lgkmcnt(0)
	s_delay_alu instid0(VALU_DEP_1) | instskip(SKIP_1) | instid1(VALU_DEP_1)
	v_fma_f64 v[16:17], v[24:25], v[22:23], v[16:17]
	v_add_nc_u32_e32 v22, -1, v18
	v_cmp_lt_u32_e32 vcc_lo, 3, v22
	s_or_b32 s2, vcc_lo, s2
	s_delay_alu instid0(SALU_CYCLE_1)
	s_and_not1_b32 exec_lo, exec_lo, s2
	s_cbranch_execnz .LBB70_33
; %bb.34:
	s_set_inst_prefetch_distance 0x2
	s_or_b32 exec_lo, exec_lo, s2
	v_mov_b32_e32 v12, 0
	ds_load_b64 v[12:13], v12 offset:40
	s_waitcnt lgkmcnt(0)
	v_mul_f64 v[12:13], v[16:17], v[12:13]
.LBB70_35:
	s_or_b32 exec_lo, exec_lo, s1
	s_delay_alu instid0(SALU_CYCLE_1)
	s_mov_b32 s1, exec_lo
	s_barrier
	buffer_gl0_inv
	ds_store_b64 v20, v[14:15]
	s_waitcnt lgkmcnt(0)
	s_barrier
	buffer_gl0_inv
	v_cmpx_ne_u32_e32 6, v0
	s_cbranch_execz .LBB70_39
; %bb.36:
	v_dual_mov_b32 v16, 0 :: v_dual_mov_b32 v19, v1
	v_lshl_add_u32 v20, v0, 3, 64
	v_dual_mov_b32 v17, 0 :: v_dual_mov_b32 v18, v0
	s_mov_b32 s2, 0
	s_set_inst_prefetch_distance 0x1
	.p2align	6
.LBB70_37:                              ; =>This Inner Loop Header: Depth=1
	s_delay_alu instid0(VALU_DEP_1) | instskip(SKIP_4) | instid1(VALU_DEP_2)
	v_cmp_eq_u32_e32 vcc_lo, 1, v18
	v_cmp_eq_u32_e64 s0, 2, v18
	v_cndmask_b32_e32 v1, v3, v5, vcc_lo
	v_cndmask_b32_e32 v21, v2, v4, vcc_lo
	v_cmp_eq_u32_e32 vcc_lo, 3, v18
	v_cndmask_b32_e64 v23, v21, v6, s0
	ds_load_b64 v[21:22], v20
	v_add_nc_u32_e32 v20, 8, v20
	v_cndmask_b32_e64 v1, v1, v7, s0
	v_cmp_eq_u32_e64 s0, 4, v18
	v_cndmask_b32_e32 v23, v23, v8, vcc_lo
	s_delay_alu instid0(VALU_DEP_3) | instskip(SKIP_1) | instid1(VALU_DEP_3)
	v_cndmask_b32_e32 v1, v1, v9, vcc_lo
	v_cmp_eq_u32_e32 vcc_lo, 5, v18
	v_cndmask_b32_e64 v23, v23, v10, s0
	s_delay_alu instid0(VALU_DEP_3) | instskip(SKIP_1) | instid1(VALU_DEP_3)
	v_cndmask_b32_e64 v1, v1, v11, s0
	v_cmp_eq_u32_e64 s0, 6, v18
	v_cndmask_b32_e32 v23, v23, v12, vcc_lo
	s_delay_alu instid0(VALU_DEP_3) | instskip(SKIP_1) | instid1(VALU_DEP_3)
	v_cndmask_b32_e32 v1, v1, v13, vcc_lo
	v_add_co_u32 v18, vcc_lo, v18, 1
	v_cndmask_b32_e64 v23, v23, v14, s0
	v_add_co_ci_u32_e32 v19, vcc_lo, 0, v19, vcc_lo
	s_delay_alu instid0(VALU_DEP_4) | instskip(NEXT) | instid1(VALU_DEP_4)
	v_cndmask_b32_e64 v24, v1, v15, s0
	v_add_nc_u32_e32 v1, -1, v18
	s_waitcnt lgkmcnt(0)
	s_delay_alu instid0(VALU_DEP_2) | instskip(NEXT) | instid1(VALU_DEP_2)
	v_fma_f64 v[16:17], v[23:24], v[21:22], v[16:17]
	v_cmp_lt_u32_e32 vcc_lo, 4, v1
	s_or_b32 s2, vcc_lo, s2
	s_delay_alu instid0(SALU_CYCLE_1)
	s_and_not1_b32 exec_lo, exec_lo, s2
	s_cbranch_execnz .LBB70_37
; %bb.38:
	s_set_inst_prefetch_distance 0x2
	s_or_b32 exec_lo, exec_lo, s2
	v_mov_b32_e32 v1, 0
	ds_load_b64 v[14:15], v1 offset:48
	s_waitcnt lgkmcnt(0)
	v_mul_f64 v[14:15], v[16:17], v[14:15]
.LBB70_39:
	s_or_b32 exec_lo, exec_lo, s1
	s_barrier
	buffer_gl0_inv
	s_cbranch_execnz .LBB70_15
	s_branch .LBB70_16
.LBB70_40:
	v_lshl_add_u32 v1, v0, 3, 64
	s_mov_b32 s0, exec_lo
	v_cmpx_eq_u32_e32 6, v0
	s_cbranch_execz .LBB70_42
; %bb.41:
	v_dual_mov_b32 v26, 0 :: v_dual_mov_b32 v17, v3
	v_dual_mov_b32 v16, v2 :: v_dual_mov_b32 v19, v5
	;; [unrolled: 1-line block ×6, first 2 shown]
	v_mov_b32_e32 v27, v26
	v_mov_b32_e32 v28, v14
	ds_store_b64 v1, v[12:13]
	v_mov_b32_e32 v2, v16
	v_dual_mov_b32 v3, v17 :: v_dual_mov_b32 v4, v18
	v_dual_mov_b32 v5, v19 :: v_dual_mov_b32 v6, v20
	v_dual_mov_b32 v7, v21 :: v_dual_mov_b32 v8, v22
	v_dual_mov_b32 v9, v23 :: v_dual_mov_b32 v10, v24
	v_dual_mov_b32 v11, v25 :: v_dual_mov_b32 v12, v26
	v_dual_mov_b32 v13, v27 :: v_dual_mov_b32 v14, v28
	v_dual_mov_b32 v15, v29 :: v_dual_mov_b32 v16, v30
	v_mov_b32_e32 v17, v31
.LBB70_42:
	s_or_b32 exec_lo, exec_lo, s0
	v_mov_b32_e32 v24, 0
	s_waitcnt lgkmcnt(0)
	s_waitcnt_vscnt null, 0x0
	s_barrier
	buffer_gl0_inv
	s_mov_b32 s0, exec_lo
	ds_load_b64 v[16:17], v24 offset:112
	s_waitcnt lgkmcnt(0)
	v_fma_f64 v[16:17], v[14:15], v[16:17], 0
	s_delay_alu instid0(VALU_DEP_1)
	v_add_f64 v[12:13], v[12:13], -v[16:17]
	v_cmpx_lt_u32_e32 4, v0
	s_cbranch_execz .LBB70_44
; %bb.43:
	v_dual_mov_b32 v16, v2 :: v_dual_mov_b32 v17, v3
	v_dual_mov_b32 v18, v4 :: v_dual_mov_b32 v19, v5
	;; [unrolled: 1-line block ×6, first 2 shown]
	v_mov_b32_e32 v29, v15
	ds_store_b64 v1, v[10:11]
	v_mov_b32_e32 v2, v16
	v_dual_mov_b32 v3, v17 :: v_dual_mov_b32 v4, v18
	v_dual_mov_b32 v5, v19 :: v_dual_mov_b32 v6, v20
	;; [unrolled: 1-line block ×7, first 2 shown]
	v_mov_b32_e32 v17, v31
.LBB70_44:
	s_or_b32 exec_lo, exec_lo, s0
	s_waitcnt lgkmcnt(0)
	s_barrier
	buffer_gl0_inv
	ds_load_2addr_b64 v[16:19], v24 offset0:13 offset1:14
	s_mov_b32 s0, exec_lo
	s_waitcnt lgkmcnt(0)
	v_fma_f64 v[16:17], v[12:13], v[16:17], 0
	s_delay_alu instid0(VALU_DEP_1) | instskip(NEXT) | instid1(VALU_DEP_1)
	v_fma_f64 v[16:17], v[14:15], v[18:19], v[16:17]
	v_add_f64 v[10:11], v[10:11], -v[16:17]
	v_cmpx_lt_u32_e32 3, v0
	s_cbranch_execz .LBB70_46
; %bb.45:
	v_dual_mov_b32 v22, 0 :: v_dual_mov_b32 v17, v3
	v_dual_mov_b32 v16, v2 :: v_dual_mov_b32 v19, v5
	;; [unrolled: 1-line block ×4, first 2 shown]
	s_delay_alu instid0(VALU_DEP_4)
	v_dual_mov_b32 v23, v22 :: v_dual_mov_b32 v26, v12
	v_dual_mov_b32 v24, v10 :: v_dual_mov_b32 v27, v13
	;; [unrolled: 1-line block ×3, first 2 shown]
	ds_store_b64 v1, v[8:9]
	v_mov_b32_e32 v2, v16
	v_dual_mov_b32 v3, v17 :: v_dual_mov_b32 v4, v18
	v_dual_mov_b32 v5, v19 :: v_dual_mov_b32 v6, v20
	;; [unrolled: 1-line block ×7, first 2 shown]
	v_mov_b32_e32 v17, v31
.LBB70_46:
	s_or_b32 exec_lo, exec_lo, s0
	v_mov_b32_e32 v20, 0
	s_waitcnt lgkmcnt(0)
	s_barrier
	buffer_gl0_inv
	s_mov_b32 s0, exec_lo
	ds_load_b128 v[16:19], v20 offset:96
	ds_load_b64 v[21:22], v20 offset:112
	s_waitcnt lgkmcnt(1)
	v_fma_f64 v[16:17], v[10:11], v[16:17], 0
	s_delay_alu instid0(VALU_DEP_1) | instskip(SKIP_1) | instid1(VALU_DEP_1)
	v_fma_f64 v[16:17], v[12:13], v[18:19], v[16:17]
	s_waitcnt lgkmcnt(0)
	v_fma_f64 v[16:17], v[14:15], v[21:22], v[16:17]
	s_delay_alu instid0(VALU_DEP_1)
	v_add_f64 v[8:9], v[8:9], -v[16:17]
	v_cmpx_lt_u32_e32 2, v0
	s_cbranch_execz .LBB70_48
; %bb.47:
	v_dual_mov_b32 v16, v2 :: v_dual_mov_b32 v17, v3
	v_dual_mov_b32 v18, v4 :: v_dual_mov_b32 v19, v5
	v_dual_mov_b32 v21, v20 :: v_dual_mov_b32 v24, v10
	v_dual_mov_b32 v22, v8 :: v_dual_mov_b32 v23, v9
	v_dual_mov_b32 v25, v11 :: v_dual_mov_b32 v26, v12
	v_dual_mov_b32 v27, v13 :: v_dual_mov_b32 v28, v14
	v_mov_b32_e32 v29, v15
	ds_store_b64 v1, v[6:7]
	v_mov_b32_e32 v2, v16
	v_dual_mov_b32 v3, v17 :: v_dual_mov_b32 v4, v18
	v_dual_mov_b32 v5, v19 :: v_dual_mov_b32 v6, v20
	;; [unrolled: 1-line block ×7, first 2 shown]
	v_mov_b32_e32 v17, v31
.LBB70_48:
	s_or_b32 exec_lo, exec_lo, s0
	s_waitcnt lgkmcnt(0)
	s_barrier
	buffer_gl0_inv
	ds_load_2addr_b64 v[16:19], v20 offset0:11 offset1:12
	ds_load_2addr_b64 v[20:23], v20 offset0:13 offset1:14
	s_mov_b32 s0, exec_lo
	s_waitcnt lgkmcnt(1)
	v_fma_f64 v[16:17], v[8:9], v[16:17], 0
	s_delay_alu instid0(VALU_DEP_1) | instskip(SKIP_1) | instid1(VALU_DEP_1)
	v_fma_f64 v[16:17], v[10:11], v[18:19], v[16:17]
	s_waitcnt lgkmcnt(0)
	v_fma_f64 v[16:17], v[12:13], v[20:21], v[16:17]
	s_delay_alu instid0(VALU_DEP_1) | instskip(NEXT) | instid1(VALU_DEP_1)
	v_fma_f64 v[16:17], v[14:15], v[22:23], v[16:17]
	v_add_f64 v[6:7], v[6:7], -v[16:17]
	v_cmpx_lt_u32_e32 1, v0
	s_cbranch_execz .LBB70_50
; %bb.49:
	v_dual_mov_b32 v18, 0 :: v_dual_mov_b32 v17, v3
	s_delay_alu instid0(VALU_DEP_3) | instskip(NEXT) | instid1(VALU_DEP_4)
	v_dual_mov_b32 v16, v2 :: v_dual_mov_b32 v21, v7
	v_dual_mov_b32 v20, v6 :: v_dual_mov_b32 v23, v9
	s_delay_alu instid0(VALU_DEP_3)
	v_dual_mov_b32 v19, v18 :: v_dual_mov_b32 v22, v8
	v_dual_mov_b32 v24, v10 :: v_dual_mov_b32 v25, v11
	;; [unrolled: 1-line block ×4, first 2 shown]
	ds_store_b64 v1, v[4:5]
	v_mov_b32_e32 v2, v16
	v_dual_mov_b32 v3, v17 :: v_dual_mov_b32 v4, v18
	v_dual_mov_b32 v5, v19 :: v_dual_mov_b32 v6, v20
	;; [unrolled: 1-line block ×7, first 2 shown]
	v_mov_b32_e32 v17, v31
.LBB70_50:
	s_or_b32 exec_lo, exec_lo, s0
	v_mov_b32_e32 v18, 0
	s_waitcnt lgkmcnt(0)
	s_barrier
	buffer_gl0_inv
	s_mov_b32 s0, exec_lo
	ds_load_b128 v[19:22], v18 offset:80
	ds_load_b128 v[23:26], v18 offset:96
	s_waitcnt lgkmcnt(1)
	v_fma_f64 v[16:17], v[6:7], v[19:20], 0
	ds_load_b64 v[19:20], v18 offset:112
	v_fma_f64 v[16:17], v[8:9], v[21:22], v[16:17]
	s_waitcnt lgkmcnt(1)
	s_delay_alu instid0(VALU_DEP_1) | instskip(NEXT) | instid1(VALU_DEP_1)
	v_fma_f64 v[16:17], v[10:11], v[23:24], v[16:17]
	v_fma_f64 v[16:17], v[12:13], v[25:26], v[16:17]
	s_waitcnt lgkmcnt(0)
	s_delay_alu instid0(VALU_DEP_1) | instskip(NEXT) | instid1(VALU_DEP_1)
	v_fma_f64 v[16:17], v[14:15], v[19:20], v[16:17]
	v_add_f64 v[4:5], v[4:5], -v[16:17]
	v_cmpx_ne_u32_e32 0, v0
	s_cbranch_execz .LBB70_52
; %bb.51:
	s_delay_alu instid0(VALU_DEP_2) | instskip(NEXT) | instid1(VALU_DEP_3)
	v_dual_mov_b32 v19, v18 :: v_dual_mov_b32 v20, v4
	v_dual_mov_b32 v21, v5 :: v_dual_mov_b32 v22, v6
	;; [unrolled: 1-line block ×6, first 2 shown]
	v_mov_b32_e32 v31, v15
	ds_store_b64 v1, v[2:3]
	v_dual_mov_b32 v2, v18 :: v_dual_mov_b32 v3, v19
	v_dual_mov_b32 v4, v20 :: v_dual_mov_b32 v5, v21
	;; [unrolled: 1-line block ×8, first 2 shown]
.LBB70_52:
	s_or_b32 exec_lo, exec_lo, s0
	s_waitcnt lgkmcnt(0)
	s_barrier
	buffer_gl0_inv
	ds_load_2addr_b64 v[19:22], v18 offset0:9 offset1:10
	ds_load_2addr_b64 v[23:26], v18 offset0:11 offset1:12
	s_and_b32 vcc_lo, exec_lo, s12
	s_waitcnt lgkmcnt(1)
	v_fma_f64 v[0:1], v[4:5], v[19:20], 0
	ds_load_2addr_b64 v[16:19], v18 offset0:13 offset1:14
	v_fma_f64 v[0:1], v[6:7], v[21:22], v[0:1]
	s_waitcnt lgkmcnt(1)
	s_delay_alu instid0(VALU_DEP_1) | instskip(NEXT) | instid1(VALU_DEP_1)
	v_fma_f64 v[0:1], v[8:9], v[23:24], v[0:1]
	v_fma_f64 v[0:1], v[10:11], v[25:26], v[0:1]
	s_waitcnt lgkmcnt(0)
	s_delay_alu instid0(VALU_DEP_1) | instskip(NEXT) | instid1(VALU_DEP_1)
	v_fma_f64 v[0:1], v[12:13], v[16:17], v[0:1]
	v_fma_f64 v[0:1], v[14:15], v[18:19], v[0:1]
	s_delay_alu instid0(VALU_DEP_1)
	v_add_f64 v[2:3], v[2:3], -v[0:1]
	s_cbranch_vccz .LBB70_66
; %bb.53:
	v_dual_mov_b32 v0, s8 :: v_dual_mov_b32 v1, s9
	s_mov_b32 s5, exec_lo
	flat_load_b32 v0, v[0:1] offset:20
	s_waitcnt vmcnt(0) lgkmcnt(0)
	v_add_nc_u32_e32 v0, -1, v0
	s_delay_alu instid0(VALU_DEP_1)
	v_cmpx_ne_u32_e32 5, v0
	s_cbranch_execz .LBB70_55
; %bb.54:
	v_cmp_eq_u32_e32 vcc_lo, 1, v0
	v_cmp_eq_u32_e64 s0, 2, v0
	v_cmp_eq_u32_e64 s1, 3, v0
	v_cmp_eq_u32_e64 s2, 4, v0
	v_cmp_eq_u32_e64 s3, 0, v0
	v_dual_cndmask_b32 v1, v2, v4 :: v_dual_cndmask_b32 v16, v3, v5
	v_cmp_eq_u32_e64 s4, 5, v0
	v_cndmask_b32_e32 v18, v5, v13, vcc_lo
	v_cndmask_b32_e64 v20, v7, v13, s0
	s_delay_alu instid0(VALU_DEP_4)
	v_cndmask_b32_e64 v1, v1, v6, s0
	v_cndmask_b32_e64 v16, v16, v7, s0
	v_cndmask_b32_e64 v19, v6, v12, s0
	v_cndmask_b32_e64 v22, v9, v13, s1
	v_cndmask_b32_e64 v21, v8, v12, s1
	v_cndmask_b32_e64 v1, v1, v8, s1
	v_cndmask_b32_e64 v17, v16, v9, s1
	v_cndmask_b32_e64 v16, v3, v13, s3
	v_cndmask_b32_e64 v24, v11, v13, s2
	v_cndmask_b32_e64 v23, v10, v12, s2
	v_cndmask_b32_e64 v1, v1, v10, s2
	v_cndmask_b32_e64 v3, v17, v11, s2
	v_cndmask_b32_e32 v17, v4, v12, vcc_lo
	v_cmp_eq_u32_e32 vcc_lo, 6, v0
	s_delay_alu instid0(VALU_DEP_4) | instskip(NEXT) | instid1(VALU_DEP_4)
	v_cndmask_b32_e64 v1, v1, v12, s4
	v_cndmask_b32_e64 v3, v3, v13, s4
	v_dual_cndmask_b32 v28, v15, v13 :: v_dual_cndmask_b32 v27, v14, v12
	s_delay_alu instid0(VALU_DEP_2) | instskip(SKIP_1) | instid1(VALU_DEP_2)
	v_dual_cndmask_b32 v0, v1, v14 :: v_dual_cndmask_b32 v1, v3, v15
	v_cndmask_b32_e64 v15, v2, v12, s3
	v_cndmask_b32_e64 v25, v0, v12, s4
	s_delay_alu instid0(VALU_DEP_3) | instskip(NEXT) | instid1(VALU_DEP_3)
	v_cndmask_b32_e64 v26, v1, v13, s4
	v_mov_b32_e32 v2, v15
	v_dual_mov_b32 v3, v16 :: v_dual_mov_b32 v4, v17
	v_dual_mov_b32 v5, v18 :: v_dual_mov_b32 v6, v19
	v_dual_mov_b32 v7, v20 :: v_dual_mov_b32 v8, v21
	v_dual_mov_b32 v9, v22 :: v_dual_mov_b32 v10, v23
	v_dual_mov_b32 v11, v24 :: v_dual_mov_b32 v12, v25
	v_dual_mov_b32 v13, v26 :: v_dual_mov_b32 v14, v27
	v_mov_b32_e32 v15, v28
	v_mov_b32_e32 v16, v29
	v_mov_b32_e32 v17, v30
.LBB70_55:
	s_or_b32 exec_lo, exec_lo, s5
	v_dual_mov_b32 v0, s8 :: v_dual_mov_b32 v1, s9
	s_mov_b32 s5, exec_lo
	flat_load_b32 v0, v[0:1] offset:16
	s_waitcnt vmcnt(0) lgkmcnt(0)
	v_add_nc_u32_e32 v0, -1, v0
	s_delay_alu instid0(VALU_DEP_1)
	v_cmpx_ne_u32_e32 4, v0
	s_cbranch_execz .LBB70_57
; %bb.56:
	v_cmp_eq_u32_e32 vcc_lo, 1, v0
	v_cmp_eq_u32_e64 s0, 2, v0
	v_cmp_eq_u32_e64 s1, 3, v0
	v_cmp_eq_u32_e64 s2, 4, v0
	v_cmp_eq_u32_e64 s3, 0, v0
	v_dual_cndmask_b32 v1, v2, v4 :: v_dual_cndmask_b32 v16, v3, v5
	v_cmp_eq_u32_e64 s4, 5, v0
	v_cndmask_b32_e32 v18, v5, v11, vcc_lo
	v_cndmask_b32_e64 v20, v7, v11, s0
	s_delay_alu instid0(VALU_DEP_4)
	v_cndmask_b32_e64 v1, v1, v6, s0
	v_cndmask_b32_e64 v16, v16, v7, s0
	v_cndmask_b32_e64 v19, v6, v10, s0
	v_cndmask_b32_e64 v22, v9, v11, s1
	v_cndmask_b32_e64 v21, v8, v10, s1
	v_cndmask_b32_e64 v1, v1, v8, s1
	v_cndmask_b32_e64 v17, v16, v9, s1
	v_cndmask_b32_e64 v16, v3, v11, s3
	v_cndmask_b32_e64 v26, v13, v11, s4
	v_cndmask_b32_e64 v25, v12, v10, s4
	v_cndmask_b32_e64 v1, v1, v10, s2
	v_cndmask_b32_e64 v3, v17, v11, s2
	v_cndmask_b32_e32 v17, v4, v10, vcc_lo
	v_cmp_eq_u32_e32 vcc_lo, 6, v0
	s_delay_alu instid0(VALU_DEP_4) | instskip(NEXT) | instid1(VALU_DEP_4)
	v_cndmask_b32_e64 v1, v1, v12, s4
	v_cndmask_b32_e64 v3, v3, v13, s4
	v_dual_cndmask_b32 v28, v15, v11 :: v_dual_cndmask_b32 v27, v14, v10
	s_delay_alu instid0(VALU_DEP_2) | instskip(SKIP_1) | instid1(VALU_DEP_2)
	v_dual_cndmask_b32 v0, v1, v14 :: v_dual_cndmask_b32 v1, v3, v15
	v_cndmask_b32_e64 v15, v2, v10, s3
	v_cndmask_b32_e64 v23, v0, v10, s2
	s_delay_alu instid0(VALU_DEP_3) | instskip(NEXT) | instid1(VALU_DEP_3)
	v_cndmask_b32_e64 v24, v1, v11, s2
	v_mov_b32_e32 v2, v15
	v_dual_mov_b32 v3, v16 :: v_dual_mov_b32 v4, v17
	v_dual_mov_b32 v5, v18 :: v_dual_mov_b32 v6, v19
	v_dual_mov_b32 v7, v20 :: v_dual_mov_b32 v8, v21
	v_dual_mov_b32 v9, v22 :: v_dual_mov_b32 v10, v23
	v_dual_mov_b32 v11, v24 :: v_dual_mov_b32 v12, v25
	v_dual_mov_b32 v13, v26 :: v_dual_mov_b32 v14, v27
	v_mov_b32_e32 v15, v28
	v_mov_b32_e32 v16, v29
	v_mov_b32_e32 v17, v30
.LBB70_57:
	s_or_b32 exec_lo, exec_lo, s5
	;; [unrolled: 55-line block ×3, first 2 shown]
	v_dual_mov_b32 v0, s8 :: v_dual_mov_b32 v1, s9
	s_mov_b32 s5, exec_lo
	flat_load_b32 v0, v[0:1] offset:8
	s_waitcnt vmcnt(0) lgkmcnt(0)
	v_add_nc_u32_e32 v0, -1, v0
	s_delay_alu instid0(VALU_DEP_1)
	v_cmpx_ne_u32_e32 2, v0
	s_cbranch_execz .LBB70_61
; %bb.60:
	v_cmp_eq_u32_e32 vcc_lo, 1, v0
	v_cmp_eq_u32_e64 s0, 2, v0
	v_cmp_eq_u32_e64 s1, 3, v0
	;; [unrolled: 1-line block ×4, first 2 shown]
	v_dual_cndmask_b32 v1, v2, v4 :: v_dual_cndmask_b32 v16, v3, v5
	v_cmp_eq_u32_e64 s4, 5, v0
	v_cndmask_b32_e32 v18, v5, v7, vcc_lo
	v_cndmask_b32_e64 v22, v9, v7, s1
	s_delay_alu instid0(VALU_DEP_4)
	v_cndmask_b32_e64 v1, v1, v6, s0
	v_cndmask_b32_e64 v16, v16, v7, s0
	;; [unrolled: 1-line block ×12, first 2 shown]
	v_cndmask_b32_e32 v17, v4, v6, vcc_lo
	v_cmp_eq_u32_e32 vcc_lo, 6, v0
	s_delay_alu instid0(VALU_DEP_4) | instskip(NEXT) | instid1(VALU_DEP_4)
	v_cndmask_b32_e64 v1, v1, v12, s4
	v_cndmask_b32_e64 v3, v3, v13, s4
	v_dual_cndmask_b32 v28, v15, v7 :: v_dual_cndmask_b32 v27, v14, v6
	s_delay_alu instid0(VALU_DEP_2) | instskip(SKIP_1) | instid1(VALU_DEP_2)
	v_dual_cndmask_b32 v0, v1, v14 :: v_dual_cndmask_b32 v1, v3, v15
	v_cndmask_b32_e64 v15, v2, v6, s3
	v_cndmask_b32_e64 v19, v0, v6, s0
	s_delay_alu instid0(VALU_DEP_3) | instskip(NEXT) | instid1(VALU_DEP_3)
	v_cndmask_b32_e64 v20, v1, v7, s0
	v_mov_b32_e32 v2, v15
	v_dual_mov_b32 v3, v16 :: v_dual_mov_b32 v4, v17
	s_delay_alu instid0(VALU_DEP_4) | instskip(NEXT) | instid1(VALU_DEP_4)
	v_dual_mov_b32 v5, v18 :: v_dual_mov_b32 v6, v19
	v_dual_mov_b32 v7, v20 :: v_dual_mov_b32 v8, v21
	v_dual_mov_b32 v9, v22 :: v_dual_mov_b32 v10, v23
	v_dual_mov_b32 v11, v24 :: v_dual_mov_b32 v12, v25
	v_dual_mov_b32 v13, v26 :: v_dual_mov_b32 v14, v27
	v_mov_b32_e32 v15, v28
	v_mov_b32_e32 v16, v29
	;; [unrolled: 1-line block ×3, first 2 shown]
.LBB70_61:
	s_or_b32 exec_lo, exec_lo, s5
	v_dual_mov_b32 v0, s8 :: v_dual_mov_b32 v1, s9
	s_mov_b32 s5, exec_lo
	flat_load_b32 v0, v[0:1] offset:4
	s_waitcnt vmcnt(0) lgkmcnt(0)
	v_add_nc_u32_e32 v0, -1, v0
	s_delay_alu instid0(VALU_DEP_1)
	v_cmpx_ne_u32_e32 1, v0
	s_cbranch_execz .LBB70_63
; %bb.62:
	v_cmp_eq_u32_e32 vcc_lo, 1, v0
	v_cmp_eq_u32_e64 s0, 2, v0
	v_cmp_eq_u32_e64 s1, 3, v0
	;; [unrolled: 1-line block ×4, first 2 shown]
	v_dual_cndmask_b32 v1, v2, v4 :: v_dual_cndmask_b32 v16, v3, v5
	v_cmp_eq_u32_e64 s4, 5, v0
	v_cndmask_b32_e64 v20, v7, v5, s0
	v_cndmask_b32_e64 v19, v6, v4, s0
	s_delay_alu instid0(VALU_DEP_4)
	v_cndmask_b32_e64 v1, v1, v6, s0
	v_cndmask_b32_e64 v16, v16, v7, s0
	v_cmp_eq_u32_e64 s0, 6, v0
	v_cndmask_b32_e64 v22, v9, v5, s1
	v_cndmask_b32_e64 v21, v8, v4, s1
	;; [unrolled: 1-line block ×15, first 2 shown]
	s_delay_alu instid0(VALU_DEP_3) | instskip(NEXT) | instid1(VALU_DEP_3)
	v_cndmask_b32_e64 v0, v1, v14, s0
	v_cndmask_b32_e64 v1, v3, v15, s0
	;; [unrolled: 1-line block ×3, first 2 shown]
	s_delay_alu instid0(VALU_DEP_2) | instskip(NEXT) | instid1(VALU_DEP_2)
	v_dual_cndmask_b32 v17, v0, v4 :: v_dual_cndmask_b32 v18, v1, v5
	v_mov_b32_e32 v2, v15
	s_delay_alu instid0(VALU_DEP_2) | instskip(NEXT) | instid1(VALU_DEP_3)
	v_dual_mov_b32 v3, v16 :: v_dual_mov_b32 v4, v17
	v_dual_mov_b32 v6, v19 :: v_dual_mov_b32 v5, v18
	v_dual_mov_b32 v7, v20 :: v_dual_mov_b32 v8, v21
	v_dual_mov_b32 v9, v22 :: v_dual_mov_b32 v10, v23
	v_dual_mov_b32 v11, v24 :: v_dual_mov_b32 v12, v25
	v_dual_mov_b32 v13, v26 :: v_dual_mov_b32 v14, v27
	v_mov_b32_e32 v15, v28
	v_mov_b32_e32 v16, v29
	;; [unrolled: 1-line block ×3, first 2 shown]
.LBB70_63:
	s_or_b32 exec_lo, exec_lo, s5
	v_dual_mov_b32 v0, s8 :: v_dual_mov_b32 v1, s9
	s_mov_b32 s3, exec_lo
	flat_load_b32 v0, v[0:1]
	s_waitcnt vmcnt(0) lgkmcnt(0)
	v_add_nc_u32_e32 v0, -1, v0
	s_delay_alu instid0(VALU_DEP_1)
	v_cmpx_ne_u32_e32 0, v0
	s_cbranch_execz .LBB70_65
; %bb.64:
	v_cmp_eq_u32_e32 vcc_lo, 1, v0
	v_cmp_eq_u32_e64 s0, 2, v0
	v_cmp_eq_u32_e64 s1, 3, v0
	v_cmp_eq_u32_e64 s2, 4, v0
	v_dual_cndmask_b32 v1, v2, v4 :: v_dual_cndmask_b32 v16, v3, v5
	s_delay_alu instid0(VALU_DEP_4) | instskip(SKIP_2) | instid1(VALU_DEP_4)
	v_cndmask_b32_e64 v18, v7, v3, s0
	v_cndmask_b32_e64 v17, v6, v2, s0
	;; [unrolled: 1-line block ×5, first 2 shown]
	v_cmp_eq_u32_e64 s0, 5, v0
	v_cndmask_b32_e64 v19, v8, v2, s1
	v_cndmask_b32_e64 v22, v11, v3, s2
	;; [unrolled: 1-line block ×4, first 2 shown]
	v_cmp_eq_u32_e64 s1, 6, v0
	v_cndmask_b32_e64 v21, v10, v2, s2
	v_cndmask_b32_e64 v24, v13, v3, s0
	;; [unrolled: 1-line block ×4, first 2 shown]
	v_cndmask_b32_e32 v16, v5, v3, vcc_lo
	v_cmp_eq_u32_e64 s2, 0, v0
	v_cndmask_b32_e64 v23, v12, v2, s0
	v_cndmask_b32_e64 v1, v1, v12, s0
	v_cndmask_b32_e64 v5, v6, v13, s0
	v_cndmask_b32_e64 v26, v15, v3, s1
	v_cndmask_b32_e64 v25, v14, v2, s1
	s_delay_alu instid0(VALU_DEP_4) | instskip(NEXT) | instid1(VALU_DEP_4)
	v_cndmask_b32_e64 v1, v1, v14, s1
	v_cndmask_b32_e64 v5, v5, v15, s1
	v_cndmask_b32_e32 v15, v4, v2, vcc_lo
	s_delay_alu instid0(VALU_DEP_3) | instskip(NEXT) | instid1(VALU_DEP_3)
	v_cndmask_b32_e64 v13, v1, v2, s2
	v_cndmask_b32_e64 v14, v5, v3, s2
	s_delay_alu instid0(VALU_DEP_2) | instskip(NEXT) | instid1(VALU_DEP_2)
	v_mov_b32_e32 v2, v13
	v_dual_mov_b32 v3, v14 :: v_dual_mov_b32 v4, v15
	v_dual_mov_b32 v5, v16 :: v_dual_mov_b32 v6, v17
	;; [unrolled: 1-line block ×5, first 2 shown]
	v_mov_b32_e32 v13, v24
	v_mov_b32_e32 v14, v25
	;; [unrolled: 1-line block ×5, first 2 shown]
.LBB70_65:
	s_or_b32 exec_lo, exec_lo, s3
.LBB70_66:
	s_clause 0x6
	global_store_b64 v[32:33], v[2:3], off
	global_store_b64 v[34:35], v[4:5], off
	;; [unrolled: 1-line block ×7, first 2 shown]
	s_nop 0
	s_sendmsg sendmsg(MSG_DEALLOC_VGPRS)
	s_endpgm
	.section	.rodata,"a",@progbits
	.p2align	6, 0x0
	.amdhsa_kernel _ZN9rocsolver6v33100L18getri_kernel_smallILi7EdPKPdEEvT1_iilPiilS6_bb
		.amdhsa_group_segment_fixed_size 120
		.amdhsa_private_segment_fixed_size 0
		.amdhsa_kernarg_size 60
		.amdhsa_user_sgpr_count 15
		.amdhsa_user_sgpr_dispatch_ptr 0
		.amdhsa_user_sgpr_queue_ptr 0
		.amdhsa_user_sgpr_kernarg_segment_ptr 1
		.amdhsa_user_sgpr_dispatch_id 0
		.amdhsa_user_sgpr_private_segment_size 0
		.amdhsa_wavefront_size32 1
		.amdhsa_uses_dynamic_stack 0
		.amdhsa_enable_private_segment 0
		.amdhsa_system_sgpr_workgroup_id_x 1
		.amdhsa_system_sgpr_workgroup_id_y 0
		.amdhsa_system_sgpr_workgroup_id_z 0
		.amdhsa_system_sgpr_workgroup_info 0
		.amdhsa_system_vgpr_workitem_id 0
		.amdhsa_next_free_vgpr 46
		.amdhsa_next_free_sgpr 17
		.amdhsa_reserve_vcc 1
		.amdhsa_float_round_mode_32 0
		.amdhsa_float_round_mode_16_64 0
		.amdhsa_float_denorm_mode_32 3
		.amdhsa_float_denorm_mode_16_64 3
		.amdhsa_dx10_clamp 1
		.amdhsa_ieee_mode 1
		.amdhsa_fp16_overflow 0
		.amdhsa_workgroup_processor_mode 1
		.amdhsa_memory_ordered 1
		.amdhsa_forward_progress 0
		.amdhsa_shared_vgpr_count 0
		.amdhsa_exception_fp_ieee_invalid_op 0
		.amdhsa_exception_fp_denorm_src 0
		.amdhsa_exception_fp_ieee_div_zero 0
		.amdhsa_exception_fp_ieee_overflow 0
		.amdhsa_exception_fp_ieee_underflow 0
		.amdhsa_exception_fp_ieee_inexact 0
		.amdhsa_exception_int_div_zero 0
	.end_amdhsa_kernel
	.section	.text._ZN9rocsolver6v33100L18getri_kernel_smallILi7EdPKPdEEvT1_iilPiilS6_bb,"axG",@progbits,_ZN9rocsolver6v33100L18getri_kernel_smallILi7EdPKPdEEvT1_iilPiilS6_bb,comdat
.Lfunc_end70:
	.size	_ZN9rocsolver6v33100L18getri_kernel_smallILi7EdPKPdEEvT1_iilPiilS6_bb, .Lfunc_end70-_ZN9rocsolver6v33100L18getri_kernel_smallILi7EdPKPdEEvT1_iilPiilS6_bb
                                        ; -- End function
	.section	.AMDGPU.csdata,"",@progbits
; Kernel info:
; codeLenInByte = 6348
; NumSgprs: 19
; NumVgprs: 46
; ScratchSize: 0
; MemoryBound: 0
; FloatMode: 240
; IeeeMode: 1
; LDSByteSize: 120 bytes/workgroup (compile time only)
; SGPRBlocks: 2
; VGPRBlocks: 5
; NumSGPRsForWavesPerEU: 19
; NumVGPRsForWavesPerEU: 46
; Occupancy: 16
; WaveLimiterHint : 1
; COMPUTE_PGM_RSRC2:SCRATCH_EN: 0
; COMPUTE_PGM_RSRC2:USER_SGPR: 15
; COMPUTE_PGM_RSRC2:TRAP_HANDLER: 0
; COMPUTE_PGM_RSRC2:TGID_X_EN: 1
; COMPUTE_PGM_RSRC2:TGID_Y_EN: 0
; COMPUTE_PGM_RSRC2:TGID_Z_EN: 0
; COMPUTE_PGM_RSRC2:TIDIG_COMP_CNT: 0
	.section	.text._ZN9rocsolver6v33100L18getri_kernel_smallILi8EdPKPdEEvT1_iilPiilS6_bb,"axG",@progbits,_ZN9rocsolver6v33100L18getri_kernel_smallILi8EdPKPdEEvT1_iilPiilS6_bb,comdat
	.globl	_ZN9rocsolver6v33100L18getri_kernel_smallILi8EdPKPdEEvT1_iilPiilS6_bb ; -- Begin function _ZN9rocsolver6v33100L18getri_kernel_smallILi8EdPKPdEEvT1_iilPiilS6_bb
	.p2align	8
	.type	_ZN9rocsolver6v33100L18getri_kernel_smallILi8EdPKPdEEvT1_iilPiilS6_bb,@function
_ZN9rocsolver6v33100L18getri_kernel_smallILi8EdPKPdEEvT1_iilPiilS6_bb: ; @_ZN9rocsolver6v33100L18getri_kernel_smallILi8EdPKPdEEvT1_iilPiilS6_bb
; %bb.0:
	s_mov_b32 s2, exec_lo
	v_cmpx_gt_u32_e32 8, v0
	s_cbranch_execz .LBB71_16
; %bb.1:
	s_clause 0x1
	s_load_b32 s4, s[0:1], 0x38
	s_load_b64 s[2:3], s[0:1], 0x0
	s_mov_b32 s14, s15
	s_load_b128 s[8:11], s[0:1], 0x28
	s_waitcnt lgkmcnt(0)
	s_bitcmp1_b32 s4, 8
	s_cselect_b32 s7, -1, 0
	s_ashr_i32 s15, s15, 31
	s_delay_alu instid0(SALU_CYCLE_1) | instskip(NEXT) | instid1(SALU_CYCLE_1)
	s_lshl_b64 s[12:13], s[14:15], 3
	s_add_u32 s2, s2, s12
	s_addc_u32 s3, s3, s13
	s_bfe_u32 s5, s4, 0x10008
	s_load_b64 s[2:3], s[2:3], 0x0
	s_cmp_eq_u32 s5, 0
                                        ; implicit-def: $sgpr12_sgpr13
	s_cbranch_scc1 .LBB71_3
; %bb.2:
	s_clause 0x1
	s_load_b32 s12, s[0:1], 0x20
	s_load_b64 s[16:17], s[0:1], 0x18
	s_mul_i32 s5, s14, s9
	s_mul_hi_u32 s6, s14, s8
	s_mul_i32 s9, s15, s8
	s_add_i32 s5, s6, s5
	s_mul_i32 s8, s14, s8
	s_add_i32 s9, s5, s9
	s_delay_alu instid0(SALU_CYCLE_1)
	s_lshl_b64 s[8:9], s[8:9], 2
	s_waitcnt lgkmcnt(0)
	s_ashr_i32 s13, s12, 31
	s_add_u32 s5, s16, s8
	s_addc_u32 s6, s17, s9
	s_lshl_b64 s[8:9], s[12:13], 2
	s_delay_alu instid0(SALU_CYCLE_1)
	s_add_u32 s12, s5, s8
	s_addc_u32 s13, s6, s9
.LBB71_3:
	s_load_b64 s[0:1], s[0:1], 0x8
	v_lshlrev_b32_e32 v20, 3, v0
	s_waitcnt lgkmcnt(0)
	v_add3_u32 v1, s1, s1, v0
	s_ashr_i32 s9, s0, 31
	s_mov_b32 s8, s0
	s_mov_b32 s16, s1
	s_lshl_b64 s[8:9], s[8:9], 3
	v_add_nc_u32_e32 v3, s1, v1
	v_ashrrev_i32_e32 v2, 31, v1
	s_add_u32 s2, s2, s8
	s_addc_u32 s3, s3, s9
	v_add_co_u32 v33, s0, s2, v20
	v_add_nc_u32_e32 v5, s1, v3
	s_ashr_i32 s17, s1, 31
	v_add_co_ci_u32_e64 v34, null, s3, 0, s0
	v_lshlrev_b64 v[1:2], 3, v[1:2]
	v_ashrrev_i32_e32 v4, 31, v3
	s_lshl_b64 s[8:9], s[16:17], 3
	v_ashrrev_i32_e32 v6, 31, v5
	v_add_co_u32 v35, vcc_lo, v33, s8
	v_add_nc_u32_e32 v7, s1, v5
	v_add_co_ci_u32_e32 v36, vcc_lo, s9, v34, vcc_lo
	v_lshlrev_b64 v[3:4], 3, v[3:4]
	v_add_co_u32 v37, vcc_lo, s2, v1
	v_add_co_ci_u32_e32 v38, vcc_lo, s3, v2, vcc_lo
	v_lshlrev_b64 v[1:2], 3, v[5:6]
	v_ashrrev_i32_e32 v8, 31, v7
	v_add_nc_u32_e32 v5, s1, v7
	v_add_co_u32 v39, vcc_lo, s2, v3
	v_add_co_ci_u32_e32 v40, vcc_lo, s3, v4, vcc_lo
	s_delay_alu instid0(VALU_DEP_4) | instskip(NEXT) | instid1(VALU_DEP_4)
	v_lshlrev_b64 v[3:4], 3, v[7:8]
	v_add_nc_u32_e32 v7, s1, v5
	v_ashrrev_i32_e32 v6, 31, v5
	v_add_co_u32 v47, vcc_lo, s2, v1
	v_add_co_ci_u32_e32 v48, vcc_lo, s3, v2, vcc_lo
	s_delay_alu instid0(VALU_DEP_4) | instskip(NEXT) | instid1(VALU_DEP_4)
	v_ashrrev_i32_e32 v8, 31, v7
	v_lshlrev_b64 v[1:2], 3, v[5:6]
	v_add_co_u32 v43, vcc_lo, s2, v3
	v_add_co_ci_u32_e32 v44, vcc_lo, s3, v4, vcc_lo
	s_delay_alu instid0(VALU_DEP_4) | instskip(NEXT) | instid1(VALU_DEP_4)
	v_lshlrev_b64 v[3:4], 3, v[7:8]
	v_add_co_u32 v45, vcc_lo, s2, v1
	v_mov_b32_e32 v1, 0
	v_add_co_ci_u32_e32 v46, vcc_lo, s3, v2, vcc_lo
	s_delay_alu instid0(VALU_DEP_4)
	v_add_co_u32 v41, vcc_lo, s2, v3
	v_add_co_ci_u32_e32 v42, vcc_lo, s3, v4, vcc_lo
	s_clause 0x7
	global_load_b64 v[4:5], v[35:36], off
	global_load_b64 v[6:7], v[37:38], off
	;; [unrolled: 1-line block ×6, first 2 shown]
	global_load_b64 v[2:3], v20, s[2:3]
	global_load_b64 v[16:17], v[41:42], off
	s_bitcmp0_b32 s4, 0
	s_mov_b32 s0, -1
	s_cbranch_scc1 .LBB71_14
; %bb.4:
	v_cmp_eq_u32_e64 s0, 0, v0
	s_delay_alu instid0(VALU_DEP_1)
	s_and_saveexec_b32 s1, s0
	s_cbranch_execz .LBB71_6
; %bb.5:
	v_mov_b32_e32 v18, 0
	ds_store_b32 v18, v18 offset:128
.LBB71_6:
	s_or_b32 exec_lo, exec_lo, s1
	v_cmp_eq_u32_e32 vcc_lo, 1, v0
	s_mov_b32 s2, exec_lo
	s_waitcnt vmcnt(0) lgkmcnt(0)
	s_barrier
	buffer_gl0_inv
	v_dual_cndmask_b32 v18, v3, v5 :: v_dual_cndmask_b32 v19, v2, v4
	v_cmp_eq_u32_e32 vcc_lo, 2, v0
	s_delay_alu instid0(VALU_DEP_2) | instskip(SKIP_1) | instid1(VALU_DEP_2)
	v_dual_cndmask_b32 v18, v18, v7 :: v_dual_cndmask_b32 v19, v19, v6
	v_cmp_eq_u32_e32 vcc_lo, 3, v0
	v_dual_cndmask_b32 v18, v18, v9 :: v_dual_cndmask_b32 v19, v19, v8
	v_cmp_eq_u32_e32 vcc_lo, 4, v0
	s_delay_alu instid0(VALU_DEP_2) | instskip(SKIP_1) | instid1(VALU_DEP_2)
	v_dual_cndmask_b32 v18, v18, v11 :: v_dual_cndmask_b32 v19, v19, v10
	v_cmp_eq_u32_e32 vcc_lo, 5, v0
	;; [unrolled: 5-line block ×3, first 2 shown]
	v_dual_cndmask_b32 v19, v18, v17 :: v_dual_cndmask_b32 v18, v21, v16
	s_delay_alu instid0(VALU_DEP_1)
	v_cmpx_eq_f64_e32 0, v[18:19]
	s_cbranch_execz .LBB71_10
; %bb.7:
	v_mov_b32_e32 v21, 0
	s_mov_b32 s3, 0
	ds_load_b32 v22, v21 offset:128
	s_waitcnt lgkmcnt(0)
	v_readfirstlane_b32 s1, v22
	v_add_nc_u32_e32 v22, 1, v0
	s_delay_alu instid0(VALU_DEP_2) | instskip(NEXT) | instid1(VALU_DEP_1)
	s_cmp_eq_u32 s1, 0
	v_cmp_gt_i32_e32 vcc_lo, s1, v22
	s_cselect_b32 s4, -1, 0
	s_delay_alu instid0(SALU_CYCLE_1) | instskip(NEXT) | instid1(SALU_CYCLE_1)
	s_or_b32 s4, s4, vcc_lo
	s_and_b32 exec_lo, exec_lo, s4
	s_cbranch_execz .LBB71_10
; %bb.8:
	v_mov_b32_e32 v23, s1
.LBB71_9:                               ; =>This Inner Loop Header: Depth=1
	ds_cmpstore_rtn_b32 v23, v21, v22, v23 offset:128
	s_waitcnt lgkmcnt(0)
	v_cmp_ne_u32_e32 vcc_lo, 0, v23
	v_cmp_le_i32_e64 s1, v23, v22
	s_delay_alu instid0(VALU_DEP_1) | instskip(NEXT) | instid1(SALU_CYCLE_1)
	s_and_b32 s1, vcc_lo, s1
	s_and_b32 s1, exec_lo, s1
	s_delay_alu instid0(SALU_CYCLE_1) | instskip(NEXT) | instid1(SALU_CYCLE_1)
	s_or_b32 s3, s1, s3
	s_and_not1_b32 exec_lo, exec_lo, s3
	s_cbranch_execnz .LBB71_9
.LBB71_10:
	s_or_b32 exec_lo, exec_lo, s2
	v_mov_b32_e32 v21, 0
	s_barrier
	buffer_gl0_inv
	ds_load_b32 v22, v21 offset:128
	s_and_saveexec_b32 s1, s0
	s_cbranch_execz .LBB71_12
; %bb.11:
	s_lshl_b64 s[2:3], s[14:15], 2
	s_delay_alu instid0(SALU_CYCLE_1)
	s_add_u32 s2, s10, s2
	s_addc_u32 s3, s11, s3
	s_waitcnt lgkmcnt(0)
	global_store_b32 v21, v22, s[2:3]
.LBB71_12:
	s_or_b32 exec_lo, exec_lo, s1
	s_waitcnt lgkmcnt(0)
	v_cmp_ne_u32_e32 vcc_lo, 0, v22
	s_cbranch_vccz .LBB71_17
; %bb.13:
	s_mov_b32 s0, 0
                                        ; implicit-def: $vgpr2_vgpr3_vgpr4_vgpr5_vgpr6_vgpr7_vgpr8_vgpr9_vgpr10_vgpr11_vgpr12_vgpr13_vgpr14_vgpr15_vgpr16_vgpr17
.LBB71_14:
	s_delay_alu instid0(SALU_CYCLE_1)
	s_and_b32 vcc_lo, exec_lo, s0
	s_cbranch_vccz .LBB71_16
.LBB71_15:
	s_lshl_b64 s[0:1], s[14:15], 2
	v_mov_b32_e32 v1, 0
	s_add_u32 s0, s10, s0
	s_addc_u32 s1, s11, s1
	global_load_b32 v1, v1, s[0:1]
	s_waitcnt vmcnt(0)
	v_cmp_ne_u32_e32 vcc_lo, 0, v1
	s_cbranch_vccz .LBB71_44
.LBB71_16:
	s_nop 0
	s_sendmsg sendmsg(MSG_DEALLOC_VGPRS)
	s_endpgm
.LBB71_17:
	v_div_scale_f64 v[21:22], null, v[18:19], v[18:19], 1.0
	v_div_scale_f64 v[27:28], vcc_lo, 1.0, v[18:19], 1.0
	v_cmp_eq_u32_e64 s1, 5, v0
	v_cmp_eq_u32_e64 s2, 4, v0
	;; [unrolled: 1-line block ×6, first 2 shown]
	v_rcp_f64_e32 v[23:24], v[21:22]
	s_waitcnt_depctr 0xfff
	v_fma_f64 v[25:26], -v[21:22], v[23:24], 1.0
	s_delay_alu instid0(VALU_DEP_1) | instskip(NEXT) | instid1(VALU_DEP_1)
	v_fma_f64 v[23:24], v[23:24], v[25:26], v[23:24]
	v_fma_f64 v[25:26], -v[21:22], v[23:24], 1.0
	s_delay_alu instid0(VALU_DEP_1) | instskip(NEXT) | instid1(VALU_DEP_1)
	v_fma_f64 v[23:24], v[23:24], v[25:26], v[23:24]
	v_mul_f64 v[25:26], v[27:28], v[23:24]
	s_delay_alu instid0(VALU_DEP_1) | instskip(NEXT) | instid1(VALU_DEP_1)
	v_fma_f64 v[21:22], -v[21:22], v[25:26], v[27:28]
	v_div_fmas_f64 v[21:22], v[21:22], v[23:24], v[25:26]
	v_cmp_eq_u32_e32 vcc_lo, 6, v0
	s_delay_alu instid0(VALU_DEP_2) | instskip(NEXT) | instid1(VALU_DEP_1)
	v_div_fixup_f64 v[18:19], v[21:22], v[18:19], 1.0
	v_dual_cndmask_b32 v15, v15, v19 :: v_dual_add_nc_u32 v22, 64, v20
	s_delay_alu instid0(VALU_DEP_2)
	v_cndmask_b32_e32 v14, v14, v18, vcc_lo
	v_cmp_eq_u32_e32 vcc_lo, 2, v0
	v_cndmask_b32_e64 v17, v17, v19, s3
	v_cndmask_b32_e64 v16, v16, v18, s3
	;; [unrolled: 1-line block ×4, first 2 shown]
	v_cndmask_b32_e32 v7, v7, v19, vcc_lo
	v_cndmask_b32_e64 v11, v11, v19, s2
	v_cndmask_b32_e64 v10, v10, v18, s2
	;; [unrolled: 1-line block ×6, first 2 shown]
	v_xor_b32_e32 v24, 0x80000000, v19
	v_mov_b32_e32 v23, v18
	v_cndmask_b32_e32 v6, v6, v18, vcc_lo
	v_cndmask_b32_e64 v3, v3, v19, s6
	v_cndmask_b32_e64 v2, v2, v18, s6
	ds_store_2addr_b64 v20, v[23:24], v[4:5] offset1:8
	s_waitcnt lgkmcnt(0)
	s_waitcnt_vscnt null, 0x0
	s_barrier
	buffer_gl0_inv
	s_and_saveexec_b32 s1, s0
	s_cbranch_execz .LBB71_19
; %bb.18:
	ds_load_b64 v[4:5], v22
	v_mov_b32_e32 v20, 0
	ds_load_b64 v[20:21], v20 offset:8
	s_waitcnt lgkmcnt(1)
	v_fma_f64 v[4:5], v[18:19], v[4:5], 0
	s_waitcnt lgkmcnt(0)
	s_delay_alu instid0(VALU_DEP_1)
	v_mul_f64 v[4:5], v[4:5], v[20:21]
.LBB71_19:
	s_or_b32 exec_lo, exec_lo, s1
	s_delay_alu instid0(SALU_CYCLE_1)
	s_mov_b32 s1, exec_lo
	s_barrier
	buffer_gl0_inv
	ds_store_b64 v22, v[6:7]
	s_waitcnt lgkmcnt(0)
	s_barrier
	buffer_gl0_inv
	v_cmpx_gt_u32_e32 2, v0
	s_cbranch_execz .LBB71_23
; %bb.20:
	v_cmp_eq_u32_e32 vcc_lo, 1, v0
	v_dual_cndmask_b32 v18, v3, v5 :: v_dual_cndmask_b32 v19, v2, v4
	v_cmp_eq_u32_e32 vcc_lo, 2, v0
	s_delay_alu instid0(VALU_DEP_2) | instskip(SKIP_1) | instid1(VALU_DEP_2)
	v_dual_cndmask_b32 v7, v18, v7 :: v_dual_cndmask_b32 v6, v19, v6
	v_cmp_eq_u32_e32 vcc_lo, 3, v0
	v_dual_cndmask_b32 v7, v7, v9 :: v_dual_cndmask_b32 v6, v6, v8
	v_cmp_eq_u32_e32 vcc_lo, 4, v0
	s_delay_alu instid0(VALU_DEP_2) | instskip(SKIP_4) | instid1(VALU_DEP_2)
	v_dual_cndmask_b32 v18, v7, v11 :: v_dual_cndmask_b32 v19, v6, v10
	v_cmp_eq_u32_e32 vcc_lo, 5, v0
	ds_load_b64 v[6:7], v22
	v_dual_cndmask_b32 v18, v18, v13 :: v_dual_cndmask_b32 v19, v19, v12
	v_cmp_eq_u32_e32 vcc_lo, 6, v0
	v_cndmask_b32_e32 v18, v18, v15, vcc_lo
	s_delay_alu instid0(VALU_DEP_3) | instskip(SKIP_1) | instid1(VALU_DEP_2)
	v_cndmask_b32_e32 v20, v19, v14, vcc_lo
	v_cmp_eq_u32_e32 vcc_lo, 7, v0
	v_dual_cndmask_b32 v19, v18, v17 :: v_dual_cndmask_b32 v18, v20, v16
	s_waitcnt lgkmcnt(0)
	s_delay_alu instid0(VALU_DEP_1)
	v_fma_f64 v[6:7], v[18:19], v[6:7], 0
	s_and_saveexec_b32 s2, s0
	s_cbranch_execz .LBB71_22
; %bb.21:
	v_mov_b32_e32 v18, 0
	ds_load_b64 v[18:19], v18 offset:72
	s_waitcnt lgkmcnt(0)
	v_fma_f64 v[6:7], v[4:5], v[18:19], v[6:7]
.LBB71_22:
	s_or_b32 exec_lo, exec_lo, s2
	v_mov_b32_e32 v18, 0
	ds_load_b64 v[18:19], v18 offset:16
	s_waitcnt lgkmcnt(0)
	v_mul_f64 v[6:7], v[6:7], v[18:19]
.LBB71_23:
	s_or_b32 exec_lo, exec_lo, s1
	s_delay_alu instid0(SALU_CYCLE_1)
	s_mov_b32 s1, exec_lo
	s_barrier
	buffer_gl0_inv
	ds_store_b64 v22, v[8:9]
	s_waitcnt lgkmcnt(0)
	s_barrier
	buffer_gl0_inv
	v_cmpx_gt_u32_e32 3, v0
	s_cbranch_execz .LBB71_27
; %bb.24:
	v_dual_mov_b32 v18, 0 :: v_dual_mov_b32 v21, v1
	v_lshl_add_u32 v23, v0, 3, 64
	v_dual_mov_b32 v19, 0 :: v_dual_mov_b32 v20, v0
	s_mov_b32 s2, 0
	s_set_inst_prefetch_distance 0x1
	.p2align	6
.LBB71_25:                              ; =>This Inner Loop Header: Depth=1
	s_delay_alu instid0(VALU_DEP_1) | instskip(SKIP_3) | instid1(VALU_DEP_2)
	v_cmp_eq_u32_e32 vcc_lo, 1, v20
	v_cmp_eq_u32_e64 s0, 2, v20
	v_dual_cndmask_b32 v24, v3, v5 :: v_dual_cndmask_b32 v25, v2, v4
	v_cmp_eq_u32_e32 vcc_lo, 3, v20
	v_cndmask_b32_e64 v24, v24, v7, s0
	s_delay_alu instid0(VALU_DEP_3) | instskip(SKIP_1) | instid1(VALU_DEP_2)
	v_cndmask_b32_e64 v25, v25, v6, s0
	v_cmp_eq_u32_e64 s0, 4, v20
	v_dual_cndmask_b32 v26, v24, v9 :: v_dual_cndmask_b32 v27, v25, v8
	ds_load_b64 v[24:25], v23
	v_cmp_eq_u32_e32 vcc_lo, 5, v20
	v_add_nc_u32_e32 v23, 8, v23
	v_cndmask_b32_e64 v26, v26, v11, s0
	v_cndmask_b32_e64 v27, v27, v10, s0
	v_cmp_eq_u32_e64 s0, 6, v20
	s_delay_alu instid0(VALU_DEP_2) | instskip(SKIP_1) | instid1(VALU_DEP_2)
	v_dual_cndmask_b32 v26, v26, v13 :: v_dual_cndmask_b32 v27, v27, v12
	v_cmp_eq_u32_e32 vcc_lo, 7, v20
	v_cndmask_b32_e64 v26, v26, v15, s0
	s_delay_alu instid0(VALU_DEP_3) | instskip(NEXT) | instid1(VALU_DEP_1)
	v_cndmask_b32_e64 v28, v27, v14, s0
	v_dual_cndmask_b32 v27, v26, v17 :: v_dual_cndmask_b32 v26, v28, v16
	v_add_co_u32 v20, vcc_lo, v20, 1
	v_add_co_ci_u32_e32 v21, vcc_lo, 0, v21, vcc_lo
	s_waitcnt lgkmcnt(0)
	s_delay_alu instid0(VALU_DEP_3) | instskip(NEXT) | instid1(VALU_DEP_3)
	v_fma_f64 v[18:19], v[26:27], v[24:25], v[18:19]
	v_add_nc_u32_e32 v24, -1, v20
	s_delay_alu instid0(VALU_DEP_1) | instskip(SKIP_1) | instid1(SALU_CYCLE_1)
	v_cmp_lt_u32_e32 vcc_lo, 1, v24
	s_or_b32 s2, vcc_lo, s2
	s_and_not1_b32 exec_lo, exec_lo, s2
	s_cbranch_execnz .LBB71_25
; %bb.26:
	s_set_inst_prefetch_distance 0x2
	s_or_b32 exec_lo, exec_lo, s2
	v_mov_b32_e32 v8, 0
	ds_load_b64 v[8:9], v8 offset:24
	s_waitcnt lgkmcnt(0)
	v_mul_f64 v[8:9], v[18:19], v[8:9]
.LBB71_27:
	s_or_b32 exec_lo, exec_lo, s1
	s_delay_alu instid0(SALU_CYCLE_1)
	s_mov_b32 s1, exec_lo
	s_barrier
	buffer_gl0_inv
	ds_store_b64 v22, v[10:11]
	s_waitcnt lgkmcnt(0)
	s_barrier
	buffer_gl0_inv
	v_cmpx_gt_u32_e32 4, v0
	s_cbranch_execz .LBB71_31
; %bb.28:
	v_dual_mov_b32 v18, 0 :: v_dual_mov_b32 v21, v1
	v_lshl_add_u32 v23, v0, 3, 64
	v_dual_mov_b32 v19, 0 :: v_dual_mov_b32 v20, v0
	s_mov_b32 s2, 0
	s_set_inst_prefetch_distance 0x1
	.p2align	6
.LBB71_29:                              ; =>This Inner Loop Header: Depth=1
	s_delay_alu instid0(VALU_DEP_1) | instskip(SKIP_3) | instid1(VALU_DEP_2)
	v_cmp_eq_u32_e32 vcc_lo, 1, v20
	v_cmp_eq_u32_e64 s0, 2, v20
	v_dual_cndmask_b32 v24, v3, v5 :: v_dual_cndmask_b32 v25, v2, v4
	v_cmp_eq_u32_e32 vcc_lo, 3, v20
	v_cndmask_b32_e64 v24, v24, v7, s0
	s_delay_alu instid0(VALU_DEP_3) | instskip(SKIP_1) | instid1(VALU_DEP_2)
	v_cndmask_b32_e64 v25, v25, v6, s0
	v_cmp_eq_u32_e64 s0, 4, v20
	v_dual_cndmask_b32 v26, v24, v9 :: v_dual_cndmask_b32 v27, v25, v8
	ds_load_b64 v[24:25], v23
	v_cmp_eq_u32_e32 vcc_lo, 5, v20
	v_add_nc_u32_e32 v23, 8, v23
	v_cndmask_b32_e64 v26, v26, v11, s0
	v_cndmask_b32_e64 v27, v27, v10, s0
	v_cmp_eq_u32_e64 s0, 6, v20
	s_delay_alu instid0(VALU_DEP_2) | instskip(SKIP_1) | instid1(VALU_DEP_2)
	v_dual_cndmask_b32 v26, v26, v13 :: v_dual_cndmask_b32 v27, v27, v12
	v_cmp_eq_u32_e32 vcc_lo, 7, v20
	v_cndmask_b32_e64 v26, v26, v15, s0
	s_delay_alu instid0(VALU_DEP_3) | instskip(NEXT) | instid1(VALU_DEP_1)
	v_cndmask_b32_e64 v28, v27, v14, s0
	v_dual_cndmask_b32 v27, v26, v17 :: v_dual_cndmask_b32 v26, v28, v16
	v_add_co_u32 v20, vcc_lo, v20, 1
	v_add_co_ci_u32_e32 v21, vcc_lo, 0, v21, vcc_lo
	s_waitcnt lgkmcnt(0)
	s_delay_alu instid0(VALU_DEP_3) | instskip(NEXT) | instid1(VALU_DEP_3)
	v_fma_f64 v[18:19], v[26:27], v[24:25], v[18:19]
	v_add_nc_u32_e32 v24, -1, v20
	s_delay_alu instid0(VALU_DEP_1) | instskip(SKIP_1) | instid1(SALU_CYCLE_1)
	v_cmp_lt_u32_e32 vcc_lo, 2, v24
	s_or_b32 s2, vcc_lo, s2
	s_and_not1_b32 exec_lo, exec_lo, s2
	s_cbranch_execnz .LBB71_29
; %bb.30:
	s_set_inst_prefetch_distance 0x2
	s_or_b32 exec_lo, exec_lo, s2
	v_mov_b32_e32 v10, 0
	ds_load_b64 v[10:11], v10 offset:32
	s_waitcnt lgkmcnt(0)
	v_mul_f64 v[10:11], v[18:19], v[10:11]
.LBB71_31:
	s_or_b32 exec_lo, exec_lo, s1
	s_delay_alu instid0(SALU_CYCLE_1)
	s_mov_b32 s1, exec_lo
	s_barrier
	buffer_gl0_inv
	ds_store_b64 v22, v[12:13]
	s_waitcnt lgkmcnt(0)
	s_barrier
	buffer_gl0_inv
	v_cmpx_gt_u32_e32 5, v0
	s_cbranch_execz .LBB71_35
; %bb.32:
	v_dual_mov_b32 v18, 0 :: v_dual_mov_b32 v21, v1
	v_lshl_add_u32 v23, v0, 3, 64
	v_dual_mov_b32 v19, 0 :: v_dual_mov_b32 v20, v0
	s_mov_b32 s2, 0
	s_set_inst_prefetch_distance 0x1
	.p2align	6
.LBB71_33:                              ; =>This Inner Loop Header: Depth=1
	s_delay_alu instid0(VALU_DEP_1) | instskip(SKIP_3) | instid1(VALU_DEP_2)
	v_cmp_eq_u32_e32 vcc_lo, 1, v20
	v_cmp_eq_u32_e64 s0, 2, v20
	v_dual_cndmask_b32 v24, v3, v5 :: v_dual_cndmask_b32 v25, v2, v4
	v_cmp_eq_u32_e32 vcc_lo, 3, v20
	v_cndmask_b32_e64 v24, v24, v7, s0
	s_delay_alu instid0(VALU_DEP_3) | instskip(SKIP_1) | instid1(VALU_DEP_2)
	v_cndmask_b32_e64 v25, v25, v6, s0
	v_cmp_eq_u32_e64 s0, 4, v20
	v_dual_cndmask_b32 v26, v24, v9 :: v_dual_cndmask_b32 v27, v25, v8
	ds_load_b64 v[24:25], v23
	v_cmp_eq_u32_e32 vcc_lo, 5, v20
	v_add_nc_u32_e32 v23, 8, v23
	v_cndmask_b32_e64 v26, v26, v11, s0
	v_cndmask_b32_e64 v27, v27, v10, s0
	v_cmp_eq_u32_e64 s0, 6, v20
	s_delay_alu instid0(VALU_DEP_2) | instskip(SKIP_1) | instid1(VALU_DEP_2)
	v_dual_cndmask_b32 v26, v26, v13 :: v_dual_cndmask_b32 v27, v27, v12
	v_cmp_eq_u32_e32 vcc_lo, 7, v20
	v_cndmask_b32_e64 v26, v26, v15, s0
	s_delay_alu instid0(VALU_DEP_3) | instskip(NEXT) | instid1(VALU_DEP_1)
	v_cndmask_b32_e64 v28, v27, v14, s0
	v_dual_cndmask_b32 v27, v26, v17 :: v_dual_cndmask_b32 v26, v28, v16
	v_add_co_u32 v20, vcc_lo, v20, 1
	v_add_co_ci_u32_e32 v21, vcc_lo, 0, v21, vcc_lo
	s_waitcnt lgkmcnt(0)
	s_delay_alu instid0(VALU_DEP_3) | instskip(NEXT) | instid1(VALU_DEP_3)
	v_fma_f64 v[18:19], v[26:27], v[24:25], v[18:19]
	v_add_nc_u32_e32 v24, -1, v20
	s_delay_alu instid0(VALU_DEP_1) | instskip(SKIP_1) | instid1(SALU_CYCLE_1)
	v_cmp_lt_u32_e32 vcc_lo, 3, v24
	s_or_b32 s2, vcc_lo, s2
	s_and_not1_b32 exec_lo, exec_lo, s2
	s_cbranch_execnz .LBB71_33
; %bb.34:
	s_set_inst_prefetch_distance 0x2
	s_or_b32 exec_lo, exec_lo, s2
	v_mov_b32_e32 v12, 0
	ds_load_b64 v[12:13], v12 offset:40
	s_waitcnt lgkmcnt(0)
	v_mul_f64 v[12:13], v[18:19], v[12:13]
.LBB71_35:
	s_or_b32 exec_lo, exec_lo, s1
	s_delay_alu instid0(SALU_CYCLE_1)
	s_mov_b32 s1, exec_lo
	s_barrier
	buffer_gl0_inv
	ds_store_b64 v22, v[14:15]
	s_waitcnt lgkmcnt(0)
	s_barrier
	buffer_gl0_inv
	v_cmpx_gt_u32_e32 6, v0
	s_cbranch_execz .LBB71_39
; %bb.36:
	v_dual_mov_b32 v18, 0 :: v_dual_mov_b32 v21, v1
	v_lshl_add_u32 v23, v0, 3, 64
	v_dual_mov_b32 v19, 0 :: v_dual_mov_b32 v20, v0
	s_mov_b32 s2, 0
	s_set_inst_prefetch_distance 0x1
	.p2align	6
.LBB71_37:                              ; =>This Inner Loop Header: Depth=1
	s_delay_alu instid0(VALU_DEP_1) | instskip(SKIP_3) | instid1(VALU_DEP_2)
	v_cmp_eq_u32_e32 vcc_lo, 1, v20
	v_cmp_eq_u32_e64 s0, 2, v20
	v_dual_cndmask_b32 v24, v3, v5 :: v_dual_cndmask_b32 v25, v2, v4
	v_cmp_eq_u32_e32 vcc_lo, 3, v20
	v_cndmask_b32_e64 v24, v24, v7, s0
	s_delay_alu instid0(VALU_DEP_3) | instskip(SKIP_1) | instid1(VALU_DEP_2)
	v_cndmask_b32_e64 v25, v25, v6, s0
	v_cmp_eq_u32_e64 s0, 4, v20
	v_dual_cndmask_b32 v26, v24, v9 :: v_dual_cndmask_b32 v27, v25, v8
	ds_load_b64 v[24:25], v23
	v_cmp_eq_u32_e32 vcc_lo, 5, v20
	v_add_nc_u32_e32 v23, 8, v23
	v_cndmask_b32_e64 v26, v26, v11, s0
	v_cndmask_b32_e64 v27, v27, v10, s0
	v_cmp_eq_u32_e64 s0, 6, v20
	s_delay_alu instid0(VALU_DEP_2) | instskip(SKIP_1) | instid1(VALU_DEP_2)
	v_dual_cndmask_b32 v26, v26, v13 :: v_dual_cndmask_b32 v27, v27, v12
	v_cmp_eq_u32_e32 vcc_lo, 7, v20
	v_cndmask_b32_e64 v26, v26, v15, s0
	s_delay_alu instid0(VALU_DEP_3) | instskip(NEXT) | instid1(VALU_DEP_1)
	v_cndmask_b32_e64 v28, v27, v14, s0
	v_dual_cndmask_b32 v27, v26, v17 :: v_dual_cndmask_b32 v26, v28, v16
	v_add_co_u32 v20, vcc_lo, v20, 1
	v_add_co_ci_u32_e32 v21, vcc_lo, 0, v21, vcc_lo
	s_waitcnt lgkmcnt(0)
	s_delay_alu instid0(VALU_DEP_3) | instskip(NEXT) | instid1(VALU_DEP_3)
	v_fma_f64 v[18:19], v[26:27], v[24:25], v[18:19]
	v_add_nc_u32_e32 v24, -1, v20
	s_delay_alu instid0(VALU_DEP_1) | instskip(SKIP_1) | instid1(SALU_CYCLE_1)
	v_cmp_lt_u32_e32 vcc_lo, 4, v24
	s_or_b32 s2, vcc_lo, s2
	s_and_not1_b32 exec_lo, exec_lo, s2
	s_cbranch_execnz .LBB71_37
; %bb.38:
	s_set_inst_prefetch_distance 0x2
	s_or_b32 exec_lo, exec_lo, s2
	v_mov_b32_e32 v14, 0
	ds_load_b64 v[14:15], v14 offset:48
	s_waitcnt lgkmcnt(0)
	v_mul_f64 v[14:15], v[18:19], v[14:15]
.LBB71_39:
	s_or_b32 exec_lo, exec_lo, s1
	s_delay_alu instid0(SALU_CYCLE_1)
	s_mov_b32 s1, exec_lo
	s_barrier
	buffer_gl0_inv
	ds_store_b64 v22, v[16:17]
	s_waitcnt lgkmcnt(0)
	s_barrier
	buffer_gl0_inv
	v_cmpx_ne_u32_e32 7, v0
	s_cbranch_execz .LBB71_43
; %bb.40:
	v_dual_mov_b32 v18, 0 :: v_dual_mov_b32 v21, v1
	v_lshl_add_u32 v22, v0, 3, 64
	v_dual_mov_b32 v19, 0 :: v_dual_mov_b32 v20, v0
	s_mov_b32 s2, 0
	s_set_inst_prefetch_distance 0x1
	.p2align	6
.LBB71_41:                              ; =>This Inner Loop Header: Depth=1
	s_delay_alu instid0(VALU_DEP_1) | instskip(SKIP_4) | instid1(VALU_DEP_3)
	v_cmp_eq_u32_e32 vcc_lo, 1, v20
	v_cmp_eq_u32_e64 s0, 2, v20
	v_cndmask_b32_e32 v23, v2, v4, vcc_lo
	v_cndmask_b32_e32 v1, v3, v5, vcc_lo
	v_cmp_eq_u32_e32 vcc_lo, 3, v20
	v_cndmask_b32_e64 v23, v23, v6, s0
	s_delay_alu instid0(VALU_DEP_1) | instskip(SKIP_4) | instid1(VALU_DEP_2)
	v_cndmask_b32_e32 v25, v23, v8, vcc_lo
	ds_load_b64 v[23:24], v22
	v_add_nc_u32_e32 v22, 8, v22
	v_cndmask_b32_e64 v1, v1, v7, s0
	v_cmp_eq_u32_e64 s0, 4, v20
	v_cndmask_b32_e32 v1, v1, v9, vcc_lo
	v_cmp_eq_u32_e32 vcc_lo, 5, v20
	s_delay_alu instid0(VALU_DEP_3) | instskip(NEXT) | instid1(VALU_DEP_3)
	v_cndmask_b32_e64 v25, v25, v10, s0
	v_cndmask_b32_e64 v1, v1, v11, s0
	v_cmp_eq_u32_e64 s0, 6, v20
	s_delay_alu instid0(VALU_DEP_3) | instskip(NEXT) | instid1(VALU_DEP_3)
	v_cndmask_b32_e32 v25, v25, v12, vcc_lo
	v_cndmask_b32_e32 v1, v1, v13, vcc_lo
	v_cmp_eq_u32_e32 vcc_lo, 7, v20
	s_delay_alu instid0(VALU_DEP_3) | instskip(NEXT) | instid1(VALU_DEP_3)
	v_cndmask_b32_e64 v25, v25, v14, s0
	v_cndmask_b32_e64 v1, v1, v15, s0
	s_delay_alu instid0(VALU_DEP_2) | instskip(NEXT) | instid1(VALU_DEP_2)
	v_cndmask_b32_e32 v25, v25, v16, vcc_lo
	v_cndmask_b32_e32 v26, v1, v17, vcc_lo
	v_add_co_u32 v20, vcc_lo, v20, 1
	v_add_co_ci_u32_e32 v21, vcc_lo, 0, v21, vcc_lo
	s_waitcnt lgkmcnt(0)
	s_delay_alu instid0(VALU_DEP_3) | instskip(NEXT) | instid1(VALU_DEP_3)
	v_fma_f64 v[18:19], v[25:26], v[23:24], v[18:19]
	v_add_nc_u32_e32 v1, -1, v20
	s_delay_alu instid0(VALU_DEP_1) | instskip(SKIP_1) | instid1(SALU_CYCLE_1)
	v_cmp_lt_u32_e32 vcc_lo, 5, v1
	s_or_b32 s2, vcc_lo, s2
	s_and_not1_b32 exec_lo, exec_lo, s2
	s_cbranch_execnz .LBB71_41
; %bb.42:
	s_set_inst_prefetch_distance 0x2
	s_or_b32 exec_lo, exec_lo, s2
	v_mov_b32_e32 v1, 0
	ds_load_b64 v[16:17], v1 offset:56
	s_waitcnt lgkmcnt(0)
	v_mul_f64 v[16:17], v[18:19], v[16:17]
.LBB71_43:
	s_or_b32 exec_lo, exec_lo, s1
	s_barrier
	buffer_gl0_inv
	s_cbranch_execnz .LBB71_15
	s_branch .LBB71_16
.LBB71_44:
	v_lshl_add_u32 v1, v0, 3, 64
	s_mov_b32 s0, exec_lo
	v_cmpx_eq_u32_e32 7, v0
	s_cbranch_execz .LBB71_46
; %bb.45:
	s_mov_b32 s1, 0
	v_mov_b32_e32 v31, v17
	v_mov_b32_e32 v28, v14
	v_dual_mov_b32 v28, s1 :: v_dual_mov_b32 v27, v13
	v_dual_mov_b32 v30, v16 :: v_dual_mov_b32 v29, v15
	;; [unrolled: 1-line block ×8, first 2 shown]
	ds_store_b64 v1, v[14:15]
	v_mov_b32_e32 v2, v16
	v_dual_mov_b32 v3, v17 :: v_dual_mov_b32 v4, v18
	v_dual_mov_b32 v5, v19 :: v_dual_mov_b32 v6, v20
	;; [unrolled: 1-line block ×7, first 2 shown]
	v_mov_b32_e32 v17, v31
.LBB71_46:
	s_or_b32 exec_lo, exec_lo, s0
	v_mov_b32_e32 v30, 0
	s_waitcnt lgkmcnt(0)
	s_waitcnt_vscnt null, 0x0
	s_barrier
	buffer_gl0_inv
	s_mov_b32 s0, exec_lo
	ds_load_b64 v[18:19], v30 offset:120
	s_waitcnt lgkmcnt(0)
	v_fma_f64 v[18:19], v[16:17], v[18:19], 0
	s_delay_alu instid0(VALU_DEP_1)
	v_add_f64 v[14:15], v[14:15], -v[18:19]
	v_cmpx_lt_u32_e32 5, v0
	s_cbranch_execz .LBB71_48
; %bb.47:
	s_mov_b32 s1, 0
	v_mov_b32_e32 v29, v17
	v_mov_b32_e32 v24, v12
	v_dual_mov_b32 v24, s1 :: v_dual_mov_b32 v23, v11
	v_dual_mov_b32 v26, v14 :: v_dual_mov_b32 v25, v13
	;; [unrolled: 1-line block ×7, first 2 shown]
	v_mov_b32_e32 v15, v3
	v_mov_b32_e32 v14, v2
	ds_store_b64 v1, v[12:13]
	v_mov_b32_e32 v2, v14
	v_dual_mov_b32 v3, v15 :: v_dual_mov_b32 v4, v16
	v_dual_mov_b32 v5, v17 :: v_dual_mov_b32 v6, v18
	;; [unrolled: 1-line block ×6, first 2 shown]
	v_mov_b32_e32 v15, v27
	v_mov_b32_e32 v16, v28
	v_mov_b32_e32 v17, v29
.LBB71_48:
	s_or_b32 exec_lo, exec_lo, s0
	s_waitcnt lgkmcnt(0)
	s_barrier
	buffer_gl0_inv
	ds_load_b128 v[18:21], v30 offset:112
	s_mov_b32 s0, exec_lo
	s_waitcnt lgkmcnt(0)
	v_fma_f64 v[18:19], v[14:15], v[18:19], 0
	s_delay_alu instid0(VALU_DEP_1) | instskip(NEXT) | instid1(VALU_DEP_1)
	v_fma_f64 v[18:19], v[16:17], v[20:21], v[18:19]
	v_add_f64 v[12:13], v[12:13], -v[18:19]
	v_cmpx_lt_u32_e32 4, v0
	s_cbranch_execz .LBB71_50
; %bb.49:
	s_mov_b32 s1, 0
	v_mov_b32_e32 v27, v17
	v_mov_b32_e32 v20, v10
	v_dual_mov_b32 v20, s1 :: v_dual_mov_b32 v19, v9
	v_dual_mov_b32 v22, v12 :: v_dual_mov_b32 v21, v11
	;; [unrolled: 1-line block ×6, first 2 shown]
	v_mov_b32_e32 v15, v5
	v_mov_b32_e32 v14, v4
	;; [unrolled: 1-line block ×4, first 2 shown]
	ds_store_b64 v1, v[10:11]
	v_mov_b32_e32 v2, v12
	v_dual_mov_b32 v3, v13 :: v_dual_mov_b32 v4, v14
	v_dual_mov_b32 v5, v15 :: v_dual_mov_b32 v6, v16
	v_dual_mov_b32 v7, v17 :: v_dual_mov_b32 v8, v18
	v_dual_mov_b32 v9, v19 :: v_dual_mov_b32 v10, v20
	v_dual_mov_b32 v11, v21 :: v_dual_mov_b32 v12, v22
	v_mov_b32_e32 v13, v23
	v_mov_b32_e32 v14, v24
	v_mov_b32_e32 v15, v25
	v_mov_b32_e32 v16, v26
	v_mov_b32_e32 v17, v27
.LBB71_50:
	s_or_b32 exec_lo, exec_lo, s0
	v_mov_b32_e32 v26, 0
	s_waitcnt lgkmcnt(0)
	s_barrier
	buffer_gl0_inv
	s_mov_b32 s0, exec_lo
	ds_load_2addr_b64 v[18:21], v26 offset0:13 offset1:14
	ds_load_b64 v[22:23], v26 offset:120
	s_waitcnt lgkmcnt(1)
	v_fma_f64 v[18:19], v[12:13], v[18:19], 0
	s_delay_alu instid0(VALU_DEP_1) | instskip(SKIP_1) | instid1(VALU_DEP_1)
	v_fma_f64 v[18:19], v[14:15], v[20:21], v[18:19]
	s_waitcnt lgkmcnt(0)
	v_fma_f64 v[18:19], v[16:17], v[22:23], v[18:19]
	s_delay_alu instid0(VALU_DEP_1)
	v_add_f64 v[10:11], v[10:11], -v[18:19]
	v_cmpx_lt_u32_e32 3, v0
	s_cbranch_execz .LBB71_52
; %bb.51:
	s_mov_b32 s1, 0
	v_mov_b32_e32 v25, v17
	v_dual_mov_b32 v24, v16 :: v_dual_mov_b32 v23, v15
	v_dual_mov_b32 v22, v14 :: v_dual_mov_b32 v21, v13
	;; [unrolled: 1-line block ×4, first 2 shown]
	v_mov_b32_e32 v16, v8
	v_mov_b32_e32 v15, v7
	;; [unrolled: 1-line block ×6, first 2 shown]
	v_dual_mov_b32 v10, v2 :: v_dual_mov_b32 v17, s1
	v_mov_b32_e32 v16, s1
	ds_store_b64 v1, v[8:9]
	v_mov_b32_e32 v2, v10
	v_dual_mov_b32 v3, v11 :: v_dual_mov_b32 v4, v12
	v_dual_mov_b32 v5, v13 :: v_dual_mov_b32 v6, v14
	;; [unrolled: 1-line block ×4, first 2 shown]
	v_mov_b32_e32 v11, v19
	v_mov_b32_e32 v12, v20
	;; [unrolled: 1-line block ×7, first 2 shown]
.LBB71_52:
	s_or_b32 exec_lo, exec_lo, s0
	s_waitcnt lgkmcnt(0)
	s_barrier
	buffer_gl0_inv
	ds_load_b128 v[18:21], v26 offset:96
	ds_load_b128 v[22:25], v26 offset:112
	s_mov_b32 s0, exec_lo
	s_waitcnt lgkmcnt(1)
	v_fma_f64 v[18:19], v[10:11], v[18:19], 0
	s_delay_alu instid0(VALU_DEP_1) | instskip(SKIP_1) | instid1(VALU_DEP_1)
	v_fma_f64 v[18:19], v[12:13], v[20:21], v[18:19]
	s_waitcnt lgkmcnt(0)
	v_fma_f64 v[18:19], v[14:15], v[22:23], v[18:19]
	s_delay_alu instid0(VALU_DEP_1) | instskip(NEXT) | instid1(VALU_DEP_1)
	v_fma_f64 v[18:19], v[16:17], v[24:25], v[18:19]
	v_add_f64 v[8:9], v[8:9], -v[18:19]
	v_cmpx_lt_u32_e32 2, v0
	s_cbranch_execz .LBB71_54
; %bb.53:
	s_mov_b32 s1, 0
	v_mov_b32_e32 v23, v17
	v_dual_mov_b32 v22, v16 :: v_dual_mov_b32 v21, v15
	v_dual_mov_b32 v20, v14 :: v_dual_mov_b32 v19, v13
	;; [unrolled: 1-line block ×3, first 2 shown]
	v_mov_b32_e32 v16, v10
	v_mov_b32_e32 v15, v9
	;; [unrolled: 1-line block ×8, first 2 shown]
	v_dual_mov_b32 v8, v2 :: v_dual_mov_b32 v13, s1
	v_mov_b32_e32 v12, s1
	ds_store_b64 v1, v[6:7]
	v_mov_b32_e32 v2, v8
	v_dual_mov_b32 v3, v9 :: v_dual_mov_b32 v4, v10
	v_dual_mov_b32 v5, v11 :: v_dual_mov_b32 v6, v12
	;; [unrolled: 1-line block ×3, first 2 shown]
	v_mov_b32_e32 v9, v15
	v_mov_b32_e32 v10, v16
	;; [unrolled: 1-line block ×9, first 2 shown]
.LBB71_54:
	s_or_b32 exec_lo, exec_lo, s0
	v_mov_b32_e32 v22, 0
	s_waitcnt lgkmcnt(0)
	s_barrier
	buffer_gl0_inv
	s_mov_b32 s0, exec_lo
	ds_load_2addr_b64 v[18:21], v22 offset0:11 offset1:12
	ds_load_2addr_b64 v[23:26], v22 offset0:13 offset1:14
	s_waitcnt lgkmcnt(1)
	v_fma_f64 v[18:19], v[8:9], v[18:19], 0
	s_delay_alu instid0(VALU_DEP_1) | instskip(SKIP_3) | instid1(VALU_DEP_1)
	v_fma_f64 v[18:19], v[10:11], v[20:21], v[18:19]
	ds_load_b64 v[20:21], v22 offset:120
	s_waitcnt lgkmcnt(1)
	v_fma_f64 v[18:19], v[12:13], v[23:24], v[18:19]
	v_fma_f64 v[18:19], v[14:15], v[25:26], v[18:19]
	s_waitcnt lgkmcnt(0)
	s_delay_alu instid0(VALU_DEP_1) | instskip(NEXT) | instid1(VALU_DEP_1)
	v_fma_f64 v[18:19], v[16:17], v[20:21], v[18:19]
	v_add_f64 v[6:7], v[6:7], -v[18:19]
	v_cmpx_lt_u32_e32 1, v0
	s_cbranch_execz .LBB71_56
; %bb.55:
	s_mov_b32 s1, 0
	v_mov_b32_e32 v21, v17
	v_dual_mov_b32 v20, v16 :: v_dual_mov_b32 v19, v15
	v_dual_mov_b32 v18, v14 :: v_dual_mov_b32 v17, v13
	v_mov_b32_e32 v16, v12
	v_mov_b32_e32 v15, v11
	;; [unrolled: 1-line block ×10, first 2 shown]
	v_dual_mov_b32 v6, v2 :: v_dual_mov_b32 v9, s1
	v_mov_b32_e32 v8, s1
	ds_store_b64 v1, v[4:5]
	v_mov_b32_e32 v2, v6
	v_dual_mov_b32 v3, v7 :: v_dual_mov_b32 v4, v8
	v_dual_mov_b32 v5, v9 :: v_dual_mov_b32 v6, v10
	v_mov_b32_e32 v7, v11
	v_mov_b32_e32 v8, v12
	;; [unrolled: 1-line block ×11, first 2 shown]
.LBB71_56:
	s_or_b32 exec_lo, exec_lo, s0
	s_waitcnt lgkmcnt(0)
	s_barrier
	buffer_gl0_inv
	ds_load_b128 v[18:21], v22 offset:80
	ds_load_b128 v[23:26], v22 offset:96
	s_mov_b32 s1, 0
	s_mov_b32 s0, exec_lo
	s_waitcnt lgkmcnt(1)
	v_fma_f64 v[18:19], v[6:7], v[18:19], 0
	s_delay_alu instid0(VALU_DEP_1) | instskip(SKIP_1) | instid1(VALU_DEP_1)
	v_fma_f64 v[18:19], v[8:9], v[20:21], v[18:19]
	s_waitcnt lgkmcnt(0)
	v_fma_f64 v[18:19], v[10:11], v[23:24], v[18:19]
	s_delay_alu instid0(VALU_DEP_1) | instskip(SKIP_3) | instid1(VALU_DEP_1)
	v_fma_f64 v[23:24], v[12:13], v[25:26], v[18:19]
	ds_load_b128 v[18:21], v22 offset:112
	s_waitcnt lgkmcnt(0)
	v_fma_f64 v[18:19], v[14:15], v[18:19], v[23:24]
	v_fma_f64 v[18:19], v[16:17], v[20:21], v[18:19]
	s_delay_alu instid0(VALU_DEP_1)
	v_add_f64 v[4:5], v[4:5], -v[18:19]
	v_cmpx_ne_u32_e32 0, v0
	s_cbranch_execz .LBB71_58
; %bb.57:
	v_mov_b32_e32 v19, v17
	v_dual_mov_b32 v18, v16 :: v_dual_mov_b32 v17, v15
	v_mov_b32_e32 v16, v14
	v_mov_b32_e32 v15, v13
	;; [unrolled: 1-line block ×12, first 2 shown]
	v_dual_mov_b32 v4, v2 :: v_dual_mov_b32 v5, s1
	v_mov_b32_e32 v4, s1
	ds_store_b64 v1, v[2:3]
	v_mov_b32_e32 v2, v4
	v_dual_mov_b32 v3, v5 :: v_dual_mov_b32 v4, v6
	v_mov_b32_e32 v5, v7
	v_mov_b32_e32 v6, v8
	;; [unrolled: 1-line block ×13, first 2 shown]
.LBB71_58:
	s_or_b32 exec_lo, exec_lo, s0
	v_mov_b32_e32 v26, 0
	s_waitcnt lgkmcnt(0)
	s_barrier
	buffer_gl0_inv
	s_and_b32 vcc_lo, exec_lo, s7
	ds_load_2addr_b64 v[18:21], v26 offset0:9 offset1:10
	ds_load_2addr_b64 v[22:25], v26 offset0:11 offset1:12
	s_waitcnt lgkmcnt(1)
	v_fma_f64 v[0:1], v[4:5], v[18:19], 0
	s_delay_alu instid0(VALU_DEP_1) | instskip(SKIP_1) | instid1(VALU_DEP_1)
	v_fma_f64 v[0:1], v[6:7], v[20:21], v[0:1]
	s_waitcnt lgkmcnt(0)
	v_fma_f64 v[0:1], v[8:9], v[22:23], v[0:1]
	ds_load_2addr_b64 v[18:21], v26 offset0:13 offset1:14
	ds_load_b64 v[22:23], v26 offset:120
	v_fma_f64 v[0:1], v[10:11], v[24:25], v[0:1]
	s_waitcnt lgkmcnt(1)
	s_delay_alu instid0(VALU_DEP_1) | instskip(NEXT) | instid1(VALU_DEP_1)
	v_fma_f64 v[0:1], v[12:13], v[18:19], v[0:1]
	v_fma_f64 v[0:1], v[14:15], v[20:21], v[0:1]
	s_waitcnt lgkmcnt(0)
	s_delay_alu instid0(VALU_DEP_1) | instskip(NEXT) | instid1(VALU_DEP_1)
	v_fma_f64 v[0:1], v[16:17], v[22:23], v[0:1]
	v_add_f64 v[2:3], v[2:3], -v[0:1]
	s_cbranch_vccz .LBB71_74
; %bb.59:
	v_dual_mov_b32 v0, s12 :: v_dual_mov_b32 v1, s13
	s_mov_b32 s5, exec_lo
	flat_load_b32 v0, v[0:1] offset:24
	s_waitcnt vmcnt(0) lgkmcnt(0)
	v_add_nc_u32_e32 v0, -1, v0
	s_delay_alu instid0(VALU_DEP_1)
	v_cmpx_ne_u32_e32 6, v0
	s_cbranch_execz .LBB71_61
; %bb.60:
	v_cmp_eq_u32_e32 vcc_lo, 1, v0
	v_cmp_eq_u32_e64 s0, 2, v0
	v_cmp_eq_u32_e64 s1, 3, v0
	v_cmp_eq_u32_e64 s2, 4, v0
	v_cmp_eq_u32_e64 s3, 0, v0
	v_dual_cndmask_b32 v1, v2, v4 :: v_dual_cndmask_b32 v18, v3, v5
	v_cmp_eq_u32_e64 s4, 5, v0
	v_cndmask_b32_e64 v22, v7, v15, s0
	v_cndmask_b32_e64 v21, v6, v14, s0
	s_delay_alu instid0(VALU_DEP_4)
	v_cndmask_b32_e64 v1, v1, v6, s0
	v_cndmask_b32_e64 v18, v18, v7, s0
	v_cmp_eq_u32_e64 s0, 6, v0
	v_cndmask_b32_e32 v20, v5, v15, vcc_lo
	v_cndmask_b32_e64 v24, v9, v15, s1
	v_cndmask_b32_e64 v1, v1, v8, s1
	v_cndmask_b32_e64 v19, v18, v9, s1
	v_cndmask_b32_e64 v18, v3, v15, s3
	v_cndmask_b32_e64 v23, v8, v14, s1
	v_cndmask_b32_e64 v26, v11, v15, s2
	v_cndmask_b32_e64 v1, v1, v10, s2
	v_cndmask_b32_e64 v3, v19, v11, s2
	v_cndmask_b32_e32 v19, v4, v14, vcc_lo
	v_cmp_eq_u32_e32 vcc_lo, 7, v0
	v_cndmask_b32_e64 v25, v10, v14, s2
	v_cndmask_b32_e64 v1, v1, v12, s4
	v_cndmask_b32_e64 v3, v3, v13, s4
	v_cndmask_b32_e64 v28, v13, v15, s4
	v_dual_cndmask_b32 v32, v17, v15 :: v_dual_cndmask_b32 v31, v16, v14
	s_delay_alu instid0(VALU_DEP_4) | instskip(NEXT) | instid1(VALU_DEP_4)
	v_cndmask_b32_e64 v1, v1, v14, s0
	v_cndmask_b32_e64 v3, v3, v15, s0
	v_cndmask_b32_e64 v27, v12, v14, s4
	s_delay_alu instid0(VALU_DEP_2) | instskip(SKIP_1) | instid1(VALU_DEP_2)
	v_dual_cndmask_b32 v0, v1, v16 :: v_dual_cndmask_b32 v1, v3, v17
	v_cndmask_b32_e64 v17, v2, v14, s3
	v_cndmask_b32_e64 v29, v0, v14, s0
	s_delay_alu instid0(VALU_DEP_3) | instskip(NEXT) | instid1(VALU_DEP_3)
	v_cndmask_b32_e64 v30, v1, v15, s0
	v_mov_b32_e32 v2, v17
	v_dual_mov_b32 v3, v18 :: v_dual_mov_b32 v4, v19
	v_dual_mov_b32 v5, v20 :: v_dual_mov_b32 v6, v21
	v_dual_mov_b32 v7, v22 :: v_dual_mov_b32 v8, v23
	v_dual_mov_b32 v9, v24 :: v_dual_mov_b32 v10, v25
	v_dual_mov_b32 v11, v26 :: v_dual_mov_b32 v12, v27
	v_dual_mov_b32 v13, v28 :: v_dual_mov_b32 v14, v29
	v_dual_mov_b32 v15, v30 :: v_dual_mov_b32 v16, v31
	v_mov_b32_e32 v17, v32
.LBB71_61:
	s_or_b32 exec_lo, exec_lo, s5
	v_dual_mov_b32 v0, s12 :: v_dual_mov_b32 v1, s13
	s_mov_b32 s5, exec_lo
	flat_load_b32 v0, v[0:1] offset:20
	s_waitcnt vmcnt(0) lgkmcnt(0)
	v_add_nc_u32_e32 v0, -1, v0
	s_delay_alu instid0(VALU_DEP_1)
	v_cmpx_ne_u32_e32 5, v0
	s_cbranch_execz .LBB71_63
; %bb.62:
	v_cmp_eq_u32_e32 vcc_lo, 1, v0
	v_cmp_eq_u32_e64 s0, 2, v0
	v_cmp_eq_u32_e64 s1, 3, v0
	v_cmp_eq_u32_e64 s2, 4, v0
	v_cmp_eq_u32_e64 s3, 0, v0
	v_dual_cndmask_b32 v1, v2, v4 :: v_dual_cndmask_b32 v18, v3, v5
	v_cmp_eq_u32_e64 s4, 5, v0
	v_cndmask_b32_e64 v22, v7, v13, s0
	v_cndmask_b32_e64 v21, v6, v12, s0
	s_delay_alu instid0(VALU_DEP_4)
	v_cndmask_b32_e64 v1, v1, v6, s0
	v_cndmask_b32_e64 v18, v18, v7, s0
	v_cmp_eq_u32_e64 s0, 6, v0
	v_cndmask_b32_e32 v20, v5, v13, vcc_lo
	v_cndmask_b32_e64 v24, v9, v13, s1
	v_cndmask_b32_e64 v1, v1, v8, s1
	v_cndmask_b32_e64 v19, v18, v9, s1
	v_cndmask_b32_e64 v18, v3, v13, s3
	v_cndmask_b32_e64 v23, v8, v12, s1
	v_cndmask_b32_e64 v26, v11, v13, s2
	v_cndmask_b32_e64 v1, v1, v10, s2
	v_cndmask_b32_e64 v3, v19, v11, s2
	v_cndmask_b32_e32 v19, v4, v12, vcc_lo
	v_cmp_eq_u32_e32 vcc_lo, 7, v0
	v_cndmask_b32_e64 v25, v10, v12, s2
	v_cndmask_b32_e64 v1, v1, v12, s4
	v_cndmask_b32_e64 v3, v3, v13, s4
	v_cndmask_b32_e64 v30, v15, v13, s0
	v_dual_cndmask_b32 v32, v17, v13 :: v_dual_cndmask_b32 v31, v16, v12
	s_delay_alu instid0(VALU_DEP_4) | instskip(NEXT) | instid1(VALU_DEP_4)
	v_cndmask_b32_e64 v1, v1, v14, s0
	v_cndmask_b32_e64 v3, v3, v15, s0
	v_cndmask_b32_e64 v29, v14, v12, s0
	s_delay_alu instid0(VALU_DEP_2) | instskip(SKIP_1) | instid1(VALU_DEP_2)
	v_dual_cndmask_b32 v0, v1, v16 :: v_dual_cndmask_b32 v1, v3, v17
	v_cndmask_b32_e64 v17, v2, v12, s3
	v_cndmask_b32_e64 v27, v0, v12, s4
	s_delay_alu instid0(VALU_DEP_3) | instskip(NEXT) | instid1(VALU_DEP_3)
	v_cndmask_b32_e64 v28, v1, v13, s4
	v_mov_b32_e32 v2, v17
	v_dual_mov_b32 v3, v18 :: v_dual_mov_b32 v4, v19
	v_dual_mov_b32 v5, v20 :: v_dual_mov_b32 v6, v21
	v_dual_mov_b32 v7, v22 :: v_dual_mov_b32 v8, v23
	v_dual_mov_b32 v9, v24 :: v_dual_mov_b32 v10, v25
	v_dual_mov_b32 v11, v26 :: v_dual_mov_b32 v12, v27
	v_dual_mov_b32 v13, v28 :: v_dual_mov_b32 v14, v29
	v_dual_mov_b32 v15, v30 :: v_dual_mov_b32 v16, v31
	v_mov_b32_e32 v17, v32
.LBB71_63:
	s_or_b32 exec_lo, exec_lo, s5
	;; [unrolled: 59-line block ×4, first 2 shown]
	v_dual_mov_b32 v0, s12 :: v_dual_mov_b32 v1, s13
	s_mov_b32 s5, exec_lo
	flat_load_b32 v0, v[0:1] offset:8
	s_waitcnt vmcnt(0) lgkmcnt(0)
	v_add_nc_u32_e32 v0, -1, v0
	s_delay_alu instid0(VALU_DEP_1)
	v_cmpx_ne_u32_e32 2, v0
	s_cbranch_execz .LBB71_69
; %bb.68:
	v_cmp_eq_u32_e32 vcc_lo, 1, v0
	v_cmp_eq_u32_e64 s0, 2, v0
	v_cmp_eq_u32_e64 s1, 3, v0
	;; [unrolled: 1-line block ×4, first 2 shown]
	v_dual_cndmask_b32 v1, v2, v4 :: v_dual_cndmask_b32 v18, v3, v5
	v_cmp_eq_u32_e64 s4, 5, v0
	v_cndmask_b32_e32 v20, v5, v7, vcc_lo
	v_cndmask_b32_e64 v24, v9, v7, s1
	s_delay_alu instid0(VALU_DEP_4)
	v_cndmask_b32_e64 v1, v1, v6, s0
	v_cndmask_b32_e64 v18, v18, v7, s0
	;; [unrolled: 1-line block ×8, first 2 shown]
	v_cmp_eq_u32_e64 s1, 7, v0
	v_cndmask_b32_e64 v28, v13, v7, s4
	v_cndmask_b32_e64 v1, v1, v10, s2
	;; [unrolled: 1-line block ×3, first 2 shown]
	v_cndmask_b32_e32 v19, v4, v6, vcc_lo
	v_cmp_eq_u32_e32 vcc_lo, 6, v0
	v_cndmask_b32_e64 v27, v12, v6, s4
	v_cndmask_b32_e64 v1, v1, v12, s4
	;; [unrolled: 1-line block ×4, first 2 shown]
	v_cndmask_b32_e32 v29, v14, v6, vcc_lo
	v_cndmask_b32_e64 v31, v16, v6, s1
	v_dual_cndmask_b32 v1, v1, v14 :: v_dual_cndmask_b32 v30, v15, v7
	s_delay_alu instid0(VALU_DEP_1) | instskip(NEXT) | instid1(VALU_DEP_1)
	v_cndmask_b32_e64 v0, v1, v16, s1
	v_cndmask_b32_e64 v21, v0, v6, s0
	v_cndmask_b32_e32 v3, v3, v15, vcc_lo
	s_delay_alu instid0(VALU_DEP_1) | instskip(SKIP_1) | instid1(VALU_DEP_2)
	v_cndmask_b32_e64 v1, v3, v17, s1
	v_cndmask_b32_e64 v17, v2, v6, s3
	;; [unrolled: 1-line block ×3, first 2 shown]
	s_delay_alu instid0(VALU_DEP_2) | instskip(SKIP_2) | instid1(VALU_DEP_4)
	v_mov_b32_e32 v2, v17
	v_dual_mov_b32 v6, v21 :: v_dual_mov_b32 v3, v18
	v_dual_mov_b32 v4, v19 :: v_dual_mov_b32 v5, v20
	;; [unrolled: 1-line block ×7, first 2 shown]
	v_mov_b32_e32 v17, v32
.LBB71_69:
	s_or_b32 exec_lo, exec_lo, s5
	v_dual_mov_b32 v0, s12 :: v_dual_mov_b32 v1, s13
	s_mov_b32 s5, exec_lo
	flat_load_b32 v0, v[0:1] offset:4
	s_waitcnt vmcnt(0) lgkmcnt(0)
	v_add_nc_u32_e32 v0, -1, v0
	s_delay_alu instid0(VALU_DEP_1)
	v_cmpx_ne_u32_e32 1, v0
	s_cbranch_execz .LBB71_71
; %bb.70:
	v_cmp_eq_u32_e32 vcc_lo, 1, v0
	v_cmp_eq_u32_e64 s0, 2, v0
	v_cmp_eq_u32_e64 s1, 3, v0
	;; [unrolled: 1-line block ×4, first 2 shown]
	v_dual_cndmask_b32 v1, v2, v4 :: v_dual_cndmask_b32 v18, v3, v5
	v_cmp_eq_u32_e64 s4, 5, v0
	v_cndmask_b32_e64 v22, v7, v5, s0
	v_cndmask_b32_e64 v21, v6, v4, s0
	s_delay_alu instid0(VALU_DEP_4)
	v_cndmask_b32_e64 v1, v1, v6, s0
	v_cndmask_b32_e64 v18, v18, v7, s0
	v_cmp_eq_u32_e64 s0, 6, v0
	v_cndmask_b32_e64 v24, v9, v5, s1
	v_cndmask_b32_e64 v23, v8, v4, s1
	;; [unrolled: 1-line block ×5, first 2 shown]
	v_cmp_eq_u32_e64 s1, 7, v0
	v_cndmask_b32_e64 v26, v11, v5, s2
	v_cndmask_b32_e64 v1, v1, v10, s2
	;; [unrolled: 1-line block ×14, first 2 shown]
	s_delay_alu instid0(VALU_DEP_3) | instskip(NEXT) | instid1(VALU_DEP_3)
	v_cndmask_b32_e64 v0, v1, v16, s1
	v_cndmask_b32_e64 v1, v3, v17, s1
	v_cndmask_b32_e64 v17, v2, v4, s3
	s_delay_alu instid0(VALU_DEP_2) | instskip(NEXT) | instid1(VALU_DEP_2)
	v_dual_cndmask_b32 v19, v0, v4 :: v_dual_cndmask_b32 v20, v1, v5
	v_mov_b32_e32 v2, v17
	v_mov_b32_e32 v3, v18
	v_dual_mov_b32 v7, v22 :: v_dual_mov_b32 v8, v23
	s_delay_alu instid0(VALU_DEP_4)
	v_dual_mov_b32 v4, v19 :: v_dual_mov_b32 v5, v20
	v_dual_mov_b32 v6, v21 :: v_dual_mov_b32 v9, v24
	;; [unrolled: 1-line block ×6, first 2 shown]
.LBB71_71:
	s_or_b32 exec_lo, exec_lo, s5
	v_dual_mov_b32 v0, s12 :: v_dual_mov_b32 v1, s13
	s_mov_b32 s4, exec_lo
	flat_load_b32 v0, v[0:1]
	s_waitcnt vmcnt(0) lgkmcnt(0)
	v_add_nc_u32_e32 v0, -1, v0
	s_delay_alu instid0(VALU_DEP_1)
	v_cmpx_ne_u32_e32 0, v0
	s_cbranch_execz .LBB71_73
; %bb.72:
	v_cmp_eq_u32_e32 vcc_lo, 1, v0
	v_cmp_eq_u32_e64 s0, 2, v0
	v_cmp_eq_u32_e64 s1, 3, v0
	;; [unrolled: 1-line block ×4, first 2 shown]
	v_dual_cndmask_b32 v1, v2, v4 :: v_dual_cndmask_b32 v18, v3, v5
	v_cndmask_b32_e64 v20, v7, v3, s0
	v_cndmask_b32_e64 v19, v6, v2, s0
	;; [unrolled: 1-line block ×3, first 2 shown]
	s_delay_alu instid0(VALU_DEP_4)
	v_cndmask_b32_e64 v1, v1, v6, s0
	v_cndmask_b32_e64 v18, v18, v7, s0
	v_cmp_eq_u32_e64 s0, 6, v0
	v_cndmask_b32_e64 v21, v8, v2, s1
	v_cndmask_b32_e64 v24, v11, v3, s2
	;; [unrolled: 1-line block ×4, first 2 shown]
	v_cmp_eq_u32_e64 s1, 7, v0
	v_cndmask_b32_e64 v23, v10, v2, s2
	v_cndmask_b32_e64 v28, v15, v3, s0
	;; [unrolled: 1-line block ×4, first 2 shown]
	v_cndmask_b32_e32 v18, v5, v3, vcc_lo
	v_cmp_eq_u32_e64 s2, 0, v0
	v_cndmask_b32_e64 v26, v13, v3, s3
	v_cndmask_b32_e64 v1, v1, v12, s3
	;; [unrolled: 1-line block ×9, first 2 shown]
	s_delay_alu instid0(VALU_DEP_3) | instskip(NEXT) | instid1(VALU_DEP_3)
	v_cndmask_b32_e64 v1, v1, v16, s1
	v_cndmask_b32_e64 v5, v5, v17, s1
	v_cndmask_b32_e32 v17, v4, v2, vcc_lo
	s_delay_alu instid0(VALU_DEP_3) | instskip(NEXT) | instid1(VALU_DEP_3)
	v_cndmask_b32_e64 v15, v1, v2, s2
	v_cndmask_b32_e64 v16, v5, v3, s2
	s_delay_alu instid0(VALU_DEP_2) | instskip(NEXT) | instid1(VALU_DEP_2)
	v_mov_b32_e32 v2, v15
	v_dual_mov_b32 v3, v16 :: v_dual_mov_b32 v4, v17
	v_dual_mov_b32 v5, v18 :: v_dual_mov_b32 v6, v19
	;; [unrolled: 1-line block ×6, first 2 shown]
	v_mov_b32_e32 v15, v28
	v_mov_b32_e32 v16, v29
	v_mov_b32_e32 v17, v30
.LBB71_73:
	s_or_b32 exec_lo, exec_lo, s4
.LBB71_74:
	s_clause 0x7
	global_store_b64 v[33:34], v[2:3], off
	global_store_b64 v[35:36], v[4:5], off
	;; [unrolled: 1-line block ×8, first 2 shown]
	s_nop 0
	s_sendmsg sendmsg(MSG_DEALLOC_VGPRS)
	s_endpgm
	.section	.rodata,"a",@progbits
	.p2align	6, 0x0
	.amdhsa_kernel _ZN9rocsolver6v33100L18getri_kernel_smallILi8EdPKPdEEvT1_iilPiilS6_bb
		.amdhsa_group_segment_fixed_size 136
		.amdhsa_private_segment_fixed_size 0
		.amdhsa_kernarg_size 60
		.amdhsa_user_sgpr_count 15
		.amdhsa_user_sgpr_dispatch_ptr 0
		.amdhsa_user_sgpr_queue_ptr 0
		.amdhsa_user_sgpr_kernarg_segment_ptr 1
		.amdhsa_user_sgpr_dispatch_id 0
		.amdhsa_user_sgpr_private_segment_size 0
		.amdhsa_wavefront_size32 1
		.amdhsa_uses_dynamic_stack 0
		.amdhsa_enable_private_segment 0
		.amdhsa_system_sgpr_workgroup_id_x 1
		.amdhsa_system_sgpr_workgroup_id_y 0
		.amdhsa_system_sgpr_workgroup_id_z 0
		.amdhsa_system_sgpr_workgroup_info 0
		.amdhsa_system_vgpr_workitem_id 0
		.amdhsa_next_free_vgpr 49
		.amdhsa_next_free_sgpr 18
		.amdhsa_reserve_vcc 1
		.amdhsa_float_round_mode_32 0
		.amdhsa_float_round_mode_16_64 0
		.amdhsa_float_denorm_mode_32 3
		.amdhsa_float_denorm_mode_16_64 3
		.amdhsa_dx10_clamp 1
		.amdhsa_ieee_mode 1
		.amdhsa_fp16_overflow 0
		.amdhsa_workgroup_processor_mode 1
		.amdhsa_memory_ordered 1
		.amdhsa_forward_progress 0
		.amdhsa_shared_vgpr_count 0
		.amdhsa_exception_fp_ieee_invalid_op 0
		.amdhsa_exception_fp_denorm_src 0
		.amdhsa_exception_fp_ieee_div_zero 0
		.amdhsa_exception_fp_ieee_overflow 0
		.amdhsa_exception_fp_ieee_underflow 0
		.amdhsa_exception_fp_ieee_inexact 0
		.amdhsa_exception_int_div_zero 0
	.end_amdhsa_kernel
	.section	.text._ZN9rocsolver6v33100L18getri_kernel_smallILi8EdPKPdEEvT1_iilPiilS6_bb,"axG",@progbits,_ZN9rocsolver6v33100L18getri_kernel_smallILi8EdPKPdEEvT1_iilPiilS6_bb,comdat
.Lfunc_end71:
	.size	_ZN9rocsolver6v33100L18getri_kernel_smallILi8EdPKPdEEvT1_iilPiilS6_bb, .Lfunc_end71-_ZN9rocsolver6v33100L18getri_kernel_smallILi8EdPKPdEEvT1_iilPiilS6_bb
                                        ; -- End function
	.section	.AMDGPU.csdata,"",@progbits
; Kernel info:
; codeLenInByte = 7860
; NumSgprs: 20
; NumVgprs: 49
; ScratchSize: 0
; MemoryBound: 0
; FloatMode: 240
; IeeeMode: 1
; LDSByteSize: 136 bytes/workgroup (compile time only)
; SGPRBlocks: 2
; VGPRBlocks: 6
; NumSGPRsForWavesPerEU: 20
; NumVGPRsForWavesPerEU: 49
; Occupancy: 16
; WaveLimiterHint : 1
; COMPUTE_PGM_RSRC2:SCRATCH_EN: 0
; COMPUTE_PGM_RSRC2:USER_SGPR: 15
; COMPUTE_PGM_RSRC2:TRAP_HANDLER: 0
; COMPUTE_PGM_RSRC2:TGID_X_EN: 1
; COMPUTE_PGM_RSRC2:TGID_Y_EN: 0
; COMPUTE_PGM_RSRC2:TGID_Z_EN: 0
; COMPUTE_PGM_RSRC2:TIDIG_COMP_CNT: 0
	.section	.text._ZN9rocsolver6v33100L18getri_kernel_smallILi9EdPKPdEEvT1_iilPiilS6_bb,"axG",@progbits,_ZN9rocsolver6v33100L18getri_kernel_smallILi9EdPKPdEEvT1_iilPiilS6_bb,comdat
	.globl	_ZN9rocsolver6v33100L18getri_kernel_smallILi9EdPKPdEEvT1_iilPiilS6_bb ; -- Begin function _ZN9rocsolver6v33100L18getri_kernel_smallILi9EdPKPdEEvT1_iilPiilS6_bb
	.p2align	8
	.type	_ZN9rocsolver6v33100L18getri_kernel_smallILi9EdPKPdEEvT1_iilPiilS6_bb,@function
_ZN9rocsolver6v33100L18getri_kernel_smallILi9EdPKPdEEvT1_iilPiilS6_bb: ; @_ZN9rocsolver6v33100L18getri_kernel_smallILi9EdPKPdEEvT1_iilPiilS6_bb
; %bb.0:
	s_mov_b32 s2, exec_lo
	v_cmpx_gt_u32_e32 9, v0
	s_cbranch_execz .LBB72_16
; %bb.1:
	s_clause 0x1
	s_load_b32 s4, s[0:1], 0x38
	s_load_b64 s[2:3], s[0:1], 0x0
	s_mov_b32 s14, s15
	s_load_b128 s[8:11], s[0:1], 0x28
                                        ; implicit-def: $sgpr12_sgpr13
	s_waitcnt lgkmcnt(0)
	s_bitcmp1_b32 s4, 8
	s_cselect_b32 s16, -1, 0
	s_ashr_i32 s15, s15, 31
	s_delay_alu instid0(SALU_CYCLE_1) | instskip(NEXT) | instid1(SALU_CYCLE_1)
	s_lshl_b64 s[6:7], s[14:15], 3
	s_add_u32 s2, s2, s6
	s_addc_u32 s3, s3, s7
	s_bfe_u32 s5, s4, 0x10008
	s_load_b64 s[2:3], s[2:3], 0x0
	s_cmp_eq_u32 s5, 0
	s_cbranch_scc1 .LBB72_3
; %bb.2:
	s_clause 0x1
	s_load_b32 s6, s[0:1], 0x20
	s_load_b64 s[12:13], s[0:1], 0x18
	s_mul_i32 s5, s14, s9
	s_mul_hi_u32 s7, s14, s8
	s_mul_i32 s9, s15, s8
	s_add_i32 s5, s7, s5
	s_mul_i32 s8, s14, s8
	s_add_i32 s9, s5, s9
	s_delay_alu instid0(SALU_CYCLE_1)
	s_lshl_b64 s[8:9], s[8:9], 2
	s_waitcnt lgkmcnt(0)
	s_ashr_i32 s7, s6, 31
	s_add_u32 s5, s12, s8
	s_addc_u32 s8, s13, s9
	s_lshl_b64 s[6:7], s[6:7], 2
	s_delay_alu instid0(SALU_CYCLE_1)
	s_add_u32 s12, s5, s6
	s_addc_u32 s13, s8, s7
.LBB72_3:
	s_load_b64 s[0:1], s[0:1], 0x8
	v_dual_mov_b32 v1, 0 :: v_dual_lshlrev_b32 v22, 3, v0
	s_waitcnt lgkmcnt(0)
	v_add3_u32 v4, s1, s1, v0
	s_ashr_i32 s7, s0, 31
	s_mov_b32 s6, s0
	s_mov_b32 s8, s1
	s_lshl_b64 s[6:7], s[6:7], 3
	v_add_nc_u32_e32 v6, s1, v4
	v_ashrrev_i32_e32 v5, 31, v4
	s_add_u32 s2, s2, s6
	s_addc_u32 s3, s3, s7
	v_add_co_u32 v52, s0, s2, v22
	v_add_nc_u32_e32 v8, s1, v6
	s_ashr_i32 s9, s1, 31
	v_add_co_ci_u32_e64 v53, null, s3, 0, s0
	v_lshlrev_b64 v[4:5], 3, v[4:5]
	v_ashrrev_i32_e32 v7, 31, v6
	s_lshl_b64 s[6:7], s[8:9], 3
	v_ashrrev_i32_e32 v9, 31, v8
	v_add_co_u32 v54, vcc_lo, v52, s6
	v_add_nc_u32_e32 v10, s1, v8
	v_add_co_ci_u32_e32 v55, vcc_lo, s7, v53, vcc_lo
	v_lshlrev_b64 v[6:7], 3, v[6:7]
	v_add_co_u32 v56, vcc_lo, s2, v4
	v_add_co_ci_u32_e32 v57, vcc_lo, s3, v5, vcc_lo
	v_lshlrev_b64 v[4:5], 3, v[8:9]
	v_ashrrev_i32_e32 v11, 31, v10
	v_add_nc_u32_e32 v8, s1, v10
	v_add_co_u32 v58, vcc_lo, s2, v6
	v_add_co_ci_u32_e32 v59, vcc_lo, s3, v7, vcc_lo
	s_delay_alu instid0(VALU_DEP_4) | instskip(NEXT) | instid1(VALU_DEP_4)
	v_lshlrev_b64 v[6:7], 3, v[10:11]
	v_ashrrev_i32_e32 v9, 31, v8
	v_add_nc_u32_e32 v10, s1, v8
	v_add_co_u32 v60, vcc_lo, s2, v4
	v_add_co_ci_u32_e32 v61, vcc_lo, s3, v5, vcc_lo
	s_delay_alu instid0(VALU_DEP_4) | instskip(NEXT) | instid1(VALU_DEP_4)
	v_lshlrev_b64 v[4:5], 3, v[8:9]
	v_add_nc_u32_e32 v8, s1, v10
	v_ashrrev_i32_e32 v11, 31, v10
	v_add_co_u32 v68, vcc_lo, s2, v6
	v_add_co_ci_u32_e32 v69, vcc_lo, s3, v7, vcc_lo
	s_delay_alu instid0(VALU_DEP_4) | instskip(NEXT) | instid1(VALU_DEP_4)
	v_ashrrev_i32_e32 v9, 31, v8
	v_lshlrev_b64 v[6:7], 3, v[10:11]
	v_add_co_u32 v64, vcc_lo, s2, v4
	v_add_co_ci_u32_e32 v65, vcc_lo, s3, v5, vcc_lo
	s_delay_alu instid0(VALU_DEP_4) | instskip(NEXT) | instid1(VALU_DEP_4)
	v_lshlrev_b64 v[4:5], 3, v[8:9]
	v_add_co_u32 v66, vcc_lo, s2, v6
	v_add_co_ci_u32_e32 v67, vcc_lo, s3, v7, vcc_lo
	global_load_b64 v[2:3], v22, s[2:3]
	v_add_co_u32 v62, vcc_lo, s2, v4
	v_add_co_ci_u32_e32 v63, vcc_lo, s3, v5, vcc_lo
	s_clause 0x7
	global_load_b64 v[4:5], v[54:55], off
	global_load_b64 v[6:7], v[56:57], off
	global_load_b64 v[8:9], v[58:59], off
	global_load_b64 v[10:11], v[60:61], off
	global_load_b64 v[12:13], v[68:69], off
	global_load_b64 v[14:15], v[64:65], off
	global_load_b64 v[16:17], v[66:67], off
	global_load_b64 v[18:19], v[62:63], off
	s_bitcmp0_b32 s4, 0
	s_mov_b32 s0, -1
	s_cbranch_scc1 .LBB72_14
; %bb.4:
	v_cmp_eq_u32_e64 s0, 0, v0
	s_delay_alu instid0(VALU_DEP_1)
	s_and_saveexec_b32 s1, s0
	s_cbranch_execz .LBB72_6
; %bb.5:
	v_mov_b32_e32 v20, 0
	ds_store_b32 v20, v20 offset:72
.LBB72_6:
	s_or_b32 exec_lo, exec_lo, s1
	v_cmp_eq_u32_e32 vcc_lo, 1, v0
	s_mov_b32 s2, exec_lo
	s_waitcnt vmcnt(0) lgkmcnt(0)
	s_barrier
	buffer_gl0_inv
	v_dual_cndmask_b32 v20, v3, v5 :: v_dual_cndmask_b32 v21, v2, v4
	v_cmp_eq_u32_e32 vcc_lo, 2, v0
	s_delay_alu instid0(VALU_DEP_2) | instskip(SKIP_1) | instid1(VALU_DEP_2)
	v_dual_cndmask_b32 v20, v20, v7 :: v_dual_cndmask_b32 v21, v21, v6
	v_cmp_eq_u32_e32 vcc_lo, 3, v0
	v_dual_cndmask_b32 v20, v20, v9 :: v_dual_cndmask_b32 v21, v21, v8
	v_cmp_eq_u32_e32 vcc_lo, 4, v0
	s_delay_alu instid0(VALU_DEP_2) | instskip(SKIP_1) | instid1(VALU_DEP_2)
	v_dual_cndmask_b32 v20, v20, v11 :: v_dual_cndmask_b32 v21, v21, v10
	v_cmp_eq_u32_e32 vcc_lo, 5, v0
	v_dual_cndmask_b32 v20, v20, v13 :: v_dual_cndmask_b32 v21, v21, v12
	v_cmp_eq_u32_e32 vcc_lo, 6, v0
	s_delay_alu instid0(VALU_DEP_2) | instskip(SKIP_1) | instid1(VALU_DEP_2)
	v_dual_cndmask_b32 v20, v20, v15 :: v_dual_cndmask_b32 v21, v21, v14
	v_cmp_eq_u32_e32 vcc_lo, 7, v0
	v_dual_cndmask_b32 v20, v20, v17 :: v_dual_cndmask_b32 v23, v21, v16
	v_cmp_eq_u32_e32 vcc_lo, 8, v0
	s_delay_alu instid0(VALU_DEP_2) | instskip(NEXT) | instid1(VALU_DEP_1)
	v_dual_cndmask_b32 v21, v20, v19 :: v_dual_cndmask_b32 v20, v23, v18
	v_cmpx_eq_f64_e32 0, v[20:21]
	s_cbranch_execz .LBB72_10
; %bb.7:
	v_mov_b32_e32 v23, 0
	s_mov_b32 s3, 0
	ds_load_b32 v24, v23 offset:72
	s_waitcnt lgkmcnt(0)
	v_readfirstlane_b32 s1, v24
	v_add_nc_u32_e32 v24, 1, v0
	s_delay_alu instid0(VALU_DEP_2) | instskip(NEXT) | instid1(VALU_DEP_1)
	s_cmp_eq_u32 s1, 0
	v_cmp_gt_i32_e32 vcc_lo, s1, v24
	s_cselect_b32 s4, -1, 0
	s_delay_alu instid0(SALU_CYCLE_1) | instskip(NEXT) | instid1(SALU_CYCLE_1)
	s_or_b32 s4, s4, vcc_lo
	s_and_b32 exec_lo, exec_lo, s4
	s_cbranch_execz .LBB72_10
; %bb.8:
	v_mov_b32_e32 v25, s1
.LBB72_9:                               ; =>This Inner Loop Header: Depth=1
	ds_cmpstore_rtn_b32 v25, v23, v24, v25 offset:72
	s_waitcnt lgkmcnt(0)
	v_cmp_ne_u32_e32 vcc_lo, 0, v25
	v_cmp_le_i32_e64 s1, v25, v24
	s_delay_alu instid0(VALU_DEP_1) | instskip(NEXT) | instid1(SALU_CYCLE_1)
	s_and_b32 s1, vcc_lo, s1
	s_and_b32 s1, exec_lo, s1
	s_delay_alu instid0(SALU_CYCLE_1) | instskip(NEXT) | instid1(SALU_CYCLE_1)
	s_or_b32 s3, s1, s3
	s_and_not1_b32 exec_lo, exec_lo, s3
	s_cbranch_execnz .LBB72_9
.LBB72_10:
	s_or_b32 exec_lo, exec_lo, s2
	v_mov_b32_e32 v23, 0
	s_barrier
	buffer_gl0_inv
	ds_load_b32 v24, v23 offset:72
	s_and_saveexec_b32 s1, s0
	s_cbranch_execz .LBB72_12
; %bb.11:
	s_lshl_b64 s[2:3], s[14:15], 2
	s_delay_alu instid0(SALU_CYCLE_1)
	s_add_u32 s2, s10, s2
	s_addc_u32 s3, s11, s3
	s_waitcnt lgkmcnt(0)
	global_store_b32 v23, v24, s[2:3]
.LBB72_12:
	s_or_b32 exec_lo, exec_lo, s1
	s_waitcnt lgkmcnt(0)
	v_cmp_ne_u32_e32 vcc_lo, 0, v24
	s_cbranch_vccz .LBB72_17
; %bb.13:
	s_mov_b32 s0, 0
                                        ; implicit-def: $vgpr2_vgpr3_vgpr4_vgpr5_vgpr6_vgpr7_vgpr8_vgpr9_vgpr10_vgpr11_vgpr12_vgpr13_vgpr14_vgpr15_vgpr16_vgpr17_vgpr18_vgpr19_vgpr20_vgpr21_vgpr22_vgpr23_vgpr24_vgpr25_vgpr26_vgpr27_vgpr28_vgpr29_vgpr30_vgpr31_vgpr32_vgpr33
.LBB72_14:
	s_delay_alu instid0(SALU_CYCLE_1)
	s_and_b32 vcc_lo, exec_lo, s0
	s_cbranch_vccz .LBB72_16
.LBB72_15:
	s_lshl_b64 s[0:1], s[14:15], 2
	v_mov_b32_e32 v1, 0
	s_add_u32 s0, s10, s0
	s_addc_u32 s1, s11, s1
	global_load_b32 v1, v1, s[0:1]
	s_waitcnt vmcnt(0)
	v_cmp_ne_u32_e32 vcc_lo, 0, v1
	s_cbranch_vccz .LBB72_60
.LBB72_16:
	s_nop 0
	s_sendmsg sendmsg(MSG_DEALLOC_VGPRS)
	s_endpgm
.LBB72_17:
	v_div_scale_f64 v[23:24], null, v[20:21], v[20:21], 1.0
	v_div_scale_f64 v[29:30], vcc_lo, 1.0, v[20:21], 1.0
	v_cmp_eq_u32_e64 s1, 6, v0
	v_cmp_eq_u32_e64 s2, 5, v0
	;; [unrolled: 1-line block ×7, first 2 shown]
	v_rcp_f64_e32 v[25:26], v[23:24]
	s_waitcnt_depctr 0xfff
	v_fma_f64 v[27:28], -v[23:24], v[25:26], 1.0
	s_delay_alu instid0(VALU_DEP_1) | instskip(NEXT) | instid1(VALU_DEP_1)
	v_fma_f64 v[25:26], v[25:26], v[27:28], v[25:26]
	v_fma_f64 v[27:28], -v[23:24], v[25:26], 1.0
	s_delay_alu instid0(VALU_DEP_1) | instskip(NEXT) | instid1(VALU_DEP_1)
	v_fma_f64 v[25:26], v[25:26], v[27:28], v[25:26]
	v_mul_f64 v[27:28], v[29:30], v[25:26]
	s_delay_alu instid0(VALU_DEP_1) | instskip(NEXT) | instid1(VALU_DEP_1)
	v_fma_f64 v[23:24], -v[23:24], v[27:28], v[29:30]
	v_div_fmas_f64 v[23:24], v[23:24], v[25:26], v[27:28]
	v_cmp_eq_u32_e32 vcc_lo, 7, v0
	s_delay_alu instid0(VALU_DEP_2) | instskip(NEXT) | instid1(VALU_DEP_1)
	v_div_fixup_f64 v[20:21], v[23:24], v[20:21], 1.0
	v_dual_cndmask_b32 v17, v17, v21 :: v_dual_add_nc_u32 v24, 0x50, v22
	s_delay_alu instid0(VALU_DEP_2)
	v_cndmask_b32_e32 v16, v16, v20, vcc_lo
	v_cmp_eq_u32_e32 vcc_lo, 2, v0
	v_cndmask_b32_e64 v19, v19, v21, s4
	v_cndmask_b32_e64 v18, v18, v20, s4
	;; [unrolled: 1-line block ×4, first 2 shown]
	v_cndmask_b32_e32 v7, v7, v21, vcc_lo
	v_cndmask_b32_e64 v13, v13, v21, s2
	v_cndmask_b32_e64 v12, v12, v20, s2
	;; [unrolled: 1-line block ×8, first 2 shown]
	v_xor_b32_e32 v26, 0x80000000, v21
	v_dual_mov_b32 v25, v20 :: v_dual_cndmask_b32 v6, v6, v20
	v_cndmask_b32_e64 v3, v3, v21, s7
	v_cndmask_b32_e64 v2, v2, v20, s7
	ds_store_2addr_b64 v22, v[25:26], v[4:5] offset1:10
	s_waitcnt lgkmcnt(0)
	s_waitcnt_vscnt null, 0x0
	s_barrier
	buffer_gl0_inv
	s_and_saveexec_b32 s1, s0
	s_cbranch_execz .LBB72_19
; %bb.18:
	ds_load_b64 v[4:5], v24
	v_mov_b32_e32 v22, 0
	ds_load_b64 v[22:23], v22 offset:8
	s_waitcnt lgkmcnt(1)
	v_fma_f64 v[4:5], v[20:21], v[4:5], 0
	s_waitcnt lgkmcnt(0)
	s_delay_alu instid0(VALU_DEP_1)
	v_mul_f64 v[4:5], v[4:5], v[22:23]
.LBB72_19:
	s_or_b32 exec_lo, exec_lo, s1
	s_delay_alu instid0(SALU_CYCLE_1)
	s_mov_b32 s1, exec_lo
	s_barrier
	buffer_gl0_inv
	ds_store_b64 v24, v[6:7]
	s_waitcnt lgkmcnt(0)
	s_barrier
	buffer_gl0_inv
	v_cmpx_gt_u32_e32 2, v0
	s_cbranch_execz .LBB72_23
; %bb.20:
	v_cmp_eq_u32_e32 vcc_lo, 1, v0
	v_dual_cndmask_b32 v20, v3, v5 :: v_dual_cndmask_b32 v21, v2, v4
	v_cmp_eq_u32_e32 vcc_lo, 2, v0
	s_delay_alu instid0(VALU_DEP_2) | instskip(SKIP_1) | instid1(VALU_DEP_2)
	v_dual_cndmask_b32 v7, v20, v7 :: v_dual_cndmask_b32 v6, v21, v6
	v_cmp_eq_u32_e32 vcc_lo, 3, v0
	v_dual_cndmask_b32 v7, v7, v9 :: v_dual_cndmask_b32 v6, v6, v8
	v_cmp_eq_u32_e32 vcc_lo, 4, v0
	s_delay_alu instid0(VALU_DEP_2) | instskip(SKIP_1) | instid1(VALU_DEP_2)
	v_dual_cndmask_b32 v7, v7, v11 :: v_dual_cndmask_b32 v6, v6, v10
	v_cmp_eq_u32_e32 vcc_lo, 5, v0
	v_dual_cndmask_b32 v20, v7, v13 :: v_dual_cndmask_b32 v21, v6, v12
	v_cmp_eq_u32_e32 vcc_lo, 6, v0
	ds_load_b64 v[6:7], v24
	v_dual_cndmask_b32 v20, v20, v15 :: v_dual_cndmask_b32 v21, v21, v14
	v_cmp_eq_u32_e32 vcc_lo, 7, v0
	s_delay_alu instid0(VALU_DEP_2) | instskip(NEXT) | instid1(VALU_DEP_3)
	v_cndmask_b32_e32 v20, v20, v17, vcc_lo
	v_cndmask_b32_e32 v22, v21, v16, vcc_lo
	v_cmp_eq_u32_e32 vcc_lo, 8, v0
	s_delay_alu instid0(VALU_DEP_2) | instskip(SKIP_1) | instid1(VALU_DEP_1)
	v_dual_cndmask_b32 v21, v20, v19 :: v_dual_cndmask_b32 v20, v22, v18
	s_waitcnt lgkmcnt(0)
	v_fma_f64 v[6:7], v[20:21], v[6:7], 0
	s_and_saveexec_b32 s2, s0
	s_cbranch_execz .LBB72_22
; %bb.21:
	v_mov_b32_e32 v20, 0
	ds_load_b64 v[20:21], v20 offset:88
	s_waitcnt lgkmcnt(0)
	v_fma_f64 v[6:7], v[4:5], v[20:21], v[6:7]
.LBB72_22:
	s_or_b32 exec_lo, exec_lo, s2
	v_mov_b32_e32 v20, 0
	ds_load_b64 v[20:21], v20 offset:16
	s_waitcnt lgkmcnt(0)
	v_mul_f64 v[6:7], v[6:7], v[20:21]
.LBB72_23:
	s_or_b32 exec_lo, exec_lo, s1
	v_cmp_gt_u32_e32 vcc_lo, 3, v0
	s_barrier
	buffer_gl0_inv
	ds_store_b64 v24, v[8:9]
	s_waitcnt lgkmcnt(0)
	s_barrier
	buffer_gl0_inv
	s_and_saveexec_b32 s3, vcc_lo
	s_cbranch_execz .LBB72_27
; %bb.24:
	v_dual_mov_b32 v20, 0 :: v_dual_mov_b32 v23, v1
	v_lshl_add_u32 v25, v0, 3, 0x50
	v_dual_mov_b32 v21, 0 :: v_dual_mov_b32 v22, v0
	s_mov_b32 s4, 0
.LBB72_25:                              ; =>This Inner Loop Header: Depth=1
	s_delay_alu instid0(VALU_DEP_1) | instskip(SKIP_1) | instid1(VALU_DEP_2)
	v_cmp_eq_u32_e64 s1, 1, v22
	v_cmp_eq_u32_e64 s2, 2, v22
	v_cndmask_b32_e64 v26, v3, v5, s1
	v_cndmask_b32_e64 v27, v2, v4, s1
	v_cmp_eq_u32_e64 s1, 3, v22
	s_delay_alu instid0(VALU_DEP_3) | instskip(NEXT) | instid1(VALU_DEP_3)
	v_cndmask_b32_e64 v26, v26, v7, s2
	v_cndmask_b32_e64 v27, v27, v6, s2
	v_cmp_eq_u32_e64 s2, 4, v22
	s_delay_alu instid0(VALU_DEP_3) | instskip(NEXT) | instid1(VALU_DEP_3)
	;; [unrolled: 4-line block ×3, first 2 shown]
	v_cndmask_b32_e64 v28, v26, v11, s2
	v_cndmask_b32_e64 v29, v27, v10, s2
	ds_load_b64 v[26:27], v25
	v_cmp_eq_u32_e64 s2, 6, v22
	v_add_nc_u32_e32 v25, 8, v25
	v_cndmask_b32_e64 v28, v28, v13, s1
	v_cndmask_b32_e64 v29, v29, v12, s1
	v_cmp_eq_u32_e64 s1, 7, v22
	s_delay_alu instid0(VALU_DEP_3) | instskip(NEXT) | instid1(VALU_DEP_3)
	v_cndmask_b32_e64 v28, v28, v15, s2
	v_cndmask_b32_e64 v29, v29, v14, s2
	v_cmp_eq_u32_e64 s2, 8, v22
	s_delay_alu instid0(VALU_DEP_3) | instskip(NEXT) | instid1(VALU_DEP_3)
	v_cndmask_b32_e64 v28, v28, v17, s1
	v_cndmask_b32_e64 v30, v29, v16, s1
	v_add_co_u32 v22, s1, v22, 1
	s_delay_alu instid0(VALU_DEP_1) | instskip(NEXT) | instid1(VALU_DEP_4)
	v_add_co_ci_u32_e64 v23, s1, 0, v23, s1
	v_cndmask_b32_e64 v29, v28, v19, s2
	s_delay_alu instid0(VALU_DEP_4) | instskip(SKIP_1) | instid1(VALU_DEP_1)
	v_cndmask_b32_e64 v28, v30, v18, s2
	s_waitcnt lgkmcnt(0)
	v_fma_f64 v[20:21], v[28:29], v[26:27], v[20:21]
	v_add_nc_u32_e32 v26, -1, v22
	s_delay_alu instid0(VALU_DEP_1) | instskip(NEXT) | instid1(VALU_DEP_1)
	v_cmp_lt_u32_e64 s1, 1, v26
	s_or_b32 s4, s1, s4
	s_delay_alu instid0(SALU_CYCLE_1)
	s_and_not1_b32 exec_lo, exec_lo, s4
	s_cbranch_execnz .LBB72_25
; %bb.26:
	s_or_b32 exec_lo, exec_lo, s4
	v_mov_b32_e32 v8, 0
	ds_load_b64 v[8:9], v8 offset:24
	s_waitcnt lgkmcnt(0)
	v_mul_f64 v[8:9], v[20:21], v[8:9]
.LBB72_27:
	s_or_b32 exec_lo, exec_lo, s3
	s_delay_alu instid0(SALU_CYCLE_1)
	s_mov_b32 s3, exec_lo
	s_barrier
	buffer_gl0_inv
	ds_store_b64 v24, v[10:11]
	s_waitcnt lgkmcnt(0)
	s_barrier
	buffer_gl0_inv
	v_cmpx_gt_u32_e32 4, v0
	s_cbranch_execz .LBB72_31
; %bb.28:
	v_dual_mov_b32 v20, 0 :: v_dual_mov_b32 v23, v1
	v_lshl_add_u32 v25, v0, 3, 0x50
	v_dual_mov_b32 v21, 0 :: v_dual_mov_b32 v22, v0
	s_mov_b32 s4, 0
.LBB72_29:                              ; =>This Inner Loop Header: Depth=1
	s_delay_alu instid0(VALU_DEP_1) | instskip(SKIP_1) | instid1(VALU_DEP_2)
	v_cmp_eq_u32_e64 s1, 1, v22
	v_cmp_eq_u32_e64 s2, 2, v22
	v_cndmask_b32_e64 v26, v3, v5, s1
	v_cndmask_b32_e64 v27, v2, v4, s1
	v_cmp_eq_u32_e64 s1, 3, v22
	s_delay_alu instid0(VALU_DEP_3) | instskip(NEXT) | instid1(VALU_DEP_3)
	v_cndmask_b32_e64 v26, v26, v7, s2
	v_cndmask_b32_e64 v27, v27, v6, s2
	v_cmp_eq_u32_e64 s2, 4, v22
	s_delay_alu instid0(VALU_DEP_3) | instskip(NEXT) | instid1(VALU_DEP_3)
	;; [unrolled: 4-line block ×3, first 2 shown]
	v_cndmask_b32_e64 v28, v26, v11, s2
	v_cndmask_b32_e64 v29, v27, v10, s2
	ds_load_b64 v[26:27], v25
	v_cmp_eq_u32_e64 s2, 6, v22
	v_add_nc_u32_e32 v25, 8, v25
	v_cndmask_b32_e64 v28, v28, v13, s1
	v_cndmask_b32_e64 v29, v29, v12, s1
	v_cmp_eq_u32_e64 s1, 7, v22
	s_delay_alu instid0(VALU_DEP_3) | instskip(NEXT) | instid1(VALU_DEP_3)
	v_cndmask_b32_e64 v28, v28, v15, s2
	v_cndmask_b32_e64 v29, v29, v14, s2
	v_cmp_eq_u32_e64 s2, 8, v22
	s_delay_alu instid0(VALU_DEP_3) | instskip(NEXT) | instid1(VALU_DEP_3)
	v_cndmask_b32_e64 v28, v28, v17, s1
	v_cndmask_b32_e64 v30, v29, v16, s1
	v_add_co_u32 v22, s1, v22, 1
	s_delay_alu instid0(VALU_DEP_1) | instskip(NEXT) | instid1(VALU_DEP_4)
	v_add_co_ci_u32_e64 v23, s1, 0, v23, s1
	v_cndmask_b32_e64 v29, v28, v19, s2
	s_delay_alu instid0(VALU_DEP_4) | instskip(SKIP_1) | instid1(VALU_DEP_1)
	v_cndmask_b32_e64 v28, v30, v18, s2
	s_waitcnt lgkmcnt(0)
	v_fma_f64 v[20:21], v[28:29], v[26:27], v[20:21]
	v_add_nc_u32_e32 v26, -1, v22
	s_delay_alu instid0(VALU_DEP_1) | instskip(NEXT) | instid1(VALU_DEP_1)
	v_cmp_lt_u32_e64 s1, 2, v26
	s_or_b32 s4, s1, s4
	s_delay_alu instid0(SALU_CYCLE_1)
	s_and_not1_b32 exec_lo, exec_lo, s4
	s_cbranch_execnz .LBB72_29
; %bb.30:
	s_or_b32 exec_lo, exec_lo, s4
	v_mov_b32_e32 v10, 0
	ds_load_b64 v[10:11], v10 offset:32
	s_waitcnt lgkmcnt(0)
	v_mul_f64 v[10:11], v[20:21], v[10:11]
.LBB72_31:
	s_or_b32 exec_lo, exec_lo, s3
	v_cmp_gt_u32_e64 s1, 5, v0
	s_barrier
	buffer_gl0_inv
	ds_store_b64 v24, v[12:13]
	s_waitcnt lgkmcnt(0)
	s_barrier
	buffer_gl0_inv
	s_and_saveexec_b32 s4, s1
	s_cbranch_execz .LBB72_35
; %bb.32:
	v_dual_mov_b32 v20, 0 :: v_dual_mov_b32 v23, v1
	v_lshl_add_u32 v25, v0, 3, 0x50
	v_dual_mov_b32 v21, 0 :: v_dual_mov_b32 v22, v0
	s_mov_b32 s5, 0
.LBB72_33:                              ; =>This Inner Loop Header: Depth=1
	s_delay_alu instid0(VALU_DEP_1) | instskip(SKIP_1) | instid1(VALU_DEP_2)
	v_cmp_eq_u32_e64 s2, 1, v22
	v_cmp_eq_u32_e64 s3, 2, v22
	v_cndmask_b32_e64 v26, v3, v5, s2
	v_cndmask_b32_e64 v27, v2, v4, s2
	v_cmp_eq_u32_e64 s2, 3, v22
	s_delay_alu instid0(VALU_DEP_3) | instskip(NEXT) | instid1(VALU_DEP_3)
	v_cndmask_b32_e64 v26, v26, v7, s3
	v_cndmask_b32_e64 v27, v27, v6, s3
	v_cmp_eq_u32_e64 s3, 4, v22
	s_delay_alu instid0(VALU_DEP_3) | instskip(NEXT) | instid1(VALU_DEP_3)
	;; [unrolled: 4-line block ×3, first 2 shown]
	v_cndmask_b32_e64 v28, v26, v11, s3
	v_cndmask_b32_e64 v29, v27, v10, s3
	ds_load_b64 v[26:27], v25
	v_cmp_eq_u32_e64 s3, 6, v22
	v_add_nc_u32_e32 v25, 8, v25
	v_cndmask_b32_e64 v28, v28, v13, s2
	v_cndmask_b32_e64 v29, v29, v12, s2
	v_cmp_eq_u32_e64 s2, 7, v22
	s_delay_alu instid0(VALU_DEP_3) | instskip(NEXT) | instid1(VALU_DEP_3)
	v_cndmask_b32_e64 v28, v28, v15, s3
	v_cndmask_b32_e64 v29, v29, v14, s3
	v_cmp_eq_u32_e64 s3, 8, v22
	s_delay_alu instid0(VALU_DEP_3) | instskip(NEXT) | instid1(VALU_DEP_3)
	v_cndmask_b32_e64 v28, v28, v17, s2
	v_cndmask_b32_e64 v30, v29, v16, s2
	v_add_co_u32 v22, s2, v22, 1
	s_delay_alu instid0(VALU_DEP_1) | instskip(NEXT) | instid1(VALU_DEP_4)
	v_add_co_ci_u32_e64 v23, s2, 0, v23, s2
	v_cndmask_b32_e64 v29, v28, v19, s3
	s_delay_alu instid0(VALU_DEP_4) | instskip(SKIP_1) | instid1(VALU_DEP_1)
	v_cndmask_b32_e64 v28, v30, v18, s3
	s_waitcnt lgkmcnt(0)
	v_fma_f64 v[20:21], v[28:29], v[26:27], v[20:21]
	v_add_nc_u32_e32 v26, -1, v22
	s_delay_alu instid0(VALU_DEP_1) | instskip(NEXT) | instid1(VALU_DEP_1)
	v_cmp_lt_u32_e64 s2, 3, v26
	s_or_b32 s5, s2, s5
	s_delay_alu instid0(SALU_CYCLE_1)
	s_and_not1_b32 exec_lo, exec_lo, s5
	s_cbranch_execnz .LBB72_33
; %bb.34:
	s_or_b32 exec_lo, exec_lo, s5
	v_mov_b32_e32 v12, 0
	ds_load_b64 v[12:13], v12 offset:40
	s_waitcnt lgkmcnt(0)
	v_mul_f64 v[12:13], v[20:21], v[12:13]
.LBB72_35:
	s_or_b32 exec_lo, exec_lo, s4
	s_delay_alu instid0(SALU_CYCLE_1)
	s_mov_b32 s4, exec_lo
	s_barrier
	buffer_gl0_inv
	ds_store_b64 v24, v[14:15]
	s_waitcnt lgkmcnt(0)
	s_barrier
	buffer_gl0_inv
	v_cmpx_gt_u32_e32 6, v0
	s_cbranch_execz .LBB72_39
; %bb.36:
	v_dual_mov_b32 v20, 0 :: v_dual_mov_b32 v23, v1
	v_lshl_add_u32 v25, v0, 3, 0x50
	v_dual_mov_b32 v21, 0 :: v_dual_mov_b32 v22, v0
	s_mov_b32 s5, 0
.LBB72_37:                              ; =>This Inner Loop Header: Depth=1
	s_delay_alu instid0(VALU_DEP_1) | instskip(SKIP_1) | instid1(VALU_DEP_2)
	v_cmp_eq_u32_e64 s2, 1, v22
	v_cmp_eq_u32_e64 s3, 2, v22
	v_cndmask_b32_e64 v26, v3, v5, s2
	v_cndmask_b32_e64 v27, v2, v4, s2
	v_cmp_eq_u32_e64 s2, 3, v22
	s_delay_alu instid0(VALU_DEP_3) | instskip(NEXT) | instid1(VALU_DEP_3)
	v_cndmask_b32_e64 v26, v26, v7, s3
	v_cndmask_b32_e64 v27, v27, v6, s3
	v_cmp_eq_u32_e64 s3, 4, v22
	s_delay_alu instid0(VALU_DEP_3) | instskip(NEXT) | instid1(VALU_DEP_3)
	v_cndmask_b32_e64 v26, v26, v9, s2
	v_cndmask_b32_e64 v27, v27, v8, s2
	v_cmp_eq_u32_e64 s2, 5, v22
	s_delay_alu instid0(VALU_DEP_3) | instskip(NEXT) | instid1(VALU_DEP_3)
	v_cndmask_b32_e64 v28, v26, v11, s3
	v_cndmask_b32_e64 v29, v27, v10, s3
	ds_load_b64 v[26:27], v25
	v_cmp_eq_u32_e64 s3, 6, v22
	v_add_nc_u32_e32 v25, 8, v25
	v_cndmask_b32_e64 v28, v28, v13, s2
	v_cndmask_b32_e64 v29, v29, v12, s2
	v_cmp_eq_u32_e64 s2, 7, v22
	s_delay_alu instid0(VALU_DEP_3) | instskip(NEXT) | instid1(VALU_DEP_3)
	v_cndmask_b32_e64 v28, v28, v15, s3
	v_cndmask_b32_e64 v29, v29, v14, s3
	v_cmp_eq_u32_e64 s3, 8, v22
	s_delay_alu instid0(VALU_DEP_3) | instskip(NEXT) | instid1(VALU_DEP_3)
	v_cndmask_b32_e64 v28, v28, v17, s2
	v_cndmask_b32_e64 v30, v29, v16, s2
	v_add_co_u32 v22, s2, v22, 1
	s_delay_alu instid0(VALU_DEP_1) | instskip(NEXT) | instid1(VALU_DEP_4)
	v_add_co_ci_u32_e64 v23, s2, 0, v23, s2
	v_cndmask_b32_e64 v29, v28, v19, s3
	s_delay_alu instid0(VALU_DEP_4) | instskip(SKIP_1) | instid1(VALU_DEP_1)
	v_cndmask_b32_e64 v28, v30, v18, s3
	s_waitcnt lgkmcnt(0)
	v_fma_f64 v[20:21], v[28:29], v[26:27], v[20:21]
	v_add_nc_u32_e32 v26, -1, v22
	s_delay_alu instid0(VALU_DEP_1) | instskip(NEXT) | instid1(VALU_DEP_1)
	v_cmp_lt_u32_e64 s2, 4, v26
	s_or_b32 s5, s2, s5
	s_delay_alu instid0(SALU_CYCLE_1)
	s_and_not1_b32 exec_lo, exec_lo, s5
	s_cbranch_execnz .LBB72_37
; %bb.38:
	s_or_b32 exec_lo, exec_lo, s5
	v_mov_b32_e32 v14, 0
	ds_load_b64 v[14:15], v14 offset:48
	s_waitcnt lgkmcnt(0)
	v_mul_f64 v[14:15], v[20:21], v[14:15]
.LBB72_39:
	s_or_b32 exec_lo, exec_lo, s4
	v_cmp_gt_u32_e64 s2, 7, v0
	s_barrier
	buffer_gl0_inv
	ds_store_b64 v24, v[16:17]
	s_waitcnt lgkmcnt(0)
	s_barrier
	buffer_gl0_inv
	s_and_saveexec_b32 s5, s2
	s_cbranch_execz .LBB72_43
; %bb.40:
	v_dual_mov_b32 v20, 0 :: v_dual_mov_b32 v23, v1
	v_lshl_add_u32 v25, v0, 3, 0x50
	v_dual_mov_b32 v21, 0 :: v_dual_mov_b32 v22, v0
	s_mov_b32 s6, 0
.LBB72_41:                              ; =>This Inner Loop Header: Depth=1
	s_delay_alu instid0(VALU_DEP_1) | instskip(SKIP_1) | instid1(VALU_DEP_2)
	v_cmp_eq_u32_e64 s3, 1, v22
	v_cmp_eq_u32_e64 s4, 2, v22
	v_cndmask_b32_e64 v1, v3, v5, s3
	v_cndmask_b32_e64 v26, v2, v4, s3
	v_cmp_eq_u32_e64 s3, 3, v22
	s_delay_alu instid0(VALU_DEP_3) | instskip(NEXT) | instid1(VALU_DEP_3)
	v_cndmask_b32_e64 v1, v1, v7, s4
	v_cndmask_b32_e64 v26, v26, v6, s4
	v_cmp_eq_u32_e64 s4, 4, v22
	s_delay_alu instid0(VALU_DEP_3) | instskip(NEXT) | instid1(VALU_DEP_3)
	;; [unrolled: 4-line block ×3, first 2 shown]
	v_cndmask_b32_e64 v1, v1, v11, s4
	v_cndmask_b32_e64 v28, v26, v10, s4
	ds_load_b64 v[26:27], v25
	v_cmp_eq_u32_e64 s4, 6, v22
	v_add_nc_u32_e32 v25, 8, v25
	v_cndmask_b32_e64 v1, v1, v13, s3
	v_cndmask_b32_e64 v28, v28, v12, s3
	v_cmp_eq_u32_e64 s3, 7, v22
	s_delay_alu instid0(VALU_DEP_3) | instskip(NEXT) | instid1(VALU_DEP_3)
	v_cndmask_b32_e64 v1, v1, v15, s4
	v_cndmask_b32_e64 v28, v28, v14, s4
	v_cmp_eq_u32_e64 s4, 8, v22
	s_delay_alu instid0(VALU_DEP_3) | instskip(NEXT) | instid1(VALU_DEP_3)
	v_cndmask_b32_e64 v1, v1, v17, s3
	v_cndmask_b32_e64 v28, v28, v16, s3
	v_add_co_u32 v22, s3, v22, 1
	s_delay_alu instid0(VALU_DEP_1) | instskip(NEXT) | instid1(VALU_DEP_4)
	v_add_co_ci_u32_e64 v23, s3, 0, v23, s3
	v_cndmask_b32_e64 v29, v1, v19, s4
	s_delay_alu instid0(VALU_DEP_4) | instskip(NEXT) | instid1(VALU_DEP_4)
	v_cndmask_b32_e64 v28, v28, v18, s4
	v_add_nc_u32_e32 v1, -1, v22
	s_waitcnt lgkmcnt(0)
	s_delay_alu instid0(VALU_DEP_2) | instskip(NEXT) | instid1(VALU_DEP_2)
	v_fma_f64 v[20:21], v[28:29], v[26:27], v[20:21]
	v_cmp_lt_u32_e64 s3, 5, v1
	s_delay_alu instid0(VALU_DEP_1) | instskip(NEXT) | instid1(SALU_CYCLE_1)
	s_or_b32 s6, s3, s6
	s_and_not1_b32 exec_lo, exec_lo, s6
	s_cbranch_execnz .LBB72_41
; %bb.42:
	s_or_b32 exec_lo, exec_lo, s6
	v_mov_b32_e32 v1, 0
	ds_load_b64 v[16:17], v1 offset:56
	s_waitcnt lgkmcnt(0)
	v_mul_f64 v[16:17], v[20:21], v[16:17]
.LBB72_43:
	s_or_b32 exec_lo, exec_lo, s5
	s_delay_alu instid0(SALU_CYCLE_1)
	s_mov_b32 s4, exec_lo
	s_barrier
	buffer_gl0_inv
	ds_store_b64 v24, v[18:19]
	s_waitcnt lgkmcnt(0)
	s_barrier
	buffer_gl0_inv
	v_cmpx_ne_u32_e32 8, v0
	s_cbranch_execz .LBB72_59
; %bb.44:
	v_cmp_eq_u32_e64 s3, 1, v0
	s_delay_alu instid0(VALU_DEP_1) | instskip(SKIP_2) | instid1(VALU_DEP_1)
	v_cndmask_b32_e64 v1, v3, v5, s3
	v_cndmask_b32_e64 v20, v2, v4, s3
	v_cmp_eq_u32_e64 s3, 2, v0
	v_cndmask_b32_e64 v1, v1, v7, s3
	s_delay_alu instid0(VALU_DEP_3) | instskip(SKIP_1) | instid1(VALU_DEP_1)
	v_cndmask_b32_e64 v20, v20, v6, s3
	v_cmp_eq_u32_e64 s3, 3, v0
	v_cndmask_b32_e64 v1, v1, v9, s3
	s_delay_alu instid0(VALU_DEP_3) | instskip(SKIP_1) | instid1(VALU_DEP_1)
	;; [unrolled: 4-line block ×3, first 2 shown]
	v_cndmask_b32_e64 v20, v20, v10, s3
	v_cmp_eq_u32_e64 s3, 5, v0
	v_cndmask_b32_e64 v1, v1, v13, s3
	s_delay_alu instid0(VALU_DEP_3)
	v_cndmask_b32_e64 v22, v20, v12, s3
	v_cmp_eq_u32_e64 s3, 6, v0
	ds_load_b64 v[20:21], v24
	v_cndmask_b32_e64 v1, v1, v15, s3
	v_cndmask_b32_e64 v22, v22, v14, s3
	v_cmp_eq_u32_e64 s3, 7, v0
	s_delay_alu instid0(VALU_DEP_1) | instskip(NEXT) | instid1(VALU_DEP_3)
	v_cndmask_b32_e64 v1, v1, v17, s3
	v_cndmask_b32_e64 v22, v22, v16, s3
	v_cmp_eq_u32_e64 s3, 8, v0
	s_delay_alu instid0(VALU_DEP_1) | instskip(NEXT) | instid1(VALU_DEP_3)
	v_cndmask_b32_e64 v23, v1, v19, s3
	v_cndmask_b32_e64 v22, v22, v18, s3
	s_waitcnt lgkmcnt(0)
	s_delay_alu instid0(VALU_DEP_1)
	v_fma_f64 v[20:21], v[22:23], v[20:21], 0
	s_and_saveexec_b32 s3, s2
	s_cbranch_execz .LBB72_58
; %bb.45:
	v_add_nc_u32_e32 v1, 1, v0
	s_mov_b32 s5, exec_lo
	s_delay_alu instid0(VALU_DEP_1) | instskip(NEXT) | instid1(VALU_DEP_1)
	v_cmp_eq_u32_e64 s2, 1, v1
	v_cndmask_b32_e64 v22, v3, v5, s2
	v_cndmask_b32_e64 v23, v2, v4, s2
	v_cmp_eq_u32_e64 s2, 2, v1
	s_delay_alu instid0(VALU_DEP_1) | instskip(NEXT) | instid1(VALU_DEP_3)
	v_cndmask_b32_e64 v22, v22, v7, s2
	v_cndmask_b32_e64 v23, v23, v6, s2
	v_cmp_eq_u32_e64 s2, 3, v1
	s_delay_alu instid0(VALU_DEP_1) | instskip(NEXT) | instid1(VALU_DEP_3)
	;; [unrolled: 4-line block ×4, first 2 shown]
	v_cndmask_b32_e64 v25, v22, v13, s2
	v_cndmask_b32_e64 v26, v23, v12, s2
	v_cmp_eq_u32_e64 s2, 6, v1
	ds_load_b64 v[22:23], v24 offset:8
	v_cndmask_b32_e64 v25, v25, v15, s2
	v_cndmask_b32_e64 v26, v26, v14, s2
	v_cmp_eq_u32_e64 s2, 7, v1
	s_delay_alu instid0(VALU_DEP_1) | instskip(NEXT) | instid1(VALU_DEP_3)
	v_cndmask_b32_e64 v25, v25, v17, s2
	v_cndmask_b32_e64 v27, v26, v16, s2
	v_cmp_eq_u32_e64 s2, 8, v1
	s_delay_alu instid0(VALU_DEP_1) | instskip(NEXT) | instid1(VALU_DEP_3)
	v_cndmask_b32_e64 v26, v25, v19, s2
	v_cndmask_b32_e64 v25, v27, v18, s2
	s_waitcnt lgkmcnt(0)
	s_delay_alu instid0(VALU_DEP_1)
	v_fma_f64 v[20:21], v[25:26], v[22:23], v[20:21]
	v_cmpx_ne_u32_e32 6, v0
	s_cbranch_execz .LBB72_57
; %bb.46:
	v_add_nc_u32_e32 v1, 2, v0
	s_delay_alu instid0(VALU_DEP_1) | instskip(NEXT) | instid1(VALU_DEP_1)
	v_cmp_eq_u32_e64 s2, 1, v1
	v_cndmask_b32_e64 v22, v3, v5, s2
	v_cndmask_b32_e64 v23, v2, v4, s2
	v_cmp_eq_u32_e64 s2, 2, v1
	s_delay_alu instid0(VALU_DEP_1) | instskip(NEXT) | instid1(VALU_DEP_3)
	v_cndmask_b32_e64 v22, v22, v7, s2
	v_cndmask_b32_e64 v23, v23, v6, s2
	v_cmp_eq_u32_e64 s2, 3, v1
	s_delay_alu instid0(VALU_DEP_1) | instskip(NEXT) | instid1(VALU_DEP_3)
	;; [unrolled: 4-line block ×4, first 2 shown]
	v_cndmask_b32_e64 v25, v22, v13, s2
	v_cndmask_b32_e64 v26, v23, v12, s2
	v_cmp_eq_u32_e64 s2, 6, v1
	ds_load_b64 v[22:23], v24 offset:16
	v_cndmask_b32_e64 v25, v25, v15, s2
	v_cndmask_b32_e64 v26, v26, v14, s2
	v_cmp_eq_u32_e64 s2, 7, v1
	s_delay_alu instid0(VALU_DEP_1) | instskip(NEXT) | instid1(VALU_DEP_3)
	v_cndmask_b32_e64 v25, v25, v17, s2
	v_cndmask_b32_e64 v27, v26, v16, s2
	v_cmp_eq_u32_e64 s2, 8, v1
	s_delay_alu instid0(VALU_DEP_1) | instskip(NEXT) | instid1(VALU_DEP_3)
	v_cndmask_b32_e64 v26, v25, v19, s2
	v_cndmask_b32_e64 v25, v27, v18, s2
	s_waitcnt lgkmcnt(0)
	s_delay_alu instid0(VALU_DEP_1)
	v_fma_f64 v[20:21], v[25:26], v[22:23], v[20:21]
	s_and_saveexec_b32 s2, s1
	s_cbranch_execz .LBB72_56
; %bb.47:
	v_add_nc_u32_e32 v1, 3, v0
	s_mov_b32 s6, exec_lo
	s_delay_alu instid0(VALU_DEP_1) | instskip(NEXT) | instid1(VALU_DEP_1)
	v_cmp_eq_u32_e64 s1, 1, v1
	v_cndmask_b32_e64 v22, v3, v5, s1
	v_cndmask_b32_e64 v23, v2, v4, s1
	v_cmp_eq_u32_e64 s1, 2, v1
	s_delay_alu instid0(VALU_DEP_1) | instskip(NEXT) | instid1(VALU_DEP_3)
	v_cndmask_b32_e64 v22, v22, v7, s1
	v_cndmask_b32_e64 v23, v23, v6, s1
	v_cmp_eq_u32_e64 s1, 3, v1
	s_delay_alu instid0(VALU_DEP_1) | instskip(NEXT) | instid1(VALU_DEP_3)
	;; [unrolled: 4-line block ×4, first 2 shown]
	v_cndmask_b32_e64 v25, v22, v13, s1
	v_cndmask_b32_e64 v26, v23, v12, s1
	v_cmp_eq_u32_e64 s1, 6, v1
	ds_load_b64 v[22:23], v24 offset:24
	v_cndmask_b32_e64 v25, v25, v15, s1
	v_cndmask_b32_e64 v26, v26, v14, s1
	v_cmp_eq_u32_e64 s1, 7, v1
	s_delay_alu instid0(VALU_DEP_1) | instskip(NEXT) | instid1(VALU_DEP_3)
	v_cndmask_b32_e64 v25, v25, v17, s1
	v_cndmask_b32_e64 v27, v26, v16, s1
	v_cmp_eq_u32_e64 s1, 8, v1
	s_delay_alu instid0(VALU_DEP_1) | instskip(NEXT) | instid1(VALU_DEP_3)
	v_cndmask_b32_e64 v26, v25, v19, s1
	v_cndmask_b32_e64 v25, v27, v18, s1
	s_waitcnt lgkmcnt(0)
	s_delay_alu instid0(VALU_DEP_1)
	v_fma_f64 v[20:21], v[25:26], v[22:23], v[20:21]
	v_cmpx_ne_u32_e32 4, v0
	s_cbranch_execz .LBB72_55
; %bb.48:
	v_add_nc_u32_e32 v1, 4, v0
	s_delay_alu instid0(VALU_DEP_1) | instskip(NEXT) | instid1(VALU_DEP_1)
	v_cmp_eq_u32_e64 s1, 1, v1
	v_cndmask_b32_e64 v22, v3, v5, s1
	v_cndmask_b32_e64 v23, v2, v4, s1
	v_cmp_eq_u32_e64 s1, 2, v1
	s_delay_alu instid0(VALU_DEP_1) | instskip(NEXT) | instid1(VALU_DEP_3)
	v_cndmask_b32_e64 v22, v22, v7, s1
	v_cndmask_b32_e64 v23, v23, v6, s1
	v_cmp_eq_u32_e64 s1, 3, v1
	s_delay_alu instid0(VALU_DEP_1) | instskip(NEXT) | instid1(VALU_DEP_3)
	;; [unrolled: 4-line block ×4, first 2 shown]
	v_cndmask_b32_e64 v25, v22, v13, s1
	v_cndmask_b32_e64 v26, v23, v12, s1
	v_cmp_eq_u32_e64 s1, 6, v1
	ds_load_b64 v[22:23], v24 offset:32
	v_cndmask_b32_e64 v25, v25, v15, s1
	v_cndmask_b32_e64 v26, v26, v14, s1
	v_cmp_eq_u32_e64 s1, 7, v1
	s_delay_alu instid0(VALU_DEP_1) | instskip(NEXT) | instid1(VALU_DEP_3)
	v_cndmask_b32_e64 v25, v25, v17, s1
	v_cndmask_b32_e64 v27, v26, v16, s1
	v_cmp_eq_u32_e64 s1, 8, v1
	s_delay_alu instid0(VALU_DEP_1) | instskip(NEXT) | instid1(VALU_DEP_3)
	v_cndmask_b32_e64 v26, v25, v19, s1
	v_cndmask_b32_e64 v25, v27, v18, s1
	s_waitcnt lgkmcnt(0)
	s_delay_alu instid0(VALU_DEP_1)
	v_fma_f64 v[20:21], v[25:26], v[22:23], v[20:21]
	s_and_saveexec_b32 s1, vcc_lo
	s_cbranch_execz .LBB72_54
; %bb.49:
	v_add_nc_u32_e32 v1, 5, v0
	s_mov_b32 s7, exec_lo
	s_delay_alu instid0(VALU_DEP_1) | instskip(SKIP_2) | instid1(VALU_DEP_2)
	v_cmp_eq_u32_e32 vcc_lo, 1, v1
	v_dual_cndmask_b32 v22, v3, v5 :: v_dual_cndmask_b32 v23, v2, v4
	v_cmp_eq_u32_e32 vcc_lo, 2, v1
	v_dual_cndmask_b32 v22, v22, v7 :: v_dual_cndmask_b32 v23, v23, v6
	v_cmp_eq_u32_e32 vcc_lo, 3, v1
	s_delay_alu instid0(VALU_DEP_2) | instskip(SKIP_1) | instid1(VALU_DEP_2)
	v_dual_cndmask_b32 v22, v22, v9 :: v_dual_cndmask_b32 v23, v23, v8
	v_cmp_eq_u32_e32 vcc_lo, 4, v1
	v_dual_cndmask_b32 v22, v22, v11 :: v_dual_cndmask_b32 v23, v23, v10
	v_cmp_eq_u32_e32 vcc_lo, 5, v1
	s_delay_alu instid0(VALU_DEP_2) | instskip(SKIP_4) | instid1(VALU_DEP_2)
	v_dual_cndmask_b32 v25, v22, v13 :: v_dual_cndmask_b32 v26, v23, v12
	v_cmp_eq_u32_e32 vcc_lo, 6, v1
	ds_load_b64 v[22:23], v24 offset:40
	v_dual_cndmask_b32 v25, v25, v15 :: v_dual_cndmask_b32 v26, v26, v14
	v_cmp_eq_u32_e32 vcc_lo, 7, v1
	v_cndmask_b32_e32 v25, v25, v17, vcc_lo
	s_delay_alu instid0(VALU_DEP_3) | instskip(SKIP_1) | instid1(VALU_DEP_2)
	v_cndmask_b32_e32 v27, v26, v16, vcc_lo
	v_cmp_eq_u32_e32 vcc_lo, 8, v1
	v_dual_cndmask_b32 v26, v25, v19 :: v_dual_cndmask_b32 v25, v27, v18
	s_waitcnt lgkmcnt(0)
	s_delay_alu instid0(VALU_DEP_1)
	v_fma_f64 v[20:21], v[25:26], v[22:23], v[20:21]
	v_cmpx_ne_u32_e32 2, v0
	s_cbranch_execz .LBB72_53
; %bb.50:
	v_add_nc_u32_e32 v1, 6, v0
	s_delay_alu instid0(VALU_DEP_1) | instskip(SKIP_2) | instid1(VALU_DEP_2)
	v_cmp_eq_u32_e32 vcc_lo, 1, v1
	v_dual_cndmask_b32 v22, v3, v5 :: v_dual_cndmask_b32 v23, v2, v4
	v_cmp_eq_u32_e32 vcc_lo, 2, v1
	v_dual_cndmask_b32 v22, v22, v7 :: v_dual_cndmask_b32 v23, v23, v6
	v_cmp_eq_u32_e32 vcc_lo, 3, v1
	s_delay_alu instid0(VALU_DEP_2) | instskip(SKIP_1) | instid1(VALU_DEP_2)
	v_dual_cndmask_b32 v22, v22, v9 :: v_dual_cndmask_b32 v23, v23, v8
	v_cmp_eq_u32_e32 vcc_lo, 4, v1
	v_dual_cndmask_b32 v22, v22, v11 :: v_dual_cndmask_b32 v23, v23, v10
	v_cmp_eq_u32_e32 vcc_lo, 5, v1
	s_delay_alu instid0(VALU_DEP_2) | instskip(SKIP_4) | instid1(VALU_DEP_2)
	v_dual_cndmask_b32 v25, v22, v13 :: v_dual_cndmask_b32 v26, v23, v12
	v_cmp_eq_u32_e32 vcc_lo, 6, v1
	ds_load_b64 v[22:23], v24 offset:48
	v_dual_cndmask_b32 v25, v25, v15 :: v_dual_cndmask_b32 v26, v26, v14
	v_cmp_eq_u32_e32 vcc_lo, 7, v1
	v_dual_cndmask_b32 v25, v25, v17 :: v_dual_cndmask_b32 v26, v26, v16
	v_cmp_eq_u32_e32 vcc_lo, 8, v1
	s_delay_alu instid0(VALU_DEP_2) | instskip(SKIP_1) | instid1(VALU_DEP_1)
	v_dual_cndmask_b32 v19, v25, v19 :: v_dual_cndmask_b32 v18, v26, v18
	s_waitcnt lgkmcnt(0)
	v_fma_f64 v[20:21], v[18:19], v[22:23], v[20:21]
	s_and_saveexec_b32 s8, s0
	s_cbranch_execz .LBB72_52
; %bb.51:
	ds_load_b64 v[18:19], v24 offset:56
	s_waitcnt lgkmcnt(0)
	v_fma_f64 v[20:21], v[16:17], v[18:19], v[20:21]
.LBB72_52:
	s_or_b32 exec_lo, exec_lo, s8
.LBB72_53:
	s_delay_alu instid0(SALU_CYCLE_1)
	s_or_b32 exec_lo, exec_lo, s7
.LBB72_54:
	s_delay_alu instid0(SALU_CYCLE_1)
	s_or_b32 exec_lo, exec_lo, s1
.LBB72_55:
	s_delay_alu instid0(SALU_CYCLE_1)
	s_or_b32 exec_lo, exec_lo, s6
.LBB72_56:
	s_delay_alu instid0(SALU_CYCLE_1)
	s_or_b32 exec_lo, exec_lo, s2
.LBB72_57:
	s_delay_alu instid0(SALU_CYCLE_1)
	s_or_b32 exec_lo, exec_lo, s5
.LBB72_58:
	s_delay_alu instid0(SALU_CYCLE_1)
	s_or_b32 exec_lo, exec_lo, s3
	v_mov_b32_e32 v1, 0
	ds_load_b64 v[18:19], v1 offset:64
	s_waitcnt lgkmcnt(0)
	v_mul_f64 v[18:19], v[20:21], v[18:19]
.LBB72_59:
	s_or_b32 exec_lo, exec_lo, s4
	s_barrier
	buffer_gl0_inv
	s_cbranch_execnz .LBB72_15
	s_branch .LBB72_16
.LBB72_60:
	v_lshl_add_u32 v1, v0, 3, 0x50
	s_mov_b32 s0, exec_lo
	v_cmpx_eq_u32_e32 8, v0
	s_cbranch_execz .LBB72_62
; %bb.61:
	v_dual_mov_b32 v34, 0 :: v_dual_mov_b32 v21, v3
	v_dual_mov_b32 v20, v2 :: v_dual_mov_b32 v23, v5
	;; [unrolled: 1-line block ×3, first 2 shown]
	s_delay_alu instid0(VALU_DEP_3)
	v_mov_b32_e32 v35, v34
	v_mov_b32_e32 v36, v18
	v_dual_mov_b32 v22, v4 :: v_dual_mov_b32 v25, v7
	v_dual_mov_b32 v24, v6 :: v_dual_mov_b32 v27, v9
	;; [unrolled: 1-line block ×5, first 2 shown]
	ds_store_b64 v1, v[16:17]
	v_mov_b32_e32 v2, v20
	v_dual_mov_b32 v3, v21 :: v_dual_mov_b32 v4, v22
	v_dual_mov_b32 v5, v23 :: v_dual_mov_b32 v6, v24
	;; [unrolled: 1-line block ×9, first 2 shown]
	v_mov_b32_e32 v21, v39
	v_mov_b32_e32 v22, v40
	;; [unrolled: 1-line block ×13, first 2 shown]
.LBB72_62:
	s_or_b32 exec_lo, exec_lo, s0
	v_mov_b32_e32 v34, 0
	s_waitcnt lgkmcnt(0)
	s_waitcnt_vscnt null, 0x0
	s_barrier
	buffer_gl0_inv
	s_mov_b32 s0, exec_lo
	ds_load_b64 v[20:21], v34 offset:144
	s_waitcnt lgkmcnt(0)
	v_fma_f64 v[20:21], v[18:19], v[20:21], 0
	s_delay_alu instid0(VALU_DEP_1)
	v_add_f64 v[16:17], v[16:17], -v[20:21]
	v_cmpx_lt_u32_e32 6, v0
	s_cbranch_execz .LBB72_64
; %bb.63:
	v_dual_mov_b32 v22, v2 :: v_dual_mov_b32 v23, v3
	s_delay_alu instid0(VALU_DEP_3) | instskip(NEXT) | instid1(VALU_DEP_4)
	v_dual_mov_b32 v35, v34 :: v_dual_mov_b32 v36, v16
	v_dual_mov_b32 v37, v17 :: v_dual_mov_b32 v38, v18
	;; [unrolled: 1-line block ×7, first 2 shown]
	v_mov_b32_e32 v33, v13
	ds_store_b64 v1, v[14:15]
	v_mov_b32_e32 v2, v22
	v_dual_mov_b32 v3, v23 :: v_dual_mov_b32 v4, v24
	v_dual_mov_b32 v5, v25 :: v_dual_mov_b32 v6, v26
	;; [unrolled: 1-line block ×10, first 2 shown]
	v_mov_b32_e32 v23, v43
	v_mov_b32_e32 v24, v44
	;; [unrolled: 1-line block ×11, first 2 shown]
.LBB72_64:
	s_or_b32 exec_lo, exec_lo, s0
	s_waitcnt lgkmcnt(0)
	s_barrier
	buffer_gl0_inv
	ds_load_2addr_b64 v[20:23], v34 offset0:17 offset1:18
	s_mov_b32 s0, exec_lo
	s_waitcnt lgkmcnt(0)
	v_fma_f64 v[20:21], v[16:17], v[20:21], 0
	s_delay_alu instid0(VALU_DEP_1) | instskip(NEXT) | instid1(VALU_DEP_1)
	v_fma_f64 v[20:21], v[18:19], v[22:23], v[20:21]
	v_add_f64 v[14:15], v[14:15], -v[20:21]
	v_cmpx_lt_u32_e32 5, v0
	s_cbranch_execz .LBB72_66
; %bb.65:
	v_dual_mov_b32 v30, 0 :: v_dual_mov_b32 v21, v3
	v_dual_mov_b32 v20, v2 :: v_dual_mov_b32 v23, v5
	s_delay_alu instid0(VALU_DEP_4) | instskip(NEXT) | instid1(VALU_DEP_3)
	v_dual_mov_b32 v32, v14 :: v_dual_mov_b32 v35, v17
	v_dual_mov_b32 v31, v30 :: v_dual_mov_b32 v34, v16
	;; [unrolled: 1-line block ×7, first 2 shown]
	ds_store_b64 v1, v[12:13]
	v_mov_b32_e32 v2, v20
	v_dual_mov_b32 v3, v21 :: v_dual_mov_b32 v4, v22
	v_dual_mov_b32 v5, v23 :: v_dual_mov_b32 v6, v24
	;; [unrolled: 1-line block ×9, first 2 shown]
	v_mov_b32_e32 v21, v39
	v_mov_b32_e32 v22, v40
	;; [unrolled: 1-line block ×13, first 2 shown]
.LBB72_66:
	s_or_b32 exec_lo, exec_lo, s0
	v_mov_b32_e32 v34, 0
	s_waitcnt lgkmcnt(0)
	s_barrier
	buffer_gl0_inv
	s_mov_b32 s0, exec_lo
	ds_load_b128 v[20:23], v34 offset:128
	ds_load_b64 v[24:25], v34 offset:144
	s_waitcnt lgkmcnt(1)
	v_fma_f64 v[20:21], v[14:15], v[20:21], 0
	s_delay_alu instid0(VALU_DEP_1) | instskip(SKIP_1) | instid1(VALU_DEP_1)
	v_fma_f64 v[20:21], v[16:17], v[22:23], v[20:21]
	s_waitcnt lgkmcnt(0)
	v_fma_f64 v[20:21], v[18:19], v[24:25], v[20:21]
	s_delay_alu instid0(VALU_DEP_1)
	v_add_f64 v[12:13], v[12:13], -v[20:21]
	v_cmpx_lt_u32_e32 4, v0
	s_cbranch_execz .LBB72_68
; %bb.67:
	v_dual_mov_b32 v26, v2 :: v_dual_mov_b32 v27, v3
	s_delay_alu instid0(VALU_DEP_3) | instskip(NEXT) | instid1(VALU_DEP_4)
	v_dual_mov_b32 v35, v34 :: v_dual_mov_b32 v36, v12
	v_dual_mov_b32 v37, v13 :: v_dual_mov_b32 v38, v14
	;; [unrolled: 1-line block ×7, first 2 shown]
	v_mov_b32_e32 v33, v9
	ds_store_b64 v1, v[10:11]
	v_mov_b32_e32 v2, v26
	v_dual_mov_b32 v3, v27 :: v_dual_mov_b32 v4, v28
	v_dual_mov_b32 v5, v29 :: v_dual_mov_b32 v6, v30
	;; [unrolled: 1-line block ×12, first 2 shown]
	v_mov_b32_e32 v27, v51
	v_mov_b32_e32 v28, v52
	;; [unrolled: 1-line block ×7, first 2 shown]
.LBB72_68:
	s_or_b32 exec_lo, exec_lo, s0
	s_waitcnt lgkmcnt(0)
	s_barrier
	buffer_gl0_inv
	ds_load_2addr_b64 v[20:23], v34 offset0:15 offset1:16
	ds_load_2addr_b64 v[24:27], v34 offset0:17 offset1:18
	s_mov_b32 s0, exec_lo
	s_waitcnt lgkmcnt(1)
	v_fma_f64 v[20:21], v[12:13], v[20:21], 0
	s_delay_alu instid0(VALU_DEP_1) | instskip(SKIP_1) | instid1(VALU_DEP_1)
	v_fma_f64 v[20:21], v[14:15], v[22:23], v[20:21]
	s_waitcnt lgkmcnt(0)
	v_fma_f64 v[20:21], v[16:17], v[24:25], v[20:21]
	s_delay_alu instid0(VALU_DEP_1) | instskip(NEXT) | instid1(VALU_DEP_1)
	v_fma_f64 v[20:21], v[18:19], v[26:27], v[20:21]
	v_add_f64 v[10:11], v[10:11], -v[20:21]
	v_cmpx_lt_u32_e32 3, v0
	s_cbranch_execz .LBB72_70
; %bb.69:
	v_dual_mov_b32 v26, 0 :: v_dual_mov_b32 v21, v3
	v_dual_mov_b32 v20, v2 :: v_dual_mov_b32 v23, v5
	;; [unrolled: 1-line block ×9, first 2 shown]
	ds_store_b64 v1, v[8:9]
	v_mov_b32_e32 v2, v20
	v_dual_mov_b32 v3, v21 :: v_dual_mov_b32 v4, v22
	v_dual_mov_b32 v5, v23 :: v_dual_mov_b32 v6, v24
	;; [unrolled: 1-line block ×9, first 2 shown]
	v_mov_b32_e32 v21, v39
	v_mov_b32_e32 v22, v40
	;; [unrolled: 1-line block ×13, first 2 shown]
.LBB72_70:
	s_or_b32 exec_lo, exec_lo, s0
	v_mov_b32_e32 v34, 0
	s_waitcnt lgkmcnt(0)
	s_barrier
	buffer_gl0_inv
	s_mov_b32 s0, exec_lo
	ds_load_b128 v[20:23], v34 offset:112
	ds_load_b128 v[24:27], v34 offset:128
	s_waitcnt lgkmcnt(1)
	v_fma_f64 v[20:21], v[10:11], v[20:21], 0
	s_delay_alu instid0(VALU_DEP_1) | instskip(SKIP_3) | instid1(VALU_DEP_1)
	v_fma_f64 v[20:21], v[12:13], v[22:23], v[20:21]
	ds_load_b64 v[22:23], v34 offset:144
	s_waitcnt lgkmcnt(1)
	v_fma_f64 v[20:21], v[14:15], v[24:25], v[20:21]
	v_fma_f64 v[20:21], v[16:17], v[26:27], v[20:21]
	s_waitcnt lgkmcnt(0)
	s_delay_alu instid0(VALU_DEP_1) | instskip(NEXT) | instid1(VALU_DEP_1)
	v_fma_f64 v[20:21], v[18:19], v[22:23], v[20:21]
	v_add_f64 v[8:9], v[8:9], -v[20:21]
	v_cmpx_lt_u32_e32 2, v0
	s_cbranch_execz .LBB72_72
; %bb.71:
	v_dual_mov_b32 v30, v2 :: v_dual_mov_b32 v31, v3
	s_delay_alu instid0(VALU_DEP_3) | instskip(NEXT) | instid1(VALU_DEP_4)
	v_dual_mov_b32 v35, v34 :: v_dual_mov_b32 v36, v8
	v_dual_mov_b32 v37, v9 :: v_dual_mov_b32 v38, v10
	;; [unrolled: 1-line block ×7, first 2 shown]
	v_mov_b32_e32 v33, v5
	ds_store_b64 v1, v[6:7]
	v_mov_b32_e32 v2, v30
	v_dual_mov_b32 v3, v31 :: v_dual_mov_b32 v4, v32
	v_dual_mov_b32 v5, v33 :: v_dual_mov_b32 v6, v34
	;; [unrolled: 1-line block ×14, first 2 shown]
	v_mov_b32_e32 v31, v59
	v_mov_b32_e32 v32, v60
	;; [unrolled: 1-line block ×3, first 2 shown]
.LBB72_72:
	s_or_b32 exec_lo, exec_lo, s0
	s_waitcnt lgkmcnt(0)
	s_barrier
	buffer_gl0_inv
	ds_load_2addr_b64 v[20:23], v34 offset0:13 offset1:14
	ds_load_2addr_b64 v[24:27], v34 offset0:15 offset1:16
	s_mov_b32 s0, exec_lo
	s_waitcnt lgkmcnt(1)
	v_fma_f64 v[20:21], v[8:9], v[20:21], 0
	s_delay_alu instid0(VALU_DEP_1) | instskip(SKIP_1) | instid1(VALU_DEP_1)
	v_fma_f64 v[20:21], v[10:11], v[22:23], v[20:21]
	s_waitcnt lgkmcnt(0)
	v_fma_f64 v[20:21], v[12:13], v[24:25], v[20:21]
	s_delay_alu instid0(VALU_DEP_1) | instskip(SKIP_3) | instid1(VALU_DEP_1)
	v_fma_f64 v[24:25], v[14:15], v[26:27], v[20:21]
	ds_load_2addr_b64 v[20:23], v34 offset0:17 offset1:18
	s_waitcnt lgkmcnt(0)
	v_fma_f64 v[20:21], v[16:17], v[20:21], v[24:25]
	v_fma_f64 v[20:21], v[18:19], v[22:23], v[20:21]
	s_delay_alu instid0(VALU_DEP_1)
	v_add_f64 v[6:7], v[6:7], -v[20:21]
	v_cmpx_lt_u32_e32 1, v0
	s_cbranch_execz .LBB72_74
; %bb.73:
	v_dual_mov_b32 v22, 0 :: v_dual_mov_b32 v21, v3
	s_delay_alu instid0(VALU_DEP_3)
	v_dual_mov_b32 v20, v2 :: v_dual_mov_b32 v25, v7
	v_dual_mov_b32 v34, v16 :: v_dual_mov_b32 v35, v17
	;; [unrolled: 1-line block ×8, first 2 shown]
	ds_store_b64 v1, v[4:5]
	v_mov_b32_e32 v2, v20
	v_dual_mov_b32 v3, v21 :: v_dual_mov_b32 v4, v22
	v_dual_mov_b32 v5, v23 :: v_dual_mov_b32 v6, v24
	;; [unrolled: 1-line block ×9, first 2 shown]
	v_mov_b32_e32 v21, v39
	v_mov_b32_e32 v22, v40
	v_mov_b32_e32 v23, v41
	v_mov_b32_e32 v24, v42
	v_mov_b32_e32 v25, v43
	v_mov_b32_e32 v26, v44
	v_mov_b32_e32 v27, v45
	v_mov_b32_e32 v28, v46
	v_mov_b32_e32 v29, v47
	v_mov_b32_e32 v30, v48
	v_mov_b32_e32 v31, v49
	v_mov_b32_e32 v32, v50
	v_mov_b32_e32 v33, v51
.LBB72_74:
	s_or_b32 exec_lo, exec_lo, s0
	v_mov_b32_e32 v34, 0
	s_waitcnt lgkmcnt(0)
	s_barrier
	buffer_gl0_inv
	s_mov_b32 s0, exec_lo
	ds_load_b128 v[20:23], v34 offset:96
	ds_load_b128 v[24:27], v34 offset:112
	s_waitcnt lgkmcnt(1)
	v_fma_f64 v[20:21], v[6:7], v[20:21], 0
	s_delay_alu instid0(VALU_DEP_1) | instskip(SKIP_1) | instid1(VALU_DEP_1)
	v_fma_f64 v[20:21], v[8:9], v[22:23], v[20:21]
	s_waitcnt lgkmcnt(0)
	v_fma_f64 v[20:21], v[10:11], v[24:25], v[20:21]
	s_delay_alu instid0(VALU_DEP_1) | instskip(SKIP_4) | instid1(VALU_DEP_1)
	v_fma_f64 v[24:25], v[12:13], v[26:27], v[20:21]
	ds_load_b128 v[20:23], v34 offset:128
	ds_load_b64 v[26:27], v34 offset:144
	s_waitcnt lgkmcnt(1)
	v_fma_f64 v[20:21], v[14:15], v[20:21], v[24:25]
	v_fma_f64 v[20:21], v[16:17], v[22:23], v[20:21]
	s_waitcnt lgkmcnt(0)
	s_delay_alu instid0(VALU_DEP_1) | instskip(NEXT) | instid1(VALU_DEP_1)
	v_fma_f64 v[20:21], v[18:19], v[26:27], v[20:21]
	v_add_f64 v[4:5], v[4:5], -v[20:21]
	v_cmpx_ne_u32_e32 0, v0
	s_cbranch_execz .LBB72_76
; %bb.75:
	s_delay_alu instid0(VALU_DEP_2) | instskip(NEXT) | instid1(VALU_DEP_3)
	v_dual_mov_b32 v35, v34 :: v_dual_mov_b32 v36, v4
	v_dual_mov_b32 v37, v5 :: v_dual_mov_b32 v38, v6
	v_dual_mov_b32 v39, v7 :: v_dual_mov_b32 v40, v8
	v_dual_mov_b32 v41, v9 :: v_dual_mov_b32 v42, v10
	v_dual_mov_b32 v43, v11 :: v_dual_mov_b32 v44, v12
	v_dual_mov_b32 v45, v13 :: v_dual_mov_b32 v46, v14
	v_dual_mov_b32 v47, v15 :: v_dual_mov_b32 v48, v16
	v_dual_mov_b32 v49, v17 :: v_dual_mov_b32 v50, v18
	v_mov_b32_e32 v51, v19
	ds_store_b64 v1, v[2:3]
	v_dual_mov_b32 v2, v34 :: v_dual_mov_b32 v3, v35
	v_dual_mov_b32 v4, v36 :: v_dual_mov_b32 v5, v37
	;; [unrolled: 1-line block ×16, first 2 shown]
.LBB72_76:
	s_or_b32 exec_lo, exec_lo, s0
	s_waitcnt lgkmcnt(0)
	s_barrier
	buffer_gl0_inv
	ds_load_2addr_b64 v[20:23], v34 offset0:11 offset1:12
	ds_load_2addr_b64 v[24:27], v34 offset0:13 offset1:14
	s_and_b32 vcc_lo, exec_lo, s16
	s_waitcnt lgkmcnt(1)
	v_fma_f64 v[0:1], v[4:5], v[20:21], 0
	s_delay_alu instid0(VALU_DEP_1) | instskip(SKIP_1) | instid1(VALU_DEP_1)
	v_fma_f64 v[0:1], v[6:7], v[22:23], v[0:1]
	s_waitcnt lgkmcnt(0)
	v_fma_f64 v[0:1], v[8:9], v[24:25], v[0:1]
	s_delay_alu instid0(VALU_DEP_1) | instskip(SKIP_4) | instid1(VALU_DEP_1)
	v_fma_f64 v[0:1], v[10:11], v[26:27], v[0:1]
	ds_load_2addr_b64 v[20:23], v34 offset0:15 offset1:16
	ds_load_2addr_b64 v[24:27], v34 offset0:17 offset1:18
	s_waitcnt lgkmcnt(1)
	v_fma_f64 v[0:1], v[12:13], v[20:21], v[0:1]
	v_fma_f64 v[0:1], v[14:15], v[22:23], v[0:1]
	s_waitcnt lgkmcnt(0)
	s_delay_alu instid0(VALU_DEP_1) | instskip(NEXT) | instid1(VALU_DEP_1)
	v_fma_f64 v[0:1], v[16:17], v[24:25], v[0:1]
	v_fma_f64 v[0:1], v[18:19], v[26:27], v[0:1]
	s_delay_alu instid0(VALU_DEP_1)
	v_add_f64 v[2:3], v[2:3], -v[0:1]
	s_cbranch_vccz .LBB72_94
; %bb.77:
	v_dual_mov_b32 v0, s12 :: v_dual_mov_b32 v1, s13
	s_mov_b32 s5, exec_lo
	flat_load_b32 v0, v[0:1] offset:28
	s_waitcnt vmcnt(0) lgkmcnt(0)
	v_add_nc_u32_e32 v0, -1, v0
	s_delay_alu instid0(VALU_DEP_1)
	v_cmpx_ne_u32_e32 7, v0
	s_cbranch_execz .LBB72_79
; %bb.78:
	v_cmp_eq_u32_e32 vcc_lo, 1, v0
	v_cmp_eq_u32_e64 s0, 2, v0
	v_cmp_eq_u32_e64 s1, 3, v0
	;; [unrolled: 1-line block ×4, first 2 shown]
	v_dual_cndmask_b32 v1, v2, v4 :: v_dual_cndmask_b32 v20, v3, v5
	v_cmp_eq_u32_e64 s4, 0, v0
	v_cndmask_b32_e64 v24, v7, v17, s0
	v_cndmask_b32_e64 v23, v6, v16, s0
	s_delay_alu instid0(VALU_DEP_4)
	v_cndmask_b32_e64 v1, v1, v6, s0
	v_cndmask_b32_e64 v20, v20, v7, s0
	v_cmp_eq_u32_e64 s0, 6, v0
	v_cndmask_b32_e32 v22, v5, v17, vcc_lo
	v_cndmask_b32_e64 v26, v9, v17, s1
	v_cndmask_b32_e64 v1, v1, v8, s1
	;; [unrolled: 1-line block ×4, first 2 shown]
	v_cmp_eq_u32_e64 s1, 8, v0
	v_cndmask_b32_e64 v28, v11, v17, s2
	v_cndmask_b32_e64 v1, v1, v10, s2
	;; [unrolled: 1-line block ×8, first 2 shown]
	v_cndmask_b32_e32 v21, v4, v16, vcc_lo
	v_cmp_eq_u32_e32 vcc_lo, 7, v0
	v_cndmask_b32_e64 v29, v12, v16, s3
	v_cndmask_b32_e64 v1, v1, v14, s0
	;; [unrolled: 1-line block ×7, first 2 shown]
	v_cndmask_b32_e32 v1, v1, v16, vcc_lo
	v_cndmask_b32_e32 v3, v3, v17, vcc_lo
	s_delay_alu instid0(VALU_DEP_2) | instskip(NEXT) | instid1(VALU_DEP_2)
	v_cndmask_b32_e64 v0, v1, v18, s1
	v_cndmask_b32_e64 v1, v3, v19, s1
	;; [unrolled: 1-line block ×3, first 2 shown]
	s_delay_alu instid0(VALU_DEP_2) | instskip(NEXT) | instid1(VALU_DEP_2)
	v_dual_cndmask_b32 v33, v0, v16 :: v_dual_cndmask_b32 v34, v1, v17
	v_mov_b32_e32 v2, v19
	v_dual_mov_b32 v3, v20 :: v_dual_mov_b32 v6, v23
	v_dual_mov_b32 v4, v21 :: v_dual_mov_b32 v5, v22
	;; [unrolled: 1-line block ×8, first 2 shown]
	v_mov_b32_e32 v19, v36
	v_mov_b32_e32 v20, v37
	;; [unrolled: 1-line block ×15, first 2 shown]
.LBB72_79:
	s_or_b32 exec_lo, exec_lo, s5
	v_dual_mov_b32 v0, s12 :: v_dual_mov_b32 v1, s13
	s_mov_b32 s5, exec_lo
	flat_load_b32 v0, v[0:1] offset:24
	s_waitcnt vmcnt(0) lgkmcnt(0)
	v_add_nc_u32_e32 v0, -1, v0
	s_delay_alu instid0(VALU_DEP_1)
	v_cmpx_ne_u32_e32 6, v0
	s_cbranch_execz .LBB72_81
; %bb.80:
	v_cmp_eq_u32_e32 vcc_lo, 1, v0
	v_cmp_eq_u32_e64 s0, 2, v0
	v_cmp_eq_u32_e64 s1, 3, v0
	;; [unrolled: 1-line block ×4, first 2 shown]
	v_dual_cndmask_b32 v1, v2, v4 :: v_dual_cndmask_b32 v20, v3, v5
	v_cmp_eq_u32_e64 s4, 0, v0
	v_cndmask_b32_e64 v24, v7, v15, s0
	v_cndmask_b32_e64 v23, v6, v14, s0
	s_delay_alu instid0(VALU_DEP_4)
	v_cndmask_b32_e64 v1, v1, v6, s0
	v_cndmask_b32_e64 v20, v20, v7, s0
	v_cmp_eq_u32_e64 s0, 6, v0
	v_cndmask_b32_e32 v22, v5, v15, vcc_lo
	v_cndmask_b32_e64 v26, v9, v15, s1
	v_cndmask_b32_e64 v1, v1, v8, s1
	;; [unrolled: 1-line block ×4, first 2 shown]
	v_cmp_eq_u32_e64 s1, 8, v0
	v_cndmask_b32_e64 v28, v11, v15, s2
	v_cndmask_b32_e64 v1, v1, v10, s2
	;; [unrolled: 1-line block ×8, first 2 shown]
	v_cndmask_b32_e32 v21, v4, v14, vcc_lo
	v_cmp_eq_u32_e32 vcc_lo, 7, v0
	v_cndmask_b32_e64 v29, v12, v14, s3
	v_cndmask_b32_e64 v1, v1, v14, s0
	;; [unrolled: 1-line block ×4, first 2 shown]
	v_cndmask_b32_e32 v33, v16, v14, vcc_lo
	v_cndmask_b32_e64 v35, v18, v14, s1
	v_cndmask_b32_e32 v34, v17, v15, vcc_lo
	v_cndmask_b32_e32 v1, v1, v16, vcc_lo
	;; [unrolled: 1-line block ×3, first 2 shown]
	s_delay_alu instid0(VALU_DEP_2) | instskip(NEXT) | instid1(VALU_DEP_2)
	v_cndmask_b32_e64 v0, v1, v18, s1
	v_cndmask_b32_e64 v1, v3, v19, s1
	;; [unrolled: 1-line block ×3, first 2 shown]
	s_delay_alu instid0(VALU_DEP_3) | instskip(NEXT) | instid1(VALU_DEP_3)
	v_cndmask_b32_e64 v31, v0, v14, s0
	v_cndmask_b32_e64 v32, v1, v15, s0
	s_delay_alu instid0(VALU_DEP_3)
	v_mov_b32_e32 v2, v19
	v_dual_mov_b32 v3, v20 :: v_dual_mov_b32 v4, v21
	v_dual_mov_b32 v5, v22 :: v_dual_mov_b32 v6, v23
	;; [unrolled: 1-line block ×8, first 2 shown]
	v_mov_b32_e32 v19, v36
	v_mov_b32_e32 v20, v37
	;; [unrolled: 1-line block ×15, first 2 shown]
.LBB72_81:
	s_or_b32 exec_lo, exec_lo, s5
	v_dual_mov_b32 v0, s12 :: v_dual_mov_b32 v1, s13
	s_mov_b32 s5, exec_lo
	flat_load_b32 v0, v[0:1] offset:20
	s_waitcnt vmcnt(0) lgkmcnt(0)
	v_add_nc_u32_e32 v0, -1, v0
	s_delay_alu instid0(VALU_DEP_1)
	v_cmpx_ne_u32_e32 5, v0
	s_cbranch_execz .LBB72_83
; %bb.82:
	v_cmp_eq_u32_e32 vcc_lo, 1, v0
	v_cmp_eq_u32_e64 s0, 2, v0
	v_cmp_eq_u32_e64 s1, 3, v0
	;; [unrolled: 1-line block ×4, first 2 shown]
	v_dual_cndmask_b32 v1, v2, v4 :: v_dual_cndmask_b32 v20, v3, v5
	v_cmp_eq_u32_e64 s4, 0, v0
	v_cndmask_b32_e64 v24, v7, v13, s0
	v_cndmask_b32_e64 v23, v6, v12, s0
	s_delay_alu instid0(VALU_DEP_4)
	v_cndmask_b32_e64 v1, v1, v6, s0
	v_cndmask_b32_e64 v20, v20, v7, s0
	v_cmp_eq_u32_e64 s0, 6, v0
	v_cndmask_b32_e32 v22, v5, v13, vcc_lo
	v_cndmask_b32_e64 v26, v9, v13, s1
	v_cndmask_b32_e64 v1, v1, v8, s1
	;; [unrolled: 1-line block ×4, first 2 shown]
	v_cmp_eq_u32_e64 s1, 8, v0
	v_cndmask_b32_e64 v28, v11, v13, s2
	v_cndmask_b32_e64 v1, v1, v10, s2
	;; [unrolled: 1-line block ×8, first 2 shown]
	v_cndmask_b32_e32 v21, v4, v12, vcc_lo
	v_cmp_eq_u32_e32 vcc_lo, 7, v0
	v_cndmask_b32_e64 v31, v14, v12, s0
	v_cndmask_b32_e64 v1, v1, v14, s0
	;; [unrolled: 1-line block ×4, first 2 shown]
	v_dual_cndmask_b32 v34, v17, v13 :: v_dual_cndmask_b32 v33, v16, v12
	v_cndmask_b32_e64 v35, v18, v12, s1
	v_cndmask_b32_e32 v1, v1, v16, vcc_lo
	v_cndmask_b32_e32 v3, v3, v17, vcc_lo
	s_delay_alu instid0(VALU_DEP_2) | instskip(NEXT) | instid1(VALU_DEP_2)
	v_cndmask_b32_e64 v0, v1, v18, s1
	v_cndmask_b32_e64 v1, v3, v19, s1
	;; [unrolled: 1-line block ×3, first 2 shown]
	s_delay_alu instid0(VALU_DEP_3) | instskip(NEXT) | instid1(VALU_DEP_3)
	v_cndmask_b32_e64 v29, v0, v12, s3
	v_cndmask_b32_e64 v30, v1, v13, s3
	s_delay_alu instid0(VALU_DEP_3)
	v_mov_b32_e32 v2, v19
	v_dual_mov_b32 v4, v21 :: v_dual_mov_b32 v3, v20
	v_dual_mov_b32 v6, v23 :: v_dual_mov_b32 v5, v22
	;; [unrolled: 1-line block ×8, first 2 shown]
	v_mov_b32_e32 v19, v36
	v_mov_b32_e32 v20, v37
	v_mov_b32_e32 v21, v38
	v_mov_b32_e32 v22, v39
	v_mov_b32_e32 v23, v40
	v_mov_b32_e32 v24, v41
	v_mov_b32_e32 v25, v42
	v_mov_b32_e32 v26, v43
	v_mov_b32_e32 v27, v44
	v_mov_b32_e32 v28, v45
	v_mov_b32_e32 v29, v46
	v_mov_b32_e32 v30, v47
	v_mov_b32_e32 v31, v48
	v_mov_b32_e32 v32, v49
	v_mov_b32_e32 v33, v50
.LBB72_83:
	s_or_b32 exec_lo, exec_lo, s5
	v_dual_mov_b32 v0, s12 :: v_dual_mov_b32 v1, s13
	s_mov_b32 s5, exec_lo
	flat_load_b32 v0, v[0:1] offset:16
	s_waitcnt vmcnt(0) lgkmcnt(0)
	v_add_nc_u32_e32 v0, -1, v0
	s_delay_alu instid0(VALU_DEP_1)
	v_cmpx_ne_u32_e32 4, v0
	s_cbranch_execz .LBB72_85
; %bb.84:
	v_cmp_eq_u32_e32 vcc_lo, 1, v0
	v_cmp_eq_u32_e64 s0, 2, v0
	v_cmp_eq_u32_e64 s1, 3, v0
	;; [unrolled: 1-line block ×4, first 2 shown]
	v_dual_cndmask_b32 v1, v2, v4 :: v_dual_cndmask_b32 v20, v3, v5
	v_cmp_eq_u32_e64 s4, 0, v0
	v_cndmask_b32_e64 v24, v7, v11, s0
	v_cndmask_b32_e64 v23, v6, v10, s0
	s_delay_alu instid0(VALU_DEP_4)
	v_cndmask_b32_e64 v1, v1, v6, s0
	v_cndmask_b32_e64 v20, v20, v7, s0
	v_cmp_eq_u32_e64 s0, 6, v0
	v_cndmask_b32_e32 v22, v5, v11, vcc_lo
	v_cndmask_b32_e64 v26, v9, v11, s1
	v_cndmask_b32_e64 v1, v1, v8, s1
	;; [unrolled: 1-line block ×4, first 2 shown]
	v_cmp_eq_u32_e64 s1, 8, v0
	v_cndmask_b32_e64 v30, v13, v11, s3
	v_cndmask_b32_e64 v1, v1, v10, s2
	;; [unrolled: 1-line block ×8, first 2 shown]
	v_cndmask_b32_e32 v21, v4, v10, vcc_lo
	v_cmp_eq_u32_e32 vcc_lo, 7, v0
	v_cndmask_b32_e64 v31, v14, v10, s0
	v_cndmask_b32_e64 v1, v1, v14, s0
	;; [unrolled: 1-line block ×4, first 2 shown]
	v_cndmask_b32_e32 v33, v16, v10, vcc_lo
	v_cndmask_b32_e64 v35, v18, v10, s1
	v_cndmask_b32_e32 v34, v17, v11, vcc_lo
	v_cndmask_b32_e32 v1, v1, v16, vcc_lo
	;; [unrolled: 1-line block ×3, first 2 shown]
	s_delay_alu instid0(VALU_DEP_2) | instskip(NEXT) | instid1(VALU_DEP_2)
	v_cndmask_b32_e64 v0, v1, v18, s1
	v_cndmask_b32_e64 v1, v3, v19, s1
	;; [unrolled: 1-line block ×3, first 2 shown]
	s_delay_alu instid0(VALU_DEP_3) | instskip(NEXT) | instid1(VALU_DEP_3)
	v_cndmask_b32_e64 v27, v0, v10, s2
	v_cndmask_b32_e64 v28, v1, v11, s2
	s_delay_alu instid0(VALU_DEP_3)
	v_mov_b32_e32 v2, v19
	v_dual_mov_b32 v3, v20 :: v_dual_mov_b32 v4, v21
	v_dual_mov_b32 v5, v22 :: v_dual_mov_b32 v6, v23
	;; [unrolled: 1-line block ×8, first 2 shown]
	v_mov_b32_e32 v19, v36
	v_mov_b32_e32 v20, v37
	;; [unrolled: 1-line block ×15, first 2 shown]
.LBB72_85:
	s_or_b32 exec_lo, exec_lo, s5
	v_dual_mov_b32 v0, s12 :: v_dual_mov_b32 v1, s13
	s_mov_b32 s5, exec_lo
	flat_load_b32 v0, v[0:1] offset:12
	s_waitcnt vmcnt(0) lgkmcnt(0)
	v_add_nc_u32_e32 v0, -1, v0
	s_delay_alu instid0(VALU_DEP_1)
	v_cmpx_ne_u32_e32 3, v0
	s_cbranch_execz .LBB72_87
; %bb.86:
	v_cmp_eq_u32_e32 vcc_lo, 1, v0
	v_cmp_eq_u32_e64 s0, 2, v0
	v_cmp_eq_u32_e64 s1, 3, v0
	;; [unrolled: 1-line block ×4, first 2 shown]
	v_dual_cndmask_b32 v1, v2, v4 :: v_dual_cndmask_b32 v20, v3, v5
	v_cmp_eq_u32_e64 s4, 0, v0
	v_cndmask_b32_e64 v24, v7, v9, s0
	v_cndmask_b32_e64 v23, v6, v8, s0
	s_delay_alu instid0(VALU_DEP_4)
	v_cndmask_b32_e64 v1, v1, v6, s0
	v_cndmask_b32_e64 v20, v20, v7, s0
	v_cmp_eq_u32_e64 s0, 6, v0
	v_cndmask_b32_e32 v22, v5, v9, vcc_lo
	v_cndmask_b32_e64 v28, v11, v9, s2
	v_cndmask_b32_e64 v1, v1, v8, s1
	;; [unrolled: 1-line block ×9, first 2 shown]
	v_cmp_eq_u32_e64 s2, 8, v0
	v_cndmask_b32_e64 v32, v15, v9, s0
	v_cndmask_b32_e64 v1, v1, v12, s3
	;; [unrolled: 1-line block ×3, first 2 shown]
	v_cndmask_b32_e32 v21, v4, v8, vcc_lo
	v_cmp_eq_u32_e32 vcc_lo, 7, v0
	v_cndmask_b32_e64 v31, v14, v8, s0
	v_cndmask_b32_e64 v1, v1, v14, s0
	;; [unrolled: 1-line block ×4, first 2 shown]
	v_dual_cndmask_b32 v34, v17, v9 :: v_dual_cndmask_b32 v33, v16, v8
	v_cndmask_b32_e64 v35, v18, v8, s2
	v_cndmask_b32_e32 v1, v1, v16, vcc_lo
	v_cndmask_b32_e32 v3, v3, v17, vcc_lo
	s_delay_alu instid0(VALU_DEP_2) | instskip(NEXT) | instid1(VALU_DEP_2)
	v_cndmask_b32_e64 v0, v1, v18, s2
	v_cndmask_b32_e64 v1, v3, v19, s2
	;; [unrolled: 1-line block ×3, first 2 shown]
	s_delay_alu instid0(VALU_DEP_3) | instskip(NEXT) | instid1(VALU_DEP_3)
	v_cndmask_b32_e64 v25, v0, v8, s1
	v_cndmask_b32_e64 v26, v1, v9, s1
	s_delay_alu instid0(VALU_DEP_3)
	v_mov_b32_e32 v2, v19
	v_dual_mov_b32 v4, v21 :: v_dual_mov_b32 v3, v20
	v_dual_mov_b32 v6, v23 :: v_dual_mov_b32 v5, v22
	v_dual_mov_b32 v8, v25 :: v_dual_mov_b32 v7, v24
	v_dual_mov_b32 v10, v27 :: v_dual_mov_b32 v9, v26
	v_dual_mov_b32 v12, v29 :: v_dual_mov_b32 v11, v28
	v_dual_mov_b32 v14, v31 :: v_dual_mov_b32 v13, v30
	v_dual_mov_b32 v16, v33 :: v_dual_mov_b32 v15, v32
	v_dual_mov_b32 v18, v35 :: v_dual_mov_b32 v17, v34
	v_mov_b32_e32 v19, v36
	v_mov_b32_e32 v20, v37
	;; [unrolled: 1-line block ×15, first 2 shown]
.LBB72_87:
	s_or_b32 exec_lo, exec_lo, s5
	v_dual_mov_b32 v0, s12 :: v_dual_mov_b32 v1, s13
	s_mov_b32 s5, exec_lo
	flat_load_b32 v0, v[0:1] offset:8
	s_waitcnt vmcnt(0) lgkmcnt(0)
	v_add_nc_u32_e32 v0, -1, v0
	s_delay_alu instid0(VALU_DEP_1)
	v_cmpx_ne_u32_e32 2, v0
	s_cbranch_execz .LBB72_89
; %bb.88:
	v_cmp_eq_u32_e32 vcc_lo, 1, v0
	v_cmp_eq_u32_e64 s0, 2, v0
	v_cmp_eq_u32_e64 s1, 3, v0
	;; [unrolled: 1-line block ×4, first 2 shown]
	v_dual_cndmask_b32 v1, v2, v4 :: v_dual_cndmask_b32 v20, v3, v5
	v_cmp_eq_u32_e64 s4, 0, v0
	v_dual_cndmask_b32 v22, v5, v7 :: v_dual_cndmask_b32 v21, v4, v6
	s_delay_alu instid0(VALU_DEP_3) | instskip(NEXT) | instid1(VALU_DEP_4)
	v_cndmask_b32_e64 v1, v1, v6, s0
	v_cndmask_b32_e64 v20, v20, v7, s0
	v_cmp_eq_u32_e32 vcc_lo, 6, v0
	v_cndmask_b32_e64 v26, v9, v7, s1
	v_cndmask_b32_e64 v25, v8, v6, s1
	;; [unrolled: 1-line block ×5, first 2 shown]
	v_cmp_eq_u32_e64 s1, 7, v0
	v_cndmask_b32_e64 v27, v10, v6, s2
	v_cndmask_b32_e64 v1, v1, v10, s2
	;; [unrolled: 1-line block ×4, first 2 shown]
	v_cmp_eq_u32_e64 s2, 8, v0
	v_cndmask_b32_e64 v34, v17, v7, s1
	v_cndmask_b32_e64 v1, v1, v12, s3
	;; [unrolled: 1-line block ×6, first 2 shown]
	v_dual_cndmask_b32 v1, v1, v14 :: v_dual_cndmask_b32 v32, v15, v7
	v_cndmask_b32_e32 v3, v3, v15, vcc_lo
	v_cndmask_b32_e64 v29, v12, v6, s3
	v_cndmask_b32_e32 v31, v14, v6, vcc_lo
	s_delay_alu instid0(VALU_DEP_4) | instskip(SKIP_2) | instid1(VALU_DEP_3)
	v_cndmask_b32_e64 v1, v1, v16, s1
	v_cndmask_b32_e64 v33, v16, v6, s1
	;; [unrolled: 1-line block ×4, first 2 shown]
	s_delay_alu instid0(VALU_DEP_2) | instskip(SKIP_1) | instid1(VALU_DEP_3)
	v_cndmask_b32_e64 v1, v3, v19, s2
	v_cndmask_b32_e64 v19, v2, v6, s4
	;; [unrolled: 1-line block ×3, first 2 shown]
	s_delay_alu instid0(VALU_DEP_3) | instskip(NEXT) | instid1(VALU_DEP_3)
	v_cndmask_b32_e64 v24, v1, v7, s0
	v_mov_b32_e32 v2, v19
	v_dual_mov_b32 v4, v21 :: v_dual_mov_b32 v3, v20
	s_delay_alu instid0(VALU_DEP_4) | instskip(NEXT) | instid1(VALU_DEP_4)
	v_dual_mov_b32 v6, v23 :: v_dual_mov_b32 v5, v22
	v_dual_mov_b32 v8, v25 :: v_dual_mov_b32 v7, v24
	;; [unrolled: 1-line block ×7, first 2 shown]
	v_mov_b32_e32 v19, v36
	v_mov_b32_e32 v20, v37
	;; [unrolled: 1-line block ×15, first 2 shown]
.LBB72_89:
	s_or_b32 exec_lo, exec_lo, s5
	v_dual_mov_b32 v0, s12 :: v_dual_mov_b32 v1, s13
	s_mov_b32 s5, exec_lo
	flat_load_b32 v0, v[0:1] offset:4
	s_waitcnt vmcnt(0) lgkmcnt(0)
	v_add_nc_u32_e32 v0, -1, v0
	s_delay_alu instid0(VALU_DEP_1)
	v_cmpx_ne_u32_e32 1, v0
	s_cbranch_execz .LBB72_91
; %bb.90:
	v_cmp_eq_u32_e32 vcc_lo, 1, v0
	v_cmp_eq_u32_e64 s0, 2, v0
	v_cmp_eq_u32_e64 s1, 3, v0
	;; [unrolled: 1-line block ×4, first 2 shown]
	v_dual_cndmask_b32 v1, v2, v4 :: v_dual_cndmask_b32 v20, v3, v5
	v_cmp_eq_u32_e64 s4, 0, v0
	v_cndmask_b32_e64 v24, v7, v5, s0
	v_cndmask_b32_e64 v23, v6, v4, s0
	s_delay_alu instid0(VALU_DEP_4)
	v_cndmask_b32_e64 v1, v1, v6, s0
	v_cndmask_b32_e64 v20, v20, v7, s0
	v_cmp_eq_u32_e64 s0, 6, v0
	v_cndmask_b32_e64 v26, v9, v5, s1
	v_cndmask_b32_e64 v25, v8, v4, s1
	;; [unrolled: 1-line block ×4, first 2 shown]
	v_cmp_eq_u32_e64 s1, 7, v0
	v_cndmask_b32_e64 v28, v11, v5, s2
	v_cndmask_b32_e64 v27, v10, v4, s2
	;; [unrolled: 1-line block ×5, first 2 shown]
	v_cmp_eq_u32_e64 s2, 8, v0
	v_cndmask_b32_e64 v34, v17, v5, s1
	v_cndmask_b32_e64 v1, v1, v12, s3
	;; [unrolled: 1-line block ×14, first 2 shown]
	s_delay_alu instid0(VALU_DEP_3) | instskip(NEXT) | instid1(VALU_DEP_3)
	v_cndmask_b32_e64 v0, v1, v18, s2
	v_cndmask_b32_e64 v1, v3, v19, s2
	v_cndmask_b32_e64 v19, v2, v4, s4
	s_delay_alu instid0(VALU_DEP_2) | instskip(NEXT) | instid1(VALU_DEP_2)
	v_dual_cndmask_b32 v21, v0, v4 :: v_dual_cndmask_b32 v22, v1, v5
	v_mov_b32_e32 v2, v19
	s_delay_alu instid0(VALU_DEP_2) | instskip(NEXT) | instid1(VALU_DEP_3)
	v_dual_mov_b32 v3, v20 :: v_dual_mov_b32 v4, v21
	v_dual_mov_b32 v5, v22 :: v_dual_mov_b32 v6, v23
	v_dual_mov_b32 v7, v24 :: v_dual_mov_b32 v8, v25
	v_dual_mov_b32 v9, v26 :: v_dual_mov_b32 v10, v27
	v_dual_mov_b32 v11, v28 :: v_dual_mov_b32 v12, v29
	v_dual_mov_b32 v13, v30 :: v_dual_mov_b32 v14, v31
	v_dual_mov_b32 v15, v32 :: v_dual_mov_b32 v16, v33
	v_dual_mov_b32 v17, v34 :: v_dual_mov_b32 v18, v35
	v_mov_b32_e32 v19, v36
	v_mov_b32_e32 v20, v37
	;; [unrolled: 1-line block ×15, first 2 shown]
.LBB72_91:
	s_or_b32 exec_lo, exec_lo, s5
	v_dual_mov_b32 v0, s12 :: v_dual_mov_b32 v1, s13
	s_mov_b32 s4, exec_lo
	flat_load_b32 v0, v[0:1]
	s_waitcnt vmcnt(0) lgkmcnt(0)
	v_add_nc_u32_e32 v0, -1, v0
	s_delay_alu instid0(VALU_DEP_1)
	v_cmpx_ne_u32_e32 0, v0
	s_cbranch_execz .LBB72_93
; %bb.92:
	v_cmp_eq_u32_e32 vcc_lo, 1, v0
	v_cmp_eq_u32_e64 s0, 2, v0
	v_cmp_eq_u32_e64 s1, 3, v0
	;; [unrolled: 1-line block ×4, first 2 shown]
	v_dual_cndmask_b32 v1, v2, v4 :: v_dual_cndmask_b32 v20, v3, v5
	v_cndmask_b32_e64 v22, v7, v3, s0
	v_cndmask_b32_e64 v21, v6, v2, s0
	;; [unrolled: 1-line block ×3, first 2 shown]
	s_delay_alu instid0(VALU_DEP_4)
	v_cndmask_b32_e64 v1, v1, v6, s0
	v_cndmask_b32_e64 v20, v20, v7, s0
	v_cmp_eq_u32_e64 s0, 6, v0
	v_cndmask_b32_e64 v26, v11, v3, s2
	v_cndmask_b32_e64 v25, v10, v2, s2
	;; [unrolled: 1-line block ×9, first 2 shown]
	v_cndmask_b32_e32 v20, v5, v3, vcc_lo
	v_cmp_eq_u32_e64 s2, 8, v0
	v_cndmask_b32_e64 v27, v12, v2, s3
	v_cndmask_b32_e64 v1, v1, v12, s3
	;; [unrolled: 1-line block ×4, first 2 shown]
	v_cmp_eq_u32_e64 s1, 7, v0
	v_cndmask_b32_e64 v34, v19, v3, s2
	v_cndmask_b32_e64 v1, v1, v14, s0
	;; [unrolled: 1-line block ×3, first 2 shown]
	v_cmp_eq_u32_e64 s0, 0, v0
	v_cndmask_b32_e64 v32, v17, v3, s1
	v_cndmask_b32_e64 v31, v16, v2, s1
	;; [unrolled: 1-line block ×5, first 2 shown]
	s_delay_alu instid0(VALU_DEP_3) | instskip(NEXT) | instid1(VALU_DEP_3)
	v_cndmask_b32_e64 v1, v1, v18, s2
	v_cndmask_b32_e64 v5, v5, v19, s2
	v_cndmask_b32_e32 v19, v4, v2, vcc_lo
	s_delay_alu instid0(VALU_DEP_3) | instskip(NEXT) | instid1(VALU_DEP_3)
	v_cndmask_b32_e64 v17, v1, v2, s0
	v_cndmask_b32_e64 v18, v5, v3, s0
	s_delay_alu instid0(VALU_DEP_2) | instskip(NEXT) | instid1(VALU_DEP_2)
	v_mov_b32_e32 v2, v17
	v_dual_mov_b32 v3, v18 :: v_dual_mov_b32 v4, v19
	v_dual_mov_b32 v5, v20 :: v_dual_mov_b32 v6, v21
	;; [unrolled: 1-line block ×7, first 2 shown]
	v_mov_b32_e32 v17, v32
	v_mov_b32_e32 v18, v33
	;; [unrolled: 1-line block ×17, first 2 shown]
.LBB72_93:
	s_or_b32 exec_lo, exec_lo, s4
.LBB72_94:
	s_clause 0x8
	global_store_b64 v[52:53], v[2:3], off
	global_store_b64 v[54:55], v[4:5], off
	;; [unrolled: 1-line block ×9, first 2 shown]
	s_nop 0
	s_sendmsg sendmsg(MSG_DEALLOC_VGPRS)
	s_endpgm
	.section	.rodata,"a",@progbits
	.p2align	6, 0x0
	.amdhsa_kernel _ZN9rocsolver6v33100L18getri_kernel_smallILi9EdPKPdEEvT1_iilPiilS6_bb
		.amdhsa_group_segment_fixed_size 152
		.amdhsa_private_segment_fixed_size 0
		.amdhsa_kernarg_size 60
		.amdhsa_user_sgpr_count 15
		.amdhsa_user_sgpr_dispatch_ptr 0
		.amdhsa_user_sgpr_queue_ptr 0
		.amdhsa_user_sgpr_kernarg_segment_ptr 1
		.amdhsa_user_sgpr_dispatch_id 0
		.amdhsa_user_sgpr_private_segment_size 0
		.amdhsa_wavefront_size32 1
		.amdhsa_uses_dynamic_stack 0
		.amdhsa_enable_private_segment 0
		.amdhsa_system_sgpr_workgroup_id_x 1
		.amdhsa_system_sgpr_workgroup_id_y 0
		.amdhsa_system_sgpr_workgroup_id_z 0
		.amdhsa_system_sgpr_workgroup_info 0
		.amdhsa_system_vgpr_workitem_id 0
		.amdhsa_next_free_vgpr 70
		.amdhsa_next_free_sgpr 17
		.amdhsa_reserve_vcc 1
		.amdhsa_float_round_mode_32 0
		.amdhsa_float_round_mode_16_64 0
		.amdhsa_float_denorm_mode_32 3
		.amdhsa_float_denorm_mode_16_64 3
		.amdhsa_dx10_clamp 1
		.amdhsa_ieee_mode 1
		.amdhsa_fp16_overflow 0
		.amdhsa_workgroup_processor_mode 1
		.amdhsa_memory_ordered 1
		.amdhsa_forward_progress 0
		.amdhsa_shared_vgpr_count 0
		.amdhsa_exception_fp_ieee_invalid_op 0
		.amdhsa_exception_fp_denorm_src 0
		.amdhsa_exception_fp_ieee_div_zero 0
		.amdhsa_exception_fp_ieee_overflow 0
		.amdhsa_exception_fp_ieee_underflow 0
		.amdhsa_exception_fp_ieee_inexact 0
		.amdhsa_exception_int_div_zero 0
	.end_amdhsa_kernel
	.section	.text._ZN9rocsolver6v33100L18getri_kernel_smallILi9EdPKPdEEvT1_iilPiilS6_bb,"axG",@progbits,_ZN9rocsolver6v33100L18getri_kernel_smallILi9EdPKPdEEvT1_iilPiilS6_bb,comdat
.Lfunc_end72:
	.size	_ZN9rocsolver6v33100L18getri_kernel_smallILi9EdPKPdEEvT1_iilPiilS6_bb, .Lfunc_end72-_ZN9rocsolver6v33100L18getri_kernel_smallILi9EdPKPdEEvT1_iilPiilS6_bb
                                        ; -- End function
	.section	.AMDGPU.csdata,"",@progbits
; Kernel info:
; codeLenInByte = 12168
; NumSgprs: 19
; NumVgprs: 70
; ScratchSize: 0
; MemoryBound: 0
; FloatMode: 240
; IeeeMode: 1
; LDSByteSize: 152 bytes/workgroup (compile time only)
; SGPRBlocks: 2
; VGPRBlocks: 8
; NumSGPRsForWavesPerEU: 19
; NumVGPRsForWavesPerEU: 70
; Occupancy: 16
; WaveLimiterHint : 1
; COMPUTE_PGM_RSRC2:SCRATCH_EN: 0
; COMPUTE_PGM_RSRC2:USER_SGPR: 15
; COMPUTE_PGM_RSRC2:TRAP_HANDLER: 0
; COMPUTE_PGM_RSRC2:TGID_X_EN: 1
; COMPUTE_PGM_RSRC2:TGID_Y_EN: 0
; COMPUTE_PGM_RSRC2:TGID_Z_EN: 0
; COMPUTE_PGM_RSRC2:TIDIG_COMP_CNT: 0
	.section	.text._ZN9rocsolver6v33100L18getri_kernel_smallILi10EdPKPdEEvT1_iilPiilS6_bb,"axG",@progbits,_ZN9rocsolver6v33100L18getri_kernel_smallILi10EdPKPdEEvT1_iilPiilS6_bb,comdat
	.globl	_ZN9rocsolver6v33100L18getri_kernel_smallILi10EdPKPdEEvT1_iilPiilS6_bb ; -- Begin function _ZN9rocsolver6v33100L18getri_kernel_smallILi10EdPKPdEEvT1_iilPiilS6_bb
	.p2align	8
	.type	_ZN9rocsolver6v33100L18getri_kernel_smallILi10EdPKPdEEvT1_iilPiilS6_bb,@function
_ZN9rocsolver6v33100L18getri_kernel_smallILi10EdPKPdEEvT1_iilPiilS6_bb: ; @_ZN9rocsolver6v33100L18getri_kernel_smallILi10EdPKPdEEvT1_iilPiilS6_bb
; %bb.0:
	s_mov_b32 s2, exec_lo
	v_cmpx_gt_u32_e32 10, v0
	s_cbranch_execz .LBB73_16
; %bb.1:
	s_clause 0x1
	s_load_b32 s4, s[0:1], 0x38
	s_load_b64 s[2:3], s[0:1], 0x0
	s_mov_b32 s14, s15
	s_load_b128 s[8:11], s[0:1], 0x28
                                        ; implicit-def: $sgpr12_sgpr13
	s_waitcnt lgkmcnt(0)
	s_bitcmp1_b32 s4, 8
	s_cselect_b32 s16, -1, 0
	s_ashr_i32 s15, s15, 31
	s_delay_alu instid0(SALU_CYCLE_1) | instskip(NEXT) | instid1(SALU_CYCLE_1)
	s_lshl_b64 s[6:7], s[14:15], 3
	s_add_u32 s2, s2, s6
	s_addc_u32 s3, s3, s7
	s_bfe_u32 s5, s4, 0x10008
	s_load_b64 s[2:3], s[2:3], 0x0
	s_cmp_eq_u32 s5, 0
	s_cbranch_scc1 .LBB73_3
; %bb.2:
	s_clause 0x1
	s_load_b32 s6, s[0:1], 0x20
	s_load_b64 s[12:13], s[0:1], 0x18
	s_mul_i32 s5, s14, s9
	s_mul_hi_u32 s7, s14, s8
	s_mul_i32 s9, s15, s8
	s_add_i32 s5, s7, s5
	s_mul_i32 s8, s14, s8
	s_add_i32 s9, s5, s9
	s_delay_alu instid0(SALU_CYCLE_1)
	s_lshl_b64 s[8:9], s[8:9], 2
	s_waitcnt lgkmcnt(0)
	s_ashr_i32 s7, s6, 31
	s_add_u32 s5, s12, s8
	s_addc_u32 s8, s13, s9
	s_lshl_b64 s[6:7], s[6:7], 2
	s_delay_alu instid0(SALU_CYCLE_1)
	s_add_u32 s12, s5, s6
	s_addc_u32 s13, s8, s7
.LBB73_3:
	s_load_b64 s[0:1], s[0:1], 0x8
	v_lshlrev_b32_e32 v24, 3, v0
	s_waitcnt lgkmcnt(0)
	v_add3_u32 v1, s1, s1, v0
	s_ashr_i32 s7, s0, 31
	s_mov_b32 s6, s0
	s_mov_b32 s8, s1
	s_lshl_b64 s[6:7], s[6:7], 3
	v_add_nc_u32_e32 v3, s1, v1
	v_ashrrev_i32_e32 v2, 31, v1
	s_add_u32 s2, s2, s6
	s_addc_u32 s3, s3, s7
	v_add_co_u32 v52, s0, s2, v24
	v_add_nc_u32_e32 v5, s1, v3
	s_ashr_i32 s9, s1, 31
	v_add_co_ci_u32_e64 v53, null, s3, 0, s0
	v_lshlrev_b64 v[1:2], 3, v[1:2]
	s_lshl_b64 s[6:7], s[8:9], 3
	v_ashrrev_i32_e32 v6, 31, v5
	v_add_co_u32 v54, vcc_lo, v52, s6
	v_add_nc_u32_e32 v7, s1, v5
	v_ashrrev_i32_e32 v4, 31, v3
	v_add_co_ci_u32_e32 v55, vcc_lo, s7, v53, vcc_lo
	v_add_co_u32 v56, vcc_lo, s2, v1
	v_add_co_ci_u32_e32 v57, vcc_lo, s3, v2, vcc_lo
	v_lshlrev_b64 v[1:2], 3, v[5:6]
	v_add_nc_u32_e32 v5, s1, v7
	v_lshlrev_b64 v[3:4], 3, v[3:4]
	v_ashrrev_i32_e32 v8, 31, v7
	s_bitcmp0_b32 s4, 0
	s_mov_b32 s0, -1
	v_add_nc_u32_e32 v14, s1, v5
	v_ashrrev_i32_e32 v6, 31, v5
	v_add_co_u32 v58, vcc_lo, s2, v3
	v_lshlrev_b64 v[12:13], 3, v[7:8]
	v_add_co_ci_u32_e32 v59, vcc_lo, s3, v4, vcc_lo
	v_add_co_u32 v60, vcc_lo, s2, v1
	v_ashrrev_i32_e32 v15, 31, v14
	v_add_nc_u32_e32 v16, s1, v14
	v_add_co_ci_u32_e32 v61, vcc_lo, s3, v2, vcc_lo
	v_add_co_u32 v62, vcc_lo, s2, v12
	v_lshlrev_b64 v[1:2], 3, v[5:6]
	v_add_co_ci_u32_e32 v63, vcc_lo, s3, v13, vcc_lo
	v_lshlrev_b64 v[12:13], 3, v[14:15]
	v_add_nc_u32_e32 v14, s1, v16
	v_ashrrev_i32_e32 v17, 31, v16
	v_add_co_u32 v70, vcc_lo, s2, v1
	v_add_co_ci_u32_e32 v71, vcc_lo, s3, v2, vcc_lo
	s_delay_alu instid0(VALU_DEP_4) | instskip(NEXT) | instid1(VALU_DEP_4)
	v_ashrrev_i32_e32 v15, 31, v14
	v_lshlrev_b64 v[1:2], 3, v[16:17]
	v_add_co_u32 v66, vcc_lo, s2, v12
	v_add_co_ci_u32_e32 v67, vcc_lo, s3, v13, vcc_lo
	s_delay_alu instid0(VALU_DEP_4) | instskip(NEXT) | instid1(VALU_DEP_4)
	v_lshlrev_b64 v[12:13], 3, v[14:15]
	v_add_co_u32 v68, vcc_lo, s2, v1
	v_mov_b32_e32 v1, 0
	v_add_co_ci_u32_e32 v69, vcc_lo, s3, v2, vcc_lo
	s_delay_alu instid0(VALU_DEP_4)
	v_add_co_u32 v64, vcc_lo, s2, v12
	s_clause 0x3
	global_load_b64 v[4:5], v[54:55], off
	global_load_b64 v[6:7], v[56:57], off
	;; [unrolled: 1-line block ×4, first 2 shown]
	v_add_co_ci_u32_e32 v65, vcc_lo, s3, v13, vcc_lo
	s_clause 0x5
	global_load_b64 v[12:13], v[62:63], off
	global_load_b64 v[14:15], v[70:71], off
	;; [unrolled: 1-line block ×4, first 2 shown]
	global_load_b64 v[2:3], v24, s[2:3]
	global_load_b64 v[20:21], v[64:65], off
	s_cbranch_scc1 .LBB73_14
; %bb.4:
	v_cmp_eq_u32_e64 s0, 0, v0
	s_delay_alu instid0(VALU_DEP_1)
	s_and_saveexec_b32 s1, s0
	s_cbranch_execz .LBB73_6
; %bb.5:
	v_mov_b32_e32 v22, 0
	ds_store_b32 v22, v22 offset:160
.LBB73_6:
	s_or_b32 exec_lo, exec_lo, s1
	v_cmp_eq_u32_e32 vcc_lo, 1, v0
	s_mov_b32 s2, exec_lo
	s_waitcnt vmcnt(0) lgkmcnt(0)
	s_barrier
	buffer_gl0_inv
	v_dual_cndmask_b32 v22, v3, v5 :: v_dual_cndmask_b32 v23, v2, v4
	v_cmp_eq_u32_e32 vcc_lo, 2, v0
	s_delay_alu instid0(VALU_DEP_2) | instskip(SKIP_1) | instid1(VALU_DEP_2)
	v_dual_cndmask_b32 v22, v22, v7 :: v_dual_cndmask_b32 v23, v23, v6
	v_cmp_eq_u32_e32 vcc_lo, 3, v0
	v_dual_cndmask_b32 v22, v22, v9 :: v_dual_cndmask_b32 v23, v23, v8
	v_cmp_eq_u32_e32 vcc_lo, 4, v0
	s_delay_alu instid0(VALU_DEP_2) | instskip(SKIP_1) | instid1(VALU_DEP_2)
	v_dual_cndmask_b32 v22, v22, v11 :: v_dual_cndmask_b32 v23, v23, v10
	v_cmp_eq_u32_e32 vcc_lo, 5, v0
	;; [unrolled: 5-line block ×4, first 2 shown]
	v_dual_cndmask_b32 v23, v22, v21 :: v_dual_cndmask_b32 v22, v25, v20
	s_delay_alu instid0(VALU_DEP_1)
	v_cmpx_eq_f64_e32 0, v[22:23]
	s_cbranch_execz .LBB73_10
; %bb.7:
	v_mov_b32_e32 v25, 0
	s_mov_b32 s3, 0
	ds_load_b32 v26, v25 offset:160
	s_waitcnt lgkmcnt(0)
	v_readfirstlane_b32 s1, v26
	v_add_nc_u32_e32 v26, 1, v0
	s_delay_alu instid0(VALU_DEP_2) | instskip(NEXT) | instid1(VALU_DEP_1)
	s_cmp_eq_u32 s1, 0
	v_cmp_gt_i32_e32 vcc_lo, s1, v26
	s_cselect_b32 s4, -1, 0
	s_delay_alu instid0(SALU_CYCLE_1) | instskip(NEXT) | instid1(SALU_CYCLE_1)
	s_or_b32 s4, s4, vcc_lo
	s_and_b32 exec_lo, exec_lo, s4
	s_cbranch_execz .LBB73_10
; %bb.8:
	v_mov_b32_e32 v27, s1
.LBB73_9:                               ; =>This Inner Loop Header: Depth=1
	ds_cmpstore_rtn_b32 v27, v25, v26, v27 offset:160
	s_waitcnt lgkmcnt(0)
	v_cmp_ne_u32_e32 vcc_lo, 0, v27
	v_cmp_le_i32_e64 s1, v27, v26
	s_delay_alu instid0(VALU_DEP_1) | instskip(NEXT) | instid1(SALU_CYCLE_1)
	s_and_b32 s1, vcc_lo, s1
	s_and_b32 s1, exec_lo, s1
	s_delay_alu instid0(SALU_CYCLE_1) | instskip(NEXT) | instid1(SALU_CYCLE_1)
	s_or_b32 s3, s1, s3
	s_and_not1_b32 exec_lo, exec_lo, s3
	s_cbranch_execnz .LBB73_9
.LBB73_10:
	s_or_b32 exec_lo, exec_lo, s2
	v_mov_b32_e32 v25, 0
	s_barrier
	buffer_gl0_inv
	ds_load_b32 v26, v25 offset:160
	s_and_saveexec_b32 s1, s0
	s_cbranch_execz .LBB73_12
; %bb.11:
	s_lshl_b64 s[2:3], s[14:15], 2
	s_delay_alu instid0(SALU_CYCLE_1)
	s_add_u32 s2, s10, s2
	s_addc_u32 s3, s11, s3
	s_waitcnt lgkmcnt(0)
	global_store_b32 v25, v26, s[2:3]
.LBB73_12:
	s_or_b32 exec_lo, exec_lo, s1
	s_waitcnt lgkmcnt(0)
	v_cmp_ne_u32_e32 vcc_lo, 0, v26
	s_cbranch_vccz .LBB73_17
; %bb.13:
	s_mov_b32 s0, 0
                                        ; implicit-def: $vgpr2_vgpr3_vgpr4_vgpr5_vgpr6_vgpr7_vgpr8_vgpr9_vgpr10_vgpr11_vgpr12_vgpr13_vgpr14_vgpr15_vgpr16_vgpr17_vgpr18_vgpr19_vgpr20_vgpr21_vgpr22_vgpr23_vgpr24_vgpr25_vgpr26_vgpr27_vgpr28_vgpr29_vgpr30_vgpr31_vgpr32_vgpr33
.LBB73_14:
	s_delay_alu instid0(SALU_CYCLE_1)
	s_and_b32 vcc_lo, exec_lo, s0
	s_cbranch_vccz .LBB73_16
.LBB73_15:
	s_lshl_b64 s[0:1], s[14:15], 2
	v_mov_b32_e32 v1, 0
	s_add_u32 s0, s10, s0
	s_addc_u32 s1, s11, s1
	global_load_b32 v1, v1, s[0:1]
	s_waitcnt vmcnt(0)
	v_cmp_ne_u32_e32 vcc_lo, 0, v1
	s_cbranch_vccz .LBB73_64
.LBB73_16:
	s_nop 0
	s_sendmsg sendmsg(MSG_DEALLOC_VGPRS)
	s_endpgm
.LBB73_17:
	v_div_scale_f64 v[25:26], null, v[22:23], v[22:23], 1.0
	v_div_scale_f64 v[31:32], vcc_lo, 1.0, v[22:23], 1.0
	v_cmp_eq_u32_e64 s1, 7, v0
	v_cmp_eq_u32_e64 s2, 6, v0
	;; [unrolled: 1-line block ×8, first 2 shown]
	v_rcp_f64_e32 v[27:28], v[25:26]
	s_waitcnt_depctr 0xfff
	v_fma_f64 v[29:30], -v[25:26], v[27:28], 1.0
	s_delay_alu instid0(VALU_DEP_1) | instskip(NEXT) | instid1(VALU_DEP_1)
	v_fma_f64 v[27:28], v[27:28], v[29:30], v[27:28]
	v_fma_f64 v[29:30], -v[25:26], v[27:28], 1.0
	s_delay_alu instid0(VALU_DEP_1) | instskip(NEXT) | instid1(VALU_DEP_1)
	v_fma_f64 v[27:28], v[27:28], v[29:30], v[27:28]
	v_mul_f64 v[29:30], v[31:32], v[27:28]
	s_delay_alu instid0(VALU_DEP_1) | instskip(NEXT) | instid1(VALU_DEP_1)
	v_fma_f64 v[25:26], -v[25:26], v[29:30], v[31:32]
	v_div_fmas_f64 v[25:26], v[25:26], v[27:28], v[29:30]
	v_cmp_eq_u32_e32 vcc_lo, 8, v0
	s_delay_alu instid0(VALU_DEP_2) | instskip(NEXT) | instid1(VALU_DEP_1)
	v_div_fixup_f64 v[22:23], v[25:26], v[22:23], 1.0
	v_dual_cndmask_b32 v19, v19, v23 :: v_dual_add_nc_u32 v26, 0x50, v24
	s_delay_alu instid0(VALU_DEP_2)
	v_cndmask_b32_e32 v18, v18, v22, vcc_lo
	v_cmp_eq_u32_e32 vcc_lo, 2, v0
	v_cndmask_b32_e64 v21, v21, v23, s5
	v_cndmask_b32_e64 v20, v20, v22, s5
	;; [unrolled: 1-line block ×4, first 2 shown]
	v_cndmask_b32_e32 v7, v7, v23, vcc_lo
	v_cndmask_b32_e64 v15, v15, v23, s2
	v_cndmask_b32_e64 v14, v14, v22, s2
	;; [unrolled: 1-line block ×10, first 2 shown]
	v_xor_b32_e32 v28, 0x80000000, v23
	v_mov_b32_e32 v27, v22
	v_cndmask_b32_e32 v6, v6, v22, vcc_lo
	v_cndmask_b32_e64 v3, v3, v23, s8
	v_cndmask_b32_e64 v2, v2, v22, s8
	ds_store_2addr_b64 v24, v[27:28], v[4:5] offset1:10
	s_waitcnt lgkmcnt(0)
	s_waitcnt_vscnt null, 0x0
	s_barrier
	buffer_gl0_inv
	s_and_saveexec_b32 s1, s0
	s_cbranch_execz .LBB73_19
; %bb.18:
	ds_load_b64 v[4:5], v26
	v_mov_b32_e32 v24, 0
	ds_load_b64 v[24:25], v24 offset:8
	s_waitcnt lgkmcnt(1)
	v_fma_f64 v[4:5], v[22:23], v[4:5], 0
	s_waitcnt lgkmcnt(0)
	s_delay_alu instid0(VALU_DEP_1)
	v_mul_f64 v[4:5], v[4:5], v[24:25]
.LBB73_19:
	s_or_b32 exec_lo, exec_lo, s1
	v_cmp_gt_u32_e32 vcc_lo, 2, v0
	s_barrier
	buffer_gl0_inv
	ds_store_b64 v26, v[6:7]
	s_waitcnt lgkmcnt(0)
	s_barrier
	buffer_gl0_inv
	s_and_saveexec_b32 s2, vcc_lo
	s_cbranch_execz .LBB73_23
; %bb.20:
	v_cmp_eq_u32_e64 s1, 1, v0
	s_delay_alu instid0(VALU_DEP_1) | instskip(SKIP_2) | instid1(VALU_DEP_1)
	v_cndmask_b32_e64 v22, v3, v5, s1
	v_cndmask_b32_e64 v23, v2, v4, s1
	v_cmp_eq_u32_e64 s1, 2, v0
	v_cndmask_b32_e64 v7, v22, v7, s1
	s_delay_alu instid0(VALU_DEP_3) | instskip(SKIP_1) | instid1(VALU_DEP_1)
	v_cndmask_b32_e64 v6, v23, v6, s1
	v_cmp_eq_u32_e64 s1, 3, v0
	v_cndmask_b32_e64 v7, v7, v9, s1
	s_delay_alu instid0(VALU_DEP_3) | instskip(SKIP_1) | instid1(VALU_DEP_1)
	v_cndmask_b32_e64 v6, v6, v8, s1
	v_cmp_eq_u32_e64 s1, 4, v0
	v_cndmask_b32_e64 v7, v7, v11, s1
	s_delay_alu instid0(VALU_DEP_3) | instskip(SKIP_1) | instid1(VALU_DEP_1)
	v_cndmask_b32_e64 v6, v6, v10, s1
	v_cmp_eq_u32_e64 s1, 5, v0
	v_cndmask_b32_e64 v7, v7, v13, s1
	s_delay_alu instid0(VALU_DEP_3) | instskip(SKIP_1) | instid1(VALU_DEP_1)
	v_cndmask_b32_e64 v6, v6, v12, s1
	v_cmp_eq_u32_e64 s1, 6, v0
	v_cndmask_b32_e64 v22, v7, v15, s1
	s_delay_alu instid0(VALU_DEP_3)
	v_cndmask_b32_e64 v23, v6, v14, s1
	v_cmp_eq_u32_e64 s1, 7, v0
	ds_load_b64 v[6:7], v26
	v_cndmask_b32_e64 v22, v22, v17, s1
	v_cndmask_b32_e64 v23, v23, v16, s1
	v_cmp_eq_u32_e64 s1, 8, v0
	s_delay_alu instid0(VALU_DEP_1) | instskip(NEXT) | instid1(VALU_DEP_3)
	v_cndmask_b32_e64 v22, v22, v19, s1
	v_cndmask_b32_e64 v24, v23, v18, s1
	v_cmp_eq_u32_e64 s1, 9, v0
	s_delay_alu instid0(VALU_DEP_1) | instskip(NEXT) | instid1(VALU_DEP_3)
	v_cndmask_b32_e64 v23, v22, v21, s1
	v_cndmask_b32_e64 v22, v24, v20, s1
	s_waitcnt lgkmcnt(0)
	s_delay_alu instid0(VALU_DEP_1)
	v_fma_f64 v[6:7], v[22:23], v[6:7], 0
	s_and_saveexec_b32 s1, s0
	s_cbranch_execz .LBB73_22
; %bb.21:
	v_mov_b32_e32 v22, 0
	ds_load_b64 v[22:23], v22 offset:88
	s_waitcnt lgkmcnt(0)
	v_fma_f64 v[6:7], v[4:5], v[22:23], v[6:7]
.LBB73_22:
	s_or_b32 exec_lo, exec_lo, s1
	v_mov_b32_e32 v22, 0
	ds_load_b64 v[22:23], v22 offset:16
	s_waitcnt lgkmcnt(0)
	v_mul_f64 v[6:7], v[6:7], v[22:23]
.LBB73_23:
	s_or_b32 exec_lo, exec_lo, s2
	s_delay_alu instid0(SALU_CYCLE_1)
	s_mov_b32 s3, exec_lo
	s_barrier
	buffer_gl0_inv
	ds_store_b64 v26, v[8:9]
	s_waitcnt lgkmcnt(0)
	s_barrier
	buffer_gl0_inv
	v_cmpx_gt_u32_e32 3, v0
	s_cbranch_execz .LBB73_27
; %bb.24:
	v_dual_mov_b32 v22, 0 :: v_dual_mov_b32 v25, v1
	v_lshl_add_u32 v27, v0, 3, 0x50
	v_dual_mov_b32 v23, 0 :: v_dual_mov_b32 v24, v0
	s_mov_b32 s4, 0
.LBB73_25:                              ; =>This Inner Loop Header: Depth=1
	s_delay_alu instid0(VALU_DEP_1) | instskip(SKIP_1) | instid1(VALU_DEP_2)
	v_cmp_eq_u32_e64 s1, 1, v24
	v_cmp_eq_u32_e64 s2, 2, v24
	v_cndmask_b32_e64 v28, v3, v5, s1
	v_cndmask_b32_e64 v29, v2, v4, s1
	v_cmp_eq_u32_e64 s1, 3, v24
	s_delay_alu instid0(VALU_DEP_3) | instskip(NEXT) | instid1(VALU_DEP_3)
	v_cndmask_b32_e64 v28, v28, v7, s2
	v_cndmask_b32_e64 v29, v29, v6, s2
	v_cmp_eq_u32_e64 s2, 4, v24
	s_delay_alu instid0(VALU_DEP_3) | instskip(NEXT) | instid1(VALU_DEP_3)
	;; [unrolled: 4-line block ×4, first 2 shown]
	v_cndmask_b32_e64 v30, v28, v13, s1
	v_cndmask_b32_e64 v31, v29, v12, s1
	ds_load_b64 v[28:29], v27
	v_cmp_eq_u32_e64 s1, 7, v24
	v_add_nc_u32_e32 v27, 8, v27
	v_cndmask_b32_e64 v30, v30, v15, s2
	v_cndmask_b32_e64 v31, v31, v14, s2
	v_cmp_eq_u32_e64 s2, 8, v24
	s_delay_alu instid0(VALU_DEP_3) | instskip(NEXT) | instid1(VALU_DEP_3)
	v_cndmask_b32_e64 v30, v30, v17, s1
	v_cndmask_b32_e64 v31, v31, v16, s1
	v_cmp_eq_u32_e64 s1, 9, v24
	s_delay_alu instid0(VALU_DEP_3) | instskip(NEXT) | instid1(VALU_DEP_3)
	v_cndmask_b32_e64 v30, v30, v19, s2
	v_cndmask_b32_e64 v32, v31, v18, s2
	s_delay_alu instid0(VALU_DEP_2) | instskip(NEXT) | instid1(VALU_DEP_2)
	v_cndmask_b32_e64 v31, v30, v21, s1
	v_cndmask_b32_e64 v30, v32, v20, s1
	v_add_co_u32 v24, s1, v24, 1
	s_delay_alu instid0(VALU_DEP_1) | instskip(SKIP_1) | instid1(VALU_DEP_3)
	v_add_co_ci_u32_e64 v25, s1, 0, v25, s1
	s_waitcnt lgkmcnt(0)
	v_fma_f64 v[22:23], v[30:31], v[28:29], v[22:23]
	s_delay_alu instid0(VALU_DEP_3) | instskip(NEXT) | instid1(VALU_DEP_1)
	v_add_nc_u32_e32 v28, -1, v24
	v_cmp_lt_u32_e64 s1, 1, v28
	s_delay_alu instid0(VALU_DEP_1) | instskip(NEXT) | instid1(SALU_CYCLE_1)
	s_or_b32 s4, s1, s4
	s_and_not1_b32 exec_lo, exec_lo, s4
	s_cbranch_execnz .LBB73_25
; %bb.26:
	s_or_b32 exec_lo, exec_lo, s4
	v_mov_b32_e32 v8, 0
	ds_load_b64 v[8:9], v8 offset:24
	s_waitcnt lgkmcnt(0)
	v_mul_f64 v[8:9], v[22:23], v[8:9]
.LBB73_27:
	s_or_b32 exec_lo, exec_lo, s3
	v_cmp_gt_u32_e64 s1, 4, v0
	s_barrier
	buffer_gl0_inv
	ds_store_b64 v26, v[10:11]
	s_waitcnt lgkmcnt(0)
	s_barrier
	buffer_gl0_inv
	s_and_saveexec_b32 s4, s1
	s_cbranch_execz .LBB73_31
; %bb.28:
	v_dual_mov_b32 v22, 0 :: v_dual_mov_b32 v25, v1
	v_lshl_add_u32 v27, v0, 3, 0x50
	v_dual_mov_b32 v23, 0 :: v_dual_mov_b32 v24, v0
	s_mov_b32 s5, 0
.LBB73_29:                              ; =>This Inner Loop Header: Depth=1
	s_delay_alu instid0(VALU_DEP_1) | instskip(SKIP_1) | instid1(VALU_DEP_2)
	v_cmp_eq_u32_e64 s2, 1, v24
	v_cmp_eq_u32_e64 s3, 2, v24
	v_cndmask_b32_e64 v28, v3, v5, s2
	v_cndmask_b32_e64 v29, v2, v4, s2
	v_cmp_eq_u32_e64 s2, 3, v24
	s_delay_alu instid0(VALU_DEP_3) | instskip(NEXT) | instid1(VALU_DEP_3)
	v_cndmask_b32_e64 v28, v28, v7, s3
	v_cndmask_b32_e64 v29, v29, v6, s3
	v_cmp_eq_u32_e64 s3, 4, v24
	s_delay_alu instid0(VALU_DEP_3) | instskip(NEXT) | instid1(VALU_DEP_3)
	;; [unrolled: 4-line block ×4, first 2 shown]
	v_cndmask_b32_e64 v30, v28, v13, s2
	v_cndmask_b32_e64 v31, v29, v12, s2
	ds_load_b64 v[28:29], v27
	v_cmp_eq_u32_e64 s2, 7, v24
	v_add_nc_u32_e32 v27, 8, v27
	v_cndmask_b32_e64 v30, v30, v15, s3
	v_cndmask_b32_e64 v31, v31, v14, s3
	v_cmp_eq_u32_e64 s3, 8, v24
	s_delay_alu instid0(VALU_DEP_3) | instskip(NEXT) | instid1(VALU_DEP_3)
	v_cndmask_b32_e64 v30, v30, v17, s2
	v_cndmask_b32_e64 v31, v31, v16, s2
	v_cmp_eq_u32_e64 s2, 9, v24
	s_delay_alu instid0(VALU_DEP_3) | instskip(NEXT) | instid1(VALU_DEP_3)
	v_cndmask_b32_e64 v30, v30, v19, s3
	v_cndmask_b32_e64 v32, v31, v18, s3
	s_delay_alu instid0(VALU_DEP_2) | instskip(NEXT) | instid1(VALU_DEP_2)
	v_cndmask_b32_e64 v31, v30, v21, s2
	v_cndmask_b32_e64 v30, v32, v20, s2
	v_add_co_u32 v24, s2, v24, 1
	s_delay_alu instid0(VALU_DEP_1) | instskip(SKIP_1) | instid1(VALU_DEP_3)
	v_add_co_ci_u32_e64 v25, s2, 0, v25, s2
	s_waitcnt lgkmcnt(0)
	v_fma_f64 v[22:23], v[30:31], v[28:29], v[22:23]
	s_delay_alu instid0(VALU_DEP_3) | instskip(NEXT) | instid1(VALU_DEP_1)
	v_add_nc_u32_e32 v28, -1, v24
	v_cmp_lt_u32_e64 s2, 2, v28
	s_delay_alu instid0(VALU_DEP_1) | instskip(NEXT) | instid1(SALU_CYCLE_1)
	s_or_b32 s5, s2, s5
	s_and_not1_b32 exec_lo, exec_lo, s5
	s_cbranch_execnz .LBB73_29
; %bb.30:
	s_or_b32 exec_lo, exec_lo, s5
	v_mov_b32_e32 v10, 0
	ds_load_b64 v[10:11], v10 offset:32
	s_waitcnt lgkmcnt(0)
	v_mul_f64 v[10:11], v[22:23], v[10:11]
.LBB73_31:
	s_or_b32 exec_lo, exec_lo, s4
	s_delay_alu instid0(SALU_CYCLE_1)
	s_mov_b32 s4, exec_lo
	s_barrier
	buffer_gl0_inv
	ds_store_b64 v26, v[12:13]
	s_waitcnt lgkmcnt(0)
	s_barrier
	buffer_gl0_inv
	v_cmpx_gt_u32_e32 5, v0
	s_cbranch_execz .LBB73_35
; %bb.32:
	v_dual_mov_b32 v22, 0 :: v_dual_mov_b32 v25, v1
	v_lshl_add_u32 v27, v0, 3, 0x50
	v_dual_mov_b32 v23, 0 :: v_dual_mov_b32 v24, v0
	s_mov_b32 s5, 0
.LBB73_33:                              ; =>This Inner Loop Header: Depth=1
	s_delay_alu instid0(VALU_DEP_1) | instskip(SKIP_1) | instid1(VALU_DEP_2)
	v_cmp_eq_u32_e64 s2, 1, v24
	v_cmp_eq_u32_e64 s3, 2, v24
	v_cndmask_b32_e64 v28, v3, v5, s2
	v_cndmask_b32_e64 v29, v2, v4, s2
	v_cmp_eq_u32_e64 s2, 3, v24
	s_delay_alu instid0(VALU_DEP_3) | instskip(NEXT) | instid1(VALU_DEP_3)
	v_cndmask_b32_e64 v28, v28, v7, s3
	v_cndmask_b32_e64 v29, v29, v6, s3
	v_cmp_eq_u32_e64 s3, 4, v24
	s_delay_alu instid0(VALU_DEP_3) | instskip(NEXT) | instid1(VALU_DEP_3)
	;; [unrolled: 4-line block ×4, first 2 shown]
	v_cndmask_b32_e64 v30, v28, v13, s2
	v_cndmask_b32_e64 v31, v29, v12, s2
	ds_load_b64 v[28:29], v27
	v_cmp_eq_u32_e64 s2, 7, v24
	v_add_nc_u32_e32 v27, 8, v27
	v_cndmask_b32_e64 v30, v30, v15, s3
	v_cndmask_b32_e64 v31, v31, v14, s3
	v_cmp_eq_u32_e64 s3, 8, v24
	s_delay_alu instid0(VALU_DEP_3) | instskip(NEXT) | instid1(VALU_DEP_3)
	v_cndmask_b32_e64 v30, v30, v17, s2
	v_cndmask_b32_e64 v31, v31, v16, s2
	v_cmp_eq_u32_e64 s2, 9, v24
	s_delay_alu instid0(VALU_DEP_3) | instskip(NEXT) | instid1(VALU_DEP_3)
	v_cndmask_b32_e64 v30, v30, v19, s3
	v_cndmask_b32_e64 v32, v31, v18, s3
	s_delay_alu instid0(VALU_DEP_2) | instskip(NEXT) | instid1(VALU_DEP_2)
	v_cndmask_b32_e64 v31, v30, v21, s2
	v_cndmask_b32_e64 v30, v32, v20, s2
	v_add_co_u32 v24, s2, v24, 1
	s_delay_alu instid0(VALU_DEP_1) | instskip(SKIP_1) | instid1(VALU_DEP_3)
	v_add_co_ci_u32_e64 v25, s2, 0, v25, s2
	s_waitcnt lgkmcnt(0)
	v_fma_f64 v[22:23], v[30:31], v[28:29], v[22:23]
	s_delay_alu instid0(VALU_DEP_3) | instskip(NEXT) | instid1(VALU_DEP_1)
	v_add_nc_u32_e32 v28, -1, v24
	v_cmp_lt_u32_e64 s2, 3, v28
	s_delay_alu instid0(VALU_DEP_1) | instskip(NEXT) | instid1(SALU_CYCLE_1)
	s_or_b32 s5, s2, s5
	s_and_not1_b32 exec_lo, exec_lo, s5
	s_cbranch_execnz .LBB73_33
; %bb.34:
	s_or_b32 exec_lo, exec_lo, s5
	v_mov_b32_e32 v12, 0
	ds_load_b64 v[12:13], v12 offset:40
	s_waitcnt lgkmcnt(0)
	v_mul_f64 v[12:13], v[22:23], v[12:13]
.LBB73_35:
	s_or_b32 exec_lo, exec_lo, s4
	v_cmp_gt_u32_e64 s2, 6, v0
	s_barrier
	buffer_gl0_inv
	ds_store_b64 v26, v[14:15]
	s_waitcnt lgkmcnt(0)
	s_barrier
	buffer_gl0_inv
	s_and_saveexec_b32 s5, s2
	s_cbranch_execz .LBB73_39
; %bb.36:
	v_dual_mov_b32 v22, 0 :: v_dual_mov_b32 v25, v1
	v_lshl_add_u32 v27, v0, 3, 0x50
	v_dual_mov_b32 v23, 0 :: v_dual_mov_b32 v24, v0
	s_mov_b32 s6, 0
.LBB73_37:                              ; =>This Inner Loop Header: Depth=1
	s_delay_alu instid0(VALU_DEP_1) | instskip(SKIP_1) | instid1(VALU_DEP_2)
	v_cmp_eq_u32_e64 s3, 1, v24
	v_cmp_eq_u32_e64 s4, 2, v24
	v_cndmask_b32_e64 v28, v3, v5, s3
	v_cndmask_b32_e64 v29, v2, v4, s3
	v_cmp_eq_u32_e64 s3, 3, v24
	s_delay_alu instid0(VALU_DEP_3) | instskip(NEXT) | instid1(VALU_DEP_3)
	v_cndmask_b32_e64 v28, v28, v7, s4
	v_cndmask_b32_e64 v29, v29, v6, s4
	v_cmp_eq_u32_e64 s4, 4, v24
	s_delay_alu instid0(VALU_DEP_3) | instskip(NEXT) | instid1(VALU_DEP_3)
	;; [unrolled: 4-line block ×4, first 2 shown]
	v_cndmask_b32_e64 v30, v28, v13, s3
	v_cndmask_b32_e64 v31, v29, v12, s3
	ds_load_b64 v[28:29], v27
	v_cmp_eq_u32_e64 s3, 7, v24
	v_add_nc_u32_e32 v27, 8, v27
	v_cndmask_b32_e64 v30, v30, v15, s4
	v_cndmask_b32_e64 v31, v31, v14, s4
	v_cmp_eq_u32_e64 s4, 8, v24
	s_delay_alu instid0(VALU_DEP_3) | instskip(NEXT) | instid1(VALU_DEP_3)
	v_cndmask_b32_e64 v30, v30, v17, s3
	v_cndmask_b32_e64 v31, v31, v16, s3
	v_cmp_eq_u32_e64 s3, 9, v24
	s_delay_alu instid0(VALU_DEP_3) | instskip(NEXT) | instid1(VALU_DEP_3)
	v_cndmask_b32_e64 v30, v30, v19, s4
	v_cndmask_b32_e64 v32, v31, v18, s4
	s_delay_alu instid0(VALU_DEP_2) | instskip(NEXT) | instid1(VALU_DEP_2)
	v_cndmask_b32_e64 v31, v30, v21, s3
	v_cndmask_b32_e64 v30, v32, v20, s3
	v_add_co_u32 v24, s3, v24, 1
	s_delay_alu instid0(VALU_DEP_1) | instskip(SKIP_1) | instid1(VALU_DEP_3)
	v_add_co_ci_u32_e64 v25, s3, 0, v25, s3
	s_waitcnt lgkmcnt(0)
	v_fma_f64 v[22:23], v[30:31], v[28:29], v[22:23]
	s_delay_alu instid0(VALU_DEP_3) | instskip(NEXT) | instid1(VALU_DEP_1)
	v_add_nc_u32_e32 v28, -1, v24
	v_cmp_lt_u32_e64 s3, 4, v28
	s_delay_alu instid0(VALU_DEP_1) | instskip(NEXT) | instid1(SALU_CYCLE_1)
	s_or_b32 s6, s3, s6
	s_and_not1_b32 exec_lo, exec_lo, s6
	s_cbranch_execnz .LBB73_37
; %bb.38:
	s_or_b32 exec_lo, exec_lo, s6
	v_mov_b32_e32 v14, 0
	ds_load_b64 v[14:15], v14 offset:48
	s_waitcnt lgkmcnt(0)
	v_mul_f64 v[14:15], v[22:23], v[14:15]
.LBB73_39:
	s_or_b32 exec_lo, exec_lo, s5
	s_delay_alu instid0(SALU_CYCLE_1)
	s_mov_b32 s5, exec_lo
	s_barrier
	buffer_gl0_inv
	ds_store_b64 v26, v[16:17]
	s_waitcnt lgkmcnt(0)
	s_barrier
	buffer_gl0_inv
	v_cmpx_gt_u32_e32 7, v0
	s_cbranch_execz .LBB73_43
; %bb.40:
	v_dual_mov_b32 v22, 0 :: v_dual_mov_b32 v25, v1
	v_lshl_add_u32 v27, v0, 3, 0x50
	v_dual_mov_b32 v23, 0 :: v_dual_mov_b32 v24, v0
	s_mov_b32 s6, 0
.LBB73_41:                              ; =>This Inner Loop Header: Depth=1
	s_delay_alu instid0(VALU_DEP_1) | instskip(SKIP_1) | instid1(VALU_DEP_2)
	v_cmp_eq_u32_e64 s3, 1, v24
	v_cmp_eq_u32_e64 s4, 2, v24
	v_cndmask_b32_e64 v28, v3, v5, s3
	v_cndmask_b32_e64 v29, v2, v4, s3
	v_cmp_eq_u32_e64 s3, 3, v24
	s_delay_alu instid0(VALU_DEP_3) | instskip(NEXT) | instid1(VALU_DEP_3)
	v_cndmask_b32_e64 v28, v28, v7, s4
	v_cndmask_b32_e64 v29, v29, v6, s4
	v_cmp_eq_u32_e64 s4, 4, v24
	s_delay_alu instid0(VALU_DEP_3) | instskip(NEXT) | instid1(VALU_DEP_3)
	;; [unrolled: 4-line block ×4, first 2 shown]
	v_cndmask_b32_e64 v30, v28, v13, s3
	v_cndmask_b32_e64 v31, v29, v12, s3
	ds_load_b64 v[28:29], v27
	v_cmp_eq_u32_e64 s3, 7, v24
	v_add_nc_u32_e32 v27, 8, v27
	v_cndmask_b32_e64 v30, v30, v15, s4
	v_cndmask_b32_e64 v31, v31, v14, s4
	v_cmp_eq_u32_e64 s4, 8, v24
	s_delay_alu instid0(VALU_DEP_3) | instskip(NEXT) | instid1(VALU_DEP_3)
	v_cndmask_b32_e64 v30, v30, v17, s3
	v_cndmask_b32_e64 v31, v31, v16, s3
	v_cmp_eq_u32_e64 s3, 9, v24
	s_delay_alu instid0(VALU_DEP_3) | instskip(NEXT) | instid1(VALU_DEP_3)
	v_cndmask_b32_e64 v30, v30, v19, s4
	v_cndmask_b32_e64 v32, v31, v18, s4
	s_delay_alu instid0(VALU_DEP_2) | instskip(NEXT) | instid1(VALU_DEP_2)
	v_cndmask_b32_e64 v31, v30, v21, s3
	v_cndmask_b32_e64 v30, v32, v20, s3
	v_add_co_u32 v24, s3, v24, 1
	s_delay_alu instid0(VALU_DEP_1) | instskip(SKIP_1) | instid1(VALU_DEP_3)
	v_add_co_ci_u32_e64 v25, s3, 0, v25, s3
	s_waitcnt lgkmcnt(0)
	v_fma_f64 v[22:23], v[30:31], v[28:29], v[22:23]
	s_delay_alu instid0(VALU_DEP_3) | instskip(NEXT) | instid1(VALU_DEP_1)
	v_add_nc_u32_e32 v28, -1, v24
	v_cmp_lt_u32_e64 s3, 5, v28
	s_delay_alu instid0(VALU_DEP_1) | instskip(NEXT) | instid1(SALU_CYCLE_1)
	s_or_b32 s6, s3, s6
	s_and_not1_b32 exec_lo, exec_lo, s6
	s_cbranch_execnz .LBB73_41
; %bb.42:
	s_or_b32 exec_lo, exec_lo, s6
	v_mov_b32_e32 v16, 0
	ds_load_b64 v[16:17], v16 offset:56
	s_waitcnt lgkmcnt(0)
	v_mul_f64 v[16:17], v[22:23], v[16:17]
.LBB73_43:
	s_or_b32 exec_lo, exec_lo, s5
	s_delay_alu instid0(SALU_CYCLE_1)
	s_mov_b32 s4, exec_lo
	s_barrier
	buffer_gl0_inv
	ds_store_b64 v26, v[18:19]
	s_waitcnt lgkmcnt(0)
	s_barrier
	buffer_gl0_inv
	v_cmpx_gt_u32_e32 8, v0
	s_cbranch_execz .LBB73_59
; %bb.44:
	v_cmp_eq_u32_e64 s3, 1, v0
	s_mov_b32 s5, exec_lo
	s_delay_alu instid0(VALU_DEP_1) | instskip(SKIP_2) | instid1(VALU_DEP_1)
	v_cndmask_b32_e64 v22, v3, v5, s3
	v_cndmask_b32_e64 v23, v2, v4, s3
	v_cmp_eq_u32_e64 s3, 2, v0
	v_cndmask_b32_e64 v22, v22, v7, s3
	s_delay_alu instid0(VALU_DEP_3) | instskip(SKIP_1) | instid1(VALU_DEP_1)
	v_cndmask_b32_e64 v23, v23, v6, s3
	v_cmp_eq_u32_e64 s3, 3, v0
	v_cndmask_b32_e64 v22, v22, v9, s3
	s_delay_alu instid0(VALU_DEP_3) | instskip(SKIP_1) | instid1(VALU_DEP_1)
	v_cndmask_b32_e64 v23, v23, v8, s3
	v_cmp_eq_u32_e64 s3, 4, v0
	v_cndmask_b32_e64 v22, v22, v11, s3
	s_delay_alu instid0(VALU_DEP_3) | instskip(SKIP_1) | instid1(VALU_DEP_1)
	v_cndmask_b32_e64 v23, v23, v10, s3
	v_cmp_eq_u32_e64 s3, 5, v0
	v_cndmask_b32_e64 v22, v22, v13, s3
	s_delay_alu instid0(VALU_DEP_3) | instskip(SKIP_1) | instid1(VALU_DEP_1)
	v_cndmask_b32_e64 v23, v23, v12, s3
	v_cmp_eq_u32_e64 s3, 6, v0
	v_cndmask_b32_e64 v24, v22, v15, s3
	s_delay_alu instid0(VALU_DEP_3)
	v_cndmask_b32_e64 v25, v23, v14, s3
	v_cmp_eq_u32_e64 s3, 7, v0
	ds_load_b64 v[22:23], v26
	v_cndmask_b32_e64 v24, v24, v17, s3
	v_cndmask_b32_e64 v25, v25, v16, s3
	v_cmp_eq_u32_e64 s3, 8, v0
	s_delay_alu instid0(VALU_DEP_1) | instskip(NEXT) | instid1(VALU_DEP_3)
	v_cndmask_b32_e64 v24, v24, v19, s3
	v_cndmask_b32_e64 v27, v25, v18, s3
	v_cmp_eq_u32_e64 s3, 9, v0
	s_delay_alu instid0(VALU_DEP_1) | instskip(NEXT) | instid1(VALU_DEP_3)
	v_cndmask_b32_e64 v25, v24, v21, s3
	v_cndmask_b32_e64 v24, v27, v20, s3
	s_waitcnt lgkmcnt(0)
	s_delay_alu instid0(VALU_DEP_1)
	v_fma_f64 v[22:23], v[24:25], v[22:23], 0
	v_cmpx_ne_u32_e32 7, v0
	s_cbranch_execz .LBB73_58
; %bb.45:
	v_add_nc_u32_e32 v27, 1, v0
	s_delay_alu instid0(VALU_DEP_1) | instskip(NEXT) | instid1(VALU_DEP_1)
	v_cmp_eq_u32_e64 s3, 1, v27
	v_cndmask_b32_e64 v24, v3, v5, s3
	v_cndmask_b32_e64 v25, v2, v4, s3
	v_cmp_eq_u32_e64 s3, 2, v27
	s_delay_alu instid0(VALU_DEP_1) | instskip(NEXT) | instid1(VALU_DEP_3)
	v_cndmask_b32_e64 v24, v24, v7, s3
	v_cndmask_b32_e64 v25, v25, v6, s3
	v_cmp_eq_u32_e64 s3, 3, v27
	s_delay_alu instid0(VALU_DEP_1) | instskip(NEXT) | instid1(VALU_DEP_3)
	;; [unrolled: 4-line block ×5, first 2 shown]
	v_cndmask_b32_e64 v28, v24, v15, s3
	v_cndmask_b32_e64 v29, v25, v14, s3
	v_cmp_eq_u32_e64 s3, 7, v27
	ds_load_b64 v[24:25], v26 offset:8
	v_cndmask_b32_e64 v28, v28, v17, s3
	v_cndmask_b32_e64 v29, v29, v16, s3
	v_cmp_eq_u32_e64 s3, 8, v27
	s_delay_alu instid0(VALU_DEP_1) | instskip(NEXT) | instid1(VALU_DEP_3)
	v_cndmask_b32_e64 v28, v28, v19, s3
	v_cndmask_b32_e64 v29, v29, v18, s3
	v_cmp_eq_u32_e64 s3, 9, v27
	s_delay_alu instid0(VALU_DEP_1) | instskip(NEXT) | instid1(VALU_DEP_3)
	v_cndmask_b32_e64 v28, v28, v21, s3
	v_cndmask_b32_e64 v27, v29, v20, s3
	s_waitcnt lgkmcnt(0)
	s_delay_alu instid0(VALU_DEP_1)
	v_fma_f64 v[22:23], v[27:28], v[24:25], v[22:23]
	s_and_saveexec_b32 s3, s2
	s_cbranch_execz .LBB73_57
; %bb.46:
	v_add_nc_u32_e32 v27, 2, v0
	s_mov_b32 s6, exec_lo
	s_delay_alu instid0(VALU_DEP_1) | instskip(NEXT) | instid1(VALU_DEP_1)
	v_cmp_eq_u32_e64 s2, 1, v27
	v_cndmask_b32_e64 v24, v3, v5, s2
	v_cndmask_b32_e64 v25, v2, v4, s2
	v_cmp_eq_u32_e64 s2, 2, v27
	s_delay_alu instid0(VALU_DEP_1) | instskip(NEXT) | instid1(VALU_DEP_3)
	v_cndmask_b32_e64 v24, v24, v7, s2
	v_cndmask_b32_e64 v25, v25, v6, s2
	v_cmp_eq_u32_e64 s2, 3, v27
	s_delay_alu instid0(VALU_DEP_1) | instskip(NEXT) | instid1(VALU_DEP_3)
	;; [unrolled: 4-line block ×5, first 2 shown]
	v_cndmask_b32_e64 v28, v24, v15, s2
	v_cndmask_b32_e64 v29, v25, v14, s2
	v_cmp_eq_u32_e64 s2, 7, v27
	ds_load_b64 v[24:25], v26 offset:16
	v_cndmask_b32_e64 v28, v28, v17, s2
	v_cndmask_b32_e64 v29, v29, v16, s2
	v_cmp_eq_u32_e64 s2, 8, v27
	s_delay_alu instid0(VALU_DEP_1) | instskip(NEXT) | instid1(VALU_DEP_3)
	v_cndmask_b32_e64 v28, v28, v19, s2
	v_cndmask_b32_e64 v29, v29, v18, s2
	v_cmp_eq_u32_e64 s2, 9, v27
	s_delay_alu instid0(VALU_DEP_1) | instskip(NEXT) | instid1(VALU_DEP_3)
	v_cndmask_b32_e64 v28, v28, v21, s2
	v_cndmask_b32_e64 v27, v29, v20, s2
	s_waitcnt lgkmcnt(0)
	s_delay_alu instid0(VALU_DEP_1)
	v_fma_f64 v[22:23], v[27:28], v[24:25], v[22:23]
	v_cmpx_ne_u32_e32 5, v0
	s_cbranch_execz .LBB73_56
; %bb.47:
	v_add_nc_u32_e32 v27, 3, v0
	s_delay_alu instid0(VALU_DEP_1) | instskip(NEXT) | instid1(VALU_DEP_1)
	v_cmp_eq_u32_e64 s2, 1, v27
	v_cndmask_b32_e64 v24, v3, v5, s2
	v_cndmask_b32_e64 v25, v2, v4, s2
	v_cmp_eq_u32_e64 s2, 2, v27
	s_delay_alu instid0(VALU_DEP_1) | instskip(NEXT) | instid1(VALU_DEP_3)
	v_cndmask_b32_e64 v24, v24, v7, s2
	v_cndmask_b32_e64 v25, v25, v6, s2
	v_cmp_eq_u32_e64 s2, 3, v27
	s_delay_alu instid0(VALU_DEP_1) | instskip(NEXT) | instid1(VALU_DEP_3)
	;; [unrolled: 4-line block ×5, first 2 shown]
	v_cndmask_b32_e64 v28, v24, v15, s2
	v_cndmask_b32_e64 v29, v25, v14, s2
	v_cmp_eq_u32_e64 s2, 7, v27
	ds_load_b64 v[24:25], v26 offset:24
	v_cndmask_b32_e64 v28, v28, v17, s2
	v_cndmask_b32_e64 v29, v29, v16, s2
	v_cmp_eq_u32_e64 s2, 8, v27
	s_delay_alu instid0(VALU_DEP_1) | instskip(NEXT) | instid1(VALU_DEP_3)
	v_cndmask_b32_e64 v28, v28, v19, s2
	v_cndmask_b32_e64 v29, v29, v18, s2
	v_cmp_eq_u32_e64 s2, 9, v27
	s_delay_alu instid0(VALU_DEP_1) | instskip(NEXT) | instid1(VALU_DEP_3)
	v_cndmask_b32_e64 v28, v28, v21, s2
	v_cndmask_b32_e64 v27, v29, v20, s2
	s_waitcnt lgkmcnt(0)
	s_delay_alu instid0(VALU_DEP_1)
	v_fma_f64 v[22:23], v[27:28], v[24:25], v[22:23]
	s_and_saveexec_b32 s2, s1
	s_cbranch_execz .LBB73_55
; %bb.48:
	v_or_b32_e32 v27, 4, v0
	s_mov_b32 s7, exec_lo
	s_delay_alu instid0(VALU_DEP_1) | instskip(NEXT) | instid1(VALU_DEP_1)
	v_cmp_eq_u32_e64 s1, 1, v27
	v_cndmask_b32_e64 v24, v3, v5, s1
	v_cndmask_b32_e64 v25, v2, v4, s1
	v_cmp_eq_u32_e64 s1, 2, v27
	s_delay_alu instid0(VALU_DEP_1) | instskip(NEXT) | instid1(VALU_DEP_3)
	v_cndmask_b32_e64 v24, v24, v7, s1
	v_cndmask_b32_e64 v25, v25, v6, s1
	v_cmp_eq_u32_e64 s1, 3, v27
	s_delay_alu instid0(VALU_DEP_1) | instskip(NEXT) | instid1(VALU_DEP_3)
	;; [unrolled: 4-line block ×5, first 2 shown]
	v_cndmask_b32_e64 v28, v24, v15, s1
	v_cndmask_b32_e64 v29, v25, v14, s1
	v_cmp_eq_u32_e64 s1, 7, v27
	ds_load_b64 v[24:25], v26 offset:32
	v_cndmask_b32_e64 v28, v28, v17, s1
	v_cndmask_b32_e64 v29, v29, v16, s1
	v_cmp_eq_u32_e64 s1, 8, v27
	s_delay_alu instid0(VALU_DEP_1) | instskip(NEXT) | instid1(VALU_DEP_3)
	v_cndmask_b32_e64 v28, v28, v19, s1
	v_cndmask_b32_e64 v29, v29, v18, s1
	v_cmp_eq_u32_e64 s1, 9, v27
	s_delay_alu instid0(VALU_DEP_1) | instskip(NEXT) | instid1(VALU_DEP_3)
	v_cndmask_b32_e64 v28, v28, v21, s1
	v_cndmask_b32_e64 v27, v29, v20, s1
	s_waitcnt lgkmcnt(0)
	s_delay_alu instid0(VALU_DEP_1)
	v_fma_f64 v[22:23], v[27:28], v[24:25], v[22:23]
	v_cmpx_ne_u32_e32 3, v0
	s_cbranch_execz .LBB73_54
; %bb.49:
	v_add_nc_u32_e32 v27, 5, v0
	s_delay_alu instid0(VALU_DEP_1) | instskip(NEXT) | instid1(VALU_DEP_1)
	v_cmp_eq_u32_e64 s1, 1, v27
	v_cndmask_b32_e64 v24, v3, v5, s1
	v_cndmask_b32_e64 v25, v2, v4, s1
	v_cmp_eq_u32_e64 s1, 2, v27
	s_delay_alu instid0(VALU_DEP_1) | instskip(NEXT) | instid1(VALU_DEP_3)
	v_cndmask_b32_e64 v24, v24, v7, s1
	v_cndmask_b32_e64 v25, v25, v6, s1
	v_cmp_eq_u32_e64 s1, 3, v27
	s_delay_alu instid0(VALU_DEP_1) | instskip(NEXT) | instid1(VALU_DEP_3)
	;; [unrolled: 4-line block ×5, first 2 shown]
	v_cndmask_b32_e64 v28, v24, v15, s1
	v_cndmask_b32_e64 v29, v25, v14, s1
	v_cmp_eq_u32_e64 s1, 7, v27
	ds_load_b64 v[24:25], v26 offset:40
	v_cndmask_b32_e64 v28, v28, v17, s1
	v_cndmask_b32_e64 v29, v29, v16, s1
	v_cmp_eq_u32_e64 s1, 8, v27
	s_delay_alu instid0(VALU_DEP_1) | instskip(NEXT) | instid1(VALU_DEP_3)
	v_cndmask_b32_e64 v28, v28, v19, s1
	v_cndmask_b32_e64 v29, v29, v18, s1
	v_cmp_eq_u32_e64 s1, 9, v27
	s_delay_alu instid0(VALU_DEP_1) | instskip(NEXT) | instid1(VALU_DEP_3)
	v_cndmask_b32_e64 v28, v28, v21, s1
	v_cndmask_b32_e64 v27, v29, v20, s1
	s_waitcnt lgkmcnt(0)
	s_delay_alu instid0(VALU_DEP_1)
	v_fma_f64 v[22:23], v[27:28], v[24:25], v[22:23]
	s_and_saveexec_b32 s1, vcc_lo
	s_cbranch_execz .LBB73_53
; %bb.50:
	v_or_b32_e32 v27, 6, v0
	s_delay_alu instid0(VALU_DEP_1) | instskip(SKIP_2) | instid1(VALU_DEP_2)
	v_cmp_eq_u32_e32 vcc_lo, 1, v27
	v_dual_cndmask_b32 v24, v3, v5 :: v_dual_cndmask_b32 v25, v2, v4
	v_cmp_eq_u32_e32 vcc_lo, 2, v27
	v_dual_cndmask_b32 v24, v24, v7 :: v_dual_cndmask_b32 v25, v25, v6
	v_cmp_eq_u32_e32 vcc_lo, 3, v27
	s_delay_alu instid0(VALU_DEP_2) | instskip(SKIP_1) | instid1(VALU_DEP_2)
	v_dual_cndmask_b32 v24, v24, v9 :: v_dual_cndmask_b32 v25, v25, v8
	v_cmp_eq_u32_e32 vcc_lo, 4, v27
	v_dual_cndmask_b32 v24, v24, v11 :: v_dual_cndmask_b32 v25, v25, v10
	v_cmp_eq_u32_e32 vcc_lo, 5, v27
	s_delay_alu instid0(VALU_DEP_2) | instskip(SKIP_1) | instid1(VALU_DEP_2)
	v_dual_cndmask_b32 v24, v24, v13 :: v_dual_cndmask_b32 v25, v25, v12
	v_cmp_eq_u32_e32 vcc_lo, 6, v27
	v_dual_cndmask_b32 v28, v24, v15 :: v_dual_cndmask_b32 v29, v25, v14
	v_cmp_eq_u32_e32 vcc_lo, 7, v27
	ds_load_b64 v[24:25], v26 offset:48
	v_dual_cndmask_b32 v28, v28, v17 :: v_dual_cndmask_b32 v29, v29, v16
	v_cmp_eq_u32_e32 vcc_lo, 8, v27
	s_delay_alu instid0(VALU_DEP_2) | instskip(SKIP_1) | instid1(VALU_DEP_2)
	v_dual_cndmask_b32 v19, v28, v19 :: v_dual_cndmask_b32 v18, v29, v18
	v_cmp_eq_u32_e32 vcc_lo, 9, v27
	v_dual_cndmask_b32 v19, v19, v21 :: v_dual_cndmask_b32 v18, v18, v20
	s_waitcnt lgkmcnt(0)
	s_delay_alu instid0(VALU_DEP_1)
	v_fma_f64 v[22:23], v[18:19], v[24:25], v[22:23]
	s_and_saveexec_b32 s8, s0
	s_cbranch_execz .LBB73_52
; %bb.51:
	ds_load_b64 v[18:19], v26 offset:56
	s_waitcnt lgkmcnt(0)
	v_fma_f64 v[22:23], v[16:17], v[18:19], v[22:23]
.LBB73_52:
	s_or_b32 exec_lo, exec_lo, s8
.LBB73_53:
	s_delay_alu instid0(SALU_CYCLE_1)
	s_or_b32 exec_lo, exec_lo, s1
.LBB73_54:
	s_delay_alu instid0(SALU_CYCLE_1)
	s_or_b32 exec_lo, exec_lo, s7
.LBB73_55:
	s_delay_alu instid0(SALU_CYCLE_1)
	s_or_b32 exec_lo, exec_lo, s2
.LBB73_56:
	s_delay_alu instid0(SALU_CYCLE_1)
	s_or_b32 exec_lo, exec_lo, s6
.LBB73_57:
	s_delay_alu instid0(SALU_CYCLE_1)
	s_or_b32 exec_lo, exec_lo, s3
.LBB73_58:
	s_delay_alu instid0(SALU_CYCLE_1)
	s_or_b32 exec_lo, exec_lo, s5
	v_mov_b32_e32 v18, 0
	ds_load_b64 v[18:19], v18 offset:64
	s_waitcnt lgkmcnt(0)
	v_mul_f64 v[18:19], v[22:23], v[18:19]
.LBB73_59:
	s_or_b32 exec_lo, exec_lo, s4
	s_delay_alu instid0(SALU_CYCLE_1)
	s_mov_b32 s1, exec_lo
	s_barrier
	buffer_gl0_inv
	ds_store_b64 v26, v[20:21]
	s_waitcnt lgkmcnt(0)
	s_barrier
	buffer_gl0_inv
	v_cmpx_ne_u32_e32 9, v0
	s_cbranch_execz .LBB73_63
; %bb.60:
	v_dual_mov_b32 v22, 0 :: v_dual_mov_b32 v25, v1
	v_lshl_add_u32 v26, v0, 3, 0x50
	v_dual_mov_b32 v23, 0 :: v_dual_mov_b32 v24, v0
	s_mov_b32 s2, 0
.LBB73_61:                              ; =>This Inner Loop Header: Depth=1
	s_delay_alu instid0(VALU_DEP_1) | instskip(SKIP_4) | instid1(VALU_DEP_3)
	v_cmp_eq_u32_e32 vcc_lo, 1, v24
	v_cmp_eq_u32_e64 s0, 2, v24
	v_cndmask_b32_e32 v1, v3, v5, vcc_lo
	v_cndmask_b32_e32 v27, v2, v4, vcc_lo
	v_cmp_eq_u32_e32 vcc_lo, 3, v24
	v_cndmask_b32_e64 v1, v1, v7, s0
	s_delay_alu instid0(VALU_DEP_3) | instskip(SKIP_1) | instid1(VALU_DEP_3)
	v_cndmask_b32_e64 v27, v27, v6, s0
	v_cmp_eq_u32_e64 s0, 4, v24
	v_cndmask_b32_e32 v1, v1, v9, vcc_lo
	s_delay_alu instid0(VALU_DEP_3) | instskip(SKIP_1) | instid1(VALU_DEP_3)
	v_cndmask_b32_e32 v27, v27, v8, vcc_lo
	v_cmp_eq_u32_e32 vcc_lo, 5, v24
	v_cndmask_b32_e64 v1, v1, v11, s0
	s_delay_alu instid0(VALU_DEP_3) | instskip(SKIP_1) | instid1(VALU_DEP_3)
	v_cndmask_b32_e64 v27, v27, v10, s0
	v_cmp_eq_u32_e64 s0, 6, v24
	v_cndmask_b32_e32 v1, v1, v13, vcc_lo
	s_delay_alu instid0(VALU_DEP_3)
	v_cndmask_b32_e32 v29, v27, v12, vcc_lo
	ds_load_b64 v[27:28], v26
	v_cmp_eq_u32_e32 vcc_lo, 7, v24
	v_add_nc_u32_e32 v26, 8, v26
	v_cndmask_b32_e64 v1, v1, v15, s0
	v_cndmask_b32_e64 v29, v29, v14, s0
	v_cmp_eq_u32_e64 s0, 8, v24
	s_delay_alu instid0(VALU_DEP_3) | instskip(NEXT) | instid1(VALU_DEP_3)
	v_cndmask_b32_e32 v1, v1, v17, vcc_lo
	v_cndmask_b32_e32 v29, v29, v16, vcc_lo
	v_cmp_eq_u32_e32 vcc_lo, 9, v24
	s_delay_alu instid0(VALU_DEP_3) | instskip(NEXT) | instid1(VALU_DEP_3)
	v_cndmask_b32_e64 v1, v1, v19, s0
	v_cndmask_b32_e64 v29, v29, v18, s0
	s_delay_alu instid0(VALU_DEP_2) | instskip(NEXT) | instid1(VALU_DEP_2)
	v_cndmask_b32_e32 v30, v1, v21, vcc_lo
	v_cndmask_b32_e32 v29, v29, v20, vcc_lo
	v_add_co_u32 v24, vcc_lo, v24, 1
	v_add_co_ci_u32_e32 v25, vcc_lo, 0, v25, vcc_lo
	s_waitcnt lgkmcnt(0)
	s_delay_alu instid0(VALU_DEP_3) | instskip(NEXT) | instid1(VALU_DEP_3)
	v_fma_f64 v[22:23], v[29:30], v[27:28], v[22:23]
	v_add_nc_u32_e32 v1, -1, v24
	s_delay_alu instid0(VALU_DEP_1) | instskip(SKIP_1) | instid1(SALU_CYCLE_1)
	v_cmp_lt_u32_e32 vcc_lo, 7, v1
	s_or_b32 s2, vcc_lo, s2
	s_and_not1_b32 exec_lo, exec_lo, s2
	s_cbranch_execnz .LBB73_61
; %bb.62:
	s_or_b32 exec_lo, exec_lo, s2
	v_mov_b32_e32 v1, 0
	ds_load_b64 v[20:21], v1 offset:72
	s_waitcnt lgkmcnt(0)
	v_mul_f64 v[20:21], v[22:23], v[20:21]
.LBB73_63:
	s_or_b32 exec_lo, exec_lo, s1
	s_barrier
	buffer_gl0_inv
	s_cbranch_execnz .LBB73_15
	s_branch .LBB73_16
.LBB73_64:
	v_lshl_add_u32 v1, v0, 3, 0x50
	s_mov_b32 s0, exec_lo
	v_cmpx_eq_u32_e32 9, v0
	s_cbranch_execz .LBB73_66
; %bb.65:
	v_dual_mov_b32 v38, 0 :: v_dual_mov_b32 v23, v3
	v_dual_mov_b32 v22, v2 :: v_dual_mov_b32 v25, v5
	;; [unrolled: 1-line block ×4, first 2 shown]
	s_delay_alu instid0(VALU_DEP_4)
	v_dual_mov_b32 v36, v16 :: v_dual_mov_b32 v39, v38
	v_dual_mov_b32 v40, v20 :: v_dual_mov_b32 v41, v21
	;; [unrolled: 1-line block ×6, first 2 shown]
	ds_store_b64 v1, v[18:19]
	v_mov_b32_e32 v2, v22
	v_dual_mov_b32 v3, v23 :: v_dual_mov_b32 v4, v24
	v_dual_mov_b32 v5, v25 :: v_dual_mov_b32 v6, v26
	;; [unrolled: 1-line block ×10, first 2 shown]
	v_mov_b32_e32 v23, v43
	v_mov_b32_e32 v24, v44
	;; [unrolled: 1-line block ×11, first 2 shown]
.LBB73_66:
	s_or_b32 exec_lo, exec_lo, s0
	v_mov_b32_e32 v36, 0
	s_waitcnt lgkmcnt(0)
	s_waitcnt_vscnt null, 0x0
	s_barrier
	buffer_gl0_inv
	s_mov_b32 s0, exec_lo
	ds_load_b64 v[22:23], v36 offset:152
	s_waitcnt lgkmcnt(0)
	v_fma_f64 v[22:23], v[20:21], v[22:23], 0
	s_delay_alu instid0(VALU_DEP_1)
	v_add_f64 v[18:19], v[18:19], -v[22:23]
	v_cmpx_lt_u32_e32 7, v0
	s_cbranch_execz .LBB73_68
; %bb.67:
	v_dual_mov_b32 v22, v2 :: v_dual_mov_b32 v23, v3
	v_dual_mov_b32 v34, v14 :: v_dual_mov_b32 v35, v15
	s_delay_alu instid0(VALU_DEP_4)
	v_dual_mov_b32 v37, v36 :: v_dual_mov_b32 v38, v18
	v_dual_mov_b32 v39, v19 :: v_dual_mov_b32 v40, v20
	;; [unrolled: 1-line block ×7, first 2 shown]
	v_mov_b32_e32 v33, v13
	ds_store_b64 v1, v[16:17]
	v_mov_b32_e32 v2, v22
	v_dual_mov_b32 v3, v23 :: v_dual_mov_b32 v4, v24
	v_dual_mov_b32 v5, v25 :: v_dual_mov_b32 v6, v26
	;; [unrolled: 1-line block ×10, first 2 shown]
	v_mov_b32_e32 v23, v43
	v_mov_b32_e32 v24, v44
	;; [unrolled: 1-line block ×11, first 2 shown]
.LBB73_68:
	s_or_b32 exec_lo, exec_lo, s0
	s_waitcnt lgkmcnt(0)
	s_barrier
	buffer_gl0_inv
	ds_load_b128 v[22:25], v36 offset:144
	s_mov_b32 s0, exec_lo
	s_waitcnt lgkmcnt(0)
	v_fma_f64 v[22:23], v[18:19], v[22:23], 0
	s_delay_alu instid0(VALU_DEP_1) | instskip(NEXT) | instid1(VALU_DEP_1)
	v_fma_f64 v[22:23], v[20:21], v[24:25], v[22:23]
	v_add_f64 v[16:17], v[16:17], -v[22:23]
	v_cmpx_lt_u32_e32 6, v0
	s_cbranch_execz .LBB73_70
; %bb.69:
	v_dual_mov_b32 v34, 0 :: v_dual_mov_b32 v23, v3
	v_dual_mov_b32 v22, v2 :: v_dual_mov_b32 v25, v5
	s_delay_alu instid0(VALU_DEP_2)
	v_dual_mov_b32 v32, v12 :: v_dual_mov_b32 v35, v34
	v_dual_mov_b32 v36, v16 :: v_dual_mov_b32 v37, v17
	;; [unrolled: 1-line block ×8, first 2 shown]
	ds_store_b64 v1, v[14:15]
	v_mov_b32_e32 v2, v22
	v_dual_mov_b32 v3, v23 :: v_dual_mov_b32 v4, v24
	v_dual_mov_b32 v5, v25 :: v_dual_mov_b32 v6, v26
	;; [unrolled: 1-line block ×10, first 2 shown]
	v_mov_b32_e32 v23, v43
	v_mov_b32_e32 v24, v44
	;; [unrolled: 1-line block ×11, first 2 shown]
.LBB73_70:
	s_or_b32 exec_lo, exec_lo, s0
	v_mov_b32_e32 v34, 0
	s_waitcnt lgkmcnt(0)
	s_barrier
	buffer_gl0_inv
	s_mov_b32 s0, exec_lo
	ds_load_2addr_b64 v[22:25], v34 offset0:17 offset1:18
	ds_load_b64 v[26:27], v34 offset:152
	s_waitcnt lgkmcnt(1)
	v_fma_f64 v[22:23], v[16:17], v[22:23], 0
	s_delay_alu instid0(VALU_DEP_1) | instskip(SKIP_1) | instid1(VALU_DEP_1)
	v_fma_f64 v[22:23], v[18:19], v[24:25], v[22:23]
	s_waitcnt lgkmcnt(0)
	v_fma_f64 v[22:23], v[20:21], v[26:27], v[22:23]
	s_delay_alu instid0(VALU_DEP_1)
	v_add_f64 v[14:15], v[14:15], -v[22:23]
	v_cmpx_lt_u32_e32 5, v0
	s_cbranch_execz .LBB73_72
; %bb.71:
	v_dual_mov_b32 v24, v2 :: v_dual_mov_b32 v25, v3
	v_dual_mov_b32 v35, v34 :: v_dual_mov_b32 v38, v16
	s_delay_alu instid0(VALU_DEP_4)
	v_dual_mov_b32 v36, v14 :: v_dual_mov_b32 v37, v15
	v_dual_mov_b32 v39, v17 :: v_dual_mov_b32 v40, v18
	;; [unrolled: 1-line block ×7, first 2 shown]
	v_mov_b32_e32 v33, v11
	ds_store_b64 v1, v[12:13]
	v_mov_b32_e32 v2, v24
	v_dual_mov_b32 v3, v25 :: v_dual_mov_b32 v4, v26
	v_dual_mov_b32 v5, v27 :: v_dual_mov_b32 v6, v28
	;; [unrolled: 1-line block ×11, first 2 shown]
	v_mov_b32_e32 v25, v47
	v_mov_b32_e32 v26, v48
	;; [unrolled: 1-line block ×9, first 2 shown]
.LBB73_72:
	s_or_b32 exec_lo, exec_lo, s0
	s_waitcnt lgkmcnt(0)
	s_barrier
	buffer_gl0_inv
	ds_load_b128 v[22:25], v34 offset:128
	ds_load_b128 v[26:29], v34 offset:144
	s_mov_b32 s0, exec_lo
	s_waitcnt lgkmcnt(1)
	v_fma_f64 v[22:23], v[14:15], v[22:23], 0
	s_delay_alu instid0(VALU_DEP_1) | instskip(SKIP_1) | instid1(VALU_DEP_1)
	v_fma_f64 v[22:23], v[16:17], v[24:25], v[22:23]
	s_waitcnt lgkmcnt(0)
	v_fma_f64 v[22:23], v[18:19], v[26:27], v[22:23]
	s_delay_alu instid0(VALU_DEP_1) | instskip(NEXT) | instid1(VALU_DEP_1)
	v_fma_f64 v[22:23], v[20:21], v[28:29], v[22:23]
	v_add_f64 v[12:13], v[12:13], -v[22:23]
	v_cmpx_lt_u32_e32 4, v0
	s_cbranch_execz .LBB73_74
; %bb.73:
	v_dual_mov_b32 v30, 0 :: v_dual_mov_b32 v23, v3
	v_dual_mov_b32 v22, v2 :: v_dual_mov_b32 v25, v5
	;; [unrolled: 1-line block ×10, first 2 shown]
	ds_store_b64 v1, v[10:11]
	v_mov_b32_e32 v2, v22
	v_dual_mov_b32 v3, v23 :: v_dual_mov_b32 v4, v24
	v_dual_mov_b32 v5, v25 :: v_dual_mov_b32 v6, v26
	;; [unrolled: 1-line block ×10, first 2 shown]
	v_mov_b32_e32 v23, v43
	v_mov_b32_e32 v24, v44
	;; [unrolled: 1-line block ×11, first 2 shown]
.LBB73_74:
	s_or_b32 exec_lo, exec_lo, s0
	v_mov_b32_e32 v34, 0
	s_waitcnt lgkmcnt(0)
	s_barrier
	buffer_gl0_inv
	s_mov_b32 s0, exec_lo
	ds_load_2addr_b64 v[22:25], v34 offset0:15 offset1:16
	ds_load_2addr_b64 v[26:29], v34 offset0:17 offset1:18
	s_waitcnt lgkmcnt(1)
	v_fma_f64 v[22:23], v[12:13], v[22:23], 0
	s_delay_alu instid0(VALU_DEP_1) | instskip(SKIP_3) | instid1(VALU_DEP_1)
	v_fma_f64 v[22:23], v[14:15], v[24:25], v[22:23]
	ds_load_b64 v[24:25], v34 offset:152
	s_waitcnt lgkmcnt(1)
	v_fma_f64 v[22:23], v[16:17], v[26:27], v[22:23]
	v_fma_f64 v[22:23], v[18:19], v[28:29], v[22:23]
	s_waitcnt lgkmcnt(0)
	s_delay_alu instid0(VALU_DEP_1) | instskip(NEXT) | instid1(VALU_DEP_1)
	v_fma_f64 v[22:23], v[20:21], v[24:25], v[22:23]
	v_add_f64 v[10:11], v[10:11], -v[22:23]
	v_cmpx_lt_u32_e32 3, v0
	s_cbranch_execz .LBB73_76
; %bb.75:
	v_dual_mov_b32 v28, v2 :: v_dual_mov_b32 v29, v3
	v_dual_mov_b32 v35, v34 :: v_dual_mov_b32 v38, v12
	s_delay_alu instid0(VALU_DEP_4)
	v_dual_mov_b32 v36, v10 :: v_dual_mov_b32 v37, v11
	v_dual_mov_b32 v39, v13 :: v_dual_mov_b32 v40, v14
	;; [unrolled: 1-line block ×7, first 2 shown]
	v_mov_b32_e32 v33, v7
	ds_store_b64 v1, v[8:9]
	v_mov_b32_e32 v2, v28
	v_dual_mov_b32 v3, v29 :: v_dual_mov_b32 v4, v30
	v_dual_mov_b32 v5, v31 :: v_dual_mov_b32 v6, v32
	;; [unrolled: 1-line block ×13, first 2 shown]
	v_mov_b32_e32 v29, v55
	v_mov_b32_e32 v30, v56
	;; [unrolled: 1-line block ×5, first 2 shown]
.LBB73_76:
	s_or_b32 exec_lo, exec_lo, s0
	s_waitcnt lgkmcnt(0)
	s_barrier
	buffer_gl0_inv
	ds_load_b128 v[22:25], v34 offset:112
	ds_load_b128 v[26:29], v34 offset:128
	s_mov_b32 s0, exec_lo
	s_waitcnt lgkmcnt(1)
	v_fma_f64 v[22:23], v[10:11], v[22:23], 0
	s_delay_alu instid0(VALU_DEP_1) | instskip(SKIP_1) | instid1(VALU_DEP_1)
	v_fma_f64 v[22:23], v[12:13], v[24:25], v[22:23]
	s_waitcnt lgkmcnt(0)
	v_fma_f64 v[22:23], v[14:15], v[26:27], v[22:23]
	s_delay_alu instid0(VALU_DEP_1) | instskip(SKIP_3) | instid1(VALU_DEP_1)
	v_fma_f64 v[26:27], v[16:17], v[28:29], v[22:23]
	ds_load_b128 v[22:25], v34 offset:144
	s_waitcnt lgkmcnt(0)
	v_fma_f64 v[22:23], v[18:19], v[22:23], v[26:27]
	v_fma_f64 v[22:23], v[20:21], v[24:25], v[22:23]
	s_delay_alu instid0(VALU_DEP_1)
	v_add_f64 v[8:9], v[8:9], -v[22:23]
	v_cmpx_lt_u32_e32 2, v0
	s_cbranch_execz .LBB73_78
; %bb.77:
	v_dual_mov_b32 v26, 0 :: v_dual_mov_b32 v23, v3
	v_dual_mov_b32 v22, v2 :: v_dual_mov_b32 v25, v5
	;; [unrolled: 1-line block ×10, first 2 shown]
	ds_store_b64 v1, v[6:7]
	v_mov_b32_e32 v2, v22
	v_dual_mov_b32 v3, v23 :: v_dual_mov_b32 v4, v24
	v_dual_mov_b32 v5, v25 :: v_dual_mov_b32 v6, v26
	;; [unrolled: 1-line block ×10, first 2 shown]
	v_mov_b32_e32 v23, v43
	v_mov_b32_e32 v24, v44
	;; [unrolled: 1-line block ×11, first 2 shown]
.LBB73_78:
	s_or_b32 exec_lo, exec_lo, s0
	v_mov_b32_e32 v34, 0
	s_waitcnt lgkmcnt(0)
	s_barrier
	buffer_gl0_inv
	s_mov_b32 s0, exec_lo
	ds_load_2addr_b64 v[22:25], v34 offset0:13 offset1:14
	ds_load_2addr_b64 v[26:29], v34 offset0:15 offset1:16
	s_waitcnt lgkmcnt(1)
	v_fma_f64 v[22:23], v[8:9], v[22:23], 0
	s_delay_alu instid0(VALU_DEP_1) | instskip(SKIP_1) | instid1(VALU_DEP_1)
	v_fma_f64 v[22:23], v[10:11], v[24:25], v[22:23]
	s_waitcnt lgkmcnt(0)
	v_fma_f64 v[22:23], v[12:13], v[26:27], v[22:23]
	s_delay_alu instid0(VALU_DEP_1) | instskip(SKIP_4) | instid1(VALU_DEP_1)
	v_fma_f64 v[26:27], v[14:15], v[28:29], v[22:23]
	ds_load_2addr_b64 v[22:25], v34 offset0:17 offset1:18
	ds_load_b64 v[28:29], v34 offset:152
	s_waitcnt lgkmcnt(1)
	v_fma_f64 v[22:23], v[16:17], v[22:23], v[26:27]
	v_fma_f64 v[22:23], v[18:19], v[24:25], v[22:23]
	s_waitcnt lgkmcnt(0)
	s_delay_alu instid0(VALU_DEP_1) | instskip(NEXT) | instid1(VALU_DEP_1)
	v_fma_f64 v[22:23], v[20:21], v[28:29], v[22:23]
	v_add_f64 v[6:7], v[6:7], -v[22:23]
	v_cmpx_lt_u32_e32 1, v0
	s_cbranch_execz .LBB73_80
; %bb.79:
	v_dual_mov_b32 v32, v2 :: v_dual_mov_b32 v33, v3
	v_dual_mov_b32 v35, v34 :: v_dual_mov_b32 v38, v8
	s_delay_alu instid0(VALU_DEP_4)
	v_dual_mov_b32 v36, v6 :: v_dual_mov_b32 v37, v7
	v_dual_mov_b32 v39, v9 :: v_dual_mov_b32 v40, v10
	;; [unrolled: 1-line block ×7, first 2 shown]
	v_mov_b32_e32 v51, v21
	ds_store_b64 v1, v[4:5]
	v_mov_b32_e32 v2, v32
	v_dual_mov_b32 v3, v33 :: v_dual_mov_b32 v4, v34
	v_dual_mov_b32 v5, v35 :: v_dual_mov_b32 v6, v36
	;; [unrolled: 1-line block ×15, first 2 shown]
	v_mov_b32_e32 v33, v63
.LBB73_80:
	s_or_b32 exec_lo, exec_lo, s0
	s_waitcnt lgkmcnt(0)
	s_barrier
	buffer_gl0_inv
	ds_load_b128 v[22:25], v34 offset:96
	ds_load_b128 v[26:29], v34 offset:112
	s_mov_b32 s0, exec_lo
	s_waitcnt lgkmcnt(1)
	v_fma_f64 v[22:23], v[6:7], v[22:23], 0
	s_delay_alu instid0(VALU_DEP_1) | instskip(SKIP_1) | instid1(VALU_DEP_1)
	v_fma_f64 v[22:23], v[8:9], v[24:25], v[22:23]
	s_waitcnt lgkmcnt(0)
	v_fma_f64 v[22:23], v[10:11], v[26:27], v[22:23]
	s_delay_alu instid0(VALU_DEP_1) | instskip(SKIP_4) | instid1(VALU_DEP_1)
	v_fma_f64 v[30:31], v[12:13], v[28:29], v[22:23]
	ds_load_b128 v[22:25], v34 offset:128
	ds_load_b128 v[26:29], v34 offset:144
	s_waitcnt lgkmcnt(1)
	v_fma_f64 v[22:23], v[14:15], v[22:23], v[30:31]
	v_fma_f64 v[22:23], v[16:17], v[24:25], v[22:23]
	s_waitcnt lgkmcnt(0)
	s_delay_alu instid0(VALU_DEP_1) | instskip(NEXT) | instid1(VALU_DEP_1)
	v_fma_f64 v[22:23], v[18:19], v[26:27], v[22:23]
	v_fma_f64 v[22:23], v[20:21], v[28:29], v[22:23]
	s_delay_alu instid0(VALU_DEP_1)
	v_add_f64 v[4:5], v[4:5], -v[22:23]
	v_cmpx_ne_u32_e32 0, v0
	s_cbranch_execz .LBB73_82
; %bb.81:
	s_delay_alu instid0(VALU_DEP_2)
	v_dual_mov_b32 v22, 0 :: v_dual_mov_b32 v25, v5
	v_dual_mov_b32 v34, v14 :: v_dual_mov_b32 v35, v15
	;; [unrolled: 1-line block ×10, first 2 shown]
	ds_store_b64 v1, v[2:3]
	v_mov_b32_e32 v2, v22
	v_dual_mov_b32 v3, v23 :: v_dual_mov_b32 v4, v24
	v_dual_mov_b32 v5, v25 :: v_dual_mov_b32 v6, v26
	;; [unrolled: 1-line block ×10, first 2 shown]
	v_mov_b32_e32 v23, v43
	v_mov_b32_e32 v24, v44
	;; [unrolled: 1-line block ×11, first 2 shown]
.LBB73_82:
	s_or_b32 exec_lo, exec_lo, s0
	v_mov_b32_e32 v30, 0
	s_waitcnt lgkmcnt(0)
	s_barrier
	buffer_gl0_inv
	s_and_b32 vcc_lo, exec_lo, s16
	ds_load_2addr_b64 v[22:25], v30 offset0:11 offset1:12
	ds_load_2addr_b64 v[26:29], v30 offset0:13 offset1:14
	s_waitcnt lgkmcnt(1)
	v_fma_f64 v[0:1], v[4:5], v[22:23], 0
	s_delay_alu instid0(VALU_DEP_1) | instskip(SKIP_1) | instid1(VALU_DEP_1)
	v_fma_f64 v[0:1], v[6:7], v[24:25], v[0:1]
	s_waitcnt lgkmcnt(0)
	v_fma_f64 v[0:1], v[8:9], v[26:27], v[0:1]
	s_delay_alu instid0(VALU_DEP_1)
	v_fma_f64 v[0:1], v[10:11], v[28:29], v[0:1]
	ds_load_2addr_b64 v[22:25], v30 offset0:15 offset1:16
	ds_load_2addr_b64 v[26:29], v30 offset0:17 offset1:18
	s_waitcnt lgkmcnt(1)
	v_fma_f64 v[0:1], v[12:13], v[22:23], v[0:1]
	ds_load_b64 v[22:23], v30 offset:152
	v_fma_f64 v[0:1], v[14:15], v[24:25], v[0:1]
	s_waitcnt lgkmcnt(1)
	s_delay_alu instid0(VALU_DEP_1) | instskip(NEXT) | instid1(VALU_DEP_1)
	v_fma_f64 v[0:1], v[16:17], v[26:27], v[0:1]
	v_fma_f64 v[0:1], v[18:19], v[28:29], v[0:1]
	s_waitcnt lgkmcnt(0)
	s_delay_alu instid0(VALU_DEP_1) | instskip(NEXT) | instid1(VALU_DEP_1)
	v_fma_f64 v[0:1], v[20:21], v[22:23], v[0:1]
	v_add_f64 v[2:3], v[2:3], -v[0:1]
	s_cbranch_vccz .LBB73_102
; %bb.83:
	v_dual_mov_b32 v0, s12 :: v_dual_mov_b32 v1, s13
	s_mov_b32 s6, exec_lo
	flat_load_b32 v0, v[0:1] offset:32
	s_waitcnt vmcnt(0) lgkmcnt(0)
	v_add_nc_u32_e32 v0, -1, v0
	s_delay_alu instid0(VALU_DEP_1)
	v_cmpx_ne_u32_e32 8, v0
	s_cbranch_execz .LBB73_85
; %bb.84:
	v_cmp_eq_u32_e32 vcc_lo, 1, v0
	v_cmp_eq_u32_e64 s0, 2, v0
	v_cmp_eq_u32_e64 s1, 3, v0
	;; [unrolled: 1-line block ×4, first 2 shown]
	v_dual_cndmask_b32 v1, v2, v4 :: v_dual_cndmask_b32 v22, v3, v5
	v_cmp_eq_u32_e64 s4, 0, v0
	v_cmp_eq_u32_e64 s5, 6, v0
	v_cndmask_b32_e32 v24, v5, v19, vcc_lo
	s_delay_alu instid0(VALU_DEP_4)
	v_cndmask_b32_e64 v1, v1, v6, s0
	v_cndmask_b32_e64 v22, v22, v7, s0
	;; [unrolled: 1-line block ×7, first 2 shown]
	v_cmp_eq_u32_e64 s1, 9, v0
	v_cndmask_b32_e64 v25, v6, v18, s0
	v_cmp_eq_u32_e64 s0, 8, v0
	v_cndmask_b32_e64 v1, v1, v10, s2
	v_cndmask_b32_e64 v23, v22, v11, s2
	v_cndmask_b32_e64 v22, v3, v19, s4
	v_cndmask_b32_e64 v34, v15, v19, s5
	v_cndmask_b32_e64 v40, v21, v19, s1
	v_cndmask_b32_e64 v1, v1, v12, s3
	v_cndmask_b32_e64 v3, v23, v13, s3
	v_cndmask_b32_e32 v23, v4, v18, vcc_lo
	v_cmp_eq_u32_e32 vcc_lo, 7, v0
	v_cndmask_b32_e64 v39, v20, v18, s1
	v_cndmask_b32_e64 v1, v1, v14, s5
	;; [unrolled: 1-line block ×4, first 2 shown]
	v_cndmask_b32_e32 v35, v16, v18, vcc_lo
	v_cndmask_b32_e64 v29, v10, v18, s2
	v_cndmask_b32_e32 v36, v17, v19, vcc_lo
	v_cndmask_b32_e32 v1, v1, v16, vcc_lo
	v_cndmask_b32_e32 v3, v3, v17, vcc_lo
	v_cndmask_b32_e64 v32, v13, v19, s3
	v_cndmask_b32_e64 v31, v12, v18, s3
	;; [unrolled: 1-line block ×5, first 2 shown]
	s_delay_alu instid0(VALU_DEP_2) | instskip(NEXT) | instid1(VALU_DEP_2)
	v_cndmask_b32_e64 v0, v1, v20, s1
	v_cndmask_b32_e64 v1, v3, v21, s1
	;; [unrolled: 1-line block ×3, first 2 shown]
	s_delay_alu instid0(VALU_DEP_3) | instskip(NEXT) | instid1(VALU_DEP_3)
	v_cndmask_b32_e64 v37, v0, v18, s0
	v_cndmask_b32_e64 v38, v1, v19, s0
	s_delay_alu instid0(VALU_DEP_3)
	v_mov_b32_e32 v2, v21
	v_dual_mov_b32 v3, v22 :: v_dual_mov_b32 v6, v25
	v_dual_mov_b32 v4, v23 :: v_dual_mov_b32 v5, v24
	;; [unrolled: 1-line block ×9, first 2 shown]
	v_mov_b32_e32 v21, v40
	v_mov_b32_e32 v22, v41
	;; [unrolled: 1-line block ×13, first 2 shown]
.LBB73_85:
	s_or_b32 exec_lo, exec_lo, s6
	v_dual_mov_b32 v0, s12 :: v_dual_mov_b32 v1, s13
	s_mov_b32 s6, exec_lo
	flat_load_b32 v0, v[0:1] offset:28
	s_waitcnt vmcnt(0) lgkmcnt(0)
	v_add_nc_u32_e32 v0, -1, v0
	s_delay_alu instid0(VALU_DEP_1)
	v_cmpx_ne_u32_e32 7, v0
	s_cbranch_execz .LBB73_87
; %bb.86:
	v_cmp_eq_u32_e32 vcc_lo, 1, v0
	v_cmp_eq_u32_e64 s0, 2, v0
	v_cmp_eq_u32_e64 s1, 3, v0
	;; [unrolled: 1-line block ×4, first 2 shown]
	v_dual_cndmask_b32 v1, v2, v4 :: v_dual_cndmask_b32 v22, v3, v5
	v_cmp_eq_u32_e64 s4, 0, v0
	v_cmp_eq_u32_e64 s5, 6, v0
	v_cndmask_b32_e64 v26, v7, v17, s0
	s_delay_alu instid0(VALU_DEP_4)
	v_cndmask_b32_e64 v1, v1, v6, s0
	v_cndmask_b32_e64 v22, v22, v7, s0
	;; [unrolled: 1-line block ×3, first 2 shown]
	v_cndmask_b32_e32 v24, v5, v17, vcc_lo
	v_cndmask_b32_e64 v28, v9, v17, s1
	v_cndmask_b32_e64 v1, v1, v8, s1
	v_cndmask_b32_e64 v22, v22, v9, s1
	v_cndmask_b32_e64 v27, v8, v16, s1
	v_cmp_eq_u32_e64 s0, 8, v0
	v_cmp_eq_u32_e64 s1, 9, v0
	v_cndmask_b32_e64 v1, v1, v10, s2
	v_cndmask_b32_e64 v23, v22, v11, s2
	;; [unrolled: 1-line block ×7, first 2 shown]
	v_cndmask_b32_e32 v23, v4, v16, vcc_lo
	v_cmp_eq_u32_e32 vcc_lo, 7, v0
	v_cndmask_b32_e64 v37, v18, v16, s0
	v_cndmask_b32_e64 v1, v1, v14, s5
	;; [unrolled: 1-line block ×6, first 2 shown]
	v_cndmask_b32_e32 v1, v1, v16, vcc_lo
	v_cndmask_b32_e64 v29, v10, v16, s2
	v_cndmask_b32_e64 v32, v13, v17, s3
	;; [unrolled: 1-line block ×5, first 2 shown]
	s_delay_alu instid0(VALU_DEP_1) | instskip(NEXT) | instid1(VALU_DEP_1)
	v_cndmask_b32_e64 v0, v1, v20, s1
	v_cndmask_b32_e32 v35, v0, v16, vcc_lo
	v_cndmask_b32_e32 v3, v3, v17, vcc_lo
	s_delay_alu instid0(VALU_DEP_1) | instskip(NEXT) | instid1(VALU_DEP_1)
	v_cndmask_b32_e64 v3, v3, v19, s0
	v_cndmask_b32_e64 v1, v3, v21, s1
	;; [unrolled: 1-line block ×3, first 2 shown]
	s_delay_alu instid0(VALU_DEP_2) | instskip(NEXT) | instid1(VALU_DEP_2)
	v_cndmask_b32_e32 v36, v1, v17, vcc_lo
	v_mov_b32_e32 v2, v21
	v_dual_mov_b32 v6, v25 :: v_dual_mov_b32 v3, v22
	v_mov_b32_e32 v8, v27
	v_dual_mov_b32 v4, v23 :: v_dual_mov_b32 v5, v24
	v_dual_mov_b32 v10, v29 :: v_dual_mov_b32 v7, v26
	;; [unrolled: 1-line block ×7, first 2 shown]
	v_mov_b32_e32 v19, v38
	v_mov_b32_e32 v21, v40
	;; [unrolled: 1-line block ×14, first 2 shown]
.LBB73_87:
	s_or_b32 exec_lo, exec_lo, s6
	v_dual_mov_b32 v0, s12 :: v_dual_mov_b32 v1, s13
	s_mov_b32 s6, exec_lo
	flat_load_b32 v0, v[0:1] offset:24
	s_waitcnt vmcnt(0) lgkmcnt(0)
	v_add_nc_u32_e32 v0, -1, v0
	s_delay_alu instid0(VALU_DEP_1)
	v_cmpx_ne_u32_e32 6, v0
	s_cbranch_execz .LBB73_89
; %bb.88:
	v_cmp_eq_u32_e32 vcc_lo, 1, v0
	v_cmp_eq_u32_e64 s0, 2, v0
	v_cmp_eq_u32_e64 s1, 3, v0
	;; [unrolled: 1-line block ×4, first 2 shown]
	v_dual_cndmask_b32 v1, v2, v4 :: v_dual_cndmask_b32 v22, v3, v5
	v_cmp_eq_u32_e64 s4, 0, v0
	v_cmp_eq_u32_e64 s5, 6, v0
	v_cndmask_b32_e64 v26, v7, v15, s0
	s_delay_alu instid0(VALU_DEP_4)
	v_cndmask_b32_e64 v1, v1, v6, s0
	v_cndmask_b32_e64 v22, v22, v7, s0
	;; [unrolled: 1-line block ×3, first 2 shown]
	v_cndmask_b32_e32 v24, v5, v15, vcc_lo
	v_cndmask_b32_e64 v28, v9, v15, s1
	v_cndmask_b32_e64 v1, v1, v8, s1
	;; [unrolled: 1-line block ×4, first 2 shown]
	v_cmp_eq_u32_e64 s0, 8, v0
	v_cmp_eq_u32_e64 s1, 9, v0
	v_cndmask_b32_e64 v1, v1, v10, s2
	v_cndmask_b32_e64 v23, v22, v11, s2
	;; [unrolled: 1-line block ×7, first 2 shown]
	v_cndmask_b32_e32 v23, v4, v14, vcc_lo
	v_cmp_eq_u32_e32 vcc_lo, 7, v0
	v_cndmask_b32_e64 v40, v21, v15, s1
	v_cndmask_b32_e64 v1, v1, v14, s5
	v_cndmask_b32_e64 v3, v3, v15, s5
	v_cndmask_b32_e64 v39, v20, v14, s1
	v_cndmask_b32_e32 v35, v16, v14, vcc_lo
	v_cndmask_b32_e64 v30, v11, v15, s2
	v_cndmask_b32_e32 v36, v17, v15, vcc_lo
	v_cndmask_b32_e32 v1, v1, v16, vcc_lo
	;; [unrolled: 1-line block ×3, first 2 shown]
	v_cndmask_b32_e64 v29, v10, v14, s2
	v_cndmask_b32_e64 v32, v13, v15, s3
	;; [unrolled: 1-line block ×5, first 2 shown]
	s_delay_alu instid0(VALU_DEP_2) | instskip(NEXT) | instid1(VALU_DEP_2)
	v_cndmask_b32_e64 v0, v1, v20, s1
	v_cndmask_b32_e64 v1, v3, v21, s1
	;; [unrolled: 1-line block ×3, first 2 shown]
	s_delay_alu instid0(VALU_DEP_3) | instskip(NEXT) | instid1(VALU_DEP_3)
	v_cndmask_b32_e64 v33, v0, v14, s5
	v_cndmask_b32_e64 v34, v1, v15, s5
	s_delay_alu instid0(VALU_DEP_3)
	v_mov_b32_e32 v2, v21
	v_dual_mov_b32 v3, v22 :: v_dual_mov_b32 v6, v25
	v_dual_mov_b32 v4, v23 :: v_dual_mov_b32 v5, v24
	;; [unrolled: 1-line block ×9, first 2 shown]
	v_mov_b32_e32 v21, v40
	v_mov_b32_e32 v22, v41
	;; [unrolled: 1-line block ×13, first 2 shown]
.LBB73_89:
	s_or_b32 exec_lo, exec_lo, s6
	v_dual_mov_b32 v0, s12 :: v_dual_mov_b32 v1, s13
	s_mov_b32 s6, exec_lo
	flat_load_b32 v0, v[0:1] offset:20
	s_waitcnt vmcnt(0) lgkmcnt(0)
	v_add_nc_u32_e32 v0, -1, v0
	s_delay_alu instid0(VALU_DEP_1)
	v_cmpx_ne_u32_e32 5, v0
	s_cbranch_execz .LBB73_91
; %bb.90:
	v_cmp_eq_u32_e32 vcc_lo, 1, v0
	v_cmp_eq_u32_e64 s0, 2, v0
	v_cmp_eq_u32_e64 s1, 3, v0
	;; [unrolled: 1-line block ×4, first 2 shown]
	v_dual_cndmask_b32 v1, v2, v4 :: v_dual_cndmask_b32 v22, v3, v5
	v_cmp_eq_u32_e64 s4, 0, v0
	v_cmp_eq_u32_e64 s5, 6, v0
	v_cndmask_b32_e64 v26, v7, v13, s0
	s_delay_alu instid0(VALU_DEP_4)
	v_cndmask_b32_e64 v1, v1, v6, s0
	v_cndmask_b32_e64 v22, v22, v7, s0
	;; [unrolled: 1-line block ×3, first 2 shown]
	v_cndmask_b32_e32 v24, v5, v13, vcc_lo
	v_cndmask_b32_e64 v28, v9, v13, s1
	v_cndmask_b32_e64 v1, v1, v8, s1
	;; [unrolled: 1-line block ×4, first 2 shown]
	v_cmp_eq_u32_e64 s0, 8, v0
	v_cmp_eq_u32_e64 s1, 9, v0
	v_cndmask_b32_e64 v1, v1, v10, s2
	v_cndmask_b32_e64 v23, v22, v11, s2
	;; [unrolled: 1-line block ×7, first 2 shown]
	v_cndmask_b32_e32 v23, v4, v12, vcc_lo
	v_cmp_eq_u32_e32 vcc_lo, 7, v0
	v_cndmask_b32_e64 v37, v18, v12, s0
	v_cndmask_b32_e64 v1, v1, v14, s5
	;; [unrolled: 1-line block ×4, first 2 shown]
	v_dual_cndmask_b32 v36, v17, v13 :: v_dual_cndmask_b32 v35, v16, v12
	v_cndmask_b32_e64 v39, v20, v12, s1
	v_cndmask_b32_e32 v1, v1, v16, vcc_lo
	v_cndmask_b32_e32 v3, v3, v17, vcc_lo
	v_cndmask_b32_e64 v30, v11, v13, s2
	v_cndmask_b32_e64 v29, v10, v12, s2
	;; [unrolled: 1-line block ×5, first 2 shown]
	s_delay_alu instid0(VALU_DEP_2) | instskip(NEXT) | instid1(VALU_DEP_2)
	v_cndmask_b32_e64 v0, v1, v20, s1
	v_cndmask_b32_e64 v1, v3, v21, s1
	;; [unrolled: 1-line block ×3, first 2 shown]
	s_delay_alu instid0(VALU_DEP_3) | instskip(NEXT) | instid1(VALU_DEP_3)
	v_cndmask_b32_e64 v31, v0, v12, s3
	v_cndmask_b32_e64 v32, v1, v13, s3
	s_delay_alu instid0(VALU_DEP_3)
	v_mov_b32_e32 v2, v21
	v_dual_mov_b32 v6, v25 :: v_dual_mov_b32 v3, v22
	v_mov_b32_e32 v8, v27
	v_dual_mov_b32 v4, v23 :: v_dual_mov_b32 v5, v24
	v_dual_mov_b32 v10, v29 :: v_dual_mov_b32 v7, v26
	;; [unrolled: 1-line block ×7, first 2 shown]
	v_mov_b32_e32 v19, v38
	v_mov_b32_e32 v21, v40
	;; [unrolled: 1-line block ×14, first 2 shown]
.LBB73_91:
	s_or_b32 exec_lo, exec_lo, s6
	v_dual_mov_b32 v0, s12 :: v_dual_mov_b32 v1, s13
	s_mov_b32 s6, exec_lo
	flat_load_b32 v0, v[0:1] offset:16
	s_waitcnt vmcnt(0) lgkmcnt(0)
	v_add_nc_u32_e32 v0, -1, v0
	s_delay_alu instid0(VALU_DEP_1)
	v_cmpx_ne_u32_e32 4, v0
	s_cbranch_execz .LBB73_93
; %bb.92:
	v_cmp_eq_u32_e32 vcc_lo, 1, v0
	v_cmp_eq_u32_e64 s0, 2, v0
	v_cmp_eq_u32_e64 s1, 3, v0
	;; [unrolled: 1-line block ×4, first 2 shown]
	v_dual_cndmask_b32 v1, v2, v4 :: v_dual_cndmask_b32 v22, v3, v5
	v_cmp_eq_u32_e64 s4, 0, v0
	v_cmp_eq_u32_e64 s5, 6, v0
	v_cndmask_b32_e64 v26, v7, v11, s0
	s_delay_alu instid0(VALU_DEP_4)
	v_cndmask_b32_e64 v1, v1, v6, s0
	v_cndmask_b32_e64 v22, v22, v7, s0
	;; [unrolled: 1-line block ×3, first 2 shown]
	v_cndmask_b32_e32 v24, v5, v11, vcc_lo
	v_cndmask_b32_e64 v28, v9, v11, s1
	v_cndmask_b32_e64 v1, v1, v8, s1
	;; [unrolled: 1-line block ×4, first 2 shown]
	v_cmp_eq_u32_e64 s0, 8, v0
	v_cmp_eq_u32_e64 s1, 9, v0
	v_cndmask_b32_e64 v1, v1, v10, s2
	v_cndmask_b32_e64 v23, v22, v11, s2
	;; [unrolled: 1-line block ×7, first 2 shown]
	v_cndmask_b32_e32 v23, v4, v10, vcc_lo
	v_cmp_eq_u32_e32 vcc_lo, 7, v0
	v_cndmask_b32_e64 v37, v18, v10, s0
	v_cndmask_b32_e64 v1, v1, v14, s5
	;; [unrolled: 1-line block ×4, first 2 shown]
	v_cndmask_b32_e32 v35, v16, v10, vcc_lo
	v_cndmask_b32_e64 v39, v20, v10, s1
	v_cndmask_b32_e32 v36, v17, v11, vcc_lo
	v_cndmask_b32_e32 v1, v1, v16, vcc_lo
	;; [unrolled: 1-line block ×3, first 2 shown]
	v_cndmask_b32_e64 v32, v13, v11, s3
	v_cndmask_b32_e64 v31, v12, v10, s3
	;; [unrolled: 1-line block ×5, first 2 shown]
	s_delay_alu instid0(VALU_DEP_2) | instskip(NEXT) | instid1(VALU_DEP_2)
	v_cndmask_b32_e64 v0, v1, v20, s1
	v_cndmask_b32_e64 v1, v3, v21, s1
	;; [unrolled: 1-line block ×3, first 2 shown]
	s_delay_alu instid0(VALU_DEP_3) | instskip(NEXT) | instid1(VALU_DEP_3)
	v_cndmask_b32_e64 v29, v0, v10, s2
	v_cndmask_b32_e64 v30, v1, v11, s2
	s_delay_alu instid0(VALU_DEP_3)
	v_mov_b32_e32 v2, v21
	v_dual_mov_b32 v3, v22 :: v_dual_mov_b32 v6, v25
	v_dual_mov_b32 v4, v23 :: v_dual_mov_b32 v5, v24
	;; [unrolled: 1-line block ×9, first 2 shown]
	v_mov_b32_e32 v21, v40
	v_mov_b32_e32 v22, v41
	;; [unrolled: 1-line block ×13, first 2 shown]
.LBB73_93:
	s_or_b32 exec_lo, exec_lo, s6
	v_dual_mov_b32 v0, s12 :: v_dual_mov_b32 v1, s13
	s_mov_b32 s6, exec_lo
	flat_load_b32 v0, v[0:1] offset:12
	s_waitcnt vmcnt(0) lgkmcnt(0)
	v_add_nc_u32_e32 v0, -1, v0
	s_delay_alu instid0(VALU_DEP_1)
	v_cmpx_ne_u32_e32 3, v0
	s_cbranch_execz .LBB73_95
; %bb.94:
	v_cmp_eq_u32_e32 vcc_lo, 1, v0
	v_cmp_eq_u32_e64 s0, 2, v0
	v_cmp_eq_u32_e64 s1, 3, v0
	;; [unrolled: 1-line block ×4, first 2 shown]
	v_dual_cndmask_b32 v1, v2, v4 :: v_dual_cndmask_b32 v22, v3, v5
	v_cmp_eq_u32_e64 s4, 0, v0
	v_cmp_eq_u32_e64 s5, 6, v0
	v_cndmask_b32_e64 v26, v7, v9, s0
	s_delay_alu instid0(VALU_DEP_4)
	v_cndmask_b32_e64 v1, v1, v6, s0
	v_cndmask_b32_e64 v22, v22, v7, s0
	;; [unrolled: 1-line block ×3, first 2 shown]
	v_cndmask_b32_e32 v24, v5, v9, vcc_lo
	v_cndmask_b32_e64 v30, v11, v9, s2
	v_cndmask_b32_e64 v1, v1, v8, s1
	;; [unrolled: 1-line block ×4, first 2 shown]
	v_cmp_eq_u32_e64 s0, 8, v0
	v_cndmask_b32_e64 v34, v15, v9, s5
	v_cndmask_b32_e64 v1, v1, v10, s2
	;; [unrolled: 1-line block ×4, first 2 shown]
	v_cmp_eq_u32_e64 s2, 9, v0
	v_cndmask_b32_e64 v38, v19, v9, s0
	v_cndmask_b32_e64 v1, v1, v12, s3
	;; [unrolled: 1-line block ×3, first 2 shown]
	v_cndmask_b32_e32 v23, v4, v8, vcc_lo
	v_cmp_eq_u32_e32 vcc_lo, 7, v0
	v_cndmask_b32_e64 v37, v18, v8, s0
	v_cndmask_b32_e64 v1, v1, v14, s5
	;; [unrolled: 1-line block ×4, first 2 shown]
	v_dual_cndmask_b32 v36, v17, v9 :: v_dual_cndmask_b32 v35, v16, v8
	v_cndmask_b32_e64 v39, v20, v8, s2
	v_cndmask_b32_e32 v1, v1, v16, vcc_lo
	v_cndmask_b32_e32 v3, v3, v17, vcc_lo
	v_cndmask_b32_e64 v32, v13, v9, s3
	v_cndmask_b32_e64 v31, v12, v8, s3
	v_cndmask_b32_e64 v33, v14, v8, s5
	v_cndmask_b32_e64 v1, v1, v18, s0
	v_cndmask_b32_e64 v3, v3, v19, s0
	s_delay_alu instid0(VALU_DEP_2) | instskip(NEXT) | instid1(VALU_DEP_2)
	v_cndmask_b32_e64 v0, v1, v20, s2
	v_cndmask_b32_e64 v1, v3, v21, s2
	;; [unrolled: 1-line block ×3, first 2 shown]
	s_delay_alu instid0(VALU_DEP_3) | instskip(NEXT) | instid1(VALU_DEP_3)
	v_cndmask_b32_e64 v27, v0, v8, s1
	v_cndmask_b32_e64 v28, v1, v9, s1
	s_delay_alu instid0(VALU_DEP_3) | instskip(SKIP_1) | instid1(VALU_DEP_4)
	v_mov_b32_e32 v2, v21
	v_dual_mov_b32 v6, v25 :: v_dual_mov_b32 v3, v22
	v_mov_b32_e32 v8, v27
	v_dual_mov_b32 v4, v23 :: v_dual_mov_b32 v5, v24
	v_dual_mov_b32 v10, v29 :: v_dual_mov_b32 v7, v26
	;; [unrolled: 1-line block ×7, first 2 shown]
	v_mov_b32_e32 v19, v38
	v_mov_b32_e32 v21, v40
	;; [unrolled: 1-line block ×14, first 2 shown]
.LBB73_95:
	s_or_b32 exec_lo, exec_lo, s6
	v_dual_mov_b32 v0, s12 :: v_dual_mov_b32 v1, s13
	s_mov_b32 s6, exec_lo
	flat_load_b32 v0, v[0:1] offset:8
	s_waitcnt vmcnt(0) lgkmcnt(0)
	v_add_nc_u32_e32 v0, -1, v0
	s_delay_alu instid0(VALU_DEP_1)
	v_cmpx_ne_u32_e32 2, v0
	s_cbranch_execz .LBB73_97
; %bb.96:
	v_cmp_eq_u32_e32 vcc_lo, 1, v0
	v_cmp_eq_u32_e64 s0, 2, v0
	v_cmp_eq_u32_e64 s1, 3, v0
	;; [unrolled: 1-line block ×4, first 2 shown]
	v_dual_cndmask_b32 v1, v2, v4 :: v_dual_cndmask_b32 v22, v3, v5
	v_cmp_eq_u32_e64 s4, 0, v0
	v_cmp_eq_u32_e64 s5, 6, v0
	v_cndmask_b32_e32 v24, v5, v7, vcc_lo
	s_delay_alu instid0(VALU_DEP_4)
	v_cndmask_b32_e64 v1, v1, v6, s0
	v_cndmask_b32_e64 v22, v22, v7, s0
	;; [unrolled: 1-line block ×8, first 2 shown]
	v_cmp_eq_u32_e64 s1, 8, v0
	v_cndmask_b32_e64 v34, v15, v7, s5
	v_cndmask_b32_e64 v1, v1, v10, s2
	;; [unrolled: 1-line block ×4, first 2 shown]
	v_cmp_eq_u32_e64 s2, 9, v0
	v_cndmask_b32_e64 v38, v19, v7, s1
	v_cndmask_b32_e64 v1, v1, v12, s3
	;; [unrolled: 1-line block ×3, first 2 shown]
	v_cndmask_b32_e32 v23, v4, v6, vcc_lo
	v_cmp_eq_u32_e32 vcc_lo, 7, v0
	v_cndmask_b32_e64 v37, v18, v6, s1
	v_cndmask_b32_e64 v1, v1, v14, s5
	;; [unrolled: 1-line block ×4, first 2 shown]
	v_cndmask_b32_e32 v35, v16, v6, vcc_lo
	v_cndmask_b32_e64 v39, v20, v6, s2
	v_cndmask_b32_e32 v36, v17, v7, vcc_lo
	v_cndmask_b32_e32 v1, v1, v16, vcc_lo
	;; [unrolled: 1-line block ×3, first 2 shown]
	v_cndmask_b32_e64 v32, v13, v7, s3
	v_cndmask_b32_e64 v31, v12, v6, s3
	v_cndmask_b32_e64 v33, v14, v6, s5
	v_cndmask_b32_e64 v1, v1, v18, s1
	v_cndmask_b32_e64 v3, v3, v19, s1
	s_delay_alu instid0(VALU_DEP_2) | instskip(NEXT) | instid1(VALU_DEP_2)
	v_cndmask_b32_e64 v0, v1, v20, s2
	v_cndmask_b32_e64 v1, v3, v21, s2
	;; [unrolled: 1-line block ×3, first 2 shown]
	s_delay_alu instid0(VALU_DEP_3) | instskip(NEXT) | instid1(VALU_DEP_3)
	v_cndmask_b32_e64 v25, v0, v6, s0
	v_cndmask_b32_e64 v26, v1, v7, s0
	s_delay_alu instid0(VALU_DEP_3) | instskip(NEXT) | instid1(VALU_DEP_3)
	v_mov_b32_e32 v2, v21
	v_dual_mov_b32 v3, v22 :: v_dual_mov_b32 v6, v25
	v_dual_mov_b32 v4, v23 :: v_dual_mov_b32 v5, v24
	s_delay_alu instid0(VALU_DEP_4)
	v_dual_mov_b32 v8, v27 :: v_dual_mov_b32 v7, v26
	v_dual_mov_b32 v10, v29 :: v_dual_mov_b32 v9, v28
	v_dual_mov_b32 v12, v31 :: v_dual_mov_b32 v11, v30
	v_dual_mov_b32 v14, v33 :: v_dual_mov_b32 v13, v32
	v_dual_mov_b32 v16, v35 :: v_dual_mov_b32 v15, v34
	v_dual_mov_b32 v18, v37 :: v_dual_mov_b32 v17, v36
	v_dual_mov_b32 v20, v39 :: v_dual_mov_b32 v19, v38
	v_mov_b32_e32 v21, v40
	v_mov_b32_e32 v22, v41
	;; [unrolled: 1-line block ×13, first 2 shown]
.LBB73_97:
	s_or_b32 exec_lo, exec_lo, s6
	v_dual_mov_b32 v0, s12 :: v_dual_mov_b32 v1, s13
	s_mov_b32 s6, exec_lo
	flat_load_b32 v0, v[0:1] offset:4
	s_waitcnt vmcnt(0) lgkmcnt(0)
	v_add_nc_u32_e32 v0, -1, v0
	s_delay_alu instid0(VALU_DEP_1)
	v_cmpx_ne_u32_e32 1, v0
	s_cbranch_execz .LBB73_99
; %bb.98:
	v_cmp_eq_u32_e32 vcc_lo, 1, v0
	v_cmp_eq_u32_e64 s0, 2, v0
	v_cmp_eq_u32_e64 s1, 3, v0
	v_cmp_eq_u32_e64 s2, 4, v0
	v_cmp_eq_u32_e64 s3, 5, v0
	v_dual_cndmask_b32 v1, v2, v4 :: v_dual_cndmask_b32 v22, v3, v5
	v_cmp_eq_u32_e64 s4, 0, v0
	v_cmp_eq_u32_e64 s5, 6, v0
	v_cndmask_b32_e64 v26, v7, v5, s0
	s_delay_alu instid0(VALU_DEP_4)
	v_cndmask_b32_e64 v1, v1, v6, s0
	v_cndmask_b32_e64 v22, v22, v7, s0
	;; [unrolled: 1-line block ×3, first 2 shown]
	v_cmp_eq_u32_e64 s0, 7, v0
	v_cndmask_b32_e64 v28, v9, v5, s1
	v_cndmask_b32_e64 v1, v1, v8, s1
	;; [unrolled: 1-line block ×4, first 2 shown]
	v_cmp_eq_u32_e64 s1, 8, v0
	v_cndmask_b32_e64 v30, v11, v5, s2
	v_cndmask_b32_e64 v1, v1, v10, s2
	;; [unrolled: 1-line block ×5, first 2 shown]
	v_cmp_eq_u32_e64 s2, 9, v0
	v_cndmask_b32_e64 v1, v1, v12, s3
	v_cndmask_b32_e64 v3, v23, v13, s3
	;; [unrolled: 1-line block ×18, first 2 shown]
	s_delay_alu instid0(VALU_DEP_3) | instskip(NEXT) | instid1(VALU_DEP_3)
	v_cndmask_b32_e64 v0, v1, v20, s2
	v_cndmask_b32_e64 v1, v3, v21, s2
	;; [unrolled: 1-line block ×3, first 2 shown]
	s_delay_alu instid0(VALU_DEP_2) | instskip(NEXT) | instid1(VALU_DEP_2)
	v_dual_cndmask_b32 v23, v0, v4 :: v_dual_cndmask_b32 v24, v1, v5
	v_mov_b32_e32 v2, v21
	s_delay_alu instid0(VALU_DEP_2) | instskip(NEXT) | instid1(VALU_DEP_3)
	v_dual_mov_b32 v3, v22 :: v_dual_mov_b32 v4, v23
	v_dual_mov_b32 v5, v24 :: v_dual_mov_b32 v6, v25
	v_dual_mov_b32 v7, v26 :: v_dual_mov_b32 v8, v27
	v_dual_mov_b32 v9, v28 :: v_dual_mov_b32 v10, v29
	v_dual_mov_b32 v11, v30 :: v_dual_mov_b32 v12, v31
	v_dual_mov_b32 v13, v32 :: v_dual_mov_b32 v14, v33
	v_dual_mov_b32 v15, v34 :: v_dual_mov_b32 v16, v35
	v_dual_mov_b32 v17, v36 :: v_dual_mov_b32 v18, v37
	v_dual_mov_b32 v19, v38 :: v_dual_mov_b32 v20, v39
	v_mov_b32_e32 v21, v40
	v_mov_b32_e32 v22, v41
	;; [unrolled: 1-line block ×13, first 2 shown]
.LBB73_99:
	s_or_b32 exec_lo, exec_lo, s6
	v_dual_mov_b32 v0, s12 :: v_dual_mov_b32 v1, s13
	s_mov_b32 s4, exec_lo
	flat_load_b32 v0, v[0:1]
	s_waitcnt vmcnt(0) lgkmcnt(0)
	v_add_nc_u32_e32 v0, -1, v0
	s_delay_alu instid0(VALU_DEP_1)
	v_cmpx_ne_u32_e32 0, v0
	s_cbranch_execz .LBB73_101
; %bb.100:
	v_cmp_eq_u32_e32 vcc_lo, 1, v0
	v_cmp_eq_u32_e64 s0, 2, v0
	v_cmp_eq_u32_e64 s1, 3, v0
	;; [unrolled: 1-line block ×4, first 2 shown]
	v_dual_cndmask_b32 v1, v2, v4 :: v_dual_cndmask_b32 v22, v3, v5
	v_cndmask_b32_e64 v24, v7, v3, s0
	v_cndmask_b32_e64 v23, v6, v2, s0
	;; [unrolled: 1-line block ×3, first 2 shown]
	s_delay_alu instid0(VALU_DEP_4)
	v_cndmask_b32_e64 v1, v1, v6, s0
	v_cndmask_b32_e64 v22, v22, v7, s0
	v_cmp_eq_u32_e64 s0, 6, v0
	v_cndmask_b32_e64 v25, v8, v2, s1
	v_cndmask_b32_e64 v28, v11, v3, s2
	v_cndmask_b32_e64 v1, v1, v8, s1
	v_cndmask_b32_e64 v22, v22, v9, s1
	v_cmp_eq_u32_e64 s1, 7, v0
	v_cndmask_b32_e64 v27, v10, v2, s2
	v_cndmask_b32_e64 v32, v15, v3, s0
	;; [unrolled: 5-line block ×3, first 2 shown]
	v_cndmask_b32_e64 v1, v1, v12, s3
	v_cndmask_b32_e64 v6, v22, v13, s3
	v_cndmask_b32_e32 v22, v5, v3, vcc_lo
	v_cndmask_b32_e64 v33, v16, v2, s1
	v_cndmask_b32_e64 v36, v19, v3, s2
	;; [unrolled: 1-line block ×4, first 2 shown]
	v_cmp_eq_u32_e64 s0, 9, v0
	v_cndmask_b32_e64 v35, v18, v2, s2
	v_cndmask_b32_e64 v30, v13, v3, s3
	;; [unrolled: 1-line block ×4, first 2 shown]
	v_cmp_eq_u32_e64 s1, 0, v0
	v_cndmask_b32_e64 v38, v21, v3, s0
	v_cndmask_b32_e64 v37, v20, v2, s0
	;; [unrolled: 1-line block ×5, first 2 shown]
	s_delay_alu instid0(VALU_DEP_3) | instskip(NEXT) | instid1(VALU_DEP_3)
	v_cndmask_b32_e64 v1, v1, v20, s0
	v_cndmask_b32_e64 v5, v5, v21, s0
	v_cndmask_b32_e32 v21, v4, v2, vcc_lo
	s_delay_alu instid0(VALU_DEP_3) | instskip(NEXT) | instid1(VALU_DEP_3)
	v_cndmask_b32_e64 v19, v1, v2, s1
	v_cndmask_b32_e64 v20, v5, v3, s1
	s_delay_alu instid0(VALU_DEP_2) | instskip(NEXT) | instid1(VALU_DEP_2)
	v_mov_b32_e32 v2, v19
	v_dual_mov_b32 v3, v20 :: v_dual_mov_b32 v4, v21
	v_dual_mov_b32 v5, v22 :: v_dual_mov_b32 v6, v23
	;; [unrolled: 1-line block ×8, first 2 shown]
	v_mov_b32_e32 v19, v36
	v_mov_b32_e32 v20, v37
	;; [unrolled: 1-line block ×15, first 2 shown]
.LBB73_101:
	s_or_b32 exec_lo, exec_lo, s4
.LBB73_102:
	s_clause 0x9
	global_store_b64 v[52:53], v[2:3], off
	global_store_b64 v[54:55], v[4:5], off
	;; [unrolled: 1-line block ×10, first 2 shown]
	s_nop 0
	s_sendmsg sendmsg(MSG_DEALLOC_VGPRS)
	s_endpgm
	.section	.rodata,"a",@progbits
	.p2align	6, 0x0
	.amdhsa_kernel _ZN9rocsolver6v33100L18getri_kernel_smallILi10EdPKPdEEvT1_iilPiilS6_bb
		.amdhsa_group_segment_fixed_size 168
		.amdhsa_private_segment_fixed_size 0
		.amdhsa_kernarg_size 60
		.amdhsa_user_sgpr_count 15
		.amdhsa_user_sgpr_dispatch_ptr 0
		.amdhsa_user_sgpr_queue_ptr 0
		.amdhsa_user_sgpr_kernarg_segment_ptr 1
		.amdhsa_user_sgpr_dispatch_id 0
		.amdhsa_user_sgpr_private_segment_size 0
		.amdhsa_wavefront_size32 1
		.amdhsa_uses_dynamic_stack 0
		.amdhsa_enable_private_segment 0
		.amdhsa_system_sgpr_workgroup_id_x 1
		.amdhsa_system_sgpr_workgroup_id_y 0
		.amdhsa_system_sgpr_workgroup_id_z 0
		.amdhsa_system_sgpr_workgroup_info 0
		.amdhsa_system_vgpr_workitem_id 0
		.amdhsa_next_free_vgpr 72
		.amdhsa_next_free_sgpr 17
		.amdhsa_reserve_vcc 1
		.amdhsa_float_round_mode_32 0
		.amdhsa_float_round_mode_16_64 0
		.amdhsa_float_denorm_mode_32 3
		.amdhsa_float_denorm_mode_16_64 3
		.amdhsa_dx10_clamp 1
		.amdhsa_ieee_mode 1
		.amdhsa_fp16_overflow 0
		.amdhsa_workgroup_processor_mode 1
		.amdhsa_memory_ordered 1
		.amdhsa_forward_progress 0
		.amdhsa_shared_vgpr_count 0
		.amdhsa_exception_fp_ieee_invalid_op 0
		.amdhsa_exception_fp_denorm_src 0
		.amdhsa_exception_fp_ieee_div_zero 0
		.amdhsa_exception_fp_ieee_overflow 0
		.amdhsa_exception_fp_ieee_underflow 0
		.amdhsa_exception_fp_ieee_inexact 0
		.amdhsa_exception_int_div_zero 0
	.end_amdhsa_kernel
	.section	.text._ZN9rocsolver6v33100L18getri_kernel_smallILi10EdPKPdEEvT1_iilPiilS6_bb,"axG",@progbits,_ZN9rocsolver6v33100L18getri_kernel_smallILi10EdPKPdEEvT1_iilPiilS6_bb,comdat
.Lfunc_end73:
	.size	_ZN9rocsolver6v33100L18getri_kernel_smallILi10EdPKPdEEvT1_iilPiilS6_bb, .Lfunc_end73-_ZN9rocsolver6v33100L18getri_kernel_smallILi10EdPKPdEEvT1_iilPiilS6_bb
                                        ; -- End function
	.section	.AMDGPU.csdata,"",@progbits
; Kernel info:
; codeLenInByte = 14520
; NumSgprs: 19
; NumVgprs: 72
; ScratchSize: 0
; MemoryBound: 0
; FloatMode: 240
; IeeeMode: 1
; LDSByteSize: 168 bytes/workgroup (compile time only)
; SGPRBlocks: 2
; VGPRBlocks: 8
; NumSGPRsForWavesPerEU: 19
; NumVGPRsForWavesPerEU: 72
; Occupancy: 16
; WaveLimiterHint : 1
; COMPUTE_PGM_RSRC2:SCRATCH_EN: 0
; COMPUTE_PGM_RSRC2:USER_SGPR: 15
; COMPUTE_PGM_RSRC2:TRAP_HANDLER: 0
; COMPUTE_PGM_RSRC2:TGID_X_EN: 1
; COMPUTE_PGM_RSRC2:TGID_Y_EN: 0
; COMPUTE_PGM_RSRC2:TGID_Z_EN: 0
; COMPUTE_PGM_RSRC2:TIDIG_COMP_CNT: 0
	.section	.text._ZN9rocsolver6v33100L18getri_kernel_smallILi11EdPKPdEEvT1_iilPiilS6_bb,"axG",@progbits,_ZN9rocsolver6v33100L18getri_kernel_smallILi11EdPKPdEEvT1_iilPiilS6_bb,comdat
	.globl	_ZN9rocsolver6v33100L18getri_kernel_smallILi11EdPKPdEEvT1_iilPiilS6_bb ; -- Begin function _ZN9rocsolver6v33100L18getri_kernel_smallILi11EdPKPdEEvT1_iilPiilS6_bb
	.p2align	8
	.type	_ZN9rocsolver6v33100L18getri_kernel_smallILi11EdPKPdEEvT1_iilPiilS6_bb,@function
_ZN9rocsolver6v33100L18getri_kernel_smallILi11EdPKPdEEvT1_iilPiilS6_bb: ; @_ZN9rocsolver6v33100L18getri_kernel_smallILi11EdPKPdEEvT1_iilPiilS6_bb
; %bb.0:
	s_mov_b32 s2, exec_lo
	v_cmpx_gt_u32_e32 11, v0
	s_cbranch_execz .LBB74_16
; %bb.1:
	s_clause 0x1
	s_load_b32 s4, s[0:1], 0x38
	s_load_b64 s[2:3], s[0:1], 0x0
	s_mov_b32 s14, s15
	s_load_b128 s[8:11], s[0:1], 0x28
                                        ; implicit-def: $sgpr12_sgpr13
	s_waitcnt lgkmcnt(0)
	s_bitcmp1_b32 s4, 8
	s_cselect_b32 s16, -1, 0
	s_ashr_i32 s15, s15, 31
	s_delay_alu instid0(SALU_CYCLE_1) | instskip(NEXT) | instid1(SALU_CYCLE_1)
	s_lshl_b64 s[6:7], s[14:15], 3
	s_add_u32 s2, s2, s6
	s_addc_u32 s3, s3, s7
	s_bfe_u32 s5, s4, 0x10008
	s_load_b64 s[2:3], s[2:3], 0x0
	s_cmp_eq_u32 s5, 0
	s_cbranch_scc1 .LBB74_3
; %bb.2:
	s_clause 0x1
	s_load_b32 s6, s[0:1], 0x20
	s_load_b64 s[12:13], s[0:1], 0x18
	s_mul_i32 s5, s14, s9
	s_mul_hi_u32 s7, s14, s8
	s_mul_i32 s9, s15, s8
	s_add_i32 s5, s7, s5
	s_mul_i32 s8, s14, s8
	s_add_i32 s9, s5, s9
	s_delay_alu instid0(SALU_CYCLE_1)
	s_lshl_b64 s[8:9], s[8:9], 2
	s_waitcnt lgkmcnt(0)
	s_ashr_i32 s7, s6, 31
	s_add_u32 s5, s12, s8
	s_addc_u32 s8, s13, s9
	s_lshl_b64 s[6:7], s[6:7], 2
	s_delay_alu instid0(SALU_CYCLE_1)
	s_add_u32 s12, s5, s6
	s_addc_u32 s13, s8, s7
.LBB74_3:
	s_load_b64 s[0:1], s[0:1], 0x8
	v_lshlrev_b32_e32 v26, 3, v0
	s_waitcnt lgkmcnt(0)
	v_add3_u32 v1, s1, s1, v0
	s_ashr_i32 s7, s0, 31
	s_mov_b32 s6, s0
	s_mov_b32 s8, s1
	s_lshl_b64 s[6:7], s[6:7], 3
	v_add_nc_u32_e32 v3, s1, v1
	v_ashrrev_i32_e32 v2, 31, v1
	s_add_u32 s2, s2, s6
	s_addc_u32 s3, s3, s7
	v_add_co_u32 v58, s0, s2, v26
	v_add_nc_u32_e32 v5, s1, v3
	s_ashr_i32 s9, s1, 31
	v_add_co_ci_u32_e64 v59, null, s3, 0, s0
	v_lshlrev_b64 v[1:2], 3, v[1:2]
	s_lshl_b64 s[6:7], s[8:9], 3
	v_ashrrev_i32_e32 v6, 31, v5
	v_add_co_u32 v56, vcc_lo, v58, s6
	v_add_nc_u32_e32 v7, s1, v5
	v_ashrrev_i32_e32 v4, 31, v3
	v_add_co_ci_u32_e32 v57, vcc_lo, s7, v59, vcc_lo
	v_add_co_u32 v60, vcc_lo, s2, v1
	v_add_co_ci_u32_e32 v61, vcc_lo, s3, v2, vcc_lo
	v_lshlrev_b64 v[1:2], 3, v[5:6]
	v_add_nc_u32_e32 v5, s1, v7
	v_lshlrev_b64 v[3:4], 3, v[3:4]
	v_ashrrev_i32_e32 v8, 31, v7
	s_bitcmp0_b32 s4, 0
	s_mov_b32 s0, -1
	v_add_nc_u32_e32 v14, s1, v5
	v_ashrrev_i32_e32 v6, 31, v5
	v_add_co_u32 v62, vcc_lo, s2, v3
	v_lshlrev_b64 v[12:13], 3, v[7:8]
	v_add_co_ci_u32_e32 v63, vcc_lo, s3, v4, vcc_lo
	v_add_co_u32 v64, vcc_lo, s2, v1
	v_ashrrev_i32_e32 v15, 31, v14
	v_add_nc_u32_e32 v16, s1, v14
	v_add_co_ci_u32_e32 v65, vcc_lo, s3, v2, vcc_lo
	v_lshlrev_b64 v[1:2], 3, v[5:6]
	v_add_co_u32 v68, vcc_lo, s2, v12
	v_add_co_ci_u32_e32 v69, vcc_lo, s3, v13, vcc_lo
	v_lshlrev_b64 v[12:13], 3, v[14:15]
	v_ashrrev_i32_e32 v17, 31, v16
	v_add_nc_u32_e32 v14, s1, v16
	v_add_co_u32 v66, vcc_lo, s2, v1
	v_add_co_ci_u32_e32 v67, vcc_lo, s3, v2, vcc_lo
	s_delay_alu instid0(VALU_DEP_4) | instskip(NEXT) | instid1(VALU_DEP_4)
	v_lshlrev_b64 v[1:2], 3, v[16:17]
	v_add_nc_u32_e32 v16, s1, v14
	v_ashrrev_i32_e32 v15, 31, v14
	v_add_co_u32 v70, vcc_lo, s2, v12
	v_add_co_ci_u32_e32 v71, vcc_lo, s3, v13, vcc_lo
	s_delay_alu instid0(VALU_DEP_4) | instskip(NEXT) | instid1(VALU_DEP_4)
	v_ashrrev_i32_e32 v17, 31, v16
	v_lshlrev_b64 v[12:13], 3, v[14:15]
	v_add_co_u32 v72, vcc_lo, s2, v1
	v_add_co_ci_u32_e32 v73, vcc_lo, s3, v2, vcc_lo
	s_delay_alu instid0(VALU_DEP_4) | instskip(NEXT) | instid1(VALU_DEP_4)
	v_lshlrev_b64 v[1:2], 3, v[16:17]
	v_add_co_u32 v76, vcc_lo, s2, v12
	v_add_co_ci_u32_e32 v77, vcc_lo, s3, v13, vcc_lo
	s_clause 0x3
	global_load_b64 v[4:5], v[56:57], off
	global_load_b64 v[6:7], v[60:61], off
	;; [unrolled: 1-line block ×4, first 2 shown]
	v_add_co_u32 v74, vcc_lo, s2, v1
	v_mov_b32_e32 v1, 0
	v_add_co_ci_u32_e32 v75, vcc_lo, s3, v2, vcc_lo
	s_clause 0x6
	global_load_b64 v[12:13], v[68:69], off
	global_load_b64 v[14:15], v[66:67], off
	;; [unrolled: 1-line block ×5, first 2 shown]
	global_load_b64 v[2:3], v26, s[2:3]
	global_load_b64 v[22:23], v[74:75], off
	s_cbranch_scc1 .LBB74_14
; %bb.4:
	v_cmp_eq_u32_e64 s0, 0, v0
	s_delay_alu instid0(VALU_DEP_1)
	s_and_saveexec_b32 s1, s0
	s_cbranch_execz .LBB74_6
; %bb.5:
	v_mov_b32_e32 v24, 0
	ds_store_b32 v24, v24 offset:88
.LBB74_6:
	s_or_b32 exec_lo, exec_lo, s1
	v_cmp_eq_u32_e32 vcc_lo, 1, v0
	s_mov_b32 s2, exec_lo
	s_waitcnt vmcnt(0) lgkmcnt(0)
	s_barrier
	buffer_gl0_inv
	v_dual_cndmask_b32 v24, v3, v5 :: v_dual_cndmask_b32 v25, v2, v4
	v_cmp_eq_u32_e32 vcc_lo, 2, v0
	s_delay_alu instid0(VALU_DEP_2) | instskip(SKIP_1) | instid1(VALU_DEP_2)
	v_dual_cndmask_b32 v24, v24, v7 :: v_dual_cndmask_b32 v25, v25, v6
	v_cmp_eq_u32_e32 vcc_lo, 3, v0
	v_dual_cndmask_b32 v24, v24, v9 :: v_dual_cndmask_b32 v25, v25, v8
	v_cmp_eq_u32_e32 vcc_lo, 4, v0
	s_delay_alu instid0(VALU_DEP_2) | instskip(SKIP_1) | instid1(VALU_DEP_2)
	v_dual_cndmask_b32 v24, v24, v11 :: v_dual_cndmask_b32 v25, v25, v10
	v_cmp_eq_u32_e32 vcc_lo, 5, v0
	v_dual_cndmask_b32 v24, v24, v13 :: v_dual_cndmask_b32 v25, v25, v12
	v_cmp_eq_u32_e32 vcc_lo, 6, v0
	s_delay_alu instid0(VALU_DEP_2) | instskip(SKIP_1) | instid1(VALU_DEP_2)
	v_dual_cndmask_b32 v24, v24, v15 :: v_dual_cndmask_b32 v25, v25, v14
	v_cmp_eq_u32_e32 vcc_lo, 7, v0
	v_dual_cndmask_b32 v24, v24, v17 :: v_dual_cndmask_b32 v25, v25, v16
	v_cmp_eq_u32_e32 vcc_lo, 8, v0
	s_delay_alu instid0(VALU_DEP_2) | instskip(SKIP_1) | instid1(VALU_DEP_2)
	v_dual_cndmask_b32 v24, v24, v19 :: v_dual_cndmask_b32 v25, v25, v18
	v_cmp_eq_u32_e32 vcc_lo, 9, v0
	v_dual_cndmask_b32 v24, v24, v21 :: v_dual_cndmask_b32 v27, v25, v20
	v_cmp_eq_u32_e32 vcc_lo, 10, v0
	s_delay_alu instid0(VALU_DEP_2) | instskip(NEXT) | instid1(VALU_DEP_1)
	v_dual_cndmask_b32 v25, v24, v23 :: v_dual_cndmask_b32 v24, v27, v22
	v_cmpx_eq_f64_e32 0, v[24:25]
	s_cbranch_execz .LBB74_10
; %bb.7:
	v_mov_b32_e32 v27, 0
	s_mov_b32 s3, 0
	ds_load_b32 v28, v27 offset:88
	s_waitcnt lgkmcnt(0)
	v_readfirstlane_b32 s1, v28
	v_add_nc_u32_e32 v28, 1, v0
	s_delay_alu instid0(VALU_DEP_2) | instskip(NEXT) | instid1(VALU_DEP_1)
	s_cmp_eq_u32 s1, 0
	v_cmp_gt_i32_e32 vcc_lo, s1, v28
	s_cselect_b32 s4, -1, 0
	s_delay_alu instid0(SALU_CYCLE_1) | instskip(NEXT) | instid1(SALU_CYCLE_1)
	s_or_b32 s4, s4, vcc_lo
	s_and_b32 exec_lo, exec_lo, s4
	s_cbranch_execz .LBB74_10
; %bb.8:
	v_mov_b32_e32 v29, s1
.LBB74_9:                               ; =>This Inner Loop Header: Depth=1
	ds_cmpstore_rtn_b32 v29, v27, v28, v29 offset:88
	s_waitcnt lgkmcnt(0)
	v_cmp_ne_u32_e32 vcc_lo, 0, v29
	v_cmp_le_i32_e64 s1, v29, v28
	s_delay_alu instid0(VALU_DEP_1) | instskip(NEXT) | instid1(SALU_CYCLE_1)
	s_and_b32 s1, vcc_lo, s1
	s_and_b32 s1, exec_lo, s1
	s_delay_alu instid0(SALU_CYCLE_1) | instskip(NEXT) | instid1(SALU_CYCLE_1)
	s_or_b32 s3, s1, s3
	s_and_not1_b32 exec_lo, exec_lo, s3
	s_cbranch_execnz .LBB74_9
.LBB74_10:
	s_or_b32 exec_lo, exec_lo, s2
	v_mov_b32_e32 v27, 0
	s_barrier
	buffer_gl0_inv
	ds_load_b32 v28, v27 offset:88
	s_and_saveexec_b32 s1, s0
	s_cbranch_execz .LBB74_12
; %bb.11:
	s_lshl_b64 s[2:3], s[14:15], 2
	s_delay_alu instid0(SALU_CYCLE_1)
	s_add_u32 s2, s10, s2
	s_addc_u32 s3, s11, s3
	s_waitcnt lgkmcnt(0)
	global_store_b32 v27, v28, s[2:3]
.LBB74_12:
	s_or_b32 exec_lo, exec_lo, s1
	s_waitcnt lgkmcnt(0)
	v_cmp_ne_u32_e32 vcc_lo, 0, v28
	s_cbranch_vccz .LBB74_17
; %bb.13:
	s_mov_b32 s0, 0
                                        ; implicit-def: $vgpr2_vgpr3_vgpr4_vgpr5_vgpr6_vgpr7_vgpr8_vgpr9_vgpr10_vgpr11_vgpr12_vgpr13_vgpr14_vgpr15_vgpr16_vgpr17_vgpr18_vgpr19_vgpr20_vgpr21_vgpr22_vgpr23_vgpr24_vgpr25_vgpr26_vgpr27_vgpr28_vgpr29_vgpr30_vgpr31_vgpr32_vgpr33
.LBB74_14:
	s_delay_alu instid0(SALU_CYCLE_1)
	s_and_b32 vcc_lo, exec_lo, s0
	s_cbranch_vccz .LBB74_16
.LBB74_15:
	s_lshl_b64 s[0:1], s[14:15], 2
	v_mov_b32_e32 v1, 0
	s_add_u32 s0, s10, s0
	s_addc_u32 s1, s11, s1
	global_load_b32 v1, v1, s[0:1]
	s_waitcnt vmcnt(0)
	v_cmp_ne_u32_e32 vcc_lo, 0, v1
	s_cbranch_vccz .LBB74_68
.LBB74_16:
	s_nop 0
	s_sendmsg sendmsg(MSG_DEALLOC_VGPRS)
	s_endpgm
.LBB74_17:
	v_div_scale_f64 v[27:28], null, v[24:25], v[24:25], 1.0
	v_div_scale_f64 v[33:34], vcc_lo, 1.0, v[24:25], 1.0
	v_cmp_eq_u32_e64 s1, 8, v0
	v_cmp_eq_u32_e64 s2, 7, v0
	;; [unrolled: 1-line block ×9, first 2 shown]
	v_rcp_f64_e32 v[29:30], v[27:28]
	s_waitcnt_depctr 0xfff
	v_fma_f64 v[31:32], -v[27:28], v[29:30], 1.0
	s_delay_alu instid0(VALU_DEP_1) | instskip(NEXT) | instid1(VALU_DEP_1)
	v_fma_f64 v[29:30], v[29:30], v[31:32], v[29:30]
	v_fma_f64 v[31:32], -v[27:28], v[29:30], 1.0
	s_delay_alu instid0(VALU_DEP_1) | instskip(NEXT) | instid1(VALU_DEP_1)
	v_fma_f64 v[29:30], v[29:30], v[31:32], v[29:30]
	v_mul_f64 v[31:32], v[33:34], v[29:30]
	s_delay_alu instid0(VALU_DEP_1) | instskip(NEXT) | instid1(VALU_DEP_1)
	v_fma_f64 v[27:28], -v[27:28], v[31:32], v[33:34]
	v_div_fmas_f64 v[27:28], v[27:28], v[29:30], v[31:32]
	v_cmp_eq_u32_e32 vcc_lo, 9, v0
	s_delay_alu instid0(VALU_DEP_2) | instskip(NEXT) | instid1(VALU_DEP_1)
	v_div_fixup_f64 v[24:25], v[27:28], v[24:25], 1.0
	v_dual_cndmask_b32 v21, v21, v25 :: v_dual_add_nc_u32 v28, 0x60, v26
	s_delay_alu instid0(VALU_DEP_2)
	v_cndmask_b32_e32 v20, v20, v24, vcc_lo
	v_cmp_eq_u32_e32 vcc_lo, 2, v0
	v_cndmask_b32_e64 v23, v23, v25, s6
	v_cndmask_b32_e64 v22, v22, v24, s6
	;; [unrolled: 1-line block ×4, first 2 shown]
	v_cndmask_b32_e32 v7, v7, v25, vcc_lo
	v_cndmask_b32_e64 v17, v17, v25, s2
	v_cndmask_b32_e64 v16, v16, v24, s2
	;; [unrolled: 1-line block ×12, first 2 shown]
	v_xor_b32_e32 v30, 0x80000000, v25
	v_dual_mov_b32 v29, v24 :: v_dual_cndmask_b32 v6, v6, v24
	v_cndmask_b32_e64 v3, v3, v25, s9
	v_cndmask_b32_e64 v2, v2, v24, s9
	ds_store_2addr_b64 v26, v[29:30], v[4:5] offset1:12
	s_waitcnt lgkmcnt(0)
	s_waitcnt_vscnt null, 0x0
	s_barrier
	buffer_gl0_inv
	s_and_saveexec_b32 s1, s0
	s_cbranch_execz .LBB74_19
; %bb.18:
	ds_load_b64 v[4:5], v28
	v_mov_b32_e32 v26, 0
	ds_load_b64 v[26:27], v26 offset:8
	s_waitcnt lgkmcnt(1)
	v_fma_f64 v[4:5], v[24:25], v[4:5], 0
	s_waitcnt lgkmcnt(0)
	s_delay_alu instid0(VALU_DEP_1)
	v_mul_f64 v[4:5], v[4:5], v[26:27]
.LBB74_19:
	s_or_b32 exec_lo, exec_lo, s1
	v_cmp_gt_u32_e32 vcc_lo, 2, v0
	s_barrier
	buffer_gl0_inv
	ds_store_b64 v28, v[6:7]
	s_waitcnt lgkmcnt(0)
	s_barrier
	buffer_gl0_inv
	s_and_saveexec_b32 s2, vcc_lo
	s_cbranch_execz .LBB74_23
; %bb.20:
	v_cmp_eq_u32_e64 s1, 1, v0
	s_delay_alu instid0(VALU_DEP_1) | instskip(SKIP_2) | instid1(VALU_DEP_1)
	v_cndmask_b32_e64 v24, v3, v5, s1
	v_cndmask_b32_e64 v25, v2, v4, s1
	v_cmp_eq_u32_e64 s1, 2, v0
	v_cndmask_b32_e64 v7, v24, v7, s1
	s_delay_alu instid0(VALU_DEP_3) | instskip(SKIP_1) | instid1(VALU_DEP_1)
	v_cndmask_b32_e64 v6, v25, v6, s1
	v_cmp_eq_u32_e64 s1, 3, v0
	v_cndmask_b32_e64 v7, v7, v9, s1
	s_delay_alu instid0(VALU_DEP_3) | instskip(SKIP_1) | instid1(VALU_DEP_1)
	;; [unrolled: 4-line block ×5, first 2 shown]
	v_cndmask_b32_e64 v6, v6, v14, s1
	v_cmp_eq_u32_e64 s1, 7, v0
	v_cndmask_b32_e64 v24, v7, v17, s1
	s_delay_alu instid0(VALU_DEP_3)
	v_cndmask_b32_e64 v25, v6, v16, s1
	v_cmp_eq_u32_e64 s1, 8, v0
	ds_load_b64 v[6:7], v28
	v_cndmask_b32_e64 v24, v24, v19, s1
	v_cndmask_b32_e64 v25, v25, v18, s1
	v_cmp_eq_u32_e64 s1, 9, v0
	s_delay_alu instid0(VALU_DEP_1) | instskip(NEXT) | instid1(VALU_DEP_3)
	v_cndmask_b32_e64 v24, v24, v21, s1
	v_cndmask_b32_e64 v26, v25, v20, s1
	v_cmp_eq_u32_e64 s1, 10, v0
	s_delay_alu instid0(VALU_DEP_1) | instskip(NEXT) | instid1(VALU_DEP_3)
	v_cndmask_b32_e64 v25, v24, v23, s1
	v_cndmask_b32_e64 v24, v26, v22, s1
	s_waitcnt lgkmcnt(0)
	s_delay_alu instid0(VALU_DEP_1)
	v_fma_f64 v[6:7], v[24:25], v[6:7], 0
	s_and_saveexec_b32 s1, s0
	s_cbranch_execz .LBB74_22
; %bb.21:
	v_mov_b32_e32 v24, 0
	ds_load_b64 v[24:25], v24 offset:104
	s_waitcnt lgkmcnt(0)
	v_fma_f64 v[6:7], v[4:5], v[24:25], v[6:7]
.LBB74_22:
	s_or_b32 exec_lo, exec_lo, s1
	v_mov_b32_e32 v24, 0
	ds_load_b64 v[24:25], v24 offset:16
	s_waitcnt lgkmcnt(0)
	v_mul_f64 v[6:7], v[6:7], v[24:25]
.LBB74_23:
	s_or_b32 exec_lo, exec_lo, s2
	s_delay_alu instid0(SALU_CYCLE_1)
	s_mov_b32 s3, exec_lo
	s_barrier
	buffer_gl0_inv
	ds_store_b64 v28, v[8:9]
	s_waitcnt lgkmcnt(0)
	s_barrier
	buffer_gl0_inv
	v_cmpx_gt_u32_e32 3, v0
	s_cbranch_execz .LBB74_27
; %bb.24:
	v_dual_mov_b32 v24, 0 :: v_dual_mov_b32 v27, v1
	v_lshl_add_u32 v29, v0, 3, 0x60
	v_dual_mov_b32 v25, 0 :: v_dual_mov_b32 v26, v0
	s_mov_b32 s4, 0
.LBB74_25:                              ; =>This Inner Loop Header: Depth=1
	s_delay_alu instid0(VALU_DEP_1) | instskip(SKIP_1) | instid1(VALU_DEP_2)
	v_cmp_eq_u32_e64 s1, 1, v26
	v_cmp_eq_u32_e64 s2, 2, v26
	v_cndmask_b32_e64 v30, v3, v5, s1
	v_cndmask_b32_e64 v31, v2, v4, s1
	v_cmp_eq_u32_e64 s1, 3, v26
	s_delay_alu instid0(VALU_DEP_3) | instskip(NEXT) | instid1(VALU_DEP_3)
	v_cndmask_b32_e64 v30, v30, v7, s2
	v_cndmask_b32_e64 v31, v31, v6, s2
	v_cmp_eq_u32_e64 s2, 4, v26
	s_delay_alu instid0(VALU_DEP_3) | instskip(NEXT) | instid1(VALU_DEP_3)
	;; [unrolled: 4-line block ×5, first 2 shown]
	v_cndmask_b32_e64 v32, v30, v15, s2
	v_cndmask_b32_e64 v33, v31, v14, s2
	ds_load_b64 v[30:31], v29
	v_cmp_eq_u32_e64 s2, 8, v26
	v_add_nc_u32_e32 v29, 8, v29
	v_cndmask_b32_e64 v32, v32, v17, s1
	v_cndmask_b32_e64 v33, v33, v16, s1
	v_cmp_eq_u32_e64 s1, 9, v26
	s_delay_alu instid0(VALU_DEP_3) | instskip(NEXT) | instid1(VALU_DEP_3)
	v_cndmask_b32_e64 v32, v32, v19, s2
	v_cndmask_b32_e64 v33, v33, v18, s2
	v_cmp_eq_u32_e64 s2, 10, v26
	s_delay_alu instid0(VALU_DEP_3) | instskip(NEXT) | instid1(VALU_DEP_3)
	v_cndmask_b32_e64 v32, v32, v21, s1
	v_cndmask_b32_e64 v34, v33, v20, s1
	v_add_co_u32 v26, s1, v26, 1
	s_delay_alu instid0(VALU_DEP_1) | instskip(NEXT) | instid1(VALU_DEP_4)
	v_add_co_ci_u32_e64 v27, s1, 0, v27, s1
	v_cndmask_b32_e64 v33, v32, v23, s2
	s_delay_alu instid0(VALU_DEP_4) | instskip(SKIP_1) | instid1(VALU_DEP_1)
	v_cndmask_b32_e64 v32, v34, v22, s2
	s_waitcnt lgkmcnt(0)
	v_fma_f64 v[24:25], v[32:33], v[30:31], v[24:25]
	v_add_nc_u32_e32 v30, -1, v26
	s_delay_alu instid0(VALU_DEP_1) | instskip(NEXT) | instid1(VALU_DEP_1)
	v_cmp_lt_u32_e64 s1, 1, v30
	s_or_b32 s4, s1, s4
	s_delay_alu instid0(SALU_CYCLE_1)
	s_and_not1_b32 exec_lo, exec_lo, s4
	s_cbranch_execnz .LBB74_25
; %bb.26:
	s_or_b32 exec_lo, exec_lo, s4
	v_mov_b32_e32 v8, 0
	ds_load_b64 v[8:9], v8 offset:24
	s_waitcnt lgkmcnt(0)
	v_mul_f64 v[8:9], v[24:25], v[8:9]
.LBB74_27:
	s_or_b32 exec_lo, exec_lo, s3
	v_cmp_gt_u32_e64 s1, 4, v0
	s_barrier
	buffer_gl0_inv
	ds_store_b64 v28, v[10:11]
	s_waitcnt lgkmcnt(0)
	s_barrier
	buffer_gl0_inv
	s_and_saveexec_b32 s4, s1
	s_cbranch_execz .LBB74_31
; %bb.28:
	v_dual_mov_b32 v24, 0 :: v_dual_mov_b32 v27, v1
	v_lshl_add_u32 v29, v0, 3, 0x60
	v_dual_mov_b32 v25, 0 :: v_dual_mov_b32 v26, v0
	s_mov_b32 s5, 0
.LBB74_29:                              ; =>This Inner Loop Header: Depth=1
	s_delay_alu instid0(VALU_DEP_1) | instskip(SKIP_1) | instid1(VALU_DEP_2)
	v_cmp_eq_u32_e64 s2, 1, v26
	v_cmp_eq_u32_e64 s3, 2, v26
	v_cndmask_b32_e64 v30, v3, v5, s2
	v_cndmask_b32_e64 v31, v2, v4, s2
	v_cmp_eq_u32_e64 s2, 3, v26
	s_delay_alu instid0(VALU_DEP_3) | instskip(NEXT) | instid1(VALU_DEP_3)
	v_cndmask_b32_e64 v30, v30, v7, s3
	v_cndmask_b32_e64 v31, v31, v6, s3
	v_cmp_eq_u32_e64 s3, 4, v26
	s_delay_alu instid0(VALU_DEP_3) | instskip(NEXT) | instid1(VALU_DEP_3)
	;; [unrolled: 4-line block ×5, first 2 shown]
	v_cndmask_b32_e64 v32, v30, v15, s3
	v_cndmask_b32_e64 v33, v31, v14, s3
	ds_load_b64 v[30:31], v29
	v_cmp_eq_u32_e64 s3, 8, v26
	v_add_nc_u32_e32 v29, 8, v29
	v_cndmask_b32_e64 v32, v32, v17, s2
	v_cndmask_b32_e64 v33, v33, v16, s2
	v_cmp_eq_u32_e64 s2, 9, v26
	s_delay_alu instid0(VALU_DEP_3) | instskip(NEXT) | instid1(VALU_DEP_3)
	v_cndmask_b32_e64 v32, v32, v19, s3
	v_cndmask_b32_e64 v33, v33, v18, s3
	v_cmp_eq_u32_e64 s3, 10, v26
	s_delay_alu instid0(VALU_DEP_3) | instskip(NEXT) | instid1(VALU_DEP_3)
	v_cndmask_b32_e64 v32, v32, v21, s2
	v_cndmask_b32_e64 v34, v33, v20, s2
	v_add_co_u32 v26, s2, v26, 1
	s_delay_alu instid0(VALU_DEP_1) | instskip(NEXT) | instid1(VALU_DEP_4)
	v_add_co_ci_u32_e64 v27, s2, 0, v27, s2
	v_cndmask_b32_e64 v33, v32, v23, s3
	s_delay_alu instid0(VALU_DEP_4) | instskip(SKIP_1) | instid1(VALU_DEP_1)
	v_cndmask_b32_e64 v32, v34, v22, s3
	s_waitcnt lgkmcnt(0)
	v_fma_f64 v[24:25], v[32:33], v[30:31], v[24:25]
	v_add_nc_u32_e32 v30, -1, v26
	s_delay_alu instid0(VALU_DEP_1) | instskip(NEXT) | instid1(VALU_DEP_1)
	v_cmp_lt_u32_e64 s2, 2, v30
	s_or_b32 s5, s2, s5
	s_delay_alu instid0(SALU_CYCLE_1)
	s_and_not1_b32 exec_lo, exec_lo, s5
	s_cbranch_execnz .LBB74_29
; %bb.30:
	s_or_b32 exec_lo, exec_lo, s5
	v_mov_b32_e32 v10, 0
	ds_load_b64 v[10:11], v10 offset:32
	s_waitcnt lgkmcnt(0)
	v_mul_f64 v[10:11], v[24:25], v[10:11]
.LBB74_31:
	s_or_b32 exec_lo, exec_lo, s4
	s_delay_alu instid0(SALU_CYCLE_1)
	s_mov_b32 s4, exec_lo
	s_barrier
	buffer_gl0_inv
	ds_store_b64 v28, v[12:13]
	s_waitcnt lgkmcnt(0)
	s_barrier
	buffer_gl0_inv
	v_cmpx_gt_u32_e32 5, v0
	s_cbranch_execz .LBB74_35
; %bb.32:
	v_dual_mov_b32 v24, 0 :: v_dual_mov_b32 v27, v1
	v_lshl_add_u32 v29, v0, 3, 0x60
	v_dual_mov_b32 v25, 0 :: v_dual_mov_b32 v26, v0
	s_mov_b32 s5, 0
.LBB74_33:                              ; =>This Inner Loop Header: Depth=1
	s_delay_alu instid0(VALU_DEP_1) | instskip(SKIP_1) | instid1(VALU_DEP_2)
	v_cmp_eq_u32_e64 s2, 1, v26
	v_cmp_eq_u32_e64 s3, 2, v26
	v_cndmask_b32_e64 v30, v3, v5, s2
	v_cndmask_b32_e64 v31, v2, v4, s2
	v_cmp_eq_u32_e64 s2, 3, v26
	s_delay_alu instid0(VALU_DEP_3) | instskip(NEXT) | instid1(VALU_DEP_3)
	v_cndmask_b32_e64 v30, v30, v7, s3
	v_cndmask_b32_e64 v31, v31, v6, s3
	v_cmp_eq_u32_e64 s3, 4, v26
	s_delay_alu instid0(VALU_DEP_3) | instskip(NEXT) | instid1(VALU_DEP_3)
	;; [unrolled: 4-line block ×5, first 2 shown]
	v_cndmask_b32_e64 v32, v30, v15, s3
	v_cndmask_b32_e64 v33, v31, v14, s3
	ds_load_b64 v[30:31], v29
	v_cmp_eq_u32_e64 s3, 8, v26
	v_add_nc_u32_e32 v29, 8, v29
	v_cndmask_b32_e64 v32, v32, v17, s2
	v_cndmask_b32_e64 v33, v33, v16, s2
	v_cmp_eq_u32_e64 s2, 9, v26
	s_delay_alu instid0(VALU_DEP_3) | instskip(NEXT) | instid1(VALU_DEP_3)
	v_cndmask_b32_e64 v32, v32, v19, s3
	v_cndmask_b32_e64 v33, v33, v18, s3
	v_cmp_eq_u32_e64 s3, 10, v26
	s_delay_alu instid0(VALU_DEP_3) | instskip(NEXT) | instid1(VALU_DEP_3)
	v_cndmask_b32_e64 v32, v32, v21, s2
	v_cndmask_b32_e64 v34, v33, v20, s2
	v_add_co_u32 v26, s2, v26, 1
	s_delay_alu instid0(VALU_DEP_1) | instskip(NEXT) | instid1(VALU_DEP_4)
	v_add_co_ci_u32_e64 v27, s2, 0, v27, s2
	v_cndmask_b32_e64 v33, v32, v23, s3
	s_delay_alu instid0(VALU_DEP_4) | instskip(SKIP_1) | instid1(VALU_DEP_1)
	v_cndmask_b32_e64 v32, v34, v22, s3
	s_waitcnt lgkmcnt(0)
	v_fma_f64 v[24:25], v[32:33], v[30:31], v[24:25]
	v_add_nc_u32_e32 v30, -1, v26
	s_delay_alu instid0(VALU_DEP_1) | instskip(NEXT) | instid1(VALU_DEP_1)
	v_cmp_lt_u32_e64 s2, 3, v30
	s_or_b32 s5, s2, s5
	s_delay_alu instid0(SALU_CYCLE_1)
	s_and_not1_b32 exec_lo, exec_lo, s5
	s_cbranch_execnz .LBB74_33
; %bb.34:
	s_or_b32 exec_lo, exec_lo, s5
	v_mov_b32_e32 v12, 0
	ds_load_b64 v[12:13], v12 offset:40
	s_waitcnt lgkmcnt(0)
	v_mul_f64 v[12:13], v[24:25], v[12:13]
.LBB74_35:
	s_or_b32 exec_lo, exec_lo, s4
	v_cmp_gt_u32_e64 s2, 6, v0
	s_barrier
	buffer_gl0_inv
	ds_store_b64 v28, v[14:15]
	s_waitcnt lgkmcnt(0)
	s_barrier
	buffer_gl0_inv
	s_and_saveexec_b32 s5, s2
	s_cbranch_execz .LBB74_39
; %bb.36:
	v_dual_mov_b32 v24, 0 :: v_dual_mov_b32 v27, v1
	v_lshl_add_u32 v29, v0, 3, 0x60
	v_dual_mov_b32 v25, 0 :: v_dual_mov_b32 v26, v0
	s_mov_b32 s6, 0
.LBB74_37:                              ; =>This Inner Loop Header: Depth=1
	s_delay_alu instid0(VALU_DEP_1) | instskip(SKIP_1) | instid1(VALU_DEP_2)
	v_cmp_eq_u32_e64 s3, 1, v26
	v_cmp_eq_u32_e64 s4, 2, v26
	v_cndmask_b32_e64 v30, v3, v5, s3
	v_cndmask_b32_e64 v31, v2, v4, s3
	v_cmp_eq_u32_e64 s3, 3, v26
	s_delay_alu instid0(VALU_DEP_3) | instskip(NEXT) | instid1(VALU_DEP_3)
	v_cndmask_b32_e64 v30, v30, v7, s4
	v_cndmask_b32_e64 v31, v31, v6, s4
	v_cmp_eq_u32_e64 s4, 4, v26
	s_delay_alu instid0(VALU_DEP_3) | instskip(NEXT) | instid1(VALU_DEP_3)
	;; [unrolled: 4-line block ×5, first 2 shown]
	v_cndmask_b32_e64 v32, v30, v15, s4
	v_cndmask_b32_e64 v33, v31, v14, s4
	ds_load_b64 v[30:31], v29
	v_cmp_eq_u32_e64 s4, 8, v26
	v_add_nc_u32_e32 v29, 8, v29
	v_cndmask_b32_e64 v32, v32, v17, s3
	v_cndmask_b32_e64 v33, v33, v16, s3
	v_cmp_eq_u32_e64 s3, 9, v26
	s_delay_alu instid0(VALU_DEP_3) | instskip(NEXT) | instid1(VALU_DEP_3)
	v_cndmask_b32_e64 v32, v32, v19, s4
	v_cndmask_b32_e64 v33, v33, v18, s4
	v_cmp_eq_u32_e64 s4, 10, v26
	s_delay_alu instid0(VALU_DEP_3) | instskip(NEXT) | instid1(VALU_DEP_3)
	v_cndmask_b32_e64 v32, v32, v21, s3
	v_cndmask_b32_e64 v34, v33, v20, s3
	v_add_co_u32 v26, s3, v26, 1
	s_delay_alu instid0(VALU_DEP_1) | instskip(NEXT) | instid1(VALU_DEP_4)
	v_add_co_ci_u32_e64 v27, s3, 0, v27, s3
	v_cndmask_b32_e64 v33, v32, v23, s4
	s_delay_alu instid0(VALU_DEP_4) | instskip(SKIP_1) | instid1(VALU_DEP_1)
	v_cndmask_b32_e64 v32, v34, v22, s4
	s_waitcnt lgkmcnt(0)
	v_fma_f64 v[24:25], v[32:33], v[30:31], v[24:25]
	v_add_nc_u32_e32 v30, -1, v26
	s_delay_alu instid0(VALU_DEP_1) | instskip(NEXT) | instid1(VALU_DEP_1)
	v_cmp_lt_u32_e64 s3, 4, v30
	s_or_b32 s6, s3, s6
	s_delay_alu instid0(SALU_CYCLE_1)
	s_and_not1_b32 exec_lo, exec_lo, s6
	s_cbranch_execnz .LBB74_37
; %bb.38:
	s_or_b32 exec_lo, exec_lo, s6
	v_mov_b32_e32 v14, 0
	ds_load_b64 v[14:15], v14 offset:48
	s_waitcnt lgkmcnt(0)
	v_mul_f64 v[14:15], v[24:25], v[14:15]
.LBB74_39:
	s_or_b32 exec_lo, exec_lo, s5
	s_delay_alu instid0(SALU_CYCLE_1)
	s_mov_b32 s5, exec_lo
	s_barrier
	buffer_gl0_inv
	ds_store_b64 v28, v[16:17]
	s_waitcnt lgkmcnt(0)
	s_barrier
	buffer_gl0_inv
	v_cmpx_gt_u32_e32 7, v0
	s_cbranch_execz .LBB74_43
; %bb.40:
	v_dual_mov_b32 v24, 0 :: v_dual_mov_b32 v27, v1
	v_lshl_add_u32 v29, v0, 3, 0x60
	v_dual_mov_b32 v25, 0 :: v_dual_mov_b32 v26, v0
	s_mov_b32 s6, 0
.LBB74_41:                              ; =>This Inner Loop Header: Depth=1
	s_delay_alu instid0(VALU_DEP_1) | instskip(SKIP_1) | instid1(VALU_DEP_2)
	v_cmp_eq_u32_e64 s3, 1, v26
	v_cmp_eq_u32_e64 s4, 2, v26
	v_cndmask_b32_e64 v30, v3, v5, s3
	v_cndmask_b32_e64 v31, v2, v4, s3
	v_cmp_eq_u32_e64 s3, 3, v26
	s_delay_alu instid0(VALU_DEP_3) | instskip(NEXT) | instid1(VALU_DEP_3)
	v_cndmask_b32_e64 v30, v30, v7, s4
	v_cndmask_b32_e64 v31, v31, v6, s4
	v_cmp_eq_u32_e64 s4, 4, v26
	s_delay_alu instid0(VALU_DEP_3) | instskip(NEXT) | instid1(VALU_DEP_3)
	;; [unrolled: 4-line block ×5, first 2 shown]
	v_cndmask_b32_e64 v32, v30, v15, s4
	v_cndmask_b32_e64 v33, v31, v14, s4
	ds_load_b64 v[30:31], v29
	v_cmp_eq_u32_e64 s4, 8, v26
	v_add_nc_u32_e32 v29, 8, v29
	v_cndmask_b32_e64 v32, v32, v17, s3
	v_cndmask_b32_e64 v33, v33, v16, s3
	v_cmp_eq_u32_e64 s3, 9, v26
	s_delay_alu instid0(VALU_DEP_3) | instskip(NEXT) | instid1(VALU_DEP_3)
	v_cndmask_b32_e64 v32, v32, v19, s4
	v_cndmask_b32_e64 v33, v33, v18, s4
	v_cmp_eq_u32_e64 s4, 10, v26
	s_delay_alu instid0(VALU_DEP_3) | instskip(NEXT) | instid1(VALU_DEP_3)
	v_cndmask_b32_e64 v32, v32, v21, s3
	v_cndmask_b32_e64 v34, v33, v20, s3
	v_add_co_u32 v26, s3, v26, 1
	s_delay_alu instid0(VALU_DEP_1) | instskip(NEXT) | instid1(VALU_DEP_4)
	v_add_co_ci_u32_e64 v27, s3, 0, v27, s3
	v_cndmask_b32_e64 v33, v32, v23, s4
	s_delay_alu instid0(VALU_DEP_4) | instskip(SKIP_1) | instid1(VALU_DEP_1)
	v_cndmask_b32_e64 v32, v34, v22, s4
	s_waitcnt lgkmcnt(0)
	v_fma_f64 v[24:25], v[32:33], v[30:31], v[24:25]
	v_add_nc_u32_e32 v30, -1, v26
	s_delay_alu instid0(VALU_DEP_1) | instskip(NEXT) | instid1(VALU_DEP_1)
	v_cmp_lt_u32_e64 s3, 5, v30
	s_or_b32 s6, s3, s6
	s_delay_alu instid0(SALU_CYCLE_1)
	s_and_not1_b32 exec_lo, exec_lo, s6
	s_cbranch_execnz .LBB74_41
; %bb.42:
	s_or_b32 exec_lo, exec_lo, s6
	v_mov_b32_e32 v16, 0
	ds_load_b64 v[16:17], v16 offset:56
	s_waitcnt lgkmcnt(0)
	v_mul_f64 v[16:17], v[24:25], v[16:17]
.LBB74_43:
	s_or_b32 exec_lo, exec_lo, s5
	s_delay_alu instid0(SALU_CYCLE_1)
	s_mov_b32 s4, exec_lo
	s_barrier
	buffer_gl0_inv
	ds_store_b64 v28, v[18:19]
	s_waitcnt lgkmcnt(0)
	s_barrier
	buffer_gl0_inv
	v_cmpx_gt_u32_e32 8, v0
	s_cbranch_execz .LBB74_59
; %bb.44:
	v_cmp_eq_u32_e64 s3, 1, v0
	s_mov_b32 s5, exec_lo
	s_delay_alu instid0(VALU_DEP_1) | instskip(SKIP_2) | instid1(VALU_DEP_1)
	v_cndmask_b32_e64 v24, v3, v5, s3
	v_cndmask_b32_e64 v25, v2, v4, s3
	v_cmp_eq_u32_e64 s3, 2, v0
	v_cndmask_b32_e64 v24, v24, v7, s3
	s_delay_alu instid0(VALU_DEP_3) | instskip(SKIP_1) | instid1(VALU_DEP_1)
	v_cndmask_b32_e64 v25, v25, v6, s3
	v_cmp_eq_u32_e64 s3, 3, v0
	v_cndmask_b32_e64 v24, v24, v9, s3
	s_delay_alu instid0(VALU_DEP_3) | instskip(SKIP_1) | instid1(VALU_DEP_1)
	;; [unrolled: 4-line block ×5, first 2 shown]
	v_cndmask_b32_e64 v25, v25, v14, s3
	v_cmp_eq_u32_e64 s3, 7, v0
	v_cndmask_b32_e64 v26, v24, v17, s3
	s_delay_alu instid0(VALU_DEP_3)
	v_cndmask_b32_e64 v27, v25, v16, s3
	v_cmp_eq_u32_e64 s3, 8, v0
	ds_load_b64 v[24:25], v28
	v_cndmask_b32_e64 v26, v26, v19, s3
	v_cndmask_b32_e64 v27, v27, v18, s3
	v_cmp_eq_u32_e64 s3, 9, v0
	s_delay_alu instid0(VALU_DEP_1) | instskip(NEXT) | instid1(VALU_DEP_3)
	v_cndmask_b32_e64 v26, v26, v21, s3
	v_cndmask_b32_e64 v29, v27, v20, s3
	v_cmp_eq_u32_e64 s3, 10, v0
	s_delay_alu instid0(VALU_DEP_1) | instskip(NEXT) | instid1(VALU_DEP_3)
	v_cndmask_b32_e64 v27, v26, v23, s3
	v_cndmask_b32_e64 v26, v29, v22, s3
	s_waitcnt lgkmcnt(0)
	s_delay_alu instid0(VALU_DEP_1)
	v_fma_f64 v[24:25], v[26:27], v[24:25], 0
	v_cmpx_ne_u32_e32 7, v0
	s_cbranch_execz .LBB74_58
; %bb.45:
	v_add_nc_u32_e32 v29, 1, v0
	s_delay_alu instid0(VALU_DEP_1) | instskip(NEXT) | instid1(VALU_DEP_1)
	v_cmp_eq_u32_e64 s3, 1, v29
	v_cndmask_b32_e64 v26, v3, v5, s3
	v_cndmask_b32_e64 v27, v2, v4, s3
	v_cmp_eq_u32_e64 s3, 2, v29
	s_delay_alu instid0(VALU_DEP_1) | instskip(NEXT) | instid1(VALU_DEP_3)
	v_cndmask_b32_e64 v26, v26, v7, s3
	v_cndmask_b32_e64 v27, v27, v6, s3
	v_cmp_eq_u32_e64 s3, 3, v29
	s_delay_alu instid0(VALU_DEP_1) | instskip(NEXT) | instid1(VALU_DEP_3)
	;; [unrolled: 4-line block ×6, first 2 shown]
	v_cndmask_b32_e64 v30, v26, v17, s3
	v_cndmask_b32_e64 v31, v27, v16, s3
	v_cmp_eq_u32_e64 s3, 8, v29
	ds_load_b64 v[26:27], v28 offset:8
	v_cndmask_b32_e64 v30, v30, v19, s3
	v_cndmask_b32_e64 v31, v31, v18, s3
	v_cmp_eq_u32_e64 s3, 9, v29
	s_delay_alu instid0(VALU_DEP_1) | instskip(NEXT) | instid1(VALU_DEP_3)
	v_cndmask_b32_e64 v30, v30, v21, s3
	v_cndmask_b32_e64 v31, v31, v20, s3
	v_cmp_eq_u32_e64 s3, 10, v29
	s_delay_alu instid0(VALU_DEP_1) | instskip(NEXT) | instid1(VALU_DEP_3)
	v_cndmask_b32_e64 v30, v30, v23, s3
	v_cndmask_b32_e64 v29, v31, v22, s3
	s_waitcnt lgkmcnt(0)
	s_delay_alu instid0(VALU_DEP_1)
	v_fma_f64 v[24:25], v[29:30], v[26:27], v[24:25]
	s_and_saveexec_b32 s3, s2
	s_cbranch_execz .LBB74_57
; %bb.46:
	v_add_nc_u32_e32 v29, 2, v0
	s_mov_b32 s6, exec_lo
	s_delay_alu instid0(VALU_DEP_1) | instskip(NEXT) | instid1(VALU_DEP_1)
	v_cmp_eq_u32_e64 s2, 1, v29
	v_cndmask_b32_e64 v26, v3, v5, s2
	v_cndmask_b32_e64 v27, v2, v4, s2
	v_cmp_eq_u32_e64 s2, 2, v29
	s_delay_alu instid0(VALU_DEP_1) | instskip(NEXT) | instid1(VALU_DEP_3)
	v_cndmask_b32_e64 v26, v26, v7, s2
	v_cndmask_b32_e64 v27, v27, v6, s2
	v_cmp_eq_u32_e64 s2, 3, v29
	s_delay_alu instid0(VALU_DEP_1) | instskip(NEXT) | instid1(VALU_DEP_3)
	;; [unrolled: 4-line block ×6, first 2 shown]
	v_cndmask_b32_e64 v30, v26, v17, s2
	v_cndmask_b32_e64 v31, v27, v16, s2
	v_cmp_eq_u32_e64 s2, 8, v29
	ds_load_b64 v[26:27], v28 offset:16
	v_cndmask_b32_e64 v30, v30, v19, s2
	v_cndmask_b32_e64 v31, v31, v18, s2
	v_cmp_eq_u32_e64 s2, 9, v29
	s_delay_alu instid0(VALU_DEP_1) | instskip(NEXT) | instid1(VALU_DEP_3)
	v_cndmask_b32_e64 v30, v30, v21, s2
	v_cndmask_b32_e64 v31, v31, v20, s2
	v_cmp_eq_u32_e64 s2, 10, v29
	s_delay_alu instid0(VALU_DEP_1) | instskip(NEXT) | instid1(VALU_DEP_3)
	v_cndmask_b32_e64 v30, v30, v23, s2
	v_cndmask_b32_e64 v29, v31, v22, s2
	s_waitcnt lgkmcnt(0)
	s_delay_alu instid0(VALU_DEP_1)
	v_fma_f64 v[24:25], v[29:30], v[26:27], v[24:25]
	v_cmpx_ne_u32_e32 5, v0
	s_cbranch_execz .LBB74_56
; %bb.47:
	v_add_nc_u32_e32 v29, 3, v0
	s_delay_alu instid0(VALU_DEP_1) | instskip(NEXT) | instid1(VALU_DEP_1)
	v_cmp_eq_u32_e64 s2, 1, v29
	v_cndmask_b32_e64 v26, v3, v5, s2
	v_cndmask_b32_e64 v27, v2, v4, s2
	v_cmp_eq_u32_e64 s2, 2, v29
	s_delay_alu instid0(VALU_DEP_1) | instskip(NEXT) | instid1(VALU_DEP_3)
	v_cndmask_b32_e64 v26, v26, v7, s2
	v_cndmask_b32_e64 v27, v27, v6, s2
	v_cmp_eq_u32_e64 s2, 3, v29
	s_delay_alu instid0(VALU_DEP_1) | instskip(NEXT) | instid1(VALU_DEP_3)
	;; [unrolled: 4-line block ×6, first 2 shown]
	v_cndmask_b32_e64 v30, v26, v17, s2
	v_cndmask_b32_e64 v31, v27, v16, s2
	v_cmp_eq_u32_e64 s2, 8, v29
	ds_load_b64 v[26:27], v28 offset:24
	v_cndmask_b32_e64 v30, v30, v19, s2
	v_cndmask_b32_e64 v31, v31, v18, s2
	v_cmp_eq_u32_e64 s2, 9, v29
	s_delay_alu instid0(VALU_DEP_1) | instskip(NEXT) | instid1(VALU_DEP_3)
	v_cndmask_b32_e64 v30, v30, v21, s2
	v_cndmask_b32_e64 v31, v31, v20, s2
	v_cmp_eq_u32_e64 s2, 10, v29
	s_delay_alu instid0(VALU_DEP_1) | instskip(NEXT) | instid1(VALU_DEP_3)
	v_cndmask_b32_e64 v30, v30, v23, s2
	v_cndmask_b32_e64 v29, v31, v22, s2
	s_waitcnt lgkmcnt(0)
	s_delay_alu instid0(VALU_DEP_1)
	v_fma_f64 v[24:25], v[29:30], v[26:27], v[24:25]
	s_and_saveexec_b32 s2, s1
	s_cbranch_execz .LBB74_55
; %bb.48:
	v_or_b32_e32 v29, 4, v0
	s_mov_b32 s7, exec_lo
	s_delay_alu instid0(VALU_DEP_1) | instskip(NEXT) | instid1(VALU_DEP_1)
	v_cmp_eq_u32_e64 s1, 1, v29
	v_cndmask_b32_e64 v26, v3, v5, s1
	v_cndmask_b32_e64 v27, v2, v4, s1
	v_cmp_eq_u32_e64 s1, 2, v29
	s_delay_alu instid0(VALU_DEP_1) | instskip(NEXT) | instid1(VALU_DEP_3)
	v_cndmask_b32_e64 v26, v26, v7, s1
	v_cndmask_b32_e64 v27, v27, v6, s1
	v_cmp_eq_u32_e64 s1, 3, v29
	s_delay_alu instid0(VALU_DEP_1) | instskip(NEXT) | instid1(VALU_DEP_3)
	v_cndmask_b32_e64 v26, v26, v9, s1
	v_cndmask_b32_e64 v27, v27, v8, s1
	v_cmp_eq_u32_e64 s1, 4, v29
	s_delay_alu instid0(VALU_DEP_1) | instskip(NEXT) | instid1(VALU_DEP_3)
	v_cndmask_b32_e64 v26, v26, v11, s1
	v_cndmask_b32_e64 v27, v27, v10, s1
	v_cmp_eq_u32_e64 s1, 5, v29
	s_delay_alu instid0(VALU_DEP_1) | instskip(NEXT) | instid1(VALU_DEP_3)
	v_cndmask_b32_e64 v26, v26, v13, s1
	v_cndmask_b32_e64 v27, v27, v12, s1
	v_cmp_eq_u32_e64 s1, 6, v29
	s_delay_alu instid0(VALU_DEP_1) | instskip(NEXT) | instid1(VALU_DEP_3)
	v_cndmask_b32_e64 v26, v26, v15, s1
	v_cndmask_b32_e64 v27, v27, v14, s1
	v_cmp_eq_u32_e64 s1, 7, v29
	s_delay_alu instid0(VALU_DEP_1) | instskip(NEXT) | instid1(VALU_DEP_3)
	v_cndmask_b32_e64 v30, v26, v17, s1
	v_cndmask_b32_e64 v31, v27, v16, s1
	v_cmp_eq_u32_e64 s1, 8, v29
	ds_load_b64 v[26:27], v28 offset:32
	v_cndmask_b32_e64 v30, v30, v19, s1
	v_cndmask_b32_e64 v31, v31, v18, s1
	v_cmp_eq_u32_e64 s1, 9, v29
	s_delay_alu instid0(VALU_DEP_1) | instskip(NEXT) | instid1(VALU_DEP_3)
	v_cndmask_b32_e64 v30, v30, v21, s1
	v_cndmask_b32_e64 v31, v31, v20, s1
	v_cmp_eq_u32_e64 s1, 10, v29
	s_delay_alu instid0(VALU_DEP_1) | instskip(NEXT) | instid1(VALU_DEP_3)
	v_cndmask_b32_e64 v30, v30, v23, s1
	v_cndmask_b32_e64 v29, v31, v22, s1
	s_waitcnt lgkmcnt(0)
	s_delay_alu instid0(VALU_DEP_1)
	v_fma_f64 v[24:25], v[29:30], v[26:27], v[24:25]
	v_cmpx_ne_u32_e32 3, v0
	s_cbranch_execz .LBB74_54
; %bb.49:
	v_add_nc_u32_e32 v29, 5, v0
	s_delay_alu instid0(VALU_DEP_1) | instskip(NEXT) | instid1(VALU_DEP_1)
	v_cmp_eq_u32_e64 s1, 1, v29
	v_cndmask_b32_e64 v26, v3, v5, s1
	v_cndmask_b32_e64 v27, v2, v4, s1
	v_cmp_eq_u32_e64 s1, 2, v29
	s_delay_alu instid0(VALU_DEP_1) | instskip(NEXT) | instid1(VALU_DEP_3)
	v_cndmask_b32_e64 v26, v26, v7, s1
	v_cndmask_b32_e64 v27, v27, v6, s1
	v_cmp_eq_u32_e64 s1, 3, v29
	s_delay_alu instid0(VALU_DEP_1) | instskip(NEXT) | instid1(VALU_DEP_3)
	;; [unrolled: 4-line block ×6, first 2 shown]
	v_cndmask_b32_e64 v30, v26, v17, s1
	v_cndmask_b32_e64 v31, v27, v16, s1
	v_cmp_eq_u32_e64 s1, 8, v29
	ds_load_b64 v[26:27], v28 offset:40
	v_cndmask_b32_e64 v30, v30, v19, s1
	v_cndmask_b32_e64 v31, v31, v18, s1
	v_cmp_eq_u32_e64 s1, 9, v29
	s_delay_alu instid0(VALU_DEP_1) | instskip(NEXT) | instid1(VALU_DEP_3)
	v_cndmask_b32_e64 v30, v30, v21, s1
	v_cndmask_b32_e64 v31, v31, v20, s1
	v_cmp_eq_u32_e64 s1, 10, v29
	s_delay_alu instid0(VALU_DEP_1) | instskip(NEXT) | instid1(VALU_DEP_3)
	v_cndmask_b32_e64 v30, v30, v23, s1
	v_cndmask_b32_e64 v29, v31, v22, s1
	s_waitcnt lgkmcnt(0)
	s_delay_alu instid0(VALU_DEP_1)
	v_fma_f64 v[24:25], v[29:30], v[26:27], v[24:25]
	s_and_saveexec_b32 s1, vcc_lo
	s_cbranch_execz .LBB74_53
; %bb.50:
	v_or_b32_e32 v29, 6, v0
	s_delay_alu instid0(VALU_DEP_1) | instskip(SKIP_2) | instid1(VALU_DEP_2)
	v_cmp_eq_u32_e32 vcc_lo, 1, v29
	v_dual_cndmask_b32 v26, v3, v5 :: v_dual_cndmask_b32 v27, v2, v4
	v_cmp_eq_u32_e32 vcc_lo, 2, v29
	v_dual_cndmask_b32 v26, v26, v7 :: v_dual_cndmask_b32 v27, v27, v6
	v_cmp_eq_u32_e32 vcc_lo, 3, v29
	s_delay_alu instid0(VALU_DEP_2) | instskip(SKIP_1) | instid1(VALU_DEP_2)
	v_dual_cndmask_b32 v26, v26, v9 :: v_dual_cndmask_b32 v27, v27, v8
	v_cmp_eq_u32_e32 vcc_lo, 4, v29
	v_dual_cndmask_b32 v26, v26, v11 :: v_dual_cndmask_b32 v27, v27, v10
	v_cmp_eq_u32_e32 vcc_lo, 5, v29
	s_delay_alu instid0(VALU_DEP_2) | instskip(SKIP_1) | instid1(VALU_DEP_2)
	v_dual_cndmask_b32 v26, v26, v13 :: v_dual_cndmask_b32 v27, v27, v12
	v_cmp_eq_u32_e32 vcc_lo, 6, v29
	v_dual_cndmask_b32 v26, v26, v15 :: v_dual_cndmask_b32 v27, v27, v14
	v_cmp_eq_u32_e32 vcc_lo, 7, v29
	s_delay_alu instid0(VALU_DEP_2) | instskip(SKIP_4) | instid1(VALU_DEP_2)
	v_dual_cndmask_b32 v30, v26, v17 :: v_dual_cndmask_b32 v31, v27, v16
	v_cmp_eq_u32_e32 vcc_lo, 8, v29
	ds_load_b64 v[26:27], v28 offset:48
	v_dual_cndmask_b32 v19, v30, v19 :: v_dual_cndmask_b32 v18, v31, v18
	v_cmp_eq_u32_e32 vcc_lo, 9, v29
	v_dual_cndmask_b32 v19, v19, v21 :: v_dual_cndmask_b32 v18, v18, v20
	v_cmp_eq_u32_e32 vcc_lo, 10, v29
	s_delay_alu instid0(VALU_DEP_2) | instskip(SKIP_1) | instid1(VALU_DEP_1)
	v_dual_cndmask_b32 v19, v19, v23 :: v_dual_cndmask_b32 v18, v18, v22
	s_waitcnt lgkmcnt(0)
	v_fma_f64 v[24:25], v[18:19], v[26:27], v[24:25]
	s_and_saveexec_b32 s8, s0
	s_cbranch_execz .LBB74_52
; %bb.51:
	ds_load_b64 v[18:19], v28 offset:56
	s_waitcnt lgkmcnt(0)
	v_fma_f64 v[24:25], v[16:17], v[18:19], v[24:25]
.LBB74_52:
	s_or_b32 exec_lo, exec_lo, s8
.LBB74_53:
	s_delay_alu instid0(SALU_CYCLE_1)
	s_or_b32 exec_lo, exec_lo, s1
.LBB74_54:
	s_delay_alu instid0(SALU_CYCLE_1)
	s_or_b32 exec_lo, exec_lo, s7
.LBB74_55:
	s_delay_alu instid0(SALU_CYCLE_1)
	s_or_b32 exec_lo, exec_lo, s2
.LBB74_56:
	s_delay_alu instid0(SALU_CYCLE_1)
	s_or_b32 exec_lo, exec_lo, s6
.LBB74_57:
	s_delay_alu instid0(SALU_CYCLE_1)
	s_or_b32 exec_lo, exec_lo, s3
.LBB74_58:
	s_delay_alu instid0(SALU_CYCLE_1)
	s_or_b32 exec_lo, exec_lo, s5
	v_mov_b32_e32 v18, 0
	ds_load_b64 v[18:19], v18 offset:64
	s_waitcnt lgkmcnt(0)
	v_mul_f64 v[18:19], v[24:25], v[18:19]
.LBB74_59:
	s_or_b32 exec_lo, exec_lo, s4
	s_delay_alu instid0(SALU_CYCLE_1)
	s_mov_b32 s1, exec_lo
	s_barrier
	buffer_gl0_inv
	ds_store_b64 v28, v[20:21]
	s_waitcnt lgkmcnt(0)
	s_barrier
	buffer_gl0_inv
	v_cmpx_gt_u32_e32 9, v0
	s_cbranch_execz .LBB74_63
; %bb.60:
	v_dual_mov_b32 v24, 0 :: v_dual_mov_b32 v27, v1
	v_lshl_add_u32 v29, v0, 3, 0x60
	v_dual_mov_b32 v25, 0 :: v_dual_mov_b32 v26, v0
	s_mov_b32 s2, 0
.LBB74_61:                              ; =>This Inner Loop Header: Depth=1
	s_delay_alu instid0(VALU_DEP_1) | instskip(SKIP_3) | instid1(VALU_DEP_2)
	v_cmp_eq_u32_e32 vcc_lo, 1, v26
	v_cmp_eq_u32_e64 s0, 2, v26
	v_dual_cndmask_b32 v30, v3, v5 :: v_dual_cndmask_b32 v31, v2, v4
	v_cmp_eq_u32_e32 vcc_lo, 3, v26
	v_cndmask_b32_e64 v30, v30, v7, s0
	s_delay_alu instid0(VALU_DEP_3) | instskip(SKIP_1) | instid1(VALU_DEP_2)
	v_cndmask_b32_e64 v31, v31, v6, s0
	v_cmp_eq_u32_e64 s0, 4, v26
	v_dual_cndmask_b32 v30, v30, v9 :: v_dual_cndmask_b32 v31, v31, v8
	v_cmp_eq_u32_e32 vcc_lo, 5, v26
	s_delay_alu instid0(VALU_DEP_2) | instskip(NEXT) | instid1(VALU_DEP_3)
	v_cndmask_b32_e64 v30, v30, v11, s0
	v_cndmask_b32_e64 v31, v31, v10, s0
	v_cmp_eq_u32_e64 s0, 6, v26
	s_delay_alu instid0(VALU_DEP_2) | instskip(SKIP_1) | instid1(VALU_DEP_2)
	v_dual_cndmask_b32 v30, v30, v13 :: v_dual_cndmask_b32 v31, v31, v12
	v_cmp_eq_u32_e32 vcc_lo, 7, v26
	v_cndmask_b32_e64 v32, v30, v15, s0
	s_delay_alu instid0(VALU_DEP_3)
	v_cndmask_b32_e64 v33, v31, v14, s0
	ds_load_b64 v[30:31], v29
	v_cmp_eq_u32_e64 s0, 8, v26
	v_add_nc_u32_e32 v29, 8, v29
	v_dual_cndmask_b32 v32, v32, v17 :: v_dual_cndmask_b32 v33, v33, v16
	v_cmp_eq_u32_e32 vcc_lo, 9, v26
	s_delay_alu instid0(VALU_DEP_2) | instskip(NEXT) | instid1(VALU_DEP_3)
	v_cndmask_b32_e64 v32, v32, v19, s0
	v_cndmask_b32_e64 v33, v33, v18, s0
	v_cmp_eq_u32_e64 s0, 10, v26
	s_delay_alu instid0(VALU_DEP_3) | instskip(NEXT) | instid1(VALU_DEP_3)
	v_cndmask_b32_e32 v32, v32, v21, vcc_lo
	v_cndmask_b32_e32 v34, v33, v20, vcc_lo
	v_add_co_u32 v26, vcc_lo, v26, 1
	v_add_co_ci_u32_e32 v27, vcc_lo, 0, v27, vcc_lo
	s_delay_alu instid0(VALU_DEP_4) | instskip(NEXT) | instid1(VALU_DEP_4)
	v_cndmask_b32_e64 v33, v32, v23, s0
	v_cndmask_b32_e64 v32, v34, v22, s0
	s_waitcnt lgkmcnt(0)
	s_delay_alu instid0(VALU_DEP_1) | instskip(SKIP_1) | instid1(VALU_DEP_1)
	v_fma_f64 v[24:25], v[32:33], v[30:31], v[24:25]
	v_add_nc_u32_e32 v30, -1, v26
	v_cmp_lt_u32_e32 vcc_lo, 7, v30
	s_or_b32 s2, vcc_lo, s2
	s_delay_alu instid0(SALU_CYCLE_1)
	s_and_not1_b32 exec_lo, exec_lo, s2
	s_cbranch_execnz .LBB74_61
; %bb.62:
	s_or_b32 exec_lo, exec_lo, s2
	v_mov_b32_e32 v20, 0
	ds_load_b64 v[20:21], v20 offset:72
	s_waitcnt lgkmcnt(0)
	v_mul_f64 v[20:21], v[24:25], v[20:21]
.LBB74_63:
	s_or_b32 exec_lo, exec_lo, s1
	s_delay_alu instid0(SALU_CYCLE_1)
	s_mov_b32 s1, exec_lo
	s_barrier
	buffer_gl0_inv
	ds_store_b64 v28, v[22:23]
	s_waitcnt lgkmcnt(0)
	s_barrier
	buffer_gl0_inv
	v_cmpx_ne_u32_e32 10, v0
	s_cbranch_execz .LBB74_67
; %bb.64:
	v_dual_mov_b32 v24, 0 :: v_dual_mov_b32 v27, v1
	v_lshl_add_u32 v28, v0, 3, 0x60
	v_dual_mov_b32 v25, 0 :: v_dual_mov_b32 v26, v0
	s_mov_b32 s2, 0
.LBB74_65:                              ; =>This Inner Loop Header: Depth=1
	s_delay_alu instid0(VALU_DEP_1) | instskip(SKIP_4) | instid1(VALU_DEP_3)
	v_cmp_eq_u32_e32 vcc_lo, 1, v26
	v_cmp_eq_u32_e64 s0, 2, v26
	v_cndmask_b32_e32 v1, v3, v5, vcc_lo
	v_cndmask_b32_e32 v29, v2, v4, vcc_lo
	v_cmp_eq_u32_e32 vcc_lo, 3, v26
	v_cndmask_b32_e64 v1, v1, v7, s0
	s_delay_alu instid0(VALU_DEP_3) | instskip(SKIP_1) | instid1(VALU_DEP_3)
	v_cndmask_b32_e64 v29, v29, v6, s0
	v_cmp_eq_u32_e64 s0, 4, v26
	v_cndmask_b32_e32 v1, v1, v9, vcc_lo
	s_delay_alu instid0(VALU_DEP_3) | instskip(SKIP_1) | instid1(VALU_DEP_3)
	v_cndmask_b32_e32 v29, v29, v8, vcc_lo
	v_cmp_eq_u32_e32 vcc_lo, 5, v26
	v_cndmask_b32_e64 v1, v1, v11, s0
	s_delay_alu instid0(VALU_DEP_3) | instskip(SKIP_1) | instid1(VALU_DEP_3)
	v_cndmask_b32_e64 v29, v29, v10, s0
	v_cmp_eq_u32_e64 s0, 6, v26
	v_cndmask_b32_e32 v1, v1, v13, vcc_lo
	s_delay_alu instid0(VALU_DEP_3) | instskip(SKIP_1) | instid1(VALU_DEP_3)
	v_cndmask_b32_e32 v29, v29, v12, vcc_lo
	v_cmp_eq_u32_e32 vcc_lo, 7, v26
	v_cndmask_b32_e64 v1, v1, v15, s0
	s_delay_alu instid0(VALU_DEP_3)
	v_cndmask_b32_e64 v31, v29, v14, s0
	ds_load_b64 v[29:30], v28
	v_add_nc_u32_e32 v28, 8, v28
	v_cmp_eq_u32_e64 s0, 8, v26
	v_cndmask_b32_e32 v1, v1, v17, vcc_lo
	v_cndmask_b32_e32 v31, v31, v16, vcc_lo
	v_cmp_eq_u32_e32 vcc_lo, 9, v26
	s_delay_alu instid0(VALU_DEP_3) | instskip(NEXT) | instid1(VALU_DEP_3)
	v_cndmask_b32_e64 v1, v1, v19, s0
	v_cndmask_b32_e64 v31, v31, v18, s0
	v_cmp_eq_u32_e64 s0, 10, v26
	s_delay_alu instid0(VALU_DEP_3) | instskip(NEXT) | instid1(VALU_DEP_3)
	v_cndmask_b32_e32 v1, v1, v21, vcc_lo
	v_cndmask_b32_e32 v31, v31, v20, vcc_lo
	v_add_co_u32 v26, vcc_lo, v26, 1
	v_add_co_ci_u32_e32 v27, vcc_lo, 0, v27, vcc_lo
	s_delay_alu instid0(VALU_DEP_4) | instskip(NEXT) | instid1(VALU_DEP_4)
	v_cndmask_b32_e64 v32, v1, v23, s0
	v_cndmask_b32_e64 v31, v31, v22, s0
	s_delay_alu instid0(VALU_DEP_4) | instskip(SKIP_1) | instid1(VALU_DEP_2)
	v_add_nc_u32_e32 v1, -1, v26
	s_waitcnt lgkmcnt(0)
	v_fma_f64 v[24:25], v[31:32], v[29:30], v[24:25]
	s_delay_alu instid0(VALU_DEP_2) | instskip(SKIP_1) | instid1(SALU_CYCLE_1)
	v_cmp_lt_u32_e32 vcc_lo, 8, v1
	s_or_b32 s2, vcc_lo, s2
	s_and_not1_b32 exec_lo, exec_lo, s2
	s_cbranch_execnz .LBB74_65
; %bb.66:
	s_or_b32 exec_lo, exec_lo, s2
	v_mov_b32_e32 v1, 0
	ds_load_b64 v[22:23], v1 offset:80
	s_waitcnt lgkmcnt(0)
	v_mul_f64 v[22:23], v[24:25], v[22:23]
.LBB74_67:
	s_or_b32 exec_lo, exec_lo, s1
	s_barrier
	buffer_gl0_inv
	s_cbranch_execnz .LBB74_15
	s_branch .LBB74_16
.LBB74_68:
	v_lshl_add_u32 v1, v0, 3, 0x60
	s_mov_b32 s0, exec_lo
	v_cmpx_eq_u32_e32 10, v0
	s_cbranch_execz .LBB74_70
; %bb.69:
	v_dual_mov_b32 v42, 0 :: v_dual_mov_b32 v25, v3
	v_dual_mov_b32 v24, v2 :: v_dual_mov_b32 v27, v5
	;; [unrolled: 1-line block ×7, first 2 shown]
	v_mov_b32_e32 v43, v42
	v_mov_b32_e32 v44, v22
	v_dual_mov_b32 v26, v4 :: v_dual_mov_b32 v29, v7
	v_dual_mov_b32 v28, v6 :: v_dual_mov_b32 v31, v9
	;; [unrolled: 1-line block ×3, first 2 shown]
	ds_store_b64 v1, v[20:21]
	v_mov_b32_e32 v2, v24
	v_dual_mov_b32 v3, v25 :: v_dual_mov_b32 v4, v26
	v_dual_mov_b32 v5, v27 :: v_dual_mov_b32 v6, v28
	v_dual_mov_b32 v7, v29 :: v_dual_mov_b32 v8, v30
	v_dual_mov_b32 v9, v31 :: v_dual_mov_b32 v10, v32
	v_dual_mov_b32 v11, v33 :: v_dual_mov_b32 v12, v34
	v_dual_mov_b32 v13, v35 :: v_dual_mov_b32 v14, v36
	v_dual_mov_b32 v15, v37 :: v_dual_mov_b32 v16, v38
	v_dual_mov_b32 v17, v39 :: v_dual_mov_b32 v18, v40
	v_dual_mov_b32 v19, v41 :: v_dual_mov_b32 v20, v42
	v_dual_mov_b32 v21, v43 :: v_dual_mov_b32 v22, v44
	v_dual_mov_b32 v23, v45 :: v_dual_mov_b32 v24, v46
	v_mov_b32_e32 v25, v47
	v_mov_b32_e32 v26, v48
	;; [unrolled: 1-line block ×9, first 2 shown]
.LBB74_70:
	s_or_b32 exec_lo, exec_lo, s0
	v_mov_b32_e32 v40, 0
	s_waitcnt lgkmcnt(0)
	s_waitcnt_vscnt null, 0x0
	s_barrier
	buffer_gl0_inv
	s_mov_b32 s0, exec_lo
	ds_load_b64 v[24:25], v40 offset:176
	s_waitcnt lgkmcnt(0)
	v_fma_f64 v[24:25], v[22:23], v[24:25], 0
	s_delay_alu instid0(VALU_DEP_1)
	v_add_f64 v[20:21], v[20:21], -v[24:25]
	v_cmpx_lt_u32_e32 8, v0
	s_cbranch_execz .LBB74_72
; %bb.71:
	v_dual_mov_b32 v24, v2 :: v_dual_mov_b32 v25, v3
	v_dual_mov_b32 v34, v12 :: v_dual_mov_b32 v35, v13
	;; [unrolled: 1-line block ×10, first 2 shown]
	v_mov_b32_e32 v33, v11
	ds_store_b64 v1, v[18:19]
	v_mov_b32_e32 v2, v24
	v_dual_mov_b32 v3, v25 :: v_dual_mov_b32 v4, v26
	v_dual_mov_b32 v5, v27 :: v_dual_mov_b32 v6, v28
	;; [unrolled: 1-line block ×11, first 2 shown]
	v_mov_b32_e32 v25, v47
	v_mov_b32_e32 v26, v48
	;; [unrolled: 1-line block ×9, first 2 shown]
.LBB74_72:
	s_or_b32 exec_lo, exec_lo, s0
	s_waitcnt lgkmcnt(0)
	s_barrier
	buffer_gl0_inv
	ds_load_2addr_b64 v[24:27], v40 offset0:21 offset1:22
	s_mov_b32 s0, exec_lo
	s_waitcnt lgkmcnt(0)
	v_fma_f64 v[24:25], v[20:21], v[24:25], 0
	s_delay_alu instid0(VALU_DEP_1) | instskip(NEXT) | instid1(VALU_DEP_1)
	v_fma_f64 v[24:25], v[22:23], v[26:27], v[24:25]
	v_add_f64 v[18:19], v[18:19], -v[24:25]
	v_cmpx_lt_u32_e32 7, v0
	s_cbranch_execz .LBB74_74
; %bb.73:
	v_dual_mov_b32 v38, 0 :: v_dual_mov_b32 v25, v3
	v_dual_mov_b32 v24, v2 :: v_dual_mov_b32 v27, v5
	;; [unrolled: 1-line block ×11, first 2 shown]
	ds_store_b64 v1, v[16:17]
	v_mov_b32_e32 v2, v24
	v_dual_mov_b32 v3, v25 :: v_dual_mov_b32 v4, v26
	v_dual_mov_b32 v5, v27 :: v_dual_mov_b32 v6, v28
	;; [unrolled: 1-line block ×11, first 2 shown]
	v_mov_b32_e32 v25, v47
	v_mov_b32_e32 v26, v48
	;; [unrolled: 1-line block ×9, first 2 shown]
.LBB74_74:
	s_or_b32 exec_lo, exec_lo, s0
	v_mov_b32_e32 v36, 0
	s_waitcnt lgkmcnt(0)
	s_barrier
	buffer_gl0_inv
	s_mov_b32 s0, exec_lo
	ds_load_b128 v[24:27], v36 offset:160
	ds_load_b64 v[28:29], v36 offset:176
	s_waitcnt lgkmcnt(1)
	v_fma_f64 v[24:25], v[18:19], v[24:25], 0
	s_delay_alu instid0(VALU_DEP_1) | instskip(SKIP_1) | instid1(VALU_DEP_1)
	v_fma_f64 v[24:25], v[20:21], v[26:27], v[24:25]
	s_waitcnt lgkmcnt(0)
	v_fma_f64 v[24:25], v[22:23], v[28:29], v[24:25]
	s_delay_alu instid0(VALU_DEP_1)
	v_add_f64 v[16:17], v[16:17], -v[24:25]
	v_cmpx_lt_u32_e32 6, v0
	s_cbranch_execz .LBB74_76
; %bb.75:
	v_dual_mov_b32 v24, v2 :: v_dual_mov_b32 v25, v3
	v_dual_mov_b32 v34, v12 :: v_dual_mov_b32 v35, v13
	;; [unrolled: 1-line block ×10, first 2 shown]
	v_mov_b32_e32 v33, v11
	ds_store_b64 v1, v[14:15]
	v_mov_b32_e32 v2, v24
	v_dual_mov_b32 v3, v25 :: v_dual_mov_b32 v4, v26
	v_dual_mov_b32 v5, v27 :: v_dual_mov_b32 v6, v28
	;; [unrolled: 1-line block ×11, first 2 shown]
	v_mov_b32_e32 v25, v47
	v_mov_b32_e32 v26, v48
	;; [unrolled: 1-line block ×9, first 2 shown]
.LBB74_76:
	s_or_b32 exec_lo, exec_lo, s0
	s_waitcnt lgkmcnt(0)
	s_barrier
	buffer_gl0_inv
	ds_load_2addr_b64 v[24:27], v36 offset0:19 offset1:20
	ds_load_2addr_b64 v[28:31], v36 offset0:21 offset1:22
	s_mov_b32 s0, exec_lo
	s_waitcnt lgkmcnt(1)
	v_fma_f64 v[24:25], v[16:17], v[24:25], 0
	s_delay_alu instid0(VALU_DEP_1) | instskip(SKIP_1) | instid1(VALU_DEP_1)
	v_fma_f64 v[24:25], v[18:19], v[26:27], v[24:25]
	s_waitcnt lgkmcnt(0)
	v_fma_f64 v[24:25], v[20:21], v[28:29], v[24:25]
	s_delay_alu instid0(VALU_DEP_1) | instskip(NEXT) | instid1(VALU_DEP_1)
	v_fma_f64 v[24:25], v[22:23], v[30:31], v[24:25]
	v_add_f64 v[14:15], v[14:15], -v[24:25]
	v_cmpx_lt_u32_e32 5, v0
	s_cbranch_execz .LBB74_78
; %bb.77:
	v_dual_mov_b32 v34, 0 :: v_dual_mov_b32 v25, v3
	v_dual_mov_b32 v24, v2 :: v_dual_mov_b32 v27, v5
	s_delay_alu instid0(VALU_DEP_4) | instskip(NEXT) | instid1(VALU_DEP_3)
	v_dual_mov_b32 v32, v10 :: v_dual_mov_b32 v37, v15
	v_dual_mov_b32 v35, v34 :: v_dual_mov_b32 v38, v16
	;; [unrolled: 1-line block ×9, first 2 shown]
	ds_store_b64 v1, v[12:13]
	v_mov_b32_e32 v2, v24
	v_dual_mov_b32 v3, v25 :: v_dual_mov_b32 v4, v26
	v_dual_mov_b32 v5, v27 :: v_dual_mov_b32 v6, v28
	;; [unrolled: 1-line block ×11, first 2 shown]
	v_mov_b32_e32 v25, v47
	v_mov_b32_e32 v26, v48
	;; [unrolled: 1-line block ×9, first 2 shown]
.LBB74_78:
	s_or_b32 exec_lo, exec_lo, s0
	v_mov_b32_e32 v34, 0
	s_waitcnt lgkmcnt(0)
	s_barrier
	buffer_gl0_inv
	s_mov_b32 s0, exec_lo
	ds_load_b128 v[24:27], v34 offset:144
	ds_load_b128 v[28:31], v34 offset:160
	s_waitcnt lgkmcnt(1)
	v_fma_f64 v[24:25], v[14:15], v[24:25], 0
	s_delay_alu instid0(VALU_DEP_1) | instskip(SKIP_3) | instid1(VALU_DEP_1)
	v_fma_f64 v[24:25], v[16:17], v[26:27], v[24:25]
	ds_load_b64 v[26:27], v34 offset:176
	s_waitcnt lgkmcnt(1)
	v_fma_f64 v[24:25], v[18:19], v[28:29], v[24:25]
	v_fma_f64 v[24:25], v[20:21], v[30:31], v[24:25]
	s_waitcnt lgkmcnt(0)
	s_delay_alu instid0(VALU_DEP_1) | instskip(NEXT) | instid1(VALU_DEP_1)
	v_fma_f64 v[24:25], v[22:23], v[26:27], v[24:25]
	v_add_f64 v[12:13], v[12:13], -v[24:25]
	v_cmpx_lt_u32_e32 4, v0
	s_cbranch_execz .LBB74_80
; %bb.79:
	v_dual_mov_b32 v26, v2 :: v_dual_mov_b32 v27, v3
	s_delay_alu instid0(VALU_DEP_3) | instskip(NEXT) | instid1(VALU_DEP_4)
	v_dual_mov_b32 v35, v34 :: v_dual_mov_b32 v36, v12
	v_dual_mov_b32 v37, v13 :: v_dual_mov_b32 v38, v14
	;; [unrolled: 1-line block ×9, first 2 shown]
	v_mov_b32_e32 v33, v9
	ds_store_b64 v1, v[10:11]
	v_mov_b32_e32 v2, v26
	v_dual_mov_b32 v3, v27 :: v_dual_mov_b32 v4, v28
	v_dual_mov_b32 v5, v29 :: v_dual_mov_b32 v6, v30
	;; [unrolled: 1-line block ×12, first 2 shown]
	v_mov_b32_e32 v27, v51
	v_mov_b32_e32 v28, v52
	;; [unrolled: 1-line block ×7, first 2 shown]
.LBB74_80:
	s_or_b32 exec_lo, exec_lo, s0
	s_waitcnt lgkmcnt(0)
	s_barrier
	buffer_gl0_inv
	ds_load_2addr_b64 v[24:27], v34 offset0:17 offset1:18
	ds_load_2addr_b64 v[28:31], v34 offset0:19 offset1:20
	s_mov_b32 s0, exec_lo
	s_waitcnt lgkmcnt(1)
	v_fma_f64 v[24:25], v[12:13], v[24:25], 0
	s_delay_alu instid0(VALU_DEP_1) | instskip(SKIP_1) | instid1(VALU_DEP_1)
	v_fma_f64 v[24:25], v[14:15], v[26:27], v[24:25]
	s_waitcnt lgkmcnt(0)
	v_fma_f64 v[24:25], v[16:17], v[28:29], v[24:25]
	s_delay_alu instid0(VALU_DEP_1) | instskip(SKIP_3) | instid1(VALU_DEP_1)
	v_fma_f64 v[28:29], v[18:19], v[30:31], v[24:25]
	ds_load_2addr_b64 v[24:27], v34 offset0:21 offset1:22
	s_waitcnt lgkmcnt(0)
	v_fma_f64 v[24:25], v[20:21], v[24:25], v[28:29]
	v_fma_f64 v[24:25], v[22:23], v[26:27], v[24:25]
	s_delay_alu instid0(VALU_DEP_1)
	v_add_f64 v[10:11], v[10:11], -v[24:25]
	v_cmpx_lt_u32_e32 3, v0
	s_cbranch_execz .LBB74_82
; %bb.81:
	v_dual_mov_b32 v30, 0 :: v_dual_mov_b32 v25, v3
	v_dual_mov_b32 v24, v2 :: v_dual_mov_b32 v27, v5
	s_delay_alu instid0(VALU_DEP_4) | instskip(NEXT) | instid1(VALU_DEP_3)
	v_dual_mov_b32 v32, v10 :: v_dual_mov_b32 v35, v13
	v_dual_mov_b32 v31, v30 :: v_dual_mov_b32 v34, v12
	;; [unrolled: 1-line block ×9, first 2 shown]
	ds_store_b64 v1, v[8:9]
	v_mov_b32_e32 v2, v24
	v_dual_mov_b32 v3, v25 :: v_dual_mov_b32 v4, v26
	v_dual_mov_b32 v5, v27 :: v_dual_mov_b32 v6, v28
	;; [unrolled: 1-line block ×11, first 2 shown]
	v_mov_b32_e32 v25, v47
	v_mov_b32_e32 v26, v48
	;; [unrolled: 1-line block ×9, first 2 shown]
.LBB74_82:
	s_or_b32 exec_lo, exec_lo, s0
	v_mov_b32_e32 v34, 0
	s_waitcnt lgkmcnt(0)
	s_barrier
	buffer_gl0_inv
	s_mov_b32 s0, exec_lo
	ds_load_b128 v[24:27], v34 offset:128
	ds_load_b128 v[28:31], v34 offset:144
	s_waitcnt lgkmcnt(1)
	v_fma_f64 v[24:25], v[10:11], v[24:25], 0
	s_delay_alu instid0(VALU_DEP_1) | instskip(SKIP_1) | instid1(VALU_DEP_1)
	v_fma_f64 v[24:25], v[12:13], v[26:27], v[24:25]
	s_waitcnt lgkmcnt(0)
	v_fma_f64 v[24:25], v[14:15], v[28:29], v[24:25]
	s_delay_alu instid0(VALU_DEP_1) | instskip(SKIP_4) | instid1(VALU_DEP_1)
	v_fma_f64 v[28:29], v[16:17], v[30:31], v[24:25]
	ds_load_b128 v[24:27], v34 offset:160
	ds_load_b64 v[30:31], v34 offset:176
	s_waitcnt lgkmcnt(1)
	v_fma_f64 v[24:25], v[18:19], v[24:25], v[28:29]
	v_fma_f64 v[24:25], v[20:21], v[26:27], v[24:25]
	s_waitcnt lgkmcnt(0)
	s_delay_alu instid0(VALU_DEP_1) | instskip(NEXT) | instid1(VALU_DEP_1)
	v_fma_f64 v[24:25], v[22:23], v[30:31], v[24:25]
	v_add_f64 v[8:9], v[8:9], -v[24:25]
	v_cmpx_lt_u32_e32 2, v0
	s_cbranch_execz .LBB74_84
; %bb.83:
	v_dual_mov_b32 v30, v2 :: v_dual_mov_b32 v31, v3
	s_delay_alu instid0(VALU_DEP_3) | instskip(NEXT) | instid1(VALU_DEP_4)
	v_dual_mov_b32 v35, v34 :: v_dual_mov_b32 v36, v8
	v_dual_mov_b32 v37, v9 :: v_dual_mov_b32 v38, v10
	;; [unrolled: 1-line block ×9, first 2 shown]
	v_mov_b32_e32 v33, v5
	ds_store_b64 v1, v[6:7]
	v_mov_b32_e32 v2, v30
	v_dual_mov_b32 v3, v31 :: v_dual_mov_b32 v4, v32
	v_dual_mov_b32 v5, v33 :: v_dual_mov_b32 v6, v34
	;; [unrolled: 1-line block ×14, first 2 shown]
	v_mov_b32_e32 v31, v59
	v_mov_b32_e32 v32, v60
	;; [unrolled: 1-line block ×3, first 2 shown]
.LBB74_84:
	s_or_b32 exec_lo, exec_lo, s0
	s_waitcnt lgkmcnt(0)
	s_barrier
	buffer_gl0_inv
	ds_load_2addr_b64 v[24:27], v34 offset0:15 offset1:16
	ds_load_2addr_b64 v[28:31], v34 offset0:17 offset1:18
	s_mov_b32 s0, exec_lo
	s_waitcnt lgkmcnt(1)
	v_fma_f64 v[24:25], v[8:9], v[24:25], 0
	s_delay_alu instid0(VALU_DEP_1) | instskip(SKIP_1) | instid1(VALU_DEP_1)
	v_fma_f64 v[24:25], v[10:11], v[26:27], v[24:25]
	s_waitcnt lgkmcnt(0)
	v_fma_f64 v[24:25], v[12:13], v[28:29], v[24:25]
	s_delay_alu instid0(VALU_DEP_1) | instskip(SKIP_4) | instid1(VALU_DEP_1)
	v_fma_f64 v[32:33], v[14:15], v[30:31], v[24:25]
	ds_load_2addr_b64 v[24:27], v34 offset0:19 offset1:20
	ds_load_2addr_b64 v[28:31], v34 offset0:21 offset1:22
	s_waitcnt lgkmcnt(1)
	v_fma_f64 v[24:25], v[16:17], v[24:25], v[32:33]
	v_fma_f64 v[24:25], v[18:19], v[26:27], v[24:25]
	s_waitcnt lgkmcnt(0)
	s_delay_alu instid0(VALU_DEP_1) | instskip(NEXT) | instid1(VALU_DEP_1)
	v_fma_f64 v[24:25], v[20:21], v[28:29], v[24:25]
	v_fma_f64 v[24:25], v[22:23], v[30:31], v[24:25]
	s_delay_alu instid0(VALU_DEP_1)
	v_add_f64 v[6:7], v[6:7], -v[24:25]
	v_cmpx_lt_u32_e32 1, v0
	s_cbranch_execz .LBB74_86
; %bb.85:
	v_dual_mov_b32 v26, 0 :: v_dual_mov_b32 v25, v3
	s_delay_alu instid0(VALU_DEP_3)
	v_dual_mov_b32 v24, v2 :: v_dual_mov_b32 v29, v7
	v_dual_mov_b32 v34, v12 :: v_dual_mov_b32 v35, v13
	;; [unrolled: 1-line block ×10, first 2 shown]
	ds_store_b64 v1, v[4:5]
	v_mov_b32_e32 v2, v24
	v_dual_mov_b32 v3, v25 :: v_dual_mov_b32 v4, v26
	v_dual_mov_b32 v5, v27 :: v_dual_mov_b32 v6, v28
	;; [unrolled: 1-line block ×11, first 2 shown]
	v_mov_b32_e32 v25, v47
	v_mov_b32_e32 v26, v48
	;; [unrolled: 1-line block ×9, first 2 shown]
.LBB74_86:
	s_or_b32 exec_lo, exec_lo, s0
	v_mov_b32_e32 v34, 0
	s_waitcnt lgkmcnt(0)
	s_barrier
	buffer_gl0_inv
	s_mov_b32 s0, exec_lo
	ds_load_b128 v[24:27], v34 offset:112
	ds_load_b128 v[28:31], v34 offset:128
	s_waitcnt lgkmcnt(1)
	v_fma_f64 v[24:25], v[6:7], v[24:25], 0
	s_delay_alu instid0(VALU_DEP_1) | instskip(SKIP_1) | instid1(VALU_DEP_1)
	v_fma_f64 v[24:25], v[8:9], v[26:27], v[24:25]
	s_waitcnt lgkmcnt(0)
	v_fma_f64 v[24:25], v[10:11], v[28:29], v[24:25]
	s_delay_alu instid0(VALU_DEP_1) | instskip(SKIP_4) | instid1(VALU_DEP_1)
	v_fma_f64 v[32:33], v[12:13], v[30:31], v[24:25]
	ds_load_b128 v[24:27], v34 offset:144
	ds_load_b128 v[28:31], v34 offset:160
	s_waitcnt lgkmcnt(1)
	v_fma_f64 v[24:25], v[14:15], v[24:25], v[32:33]
	v_fma_f64 v[24:25], v[16:17], v[26:27], v[24:25]
	ds_load_b64 v[26:27], v34 offset:176
	s_waitcnt lgkmcnt(1)
	v_fma_f64 v[24:25], v[18:19], v[28:29], v[24:25]
	s_delay_alu instid0(VALU_DEP_1) | instskip(SKIP_1) | instid1(VALU_DEP_1)
	v_fma_f64 v[24:25], v[20:21], v[30:31], v[24:25]
	s_waitcnt lgkmcnt(0)
	v_fma_f64 v[24:25], v[22:23], v[26:27], v[24:25]
	s_delay_alu instid0(VALU_DEP_1)
	v_add_f64 v[4:5], v[4:5], -v[24:25]
	v_cmpx_ne_u32_e32 0, v0
	s_cbranch_execz .LBB74_88
; %bb.87:
	s_delay_alu instid0(VALU_DEP_2) | instskip(NEXT) | instid1(VALU_DEP_3)
	v_dual_mov_b32 v35, v34 :: v_dual_mov_b32 v36, v4
	v_dual_mov_b32 v37, v5 :: v_dual_mov_b32 v38, v6
	;; [unrolled: 1-line block ×27, first 2 shown]
	v_mov_b32_e32 v33, v65
	ds_store_b64 v1, v[78:79]
.LBB74_88:
	s_or_b32 exec_lo, exec_lo, s0
	s_waitcnt lgkmcnt(0)
	s_barrier
	buffer_gl0_inv
	ds_load_2addr_b64 v[24:27], v34 offset0:13 offset1:14
	ds_load_2addr_b64 v[28:31], v34 offset0:15 offset1:16
	s_and_b32 vcc_lo, exec_lo, s16
	s_waitcnt lgkmcnt(1)
	v_fma_f64 v[0:1], v[4:5], v[24:25], 0
	s_delay_alu instid0(VALU_DEP_1) | instskip(SKIP_1) | instid1(VALU_DEP_1)
	v_fma_f64 v[0:1], v[6:7], v[26:27], v[0:1]
	s_waitcnt lgkmcnt(0)
	v_fma_f64 v[0:1], v[8:9], v[28:29], v[0:1]
	s_delay_alu instid0(VALU_DEP_1) | instskip(SKIP_4) | instid1(VALU_DEP_1)
	v_fma_f64 v[0:1], v[10:11], v[30:31], v[0:1]
	ds_load_2addr_b64 v[24:27], v34 offset0:17 offset1:18
	ds_load_2addr_b64 v[28:31], v34 offset0:19 offset1:20
	s_waitcnt lgkmcnt(1)
	v_fma_f64 v[0:1], v[12:13], v[24:25], v[0:1]
	v_fma_f64 v[0:1], v[14:15], v[26:27], v[0:1]
	ds_load_2addr_b64 v[24:27], v34 offset0:21 offset1:22
	s_waitcnt lgkmcnt(1)
	v_fma_f64 v[0:1], v[16:17], v[28:29], v[0:1]
	s_delay_alu instid0(VALU_DEP_1) | instskip(SKIP_1) | instid1(VALU_DEP_1)
	v_fma_f64 v[0:1], v[18:19], v[30:31], v[0:1]
	s_waitcnt lgkmcnt(0)
	v_fma_f64 v[0:1], v[20:21], v[24:25], v[0:1]
	s_delay_alu instid0(VALU_DEP_1) | instskip(NEXT) | instid1(VALU_DEP_1)
	v_fma_f64 v[0:1], v[22:23], v[26:27], v[0:1]
	v_add_f64 v[2:3], v[2:3], -v[0:1]
	s_cbranch_vccz .LBB74_110
; %bb.89:
	v_dual_mov_b32 v0, s12 :: v_dual_mov_b32 v1, s13
	s_mov_b32 s6, exec_lo
	flat_load_b32 v0, v[0:1] offset:36
	s_waitcnt vmcnt(0) lgkmcnt(0)
	v_add_nc_u32_e32 v0, -1, v0
	s_delay_alu instid0(VALU_DEP_1)
	v_cmpx_ne_u32_e32 9, v0
	s_cbranch_execz .LBB74_91
; %bb.90:
	v_cmp_eq_u32_e32 vcc_lo, 1, v0
	v_cmp_eq_u32_e64 s0, 2, v0
	v_cmp_eq_u32_e64 s1, 3, v0
	;; [unrolled: 1-line block ×4, first 2 shown]
	v_dual_cndmask_b32 v1, v2, v4 :: v_dual_cndmask_b32 v24, v3, v5
	v_cmp_eq_u32_e64 s5, 6, v0
	v_cmp_eq_u32_e64 s4, 0, v0
	v_cndmask_b32_e64 v28, v7, v21, s0
	s_delay_alu instid0(VALU_DEP_4)
	v_cndmask_b32_e64 v1, v1, v6, s0
	v_cndmask_b32_e64 v24, v24, v7, s0
	;; [unrolled: 1-line block ×3, first 2 shown]
	v_cmp_eq_u32_e64 s0, 7, v0
	v_cndmask_b32_e32 v26, v5, v21, vcc_lo
	v_cndmask_b32_e64 v1, v1, v8, s1
	v_cndmask_b32_e64 v24, v24, v9, s1
	;; [unrolled: 1-line block ×4, first 2 shown]
	v_cmp_eq_u32_e64 s1, 9, v0
	v_cndmask_b32_e64 v1, v1, v10, s2
	v_cndmask_b32_e64 v25, v24, v11, s2
	;; [unrolled: 1-line block ×7, first 2 shown]
	v_cndmask_b32_e32 v25, v4, v20, vcc_lo
	v_cmp_eq_u32_e32 vcc_lo, 8, v0
	v_cmp_eq_u32_e64 s2, 10, v0
	v_cndmask_b32_e64 v1, v1, v14, s5
	v_cndmask_b32_e64 v3, v3, v15, s5
	;; [unrolled: 1-line block ×9, first 2 shown]
	v_cndmask_b32_e32 v39, v18, v20, vcc_lo
	v_dual_cndmask_b32 v1, v1, v18 :: v_dual_cndmask_b32 v40, v19, v21
	v_cndmask_b32_e64 v44, v23, v21, s2
	v_cndmask_b32_e64 v43, v22, v20, s2
	;; [unrolled: 1-line block ×3, first 2 shown]
	s_delay_alu instid0(VALU_DEP_4) | instskip(NEXT) | instid1(VALU_DEP_1)
	v_cndmask_b32_e64 v1, v1, v20, s1
	v_cndmask_b32_e64 v0, v1, v22, s2
	s_delay_alu instid0(VALU_DEP_1) | instskip(SKIP_1) | instid1(VALU_DEP_1)
	v_cndmask_b32_e64 v41, v0, v20, s1
	v_cndmask_b32_e32 v3, v3, v19, vcc_lo
	v_cndmask_b32_e64 v3, v3, v21, s1
	s_delay_alu instid0(VALU_DEP_1) | instskip(SKIP_1) | instid1(VALU_DEP_2)
	v_cndmask_b32_e64 v1, v3, v23, s2
	v_cndmask_b32_e64 v23, v2, v20, s4
	;; [unrolled: 1-line block ×3, first 2 shown]
	s_delay_alu instid0(VALU_DEP_2)
	v_mov_b32_e32 v2, v23
	v_dual_mov_b32 v4, v25 :: v_dual_mov_b32 v3, v24
	v_dual_mov_b32 v6, v27 :: v_dual_mov_b32 v5, v26
	;; [unrolled: 1-line block ×10, first 2 shown]
	v_mov_b32_e32 v23, v44
	v_mov_b32_e32 v24, v45
	;; [unrolled: 1-line block ×11, first 2 shown]
.LBB74_91:
	s_or_b32 exec_lo, exec_lo, s6
	v_dual_mov_b32 v0, s12 :: v_dual_mov_b32 v1, s13
	s_mov_b32 s6, exec_lo
	flat_load_b32 v0, v[0:1] offset:32
	s_waitcnt vmcnt(0) lgkmcnt(0)
	v_add_nc_u32_e32 v0, -1, v0
	s_delay_alu instid0(VALU_DEP_1)
	v_cmpx_ne_u32_e32 8, v0
	s_cbranch_execz .LBB74_93
; %bb.92:
	v_cmp_eq_u32_e32 vcc_lo, 1, v0
	v_cmp_eq_u32_e64 s0, 2, v0
	v_cmp_eq_u32_e64 s1, 3, v0
	;; [unrolled: 1-line block ×4, first 2 shown]
	v_dual_cndmask_b32 v1, v2, v4 :: v_dual_cndmask_b32 v24, v3, v5
	v_cmp_eq_u32_e64 s5, 6, v0
	v_cmp_eq_u32_e64 s4, 0, v0
	v_cndmask_b32_e64 v28, v7, v19, s0
	s_delay_alu instid0(VALU_DEP_4)
	v_cndmask_b32_e64 v1, v1, v6, s0
	v_cndmask_b32_e64 v24, v24, v7, s0
	;; [unrolled: 1-line block ×3, first 2 shown]
	v_cmp_eq_u32_e64 s0, 7, v0
	v_cndmask_b32_e32 v26, v5, v19, vcc_lo
	v_cndmask_b32_e64 v1, v1, v8, s1
	v_cndmask_b32_e64 v24, v24, v9, s1
	;; [unrolled: 1-line block ×9, first 2 shown]
	v_cmp_eq_u32_e64 s1, 9, v0
	v_cndmask_b32_e64 v1, v1, v12, s3
	v_cndmask_b32_e64 v3, v25, v13, s3
	v_cndmask_b32_e32 v25, v4, v18, vcc_lo
	v_cmp_eq_u32_e32 vcc_lo, 8, v0
	v_cmp_eq_u32_e64 s2, 10, v0
	v_cndmask_b32_e64 v1, v1, v14, s5
	v_cndmask_b32_e64 v34, v13, v19, s3
	;; [unrolled: 1-line block ×12, first 2 shown]
	v_cndmask_b32_e32 v1, v1, v18, vcc_lo
	v_cndmask_b32_e64 v3, v3, v15, s5
	s_delay_alu instid0(VALU_DEP_2) | instskip(NEXT) | instid1(VALU_DEP_2)
	v_cndmask_b32_e64 v1, v1, v20, s1
	v_cndmask_b32_e64 v3, v3, v17, s0
	s_delay_alu instid0(VALU_DEP_2) | instskip(NEXT) | instid1(VALU_DEP_1)
	v_cndmask_b32_e64 v0, v1, v22, s2
	v_cndmask_b32_e32 v39, v0, v18, vcc_lo
	s_delay_alu instid0(VALU_DEP_3) | instskip(NEXT) | instid1(VALU_DEP_1)
	v_cndmask_b32_e32 v3, v3, v19, vcc_lo
	v_cndmask_b32_e64 v3, v3, v21, s1
	s_delay_alu instid0(VALU_DEP_1) | instskip(SKIP_1) | instid1(VALU_DEP_2)
	v_cndmask_b32_e64 v1, v3, v23, s2
	v_cndmask_b32_e64 v23, v2, v18, s4
	v_cndmask_b32_e32 v40, v1, v19, vcc_lo
	s_delay_alu instid0(VALU_DEP_2)
	v_mov_b32_e32 v2, v23
	v_dual_mov_b32 v4, v25 :: v_dual_mov_b32 v3, v24
	v_dual_mov_b32 v6, v27 :: v_dual_mov_b32 v5, v26
	;; [unrolled: 1-line block ×10, first 2 shown]
	v_mov_b32_e32 v23, v44
	v_mov_b32_e32 v24, v45
	;; [unrolled: 1-line block ×11, first 2 shown]
.LBB74_93:
	s_or_b32 exec_lo, exec_lo, s6
	v_dual_mov_b32 v0, s12 :: v_dual_mov_b32 v1, s13
	s_mov_b32 s6, exec_lo
	flat_load_b32 v0, v[0:1] offset:28
	s_waitcnt vmcnt(0) lgkmcnt(0)
	v_add_nc_u32_e32 v0, -1, v0
	s_delay_alu instid0(VALU_DEP_1)
	v_cmpx_ne_u32_e32 7, v0
	s_cbranch_execz .LBB74_95
; %bb.94:
	v_cmp_eq_u32_e32 vcc_lo, 1, v0
	v_cmp_eq_u32_e64 s0, 2, v0
	v_cmp_eq_u32_e64 s1, 3, v0
	;; [unrolled: 1-line block ×4, first 2 shown]
	v_dual_cndmask_b32 v1, v2, v4 :: v_dual_cndmask_b32 v24, v3, v5
	v_cmp_eq_u32_e64 s5, 6, v0
	v_cmp_eq_u32_e64 s4, 0, v0
	v_cndmask_b32_e64 v28, v7, v17, s0
	s_delay_alu instid0(VALU_DEP_4)
	v_cndmask_b32_e64 v1, v1, v6, s0
	v_cndmask_b32_e64 v24, v24, v7, s0
	;; [unrolled: 1-line block ×3, first 2 shown]
	v_cmp_eq_u32_e64 s0, 7, v0
	v_cndmask_b32_e32 v26, v5, v17, vcc_lo
	v_cndmask_b32_e64 v1, v1, v8, s1
	v_cndmask_b32_e64 v24, v24, v9, s1
	;; [unrolled: 1-line block ×4, first 2 shown]
	v_cmp_eq_u32_e64 s1, 9, v0
	v_cndmask_b32_e64 v1, v1, v10, s2
	v_cndmask_b32_e64 v25, v24, v11, s2
	;; [unrolled: 1-line block ×7, first 2 shown]
	v_cndmask_b32_e32 v25, v4, v16, vcc_lo
	v_cmp_eq_u32_e32 vcc_lo, 8, v0
	v_cmp_eq_u32_e64 s2, 10, v0
	v_cndmask_b32_e64 v1, v1, v14, s5
	v_cndmask_b32_e64 v3, v3, v15, s5
	;; [unrolled: 1-line block ×7, first 2 shown]
	v_cndmask_b32_e32 v39, v18, v16, vcc_lo
	v_cndmask_b32_e64 v42, v21, v17, s1
	v_cndmask_b32_e64 v41, v20, v16, s1
	v_dual_cndmask_b32 v1, v1, v18 :: v_dual_cndmask_b32 v40, v19, v17
	v_cndmask_b32_e64 v44, v23, v17, s2
	v_cndmask_b32_e64 v43, v22, v16, s2
	;; [unrolled: 1-line block ×3, first 2 shown]
	s_delay_alu instid0(VALU_DEP_4) | instskip(NEXT) | instid1(VALU_DEP_1)
	v_cndmask_b32_e64 v1, v1, v20, s1
	v_cndmask_b32_e64 v0, v1, v22, s2
	s_delay_alu instid0(VALU_DEP_1) | instskip(SKIP_1) | instid1(VALU_DEP_1)
	v_cndmask_b32_e64 v37, v0, v16, s0
	v_cndmask_b32_e32 v3, v3, v19, vcc_lo
	v_cndmask_b32_e64 v3, v3, v21, s1
	s_delay_alu instid0(VALU_DEP_1) | instskip(SKIP_1) | instid1(VALU_DEP_2)
	v_cndmask_b32_e64 v1, v3, v23, s2
	v_cndmask_b32_e64 v23, v2, v16, s4
	;; [unrolled: 1-line block ×3, first 2 shown]
	s_delay_alu instid0(VALU_DEP_2)
	v_mov_b32_e32 v2, v23
	v_dual_mov_b32 v4, v25 :: v_dual_mov_b32 v3, v24
	v_dual_mov_b32 v6, v27 :: v_dual_mov_b32 v5, v26
	;; [unrolled: 1-line block ×10, first 2 shown]
	v_mov_b32_e32 v23, v44
	v_mov_b32_e32 v24, v45
	;; [unrolled: 1-line block ×11, first 2 shown]
.LBB74_95:
	s_or_b32 exec_lo, exec_lo, s6
	v_dual_mov_b32 v0, s12 :: v_dual_mov_b32 v1, s13
	s_mov_b32 s6, exec_lo
	flat_load_b32 v0, v[0:1] offset:24
	s_waitcnt vmcnt(0) lgkmcnt(0)
	v_add_nc_u32_e32 v0, -1, v0
	s_delay_alu instid0(VALU_DEP_1)
	v_cmpx_ne_u32_e32 6, v0
	s_cbranch_execz .LBB74_97
; %bb.96:
	v_cmp_eq_u32_e32 vcc_lo, 1, v0
	v_cmp_eq_u32_e64 s0, 2, v0
	v_cmp_eq_u32_e64 s1, 3, v0
	;; [unrolled: 1-line block ×4, first 2 shown]
	v_dual_cndmask_b32 v1, v2, v4 :: v_dual_cndmask_b32 v24, v3, v5
	v_cmp_eq_u32_e64 s5, 6, v0
	v_cmp_eq_u32_e64 s4, 0, v0
	v_cndmask_b32_e64 v28, v7, v15, s0
	s_delay_alu instid0(VALU_DEP_4)
	v_cndmask_b32_e64 v1, v1, v6, s0
	v_cndmask_b32_e64 v24, v24, v7, s0
	;; [unrolled: 1-line block ×3, first 2 shown]
	v_cmp_eq_u32_e64 s0, 7, v0
	v_cndmask_b32_e32 v26, v5, v15, vcc_lo
	v_cndmask_b32_e64 v1, v1, v8, s1
	v_cndmask_b32_e64 v24, v24, v9, s1
	;; [unrolled: 1-line block ×4, first 2 shown]
	v_cmp_eq_u32_e64 s1, 9, v0
	v_cndmask_b32_e64 v1, v1, v10, s2
	v_cndmask_b32_e64 v25, v24, v11, s2
	;; [unrolled: 1-line block ×7, first 2 shown]
	v_cndmask_b32_e32 v25, v4, v14, vcc_lo
	v_cmp_eq_u32_e32 vcc_lo, 8, v0
	v_cndmask_b32_e64 v34, v13, v15, s3
	v_cndmask_b32_e64 v1, v1, v14, s5
	;; [unrolled: 1-line block ×4, first 2 shown]
	v_cndmask_b32_e32 v39, v18, v14, vcc_lo
	v_cndmask_b32_e64 v41, v20, v14, s1
	v_cndmask_b32_e64 v1, v1, v16, s0
	;; [unrolled: 1-line block ×3, first 2 shown]
	v_cmp_eq_u32_e64 s0, 10, v0
	v_cndmask_b32_e64 v32, v11, v15, s2
	v_cndmask_b32_e64 v31, v10, v14, s2
	v_dual_cndmask_b32 v1, v1, v18 :: v_dual_cndmask_b32 v40, v19, v15
	s_delay_alu instid0(VALU_DEP_4) | instskip(SKIP_2) | instid1(VALU_DEP_4)
	v_cndmask_b32_e64 v44, v23, v15, s0
	v_cndmask_b32_e64 v43, v22, v14, s0
	v_cndmask_b32_e64 v33, v12, v14, s3
	v_cndmask_b32_e64 v1, v1, v20, s1
	s_delay_alu instid0(VALU_DEP_1) | instskip(NEXT) | instid1(VALU_DEP_1)
	v_cndmask_b32_e64 v0, v1, v22, s0
	v_cndmask_b32_e64 v35, v0, v14, s5
	v_cndmask_b32_e32 v3, v3, v19, vcc_lo
	s_delay_alu instid0(VALU_DEP_1) | instskip(NEXT) | instid1(VALU_DEP_1)
	v_cndmask_b32_e64 v3, v3, v21, s1
	v_cndmask_b32_e64 v1, v3, v23, s0
	;; [unrolled: 1-line block ×3, first 2 shown]
	s_delay_alu instid0(VALU_DEP_2) | instskip(NEXT) | instid1(VALU_DEP_2)
	v_cndmask_b32_e64 v36, v1, v15, s5
	v_mov_b32_e32 v2, v23
	v_dual_mov_b32 v4, v25 :: v_dual_mov_b32 v3, v24
	v_dual_mov_b32 v6, v27 :: v_dual_mov_b32 v5, v26
	;; [unrolled: 1-line block ×10, first 2 shown]
	v_mov_b32_e32 v23, v44
	v_mov_b32_e32 v24, v45
	;; [unrolled: 1-line block ×11, first 2 shown]
.LBB74_97:
	s_or_b32 exec_lo, exec_lo, s6
	v_dual_mov_b32 v0, s12 :: v_dual_mov_b32 v1, s13
	s_mov_b32 s6, exec_lo
	flat_load_b32 v0, v[0:1] offset:20
	s_waitcnt vmcnt(0) lgkmcnt(0)
	v_add_nc_u32_e32 v0, -1, v0
	s_delay_alu instid0(VALU_DEP_1)
	v_cmpx_ne_u32_e32 5, v0
	s_cbranch_execz .LBB74_99
; %bb.98:
	v_cmp_eq_u32_e32 vcc_lo, 1, v0
	v_cmp_eq_u32_e64 s0, 2, v0
	v_cmp_eq_u32_e64 s1, 3, v0
	;; [unrolled: 1-line block ×4, first 2 shown]
	v_dual_cndmask_b32 v1, v2, v4 :: v_dual_cndmask_b32 v24, v3, v5
	v_cmp_eq_u32_e64 s4, 0, v0
	v_cmp_eq_u32_e64 s5, 6, v0
	v_cndmask_b32_e64 v28, v7, v13, s0
	s_delay_alu instid0(VALU_DEP_4)
	v_cndmask_b32_e64 v1, v1, v6, s0
	v_cndmask_b32_e64 v24, v24, v7, s0
	v_cndmask_b32_e64 v27, v6, v12, s0
	v_cmp_eq_u32_e64 s0, 7, v0
	v_cndmask_b32_e32 v26, v5, v13, vcc_lo
	v_cndmask_b32_e64 v1, v1, v8, s1
	v_cndmask_b32_e64 v24, v24, v9, s1
	;; [unrolled: 1-line block ×4, first 2 shown]
	v_cmp_eq_u32_e64 s1, 9, v0
	v_cndmask_b32_e64 v1, v1, v10, s2
	v_cndmask_b32_e64 v25, v24, v11, s2
	;; [unrolled: 1-line block ×7, first 2 shown]
	v_cndmask_b32_e32 v25, v4, v12, vcc_lo
	v_cmp_eq_u32_e32 vcc_lo, 8, v0
	v_cndmask_b32_e64 v36, v15, v13, s5
	v_cndmask_b32_e64 v1, v1, v14, s5
	;; [unrolled: 1-line block ×4, first 2 shown]
	v_cndmask_b32_e32 v39, v18, v12, vcc_lo
	v_cndmask_b32_e64 v42, v21, v13, s1
	v_cndmask_b32_e64 v1, v1, v16, s0
	;; [unrolled: 1-line block ×3, first 2 shown]
	v_cmp_eq_u32_e64 s0, 10, v0
	v_cndmask_b32_e64 v41, v20, v12, s1
	v_cndmask_b32_e64 v32, v11, v13, s2
	v_dual_cndmask_b32 v1, v1, v18 :: v_dual_cndmask_b32 v40, v19, v13
	s_delay_alu instid0(VALU_DEP_4) | instskip(SKIP_2) | instid1(VALU_DEP_4)
	v_cndmask_b32_e64 v44, v23, v13, s0
	v_cndmask_b32_e64 v43, v22, v12, s0
	v_cndmask_b32_e32 v3, v3, v19, vcc_lo
	v_cndmask_b32_e64 v1, v1, v20, s1
	v_cndmask_b32_e64 v31, v10, v12, s2
	s_delay_alu instid0(VALU_DEP_3) | instskip(NEXT) | instid1(VALU_DEP_3)
	v_cndmask_b32_e64 v3, v3, v21, s1
	v_cndmask_b32_e64 v0, v1, v22, s0
	s_delay_alu instid0(VALU_DEP_2) | instskip(SKIP_1) | instid1(VALU_DEP_3)
	v_cndmask_b32_e64 v1, v3, v23, s0
	v_cndmask_b32_e64 v23, v2, v12, s4
	;; [unrolled: 1-line block ×3, first 2 shown]
	s_delay_alu instid0(VALU_DEP_3) | instskip(NEXT) | instid1(VALU_DEP_3)
	v_cndmask_b32_e64 v34, v1, v13, s3
	v_mov_b32_e32 v2, v23
	v_dual_mov_b32 v4, v25 :: v_dual_mov_b32 v3, v24
	v_dual_mov_b32 v6, v27 :: v_dual_mov_b32 v5, v26
	;; [unrolled: 1-line block ×10, first 2 shown]
	v_mov_b32_e32 v23, v44
	v_mov_b32_e32 v24, v45
	;; [unrolled: 1-line block ×11, first 2 shown]
.LBB74_99:
	s_or_b32 exec_lo, exec_lo, s6
	v_dual_mov_b32 v0, s12 :: v_dual_mov_b32 v1, s13
	s_mov_b32 s6, exec_lo
	flat_load_b32 v0, v[0:1] offset:16
	s_waitcnt vmcnt(0) lgkmcnt(0)
	v_add_nc_u32_e32 v0, -1, v0
	s_delay_alu instid0(VALU_DEP_1)
	v_cmpx_ne_u32_e32 4, v0
	s_cbranch_execz .LBB74_101
; %bb.100:
	v_cmp_eq_u32_e32 vcc_lo, 1, v0
	v_cmp_eq_u32_e64 s0, 2, v0
	v_cmp_eq_u32_e64 s1, 3, v0
	;; [unrolled: 1-line block ×4, first 2 shown]
	v_dual_cndmask_b32 v1, v2, v4 :: v_dual_cndmask_b32 v24, v3, v5
	v_cmp_eq_u32_e64 s4, 0, v0
	v_cmp_eq_u32_e64 s5, 6, v0
	v_cndmask_b32_e64 v28, v7, v11, s0
	s_delay_alu instid0(VALU_DEP_4)
	v_cndmask_b32_e64 v1, v1, v6, s0
	v_cndmask_b32_e64 v24, v24, v7, s0
	;; [unrolled: 1-line block ×3, first 2 shown]
	v_cmp_eq_u32_e64 s0, 7, v0
	v_cndmask_b32_e32 v26, v5, v11, vcc_lo
	v_cndmask_b32_e64 v1, v1, v8, s1
	v_cndmask_b32_e64 v24, v24, v9, s1
	;; [unrolled: 1-line block ×4, first 2 shown]
	v_cmp_eq_u32_e64 s1, 9, v0
	v_cndmask_b32_e64 v1, v1, v10, s2
	v_cndmask_b32_e64 v25, v24, v11, s2
	;; [unrolled: 1-line block ×7, first 2 shown]
	v_cndmask_b32_e32 v25, v4, v10, vcc_lo
	v_cmp_eq_u32_e32 vcc_lo, 8, v0
	v_cndmask_b32_e64 v34, v13, v11, s3
	v_cndmask_b32_e64 v1, v1, v14, s5
	;; [unrolled: 1-line block ×5, first 2 shown]
	v_cndmask_b32_e32 v39, v18, v10, vcc_lo
	v_cndmask_b32_e64 v1, v1, v16, s0
	v_cndmask_b32_e64 v3, v3, v17, s0
	v_cmp_eq_u32_e64 s0, 10, v0
	v_cndmask_b32_e64 v42, v21, v11, s1
	v_cndmask_b32_e64 v41, v20, v10, s1
	v_dual_cndmask_b32 v1, v1, v18 :: v_dual_cndmask_b32 v40, v19, v11
	s_delay_alu instid0(VALU_DEP_4) | instskip(SKIP_2) | instid1(VALU_DEP_4)
	v_cndmask_b32_e64 v44, v23, v11, s0
	v_cndmask_b32_e64 v43, v22, v10, s0
	v_cndmask_b32_e32 v3, v3, v19, vcc_lo
	v_cndmask_b32_e64 v1, v1, v20, s1
	v_cndmask_b32_e64 v33, v12, v10, s3
	s_delay_alu instid0(VALU_DEP_3) | instskip(NEXT) | instid1(VALU_DEP_3)
	v_cndmask_b32_e64 v3, v3, v21, s1
	v_cndmask_b32_e64 v0, v1, v22, s0
	s_delay_alu instid0(VALU_DEP_2) | instskip(SKIP_1) | instid1(VALU_DEP_3)
	v_cndmask_b32_e64 v1, v3, v23, s0
	v_cndmask_b32_e64 v23, v2, v10, s4
	;; [unrolled: 1-line block ×3, first 2 shown]
	s_delay_alu instid0(VALU_DEP_3) | instskip(NEXT) | instid1(VALU_DEP_3)
	v_cndmask_b32_e64 v32, v1, v11, s2
	v_mov_b32_e32 v2, v23
	v_dual_mov_b32 v4, v25 :: v_dual_mov_b32 v3, v24
	v_dual_mov_b32 v6, v27 :: v_dual_mov_b32 v5, v26
	v_dual_mov_b32 v8, v29 :: v_dual_mov_b32 v7, v28
	v_dual_mov_b32 v10, v31 :: v_dual_mov_b32 v9, v30
	v_dual_mov_b32 v12, v33 :: v_dual_mov_b32 v11, v32
	v_dual_mov_b32 v14, v35 :: v_dual_mov_b32 v13, v34
	v_dual_mov_b32 v16, v37 :: v_dual_mov_b32 v15, v36
	v_dual_mov_b32 v18, v39 :: v_dual_mov_b32 v17, v38
	v_dual_mov_b32 v20, v41 :: v_dual_mov_b32 v19, v40
	v_dual_mov_b32 v22, v43 :: v_dual_mov_b32 v21, v42
	v_mov_b32_e32 v23, v44
	v_mov_b32_e32 v24, v45
	;; [unrolled: 1-line block ×11, first 2 shown]
.LBB74_101:
	s_or_b32 exec_lo, exec_lo, s6
	v_dual_mov_b32 v0, s12 :: v_dual_mov_b32 v1, s13
	s_mov_b32 s6, exec_lo
	flat_load_b32 v0, v[0:1] offset:12
	s_waitcnt vmcnt(0) lgkmcnt(0)
	v_add_nc_u32_e32 v0, -1, v0
	s_delay_alu instid0(VALU_DEP_1)
	v_cmpx_ne_u32_e32 3, v0
	s_cbranch_execz .LBB74_103
; %bb.102:
	v_cmp_eq_u32_e32 vcc_lo, 1, v0
	v_cmp_eq_u32_e64 s0, 2, v0
	v_cmp_eq_u32_e64 s1, 3, v0
	;; [unrolled: 1-line block ×4, first 2 shown]
	v_dual_cndmask_b32 v1, v2, v4 :: v_dual_cndmask_b32 v24, v3, v5
	v_cmp_eq_u32_e64 s4, 0, v0
	v_cmp_eq_u32_e64 s5, 6, v0
	v_cndmask_b32_e64 v28, v7, v9, s0
	s_delay_alu instid0(VALU_DEP_4)
	v_cndmask_b32_e64 v1, v1, v6, s0
	v_cndmask_b32_e64 v24, v24, v7, s0
	;; [unrolled: 1-line block ×3, first 2 shown]
	v_cmp_eq_u32_e64 s0, 7, v0
	v_cndmask_b32_e32 v26, v5, v9, vcc_lo
	v_cndmask_b32_e64 v1, v1, v8, s1
	v_cndmask_b32_e64 v24, v24, v9, s1
	;; [unrolled: 1-line block ×8, first 2 shown]
	v_cmp_eq_u32_e64 s2, 9, v0
	v_cndmask_b32_e64 v37, v16, v8, s0
	v_cndmask_b32_e64 v1, v1, v12, s3
	v_cndmask_b32_e64 v3, v25, v13, s3
	v_cndmask_b32_e32 v25, v4, v8, vcc_lo
	v_cmp_eq_u32_e32 vcc_lo, 8, v0
	v_cndmask_b32_e64 v34, v13, v9, s3
	v_cndmask_b32_e64 v1, v1, v14, s5
	;; [unrolled: 1-line block ×5, first 2 shown]
	v_cndmask_b32_e32 v39, v18, v8, vcc_lo
	v_cndmask_b32_e64 v1, v1, v16, s0
	v_cndmask_b32_e64 v3, v3, v17, s0
	v_cmp_eq_u32_e64 s0, 10, v0
	v_cndmask_b32_e64 v42, v21, v9, s2
	v_cndmask_b32_e64 v41, v20, v8, s2
	v_dual_cndmask_b32 v1, v1, v18 :: v_dual_cndmask_b32 v40, v19, v9
	s_delay_alu instid0(VALU_DEP_4) | instskip(SKIP_2) | instid1(VALU_DEP_4)
	v_cndmask_b32_e64 v44, v23, v9, s0
	v_cndmask_b32_e64 v43, v22, v8, s0
	v_cndmask_b32_e32 v3, v3, v19, vcc_lo
	v_cndmask_b32_e64 v1, v1, v20, s2
	v_cndmask_b32_e64 v33, v12, v8, s3
	s_delay_alu instid0(VALU_DEP_3) | instskip(NEXT) | instid1(VALU_DEP_3)
	v_cndmask_b32_e64 v3, v3, v21, s2
	v_cndmask_b32_e64 v0, v1, v22, s0
	s_delay_alu instid0(VALU_DEP_2) | instskip(SKIP_1) | instid1(VALU_DEP_3)
	v_cndmask_b32_e64 v1, v3, v23, s0
	v_cndmask_b32_e64 v23, v2, v8, s4
	;; [unrolled: 1-line block ×3, first 2 shown]
	s_delay_alu instid0(VALU_DEP_3) | instskip(NEXT) | instid1(VALU_DEP_3)
	v_cndmask_b32_e64 v30, v1, v9, s1
	v_mov_b32_e32 v2, v23
	v_dual_mov_b32 v4, v25 :: v_dual_mov_b32 v3, v24
	v_dual_mov_b32 v6, v27 :: v_dual_mov_b32 v5, v26
	;; [unrolled: 1-line block ×10, first 2 shown]
	v_mov_b32_e32 v23, v44
	v_mov_b32_e32 v24, v45
	v_mov_b32_e32 v25, v46
	v_mov_b32_e32 v26, v47
	v_mov_b32_e32 v27, v48
	v_mov_b32_e32 v28, v49
	v_mov_b32_e32 v29, v50
	v_mov_b32_e32 v30, v51
	v_mov_b32_e32 v31, v52
	v_mov_b32_e32 v32, v53
	v_mov_b32_e32 v33, v54
.LBB74_103:
	s_or_b32 exec_lo, exec_lo, s6
	v_dual_mov_b32 v0, s12 :: v_dual_mov_b32 v1, s13
	s_mov_b32 s6, exec_lo
	flat_load_b32 v0, v[0:1] offset:8
	s_waitcnt vmcnt(0) lgkmcnt(0)
	v_add_nc_u32_e32 v0, -1, v0
	s_delay_alu instid0(VALU_DEP_1)
	v_cmpx_ne_u32_e32 2, v0
	s_cbranch_execz .LBB74_105
; %bb.104:
	v_cmp_eq_u32_e32 vcc_lo, 1, v0
	v_cmp_eq_u32_e64 s0, 2, v0
	v_cmp_eq_u32_e64 s1, 3, v0
	;; [unrolled: 1-line block ×4, first 2 shown]
	v_dual_cndmask_b32 v1, v2, v4 :: v_dual_cndmask_b32 v24, v3, v5
	v_cmp_eq_u32_e64 s4, 0, v0
	v_cmp_eq_u32_e64 s5, 6, v0
	v_cndmask_b32_e32 v26, v5, v7, vcc_lo
	s_delay_alu instid0(VALU_DEP_4)
	v_cndmask_b32_e64 v1, v1, v6, s0
	v_cndmask_b32_e64 v24, v24, v7, s0
	;; [unrolled: 1-line block ×7, first 2 shown]
	v_cmp_eq_u32_e64 s1, 8, v0
	v_cndmask_b32_e64 v31, v10, v6, s2
	v_cndmask_b32_e64 v34, v13, v7, s3
	;; [unrolled: 1-line block ×5, first 2 shown]
	v_cmp_eq_u32_e64 s2, 9, v0
	v_cndmask_b32_e64 v36, v15, v7, s5
	v_cndmask_b32_e64 v1, v1, v12, s3
	;; [unrolled: 1-line block ×3, first 2 shown]
	v_cndmask_b32_e32 v25, v4, v6, vcc_lo
	v_cmp_eq_u32_e32 vcc_lo, 7, v0
	v_cndmask_b32_e64 v35, v14, v6, s5
	v_cndmask_b32_e64 v1, v1, v14, s5
	v_cndmask_b32_e64 v3, v3, v15, s5
	v_cndmask_b32_e64 v40, v19, v7, s1
	v_cndmask_b32_e32 v37, v16, v6, vcc_lo
	v_cndmask_b32_e64 v39, v18, v6, s1
	v_cndmask_b32_e32 v1, v1, v16, vcc_lo
	v_dual_cndmask_b32 v3, v3, v17 :: v_dual_cndmask_b32 v38, v17, v7
	v_cmp_eq_u32_e32 vcc_lo, 10, v0
	v_cndmask_b32_e64 v42, v21, v7, s2
	v_cndmask_b32_e64 v41, v20, v6, s2
	s_delay_alu instid0(VALU_DEP_4)
	v_cndmask_b32_e64 v3, v3, v19, s1
	v_cndmask_b32_e64 v33, v12, v6, s3
	v_cndmask_b32_e32 v44, v23, v7, vcc_lo
	v_cndmask_b32_e64 v1, v1, v18, s1
	v_cndmask_b32_e32 v43, v22, v6, vcc_lo
	v_cndmask_b32_e64 v3, v3, v21, s2
	s_delay_alu instid0(VALU_DEP_3) | instskip(NEXT) | instid1(VALU_DEP_1)
	v_cndmask_b32_e64 v1, v1, v20, s2
	v_dual_cndmask_b32 v0, v1, v22 :: v_dual_cndmask_b32 v1, v3, v23
	v_cndmask_b32_e64 v23, v2, v6, s4
	s_delay_alu instid0(VALU_DEP_2) | instskip(NEXT) | instid1(VALU_DEP_3)
	v_cndmask_b32_e64 v27, v0, v6, s0
	v_cndmask_b32_e64 v28, v1, v7, s0
	s_delay_alu instid0(VALU_DEP_3) | instskip(SKIP_1) | instid1(VALU_DEP_4)
	v_mov_b32_e32 v2, v23
	v_dual_mov_b32 v3, v24 :: v_dual_mov_b32 v4, v25
	v_dual_mov_b32 v5, v26 :: v_dual_mov_b32 v6, v27
	s_delay_alu instid0(VALU_DEP_4)
	v_dual_mov_b32 v7, v28 :: v_dual_mov_b32 v8, v29
	v_dual_mov_b32 v9, v30 :: v_dual_mov_b32 v10, v31
	;; [unrolled: 1-line block ×8, first 2 shown]
	v_mov_b32_e32 v23, v44
	v_mov_b32_e32 v24, v45
	;; [unrolled: 1-line block ×11, first 2 shown]
.LBB74_105:
	s_or_b32 exec_lo, exec_lo, s6
	v_dual_mov_b32 v0, s12 :: v_dual_mov_b32 v1, s13
	s_mov_b32 s6, exec_lo
	flat_load_b32 v0, v[0:1] offset:4
	s_waitcnt vmcnt(0) lgkmcnt(0)
	v_add_nc_u32_e32 v0, -1, v0
	s_delay_alu instid0(VALU_DEP_1)
	v_cmpx_ne_u32_e32 1, v0
	s_cbranch_execz .LBB74_107
; %bb.106:
	v_cmp_eq_u32_e32 vcc_lo, 1, v0
	v_cmp_eq_u32_e64 s0, 2, v0
	v_cmp_eq_u32_e64 s1, 3, v0
	;; [unrolled: 1-line block ×4, first 2 shown]
	v_dual_cndmask_b32 v1, v2, v4 :: v_dual_cndmask_b32 v24, v3, v5
	v_cmp_eq_u32_e64 s4, 0, v0
	v_cmp_eq_u32_e64 s5, 6, v0
	v_cndmask_b32_e64 v28, v7, v5, s0
	s_delay_alu instid0(VALU_DEP_4)
	v_cndmask_b32_e64 v1, v1, v6, s0
	v_cndmask_b32_e64 v24, v24, v7, s0
	;; [unrolled: 1-line block ×3, first 2 shown]
	v_cmp_eq_u32_e64 s0, 7, v0
	v_cndmask_b32_e64 v30, v9, v5, s1
	v_cndmask_b32_e64 v1, v1, v8, s1
	;; [unrolled: 1-line block ×4, first 2 shown]
	v_cmp_eq_u32_e64 s1, 8, v0
	v_cndmask_b32_e64 v32, v11, v5, s2
	v_cndmask_b32_e64 v1, v1, v10, s2
	;; [unrolled: 1-line block ×5, first 2 shown]
	v_cmp_eq_u32_e64 s2, 9, v0
	v_cndmask_b32_e64 v1, v1, v12, s3
	v_cndmask_b32_e64 v3, v25, v13, s3
	;; [unrolled: 1-line block ×12, first 2 shown]
	v_cmp_eq_u32_e64 s0, 10, v0
	v_cndmask_b32_e64 v39, v18, v4, s1
	v_cndmask_b32_e64 v42, v21, v5, s2
	;; [unrolled: 1-line block ×10, first 2 shown]
	s_delay_alu instid0(VALU_DEP_3) | instskip(NEXT) | instid1(VALU_DEP_3)
	v_cndmask_b32_e64 v0, v1, v22, s0
	v_cndmask_b32_e64 v1, v3, v23, s0
	;; [unrolled: 1-line block ×3, first 2 shown]
	s_delay_alu instid0(VALU_DEP_2) | instskip(NEXT) | instid1(VALU_DEP_2)
	v_dual_cndmask_b32 v25, v0, v4 :: v_dual_cndmask_b32 v26, v1, v5
	v_mov_b32_e32 v2, v23
	s_delay_alu instid0(VALU_DEP_2) | instskip(NEXT) | instid1(VALU_DEP_3)
	v_dual_mov_b32 v3, v24 :: v_dual_mov_b32 v4, v25
	v_dual_mov_b32 v5, v26 :: v_dual_mov_b32 v6, v27
	;; [unrolled: 1-line block ×10, first 2 shown]
	v_mov_b32_e32 v23, v44
	v_mov_b32_e32 v24, v45
	;; [unrolled: 1-line block ×11, first 2 shown]
.LBB74_107:
	s_or_b32 exec_lo, exec_lo, s6
	v_dual_mov_b32 v0, s12 :: v_dual_mov_b32 v1, s13
	s_mov_b32 s5, exec_lo
	flat_load_b32 v0, v[0:1]
	s_waitcnt vmcnt(0) lgkmcnt(0)
	v_add_nc_u32_e32 v0, -1, v0
	s_delay_alu instid0(VALU_DEP_1)
	v_cmpx_ne_u32_e32 0, v0
	s_cbranch_execz .LBB74_109
; %bb.108:
	v_cmp_eq_u32_e32 vcc_lo, 1, v0
	v_cmp_eq_u32_e64 s0, 2, v0
	v_cmp_eq_u32_e64 s1, 3, v0
	;; [unrolled: 1-line block ×4, first 2 shown]
	v_dual_cndmask_b32 v1, v2, v4 :: v_dual_cndmask_b32 v24, v3, v5
	v_cmp_eq_u32_e64 s4, 6, v0
	v_cndmask_b32_e64 v26, v7, v3, s0
	v_cndmask_b32_e64 v25, v6, v2, s0
	s_delay_alu instid0(VALU_DEP_4)
	v_cndmask_b32_e64 v1, v1, v6, s0
	v_cndmask_b32_e64 v24, v24, v7, s0
	v_cmp_eq_u32_e64 s0, 7, v0
	v_cndmask_b32_e64 v28, v9, v3, s1
	v_cndmask_b32_e64 v27, v8, v2, s1
	v_cndmask_b32_e64 v1, v1, v8, s1
	v_cndmask_b32_e64 v24, v24, v9, s1
	v_cmp_eq_u32_e64 s1, 8, v0
	v_cndmask_b32_e64 v30, v11, v3, s2
	v_cndmask_b32_e64 v29, v10, v2, s2
	;; [unrolled: 5-line block ×3, first 2 shown]
	v_cndmask_b32_e64 v1, v1, v12, s3
	v_cndmask_b32_e64 v7, v24, v13, s3
	v_cndmask_b32_e32 v24, v5, v3, vcc_lo
	v_cndmask_b32_e64 v38, v19, v3, s1
	v_cndmask_b32_e64 v37, v18, v2, s1
	;; [unrolled: 1-line block ×9, first 2 shown]
	v_cmp_eq_u32_e64 s0, 10, v0
	v_cndmask_b32_e64 v32, v13, v3, s3
	v_cndmask_b32_e64 v31, v12, v2, s3
	;; [unrolled: 1-line block ×4, first 2 shown]
	v_cmp_eq_u32_e64 s1, 0, v0
	v_cndmask_b32_e64 v42, v23, v3, s0
	v_cndmask_b32_e64 v41, v22, v2, s0
	;; [unrolled: 1-line block ×5, first 2 shown]
	s_delay_alu instid0(VALU_DEP_3) | instskip(NEXT) | instid1(VALU_DEP_3)
	v_cndmask_b32_e64 v1, v1, v22, s0
	v_cndmask_b32_e64 v5, v5, v23, s0
	v_cndmask_b32_e32 v23, v4, v2, vcc_lo
	s_delay_alu instid0(VALU_DEP_3) | instskip(NEXT) | instid1(VALU_DEP_3)
	v_cndmask_b32_e64 v21, v1, v2, s1
	v_cndmask_b32_e64 v22, v5, v3, s1
	s_delay_alu instid0(VALU_DEP_2) | instskip(NEXT) | instid1(VALU_DEP_2)
	v_mov_b32_e32 v2, v21
	v_dual_mov_b32 v3, v22 :: v_dual_mov_b32 v4, v23
	v_dual_mov_b32 v5, v24 :: v_dual_mov_b32 v6, v25
	;; [unrolled: 1-line block ×9, first 2 shown]
	v_mov_b32_e32 v21, v40
	v_mov_b32_e32 v22, v41
	;; [unrolled: 1-line block ×13, first 2 shown]
.LBB74_109:
	s_or_b32 exec_lo, exec_lo, s5
.LBB74_110:
	s_delay_alu instid0(VALU_DEP_1)
	v_dual_mov_b32 v1, v3 :: v_dual_mov_b32 v0, v2
	v_dual_mov_b32 v3, v5 :: v_dual_mov_b32 v2, v4
	;; [unrolled: 1-line block ×3, first 2 shown]
	global_store_b64 v[58:59], v[0:1], off
	v_dual_mov_b32 v1, v9 :: v_dual_mov_b32 v0, v8
	v_dual_mov_b32 v7, v11 :: v_dual_mov_b32 v6, v10
	;; [unrolled: 1-line block ×3, first 2 shown]
	s_clause 0x4
	global_store_b64 v[56:57], v[2:3], off
	global_store_b64 v[60:61], v[4:5], off
	;; [unrolled: 1-line block ×5, first 2 shown]
	v_dual_mov_b32 v1, v15 :: v_dual_mov_b32 v0, v14
	v_dual_mov_b32 v3, v17 :: v_dual_mov_b32 v2, v16
	;; [unrolled: 1-line block ×5, first 2 shown]
	s_clause 0x4
	global_store_b64 v[66:67], v[0:1], off
	global_store_b64 v[70:71], v[2:3], off
	;; [unrolled: 1-line block ×5, first 2 shown]
	s_nop 0
	s_sendmsg sendmsg(MSG_DEALLOC_VGPRS)
	s_endpgm
	.section	.rodata,"a",@progbits
	.p2align	6, 0x0
	.amdhsa_kernel _ZN9rocsolver6v33100L18getri_kernel_smallILi11EdPKPdEEvT1_iilPiilS6_bb
		.amdhsa_group_segment_fixed_size 184
		.amdhsa_private_segment_fixed_size 0
		.amdhsa_kernarg_size 60
		.amdhsa_user_sgpr_count 15
		.amdhsa_user_sgpr_dispatch_ptr 0
		.amdhsa_user_sgpr_queue_ptr 0
		.amdhsa_user_sgpr_kernarg_segment_ptr 1
		.amdhsa_user_sgpr_dispatch_id 0
		.amdhsa_user_sgpr_private_segment_size 0
		.amdhsa_wavefront_size32 1
		.amdhsa_uses_dynamic_stack 0
		.amdhsa_enable_private_segment 0
		.amdhsa_system_sgpr_workgroup_id_x 1
		.amdhsa_system_sgpr_workgroup_id_y 0
		.amdhsa_system_sgpr_workgroup_id_z 0
		.amdhsa_system_sgpr_workgroup_info 0
		.amdhsa_system_vgpr_workitem_id 0
		.amdhsa_next_free_vgpr 80
		.amdhsa_next_free_sgpr 17
		.amdhsa_reserve_vcc 1
		.amdhsa_float_round_mode_32 0
		.amdhsa_float_round_mode_16_64 0
		.amdhsa_float_denorm_mode_32 3
		.amdhsa_float_denorm_mode_16_64 3
		.amdhsa_dx10_clamp 1
		.amdhsa_ieee_mode 1
		.amdhsa_fp16_overflow 0
		.amdhsa_workgroup_processor_mode 1
		.amdhsa_memory_ordered 1
		.amdhsa_forward_progress 0
		.amdhsa_shared_vgpr_count 0
		.amdhsa_exception_fp_ieee_invalid_op 0
		.amdhsa_exception_fp_denorm_src 0
		.amdhsa_exception_fp_ieee_div_zero 0
		.amdhsa_exception_fp_ieee_overflow 0
		.amdhsa_exception_fp_ieee_underflow 0
		.amdhsa_exception_fp_ieee_inexact 0
		.amdhsa_exception_int_div_zero 0
	.end_amdhsa_kernel
	.section	.text._ZN9rocsolver6v33100L18getri_kernel_smallILi11EdPKPdEEvT1_iilPiilS6_bb,"axG",@progbits,_ZN9rocsolver6v33100L18getri_kernel_smallILi11EdPKPdEEvT1_iilPiilS6_bb,comdat
.Lfunc_end74:
	.size	_ZN9rocsolver6v33100L18getri_kernel_smallILi11EdPKPdEEvT1_iilPiilS6_bb, .Lfunc_end74-_ZN9rocsolver6v33100L18getri_kernel_smallILi11EdPKPdEEvT1_iilPiilS6_bb
                                        ; -- End function
	.section	.AMDGPU.csdata,"",@progbits
; Kernel info:
; codeLenInByte = 16904
; NumSgprs: 19
; NumVgprs: 80
; ScratchSize: 0
; MemoryBound: 0
; FloatMode: 240
; IeeeMode: 1
; LDSByteSize: 184 bytes/workgroup (compile time only)
; SGPRBlocks: 2
; VGPRBlocks: 9
; NumSGPRsForWavesPerEU: 19
; NumVGPRsForWavesPerEU: 80
; Occupancy: 16
; WaveLimiterHint : 1
; COMPUTE_PGM_RSRC2:SCRATCH_EN: 0
; COMPUTE_PGM_RSRC2:USER_SGPR: 15
; COMPUTE_PGM_RSRC2:TRAP_HANDLER: 0
; COMPUTE_PGM_RSRC2:TGID_X_EN: 1
; COMPUTE_PGM_RSRC2:TGID_Y_EN: 0
; COMPUTE_PGM_RSRC2:TGID_Z_EN: 0
; COMPUTE_PGM_RSRC2:TIDIG_COMP_CNT: 0
	.section	.text._ZN9rocsolver6v33100L18getri_kernel_smallILi12EdPKPdEEvT1_iilPiilS6_bb,"axG",@progbits,_ZN9rocsolver6v33100L18getri_kernel_smallILi12EdPKPdEEvT1_iilPiilS6_bb,comdat
	.globl	_ZN9rocsolver6v33100L18getri_kernel_smallILi12EdPKPdEEvT1_iilPiilS6_bb ; -- Begin function _ZN9rocsolver6v33100L18getri_kernel_smallILi12EdPKPdEEvT1_iilPiilS6_bb
	.p2align	8
	.type	_ZN9rocsolver6v33100L18getri_kernel_smallILi12EdPKPdEEvT1_iilPiilS6_bb,@function
_ZN9rocsolver6v33100L18getri_kernel_smallILi12EdPKPdEEvT1_iilPiilS6_bb: ; @_ZN9rocsolver6v33100L18getri_kernel_smallILi12EdPKPdEEvT1_iilPiilS6_bb
; %bb.0:
	s_mov_b32 s2, exec_lo
	v_cmpx_gt_u32_e32 12, v0
	s_cbranch_execz .LBB75_16
; %bb.1:
	s_clause 0x1
	s_load_b32 s4, s[0:1], 0x38
	s_load_b64 s[2:3], s[0:1], 0x0
	s_mov_b32 s18, s15
                                        ; implicit-def: $sgpr16_sgpr17
	s_waitcnt lgkmcnt(0)
	s_bitcmp1_b32 s4, 8
	s_cselect_b32 s11, -1, 0
	s_ashr_i32 s19, s15, 31
	s_load_b128 s[12:15], s[0:1], 0x28
	s_lshl_b64 s[6:7], s[18:19], 3
	s_delay_alu instid0(SALU_CYCLE_1)
	s_add_u32 s2, s2, s6
	s_addc_u32 s3, s3, s7
	s_bfe_u32 s5, s4, 0x10008
	s_load_b64 s[2:3], s[2:3], 0x0
	s_cmp_eq_u32 s5, 0
	s_cbranch_scc1 .LBB75_3
; %bb.2:
	s_clause 0x1
	s_load_b32 s6, s[0:1], 0x20
	s_load_b64 s[8:9], s[0:1], 0x18
	s_waitcnt lgkmcnt(0)
	s_mul_i32 s5, s18, s13
	s_mul_hi_u32 s7, s18, s12
	s_mul_i32 s10, s19, s12
	s_add_i32 s5, s7, s5
	s_mul_i32 s12, s18, s12
	s_add_i32 s13, s5, s10
	s_delay_alu instid0(SALU_CYCLE_1) | instskip(SKIP_4) | instid1(SALU_CYCLE_1)
	s_lshl_b64 s[12:13], s[12:13], 2
	s_ashr_i32 s7, s6, 31
	s_add_u32 s5, s8, s12
	s_addc_u32 s8, s9, s13
	s_lshl_b64 s[6:7], s[6:7], 2
	s_add_u32 s16, s5, s6
	s_addc_u32 s17, s8, s7
.LBB75_3:
	s_load_b64 s[0:1], s[0:1], 0x8
	v_lshlrev_b32_e32 v28, 3, v0
	s_waitcnt lgkmcnt(0)
	v_add3_u32 v1, s1, s1, v0
	s_ashr_i32 s7, s0, 31
	s_mov_b32 s6, s0
	s_mov_b32 s8, s1
	s_lshl_b64 s[6:7], s[6:7], 3
	v_add_nc_u32_e32 v3, s1, v1
	v_ashrrev_i32_e32 v2, 31, v1
	s_add_u32 s2, s2, s6
	s_addc_u32 s3, s3, s7
	v_add_co_u32 v56, s0, s2, v28
	v_add_nc_u32_e32 v5, s1, v3
	s_ashr_i32 s9, s1, 31
	v_add_co_ci_u32_e64 v57, null, s3, 0, s0
	v_lshlrev_b64 v[1:2], 3, v[1:2]
	s_lshl_b64 s[6:7], s[8:9], 3
	v_ashrrev_i32_e32 v6, 31, v5
	v_add_co_u32 v60, vcc_lo, v56, s6
	v_add_nc_u32_e32 v7, s1, v5
	v_ashrrev_i32_e32 v4, 31, v3
	v_add_co_ci_u32_e32 v61, vcc_lo, s7, v57, vcc_lo
	v_add_co_u32 v58, vcc_lo, s2, v1
	v_add_co_ci_u32_e32 v59, vcc_lo, s3, v2, vcc_lo
	v_lshlrev_b64 v[1:2], 3, v[5:6]
	v_add_nc_u32_e32 v5, s1, v7
	v_lshlrev_b64 v[3:4], 3, v[3:4]
	v_ashrrev_i32_e32 v8, 31, v7
	s_bitcmp0_b32 s4, 0
	s_mov_b32 s0, -1
	v_add_nc_u32_e32 v14, s1, v5
	v_ashrrev_i32_e32 v6, 31, v5
	v_add_co_u32 v62, vcc_lo, s2, v3
	v_lshlrev_b64 v[12:13], 3, v[7:8]
	v_add_co_ci_u32_e32 v63, vcc_lo, s3, v4, vcc_lo
	v_add_co_u32 v64, vcc_lo, s2, v1
	v_ashrrev_i32_e32 v15, 31, v14
	v_add_nc_u32_e32 v16, s1, v14
	v_add_co_ci_u32_e32 v65, vcc_lo, s3, v2, vcc_lo
	v_lshlrev_b64 v[1:2], 3, v[5:6]
	v_add_co_u32 v66, vcc_lo, s2, v12
	v_add_co_ci_u32_e32 v67, vcc_lo, s3, v13, vcc_lo
	v_lshlrev_b64 v[12:13], 3, v[14:15]
	v_ashrrev_i32_e32 v17, 31, v16
	v_add_nc_u32_e32 v14, s1, v16
	v_add_co_u32 v70, vcc_lo, s2, v1
	v_add_co_ci_u32_e32 v71, vcc_lo, s3, v2, vcc_lo
	s_delay_alu instid0(VALU_DEP_4) | instskip(NEXT) | instid1(VALU_DEP_4)
	v_lshlrev_b64 v[1:2], 3, v[16:17]
	v_ashrrev_i32_e32 v15, 31, v14
	v_add_nc_u32_e32 v16, s1, v14
	v_add_co_u32 v68, vcc_lo, s2, v12
	v_add_co_ci_u32_e32 v69, vcc_lo, s3, v13, vcc_lo
	s_delay_alu instid0(VALU_DEP_4) | instskip(NEXT) | instid1(VALU_DEP_4)
	v_lshlrev_b64 v[12:13], 3, v[14:15]
	v_add_nc_u32_e32 v14, s1, v16
	v_ashrrev_i32_e32 v17, 31, v16
	v_add_co_u32 v72, vcc_lo, s2, v1
	v_add_co_ci_u32_e32 v73, vcc_lo, s3, v2, vcc_lo
	s_delay_alu instid0(VALU_DEP_4) | instskip(NEXT) | instid1(VALU_DEP_4)
	v_ashrrev_i32_e32 v15, 31, v14
	v_lshlrev_b64 v[1:2], 3, v[16:17]
	v_add_co_u32 v74, vcc_lo, s2, v12
	v_add_co_ci_u32_e32 v75, vcc_lo, s3, v13, vcc_lo
	s_delay_alu instid0(VALU_DEP_4) | instskip(NEXT) | instid1(VALU_DEP_4)
	v_lshlrev_b64 v[12:13], 3, v[14:15]
	v_add_co_u32 v78, vcc_lo, s2, v1
	v_mov_b32_e32 v1, 0
	v_add_co_ci_u32_e32 v79, vcc_lo, s3, v2, vcc_lo
	s_delay_alu instid0(VALU_DEP_4)
	v_add_co_u32 v76, vcc_lo, s2, v12
	s_clause 0x3
	global_load_b64 v[4:5], v[60:61], off
	global_load_b64 v[6:7], v[58:59], off
	;; [unrolled: 1-line block ×4, first 2 shown]
	v_add_co_ci_u32_e32 v77, vcc_lo, s3, v13, vcc_lo
	s_clause 0x7
	global_load_b64 v[12:13], v[66:67], off
	global_load_b64 v[14:15], v[70:71], off
	;; [unrolled: 1-line block ×6, first 2 shown]
	global_load_b64 v[2:3], v28, s[2:3]
	global_load_b64 v[24:25], v[76:77], off
	s_cbranch_scc1 .LBB75_14
; %bb.4:
	v_cmp_eq_u32_e64 s0, 0, v0
	s_delay_alu instid0(VALU_DEP_1)
	s_and_saveexec_b32 s1, s0
	s_cbranch_execz .LBB75_6
; %bb.5:
	v_mov_b32_e32 v26, 0
	ds_store_b32 v26, v26 offset:192
.LBB75_6:
	s_or_b32 exec_lo, exec_lo, s1
	v_cmp_eq_u32_e32 vcc_lo, 1, v0
	s_mov_b32 s2, exec_lo
	s_waitcnt vmcnt(0) lgkmcnt(0)
	s_barrier
	buffer_gl0_inv
	v_dual_cndmask_b32 v26, v3, v5 :: v_dual_cndmask_b32 v27, v2, v4
	v_cmp_eq_u32_e32 vcc_lo, 2, v0
	s_delay_alu instid0(VALU_DEP_2) | instskip(SKIP_1) | instid1(VALU_DEP_2)
	v_dual_cndmask_b32 v26, v26, v7 :: v_dual_cndmask_b32 v27, v27, v6
	v_cmp_eq_u32_e32 vcc_lo, 3, v0
	v_dual_cndmask_b32 v26, v26, v9 :: v_dual_cndmask_b32 v27, v27, v8
	v_cmp_eq_u32_e32 vcc_lo, 4, v0
	s_delay_alu instid0(VALU_DEP_2) | instskip(SKIP_1) | instid1(VALU_DEP_2)
	v_dual_cndmask_b32 v26, v26, v11 :: v_dual_cndmask_b32 v27, v27, v10
	v_cmp_eq_u32_e32 vcc_lo, 5, v0
	;; [unrolled: 5-line block ×5, first 2 shown]
	v_dual_cndmask_b32 v27, v26, v25 :: v_dual_cndmask_b32 v26, v29, v24
	s_delay_alu instid0(VALU_DEP_1)
	v_cmpx_eq_f64_e32 0, v[26:27]
	s_cbranch_execz .LBB75_10
; %bb.7:
	v_mov_b32_e32 v29, 0
	s_mov_b32 s3, 0
	ds_load_b32 v30, v29 offset:192
	s_waitcnt lgkmcnt(0)
	v_readfirstlane_b32 s1, v30
	v_add_nc_u32_e32 v30, 1, v0
	s_delay_alu instid0(VALU_DEP_2) | instskip(NEXT) | instid1(VALU_DEP_1)
	s_cmp_eq_u32 s1, 0
	v_cmp_gt_i32_e32 vcc_lo, s1, v30
	s_cselect_b32 s4, -1, 0
	s_delay_alu instid0(SALU_CYCLE_1) | instskip(NEXT) | instid1(SALU_CYCLE_1)
	s_or_b32 s4, s4, vcc_lo
	s_and_b32 exec_lo, exec_lo, s4
	s_cbranch_execz .LBB75_10
; %bb.8:
	v_mov_b32_e32 v31, s1
.LBB75_9:                               ; =>This Inner Loop Header: Depth=1
	ds_cmpstore_rtn_b32 v31, v29, v30, v31 offset:192
	s_waitcnt lgkmcnt(0)
	v_cmp_ne_u32_e32 vcc_lo, 0, v31
	v_cmp_le_i32_e64 s1, v31, v30
	s_delay_alu instid0(VALU_DEP_1) | instskip(NEXT) | instid1(SALU_CYCLE_1)
	s_and_b32 s1, vcc_lo, s1
	s_and_b32 s1, exec_lo, s1
	s_delay_alu instid0(SALU_CYCLE_1) | instskip(NEXT) | instid1(SALU_CYCLE_1)
	s_or_b32 s3, s1, s3
	s_and_not1_b32 exec_lo, exec_lo, s3
	s_cbranch_execnz .LBB75_9
.LBB75_10:
	s_or_b32 exec_lo, exec_lo, s2
	v_mov_b32_e32 v29, 0
	s_barrier
	buffer_gl0_inv
	ds_load_b32 v30, v29 offset:192
	s_and_saveexec_b32 s1, s0
	s_cbranch_execz .LBB75_12
; %bb.11:
	s_lshl_b64 s[2:3], s[18:19], 2
	s_delay_alu instid0(SALU_CYCLE_1)
	s_add_u32 s2, s14, s2
	s_addc_u32 s3, s15, s3
	s_waitcnt lgkmcnt(0)
	global_store_b32 v29, v30, s[2:3]
.LBB75_12:
	s_or_b32 exec_lo, exec_lo, s1
	s_waitcnt lgkmcnt(0)
	v_cmp_ne_u32_e32 vcc_lo, 0, v30
	s_cbranch_vccz .LBB75_17
; %bb.13:
	s_mov_b32 s0, 0
                                        ; implicit-def: $vgpr2_vgpr3_vgpr4_vgpr5_vgpr6_vgpr7_vgpr8_vgpr9_vgpr10_vgpr11_vgpr12_vgpr13_vgpr14_vgpr15_vgpr16_vgpr17_vgpr18_vgpr19_vgpr20_vgpr21_vgpr22_vgpr23_vgpr24_vgpr25_vgpr26_vgpr27_vgpr28_vgpr29_vgpr30_vgpr31_vgpr32_vgpr33
.LBB75_14:
	s_delay_alu instid0(SALU_CYCLE_1)
	s_and_b32 vcc_lo, exec_lo, s0
	s_cbranch_vccz .LBB75_16
.LBB75_15:
	s_lshl_b64 s[0:1], s[18:19], 2
	v_mov_b32_e32 v1, 0
	s_add_u32 s0, s14, s0
	s_addc_u32 s1, s15, s1
	global_load_b32 v1, v1, s[0:1]
	s_waitcnt vmcnt(0)
	v_cmp_ne_u32_e32 vcc_lo, 0, v1
	s_cbranch_vccz .LBB75_72
.LBB75_16:
	s_nop 0
	s_sendmsg sendmsg(MSG_DEALLOC_VGPRS)
	s_endpgm
.LBB75_17:
	v_div_scale_f64 v[29:30], null, v[26:27], v[26:27], 1.0
	v_div_scale_f64 v[35:36], vcc_lo, 1.0, v[26:27], 1.0
	v_cmp_eq_u32_e64 s1, 9, v0
	v_cmp_eq_u32_e64 s2, 8, v0
	;; [unrolled: 1-line block ×10, first 2 shown]
	v_rcp_f64_e32 v[31:32], v[29:30]
	s_waitcnt_depctr 0xfff
	v_fma_f64 v[33:34], -v[29:30], v[31:32], 1.0
	s_delay_alu instid0(VALU_DEP_1) | instskip(NEXT) | instid1(VALU_DEP_1)
	v_fma_f64 v[31:32], v[31:32], v[33:34], v[31:32]
	v_fma_f64 v[33:34], -v[29:30], v[31:32], 1.0
	s_delay_alu instid0(VALU_DEP_1) | instskip(NEXT) | instid1(VALU_DEP_1)
	v_fma_f64 v[31:32], v[31:32], v[33:34], v[31:32]
	v_mul_f64 v[33:34], v[35:36], v[31:32]
	s_delay_alu instid0(VALU_DEP_1) | instskip(NEXT) | instid1(VALU_DEP_1)
	v_fma_f64 v[29:30], -v[29:30], v[33:34], v[35:36]
	v_div_fmas_f64 v[29:30], v[29:30], v[31:32], v[33:34]
	v_cmp_eq_u32_e32 vcc_lo, 10, v0
	s_delay_alu instid0(VALU_DEP_2) | instskip(NEXT) | instid1(VALU_DEP_1)
	v_div_fixup_f64 v[26:27], v[29:30], v[26:27], 1.0
	v_dual_cndmask_b32 v23, v23, v27 :: v_dual_add_nc_u32 v30, 0x60, v28
	s_delay_alu instid0(VALU_DEP_2)
	v_cndmask_b32_e32 v22, v22, v26, vcc_lo
	v_cmp_eq_u32_e32 vcc_lo, 2, v0
	v_cndmask_b32_e64 v25, v25, v27, s7
	v_cndmask_b32_e64 v24, v24, v26, s7
	;; [unrolled: 1-line block ×4, first 2 shown]
	v_cndmask_b32_e32 v7, v7, v27, vcc_lo
	v_cndmask_b32_e64 v19, v19, v27, s2
	v_cndmask_b32_e64 v18, v18, v26, s2
	;; [unrolled: 1-line block ×14, first 2 shown]
	v_xor_b32_e32 v32, 0x80000000, v27
	v_mov_b32_e32 v31, v26
	v_cndmask_b32_e32 v6, v6, v26, vcc_lo
	v_cndmask_b32_e64 v3, v3, v27, s10
	v_cndmask_b32_e64 v2, v2, v26, s10
	ds_store_2addr_b64 v28, v[31:32], v[4:5] offset1:12
	s_waitcnt lgkmcnt(0)
	s_waitcnt_vscnt null, 0x0
	s_barrier
	buffer_gl0_inv
	s_and_saveexec_b32 s1, s0
	s_cbranch_execz .LBB75_19
; %bb.18:
	ds_load_b64 v[4:5], v30
	v_mov_b32_e32 v28, 0
	ds_load_b64 v[28:29], v28 offset:8
	s_waitcnt lgkmcnt(1)
	v_fma_f64 v[4:5], v[26:27], v[4:5], 0
	s_waitcnt lgkmcnt(0)
	s_delay_alu instid0(VALU_DEP_1)
	v_mul_f64 v[4:5], v[4:5], v[28:29]
.LBB75_19:
	s_or_b32 exec_lo, exec_lo, s1
	v_cmp_gt_u32_e32 vcc_lo, 2, v0
	s_barrier
	buffer_gl0_inv
	ds_store_b64 v30, v[6:7]
	s_waitcnt lgkmcnt(0)
	s_barrier
	buffer_gl0_inv
	s_and_saveexec_b32 s2, vcc_lo
	s_cbranch_execz .LBB75_23
; %bb.20:
	v_cmp_eq_u32_e64 s1, 1, v0
	s_delay_alu instid0(VALU_DEP_1) | instskip(SKIP_2) | instid1(VALU_DEP_1)
	v_cndmask_b32_e64 v26, v3, v5, s1
	v_cndmask_b32_e64 v27, v2, v4, s1
	v_cmp_eq_u32_e64 s1, 2, v0
	v_cndmask_b32_e64 v7, v26, v7, s1
	s_delay_alu instid0(VALU_DEP_3) | instskip(SKIP_1) | instid1(VALU_DEP_1)
	v_cndmask_b32_e64 v6, v27, v6, s1
	v_cmp_eq_u32_e64 s1, 3, v0
	v_cndmask_b32_e64 v7, v7, v9, s1
	s_delay_alu instid0(VALU_DEP_3) | instskip(SKIP_1) | instid1(VALU_DEP_1)
	v_cndmask_b32_e64 v6, v6, v8, s1
	v_cmp_eq_u32_e64 s1, 4, v0
	v_cndmask_b32_e64 v7, v7, v11, s1
	s_delay_alu instid0(VALU_DEP_3) | instskip(SKIP_1) | instid1(VALU_DEP_1)
	v_cndmask_b32_e64 v6, v6, v10, s1
	v_cmp_eq_u32_e64 s1, 5, v0
	v_cndmask_b32_e64 v7, v7, v13, s1
	s_delay_alu instid0(VALU_DEP_3) | instskip(SKIP_1) | instid1(VALU_DEP_1)
	v_cndmask_b32_e64 v6, v6, v12, s1
	v_cmp_eq_u32_e64 s1, 6, v0
	v_cndmask_b32_e64 v7, v7, v15, s1
	s_delay_alu instid0(VALU_DEP_3) | instskip(SKIP_1) | instid1(VALU_DEP_1)
	v_cndmask_b32_e64 v6, v6, v14, s1
	v_cmp_eq_u32_e64 s1, 7, v0
	v_cndmask_b32_e64 v7, v7, v17, s1
	s_delay_alu instid0(VALU_DEP_3) | instskip(SKIP_1) | instid1(VALU_DEP_1)
	v_cndmask_b32_e64 v6, v6, v16, s1
	v_cmp_eq_u32_e64 s1, 8, v0
	v_cndmask_b32_e64 v26, v7, v19, s1
	s_delay_alu instid0(VALU_DEP_3)
	v_cndmask_b32_e64 v27, v6, v18, s1
	v_cmp_eq_u32_e64 s1, 9, v0
	ds_load_b64 v[6:7], v30
	v_cndmask_b32_e64 v26, v26, v21, s1
	v_cndmask_b32_e64 v27, v27, v20, s1
	v_cmp_eq_u32_e64 s1, 10, v0
	s_delay_alu instid0(VALU_DEP_1) | instskip(NEXT) | instid1(VALU_DEP_3)
	v_cndmask_b32_e64 v26, v26, v23, s1
	v_cndmask_b32_e64 v28, v27, v22, s1
	v_cmp_eq_u32_e64 s1, 11, v0
	s_delay_alu instid0(VALU_DEP_1) | instskip(NEXT) | instid1(VALU_DEP_3)
	v_cndmask_b32_e64 v27, v26, v25, s1
	v_cndmask_b32_e64 v26, v28, v24, s1
	s_waitcnt lgkmcnt(0)
	s_delay_alu instid0(VALU_DEP_1)
	v_fma_f64 v[6:7], v[26:27], v[6:7], 0
	s_and_saveexec_b32 s1, s0
	s_cbranch_execz .LBB75_22
; %bb.21:
	v_mov_b32_e32 v26, 0
	ds_load_b64 v[26:27], v26 offset:104
	s_waitcnt lgkmcnt(0)
	v_fma_f64 v[6:7], v[4:5], v[26:27], v[6:7]
.LBB75_22:
	s_or_b32 exec_lo, exec_lo, s1
	v_mov_b32_e32 v26, 0
	ds_load_b64 v[26:27], v26 offset:16
	s_waitcnt lgkmcnt(0)
	v_mul_f64 v[6:7], v[6:7], v[26:27]
.LBB75_23:
	s_or_b32 exec_lo, exec_lo, s2
	s_delay_alu instid0(SALU_CYCLE_1)
	s_mov_b32 s3, exec_lo
	s_barrier
	buffer_gl0_inv
	ds_store_b64 v30, v[8:9]
	s_waitcnt lgkmcnt(0)
	s_barrier
	buffer_gl0_inv
	v_cmpx_gt_u32_e32 3, v0
	s_cbranch_execz .LBB75_27
; %bb.24:
	v_dual_mov_b32 v26, 0 :: v_dual_mov_b32 v29, v1
	v_lshl_add_u32 v31, v0, 3, 0x60
	v_dual_mov_b32 v27, 0 :: v_dual_mov_b32 v28, v0
	s_mov_b32 s4, 0
.LBB75_25:                              ; =>This Inner Loop Header: Depth=1
	s_delay_alu instid0(VALU_DEP_1) | instskip(SKIP_1) | instid1(VALU_DEP_2)
	v_cmp_eq_u32_e64 s1, 1, v28
	v_cmp_eq_u32_e64 s2, 2, v28
	v_cndmask_b32_e64 v32, v3, v5, s1
	v_cndmask_b32_e64 v33, v2, v4, s1
	v_cmp_eq_u32_e64 s1, 3, v28
	s_delay_alu instid0(VALU_DEP_3) | instskip(NEXT) | instid1(VALU_DEP_3)
	v_cndmask_b32_e64 v32, v32, v7, s2
	v_cndmask_b32_e64 v33, v33, v6, s2
	v_cmp_eq_u32_e64 s2, 4, v28
	s_delay_alu instid0(VALU_DEP_3) | instskip(NEXT) | instid1(VALU_DEP_3)
	;; [unrolled: 4-line block ×6, first 2 shown]
	v_cndmask_b32_e64 v34, v32, v17, s1
	v_cndmask_b32_e64 v35, v33, v16, s1
	ds_load_b64 v[32:33], v31
	v_cmp_eq_u32_e64 s1, 9, v28
	v_add_nc_u32_e32 v31, 8, v31
	v_cndmask_b32_e64 v34, v34, v19, s2
	v_cndmask_b32_e64 v35, v35, v18, s2
	v_cmp_eq_u32_e64 s2, 10, v28
	s_delay_alu instid0(VALU_DEP_3) | instskip(NEXT) | instid1(VALU_DEP_3)
	v_cndmask_b32_e64 v34, v34, v21, s1
	v_cndmask_b32_e64 v35, v35, v20, s1
	v_cmp_eq_u32_e64 s1, 11, v28
	s_delay_alu instid0(VALU_DEP_3) | instskip(NEXT) | instid1(VALU_DEP_3)
	v_cndmask_b32_e64 v34, v34, v23, s2
	v_cndmask_b32_e64 v36, v35, v22, s2
	s_delay_alu instid0(VALU_DEP_2) | instskip(NEXT) | instid1(VALU_DEP_2)
	v_cndmask_b32_e64 v35, v34, v25, s1
	v_cndmask_b32_e64 v34, v36, v24, s1
	v_add_co_u32 v28, s1, v28, 1
	s_delay_alu instid0(VALU_DEP_1) | instskip(SKIP_1) | instid1(VALU_DEP_3)
	v_add_co_ci_u32_e64 v29, s1, 0, v29, s1
	s_waitcnt lgkmcnt(0)
	v_fma_f64 v[26:27], v[34:35], v[32:33], v[26:27]
	s_delay_alu instid0(VALU_DEP_3) | instskip(NEXT) | instid1(VALU_DEP_1)
	v_add_nc_u32_e32 v32, -1, v28
	v_cmp_lt_u32_e64 s1, 1, v32
	s_delay_alu instid0(VALU_DEP_1) | instskip(NEXT) | instid1(SALU_CYCLE_1)
	s_or_b32 s4, s1, s4
	s_and_not1_b32 exec_lo, exec_lo, s4
	s_cbranch_execnz .LBB75_25
; %bb.26:
	s_or_b32 exec_lo, exec_lo, s4
	v_mov_b32_e32 v8, 0
	ds_load_b64 v[8:9], v8 offset:24
	s_waitcnt lgkmcnt(0)
	v_mul_f64 v[8:9], v[26:27], v[8:9]
.LBB75_27:
	s_or_b32 exec_lo, exec_lo, s3
	v_cmp_gt_u32_e64 s1, 4, v0
	s_barrier
	buffer_gl0_inv
	ds_store_b64 v30, v[10:11]
	s_waitcnt lgkmcnt(0)
	s_barrier
	buffer_gl0_inv
	s_and_saveexec_b32 s4, s1
	s_cbranch_execz .LBB75_31
; %bb.28:
	v_dual_mov_b32 v26, 0 :: v_dual_mov_b32 v29, v1
	v_lshl_add_u32 v31, v0, 3, 0x60
	v_dual_mov_b32 v27, 0 :: v_dual_mov_b32 v28, v0
	s_mov_b32 s5, 0
.LBB75_29:                              ; =>This Inner Loop Header: Depth=1
	s_delay_alu instid0(VALU_DEP_1) | instskip(SKIP_1) | instid1(VALU_DEP_2)
	v_cmp_eq_u32_e64 s2, 1, v28
	v_cmp_eq_u32_e64 s3, 2, v28
	v_cndmask_b32_e64 v32, v3, v5, s2
	v_cndmask_b32_e64 v33, v2, v4, s2
	v_cmp_eq_u32_e64 s2, 3, v28
	s_delay_alu instid0(VALU_DEP_3) | instskip(NEXT) | instid1(VALU_DEP_3)
	v_cndmask_b32_e64 v32, v32, v7, s3
	v_cndmask_b32_e64 v33, v33, v6, s3
	v_cmp_eq_u32_e64 s3, 4, v28
	s_delay_alu instid0(VALU_DEP_3) | instskip(NEXT) | instid1(VALU_DEP_3)
	;; [unrolled: 4-line block ×6, first 2 shown]
	v_cndmask_b32_e64 v34, v32, v17, s2
	v_cndmask_b32_e64 v35, v33, v16, s2
	ds_load_b64 v[32:33], v31
	v_cmp_eq_u32_e64 s2, 9, v28
	v_add_nc_u32_e32 v31, 8, v31
	v_cndmask_b32_e64 v34, v34, v19, s3
	v_cndmask_b32_e64 v35, v35, v18, s3
	v_cmp_eq_u32_e64 s3, 10, v28
	s_delay_alu instid0(VALU_DEP_3) | instskip(NEXT) | instid1(VALU_DEP_3)
	v_cndmask_b32_e64 v34, v34, v21, s2
	v_cndmask_b32_e64 v35, v35, v20, s2
	v_cmp_eq_u32_e64 s2, 11, v28
	s_delay_alu instid0(VALU_DEP_3) | instskip(NEXT) | instid1(VALU_DEP_3)
	v_cndmask_b32_e64 v34, v34, v23, s3
	v_cndmask_b32_e64 v36, v35, v22, s3
	s_delay_alu instid0(VALU_DEP_2) | instskip(NEXT) | instid1(VALU_DEP_2)
	v_cndmask_b32_e64 v35, v34, v25, s2
	v_cndmask_b32_e64 v34, v36, v24, s2
	v_add_co_u32 v28, s2, v28, 1
	s_delay_alu instid0(VALU_DEP_1) | instskip(SKIP_1) | instid1(VALU_DEP_3)
	v_add_co_ci_u32_e64 v29, s2, 0, v29, s2
	s_waitcnt lgkmcnt(0)
	v_fma_f64 v[26:27], v[34:35], v[32:33], v[26:27]
	s_delay_alu instid0(VALU_DEP_3) | instskip(NEXT) | instid1(VALU_DEP_1)
	v_add_nc_u32_e32 v32, -1, v28
	v_cmp_lt_u32_e64 s2, 2, v32
	s_delay_alu instid0(VALU_DEP_1) | instskip(NEXT) | instid1(SALU_CYCLE_1)
	s_or_b32 s5, s2, s5
	s_and_not1_b32 exec_lo, exec_lo, s5
	s_cbranch_execnz .LBB75_29
; %bb.30:
	s_or_b32 exec_lo, exec_lo, s5
	v_mov_b32_e32 v10, 0
	ds_load_b64 v[10:11], v10 offset:32
	s_waitcnt lgkmcnt(0)
	v_mul_f64 v[10:11], v[26:27], v[10:11]
.LBB75_31:
	s_or_b32 exec_lo, exec_lo, s4
	s_delay_alu instid0(SALU_CYCLE_1)
	s_mov_b32 s4, exec_lo
	s_barrier
	buffer_gl0_inv
	ds_store_b64 v30, v[12:13]
	s_waitcnt lgkmcnt(0)
	s_barrier
	buffer_gl0_inv
	v_cmpx_gt_u32_e32 5, v0
	s_cbranch_execz .LBB75_35
; %bb.32:
	v_dual_mov_b32 v26, 0 :: v_dual_mov_b32 v29, v1
	v_lshl_add_u32 v31, v0, 3, 0x60
	v_dual_mov_b32 v27, 0 :: v_dual_mov_b32 v28, v0
	s_mov_b32 s5, 0
.LBB75_33:                              ; =>This Inner Loop Header: Depth=1
	s_delay_alu instid0(VALU_DEP_1) | instskip(SKIP_1) | instid1(VALU_DEP_2)
	v_cmp_eq_u32_e64 s2, 1, v28
	v_cmp_eq_u32_e64 s3, 2, v28
	v_cndmask_b32_e64 v32, v3, v5, s2
	v_cndmask_b32_e64 v33, v2, v4, s2
	v_cmp_eq_u32_e64 s2, 3, v28
	s_delay_alu instid0(VALU_DEP_3) | instskip(NEXT) | instid1(VALU_DEP_3)
	v_cndmask_b32_e64 v32, v32, v7, s3
	v_cndmask_b32_e64 v33, v33, v6, s3
	v_cmp_eq_u32_e64 s3, 4, v28
	s_delay_alu instid0(VALU_DEP_3) | instskip(NEXT) | instid1(VALU_DEP_3)
	;; [unrolled: 4-line block ×6, first 2 shown]
	v_cndmask_b32_e64 v34, v32, v17, s2
	v_cndmask_b32_e64 v35, v33, v16, s2
	ds_load_b64 v[32:33], v31
	v_cmp_eq_u32_e64 s2, 9, v28
	v_add_nc_u32_e32 v31, 8, v31
	v_cndmask_b32_e64 v34, v34, v19, s3
	v_cndmask_b32_e64 v35, v35, v18, s3
	v_cmp_eq_u32_e64 s3, 10, v28
	s_delay_alu instid0(VALU_DEP_3) | instskip(NEXT) | instid1(VALU_DEP_3)
	v_cndmask_b32_e64 v34, v34, v21, s2
	v_cndmask_b32_e64 v35, v35, v20, s2
	v_cmp_eq_u32_e64 s2, 11, v28
	s_delay_alu instid0(VALU_DEP_3) | instskip(NEXT) | instid1(VALU_DEP_3)
	v_cndmask_b32_e64 v34, v34, v23, s3
	v_cndmask_b32_e64 v36, v35, v22, s3
	s_delay_alu instid0(VALU_DEP_2) | instskip(NEXT) | instid1(VALU_DEP_2)
	v_cndmask_b32_e64 v35, v34, v25, s2
	v_cndmask_b32_e64 v34, v36, v24, s2
	v_add_co_u32 v28, s2, v28, 1
	s_delay_alu instid0(VALU_DEP_1) | instskip(SKIP_1) | instid1(VALU_DEP_3)
	v_add_co_ci_u32_e64 v29, s2, 0, v29, s2
	s_waitcnt lgkmcnt(0)
	v_fma_f64 v[26:27], v[34:35], v[32:33], v[26:27]
	s_delay_alu instid0(VALU_DEP_3) | instskip(NEXT) | instid1(VALU_DEP_1)
	v_add_nc_u32_e32 v32, -1, v28
	v_cmp_lt_u32_e64 s2, 3, v32
	s_delay_alu instid0(VALU_DEP_1) | instskip(NEXT) | instid1(SALU_CYCLE_1)
	s_or_b32 s5, s2, s5
	s_and_not1_b32 exec_lo, exec_lo, s5
	s_cbranch_execnz .LBB75_33
; %bb.34:
	s_or_b32 exec_lo, exec_lo, s5
	v_mov_b32_e32 v12, 0
	ds_load_b64 v[12:13], v12 offset:40
	s_waitcnt lgkmcnt(0)
	v_mul_f64 v[12:13], v[26:27], v[12:13]
.LBB75_35:
	s_or_b32 exec_lo, exec_lo, s4
	v_cmp_gt_u32_e64 s2, 6, v0
	s_barrier
	buffer_gl0_inv
	ds_store_b64 v30, v[14:15]
	s_waitcnt lgkmcnt(0)
	s_barrier
	buffer_gl0_inv
	s_and_saveexec_b32 s5, s2
	s_cbranch_execz .LBB75_39
; %bb.36:
	v_dual_mov_b32 v26, 0 :: v_dual_mov_b32 v29, v1
	v_lshl_add_u32 v31, v0, 3, 0x60
	v_dual_mov_b32 v27, 0 :: v_dual_mov_b32 v28, v0
	s_mov_b32 s6, 0
.LBB75_37:                              ; =>This Inner Loop Header: Depth=1
	s_delay_alu instid0(VALU_DEP_1) | instskip(SKIP_1) | instid1(VALU_DEP_2)
	v_cmp_eq_u32_e64 s3, 1, v28
	v_cmp_eq_u32_e64 s4, 2, v28
	v_cndmask_b32_e64 v32, v3, v5, s3
	v_cndmask_b32_e64 v33, v2, v4, s3
	v_cmp_eq_u32_e64 s3, 3, v28
	s_delay_alu instid0(VALU_DEP_3) | instskip(NEXT) | instid1(VALU_DEP_3)
	v_cndmask_b32_e64 v32, v32, v7, s4
	v_cndmask_b32_e64 v33, v33, v6, s4
	v_cmp_eq_u32_e64 s4, 4, v28
	s_delay_alu instid0(VALU_DEP_3) | instskip(NEXT) | instid1(VALU_DEP_3)
	;; [unrolled: 4-line block ×6, first 2 shown]
	v_cndmask_b32_e64 v34, v32, v17, s3
	v_cndmask_b32_e64 v35, v33, v16, s3
	ds_load_b64 v[32:33], v31
	v_cmp_eq_u32_e64 s3, 9, v28
	v_add_nc_u32_e32 v31, 8, v31
	v_cndmask_b32_e64 v34, v34, v19, s4
	v_cndmask_b32_e64 v35, v35, v18, s4
	v_cmp_eq_u32_e64 s4, 10, v28
	s_delay_alu instid0(VALU_DEP_3) | instskip(NEXT) | instid1(VALU_DEP_3)
	v_cndmask_b32_e64 v34, v34, v21, s3
	v_cndmask_b32_e64 v35, v35, v20, s3
	v_cmp_eq_u32_e64 s3, 11, v28
	s_delay_alu instid0(VALU_DEP_3) | instskip(NEXT) | instid1(VALU_DEP_3)
	v_cndmask_b32_e64 v34, v34, v23, s4
	v_cndmask_b32_e64 v36, v35, v22, s4
	s_delay_alu instid0(VALU_DEP_2) | instskip(NEXT) | instid1(VALU_DEP_2)
	v_cndmask_b32_e64 v35, v34, v25, s3
	v_cndmask_b32_e64 v34, v36, v24, s3
	v_add_co_u32 v28, s3, v28, 1
	s_delay_alu instid0(VALU_DEP_1) | instskip(SKIP_1) | instid1(VALU_DEP_3)
	v_add_co_ci_u32_e64 v29, s3, 0, v29, s3
	s_waitcnt lgkmcnt(0)
	v_fma_f64 v[26:27], v[34:35], v[32:33], v[26:27]
	s_delay_alu instid0(VALU_DEP_3) | instskip(NEXT) | instid1(VALU_DEP_1)
	v_add_nc_u32_e32 v32, -1, v28
	v_cmp_lt_u32_e64 s3, 4, v32
	s_delay_alu instid0(VALU_DEP_1) | instskip(NEXT) | instid1(SALU_CYCLE_1)
	s_or_b32 s6, s3, s6
	s_and_not1_b32 exec_lo, exec_lo, s6
	s_cbranch_execnz .LBB75_37
; %bb.38:
	s_or_b32 exec_lo, exec_lo, s6
	v_mov_b32_e32 v14, 0
	ds_load_b64 v[14:15], v14 offset:48
	s_waitcnt lgkmcnt(0)
	v_mul_f64 v[14:15], v[26:27], v[14:15]
.LBB75_39:
	s_or_b32 exec_lo, exec_lo, s5
	s_delay_alu instid0(SALU_CYCLE_1)
	s_mov_b32 s5, exec_lo
	s_barrier
	buffer_gl0_inv
	ds_store_b64 v30, v[16:17]
	s_waitcnt lgkmcnt(0)
	s_barrier
	buffer_gl0_inv
	v_cmpx_gt_u32_e32 7, v0
	s_cbranch_execz .LBB75_43
; %bb.40:
	v_dual_mov_b32 v26, 0 :: v_dual_mov_b32 v29, v1
	v_lshl_add_u32 v31, v0, 3, 0x60
	v_dual_mov_b32 v27, 0 :: v_dual_mov_b32 v28, v0
	s_mov_b32 s6, 0
.LBB75_41:                              ; =>This Inner Loop Header: Depth=1
	s_delay_alu instid0(VALU_DEP_1) | instskip(SKIP_1) | instid1(VALU_DEP_2)
	v_cmp_eq_u32_e64 s3, 1, v28
	v_cmp_eq_u32_e64 s4, 2, v28
	v_cndmask_b32_e64 v32, v3, v5, s3
	v_cndmask_b32_e64 v33, v2, v4, s3
	v_cmp_eq_u32_e64 s3, 3, v28
	s_delay_alu instid0(VALU_DEP_3) | instskip(NEXT) | instid1(VALU_DEP_3)
	v_cndmask_b32_e64 v32, v32, v7, s4
	v_cndmask_b32_e64 v33, v33, v6, s4
	v_cmp_eq_u32_e64 s4, 4, v28
	s_delay_alu instid0(VALU_DEP_3) | instskip(NEXT) | instid1(VALU_DEP_3)
	;; [unrolled: 4-line block ×6, first 2 shown]
	v_cndmask_b32_e64 v34, v32, v17, s3
	v_cndmask_b32_e64 v35, v33, v16, s3
	ds_load_b64 v[32:33], v31
	v_cmp_eq_u32_e64 s3, 9, v28
	v_add_nc_u32_e32 v31, 8, v31
	v_cndmask_b32_e64 v34, v34, v19, s4
	v_cndmask_b32_e64 v35, v35, v18, s4
	v_cmp_eq_u32_e64 s4, 10, v28
	s_delay_alu instid0(VALU_DEP_3) | instskip(NEXT) | instid1(VALU_DEP_3)
	v_cndmask_b32_e64 v34, v34, v21, s3
	v_cndmask_b32_e64 v35, v35, v20, s3
	v_cmp_eq_u32_e64 s3, 11, v28
	s_delay_alu instid0(VALU_DEP_3) | instskip(NEXT) | instid1(VALU_DEP_3)
	v_cndmask_b32_e64 v34, v34, v23, s4
	v_cndmask_b32_e64 v36, v35, v22, s4
	s_delay_alu instid0(VALU_DEP_2) | instskip(NEXT) | instid1(VALU_DEP_2)
	v_cndmask_b32_e64 v35, v34, v25, s3
	v_cndmask_b32_e64 v34, v36, v24, s3
	v_add_co_u32 v28, s3, v28, 1
	s_delay_alu instid0(VALU_DEP_1) | instskip(SKIP_1) | instid1(VALU_DEP_3)
	v_add_co_ci_u32_e64 v29, s3, 0, v29, s3
	s_waitcnt lgkmcnt(0)
	v_fma_f64 v[26:27], v[34:35], v[32:33], v[26:27]
	s_delay_alu instid0(VALU_DEP_3) | instskip(NEXT) | instid1(VALU_DEP_1)
	v_add_nc_u32_e32 v32, -1, v28
	v_cmp_lt_u32_e64 s3, 5, v32
	s_delay_alu instid0(VALU_DEP_1) | instskip(NEXT) | instid1(SALU_CYCLE_1)
	s_or_b32 s6, s3, s6
	s_and_not1_b32 exec_lo, exec_lo, s6
	s_cbranch_execnz .LBB75_41
; %bb.42:
	s_or_b32 exec_lo, exec_lo, s6
	v_mov_b32_e32 v16, 0
	ds_load_b64 v[16:17], v16 offset:56
	s_waitcnt lgkmcnt(0)
	v_mul_f64 v[16:17], v[26:27], v[16:17]
.LBB75_43:
	s_or_b32 exec_lo, exec_lo, s5
	s_delay_alu instid0(SALU_CYCLE_1)
	s_mov_b32 s4, exec_lo
	s_barrier
	buffer_gl0_inv
	ds_store_b64 v30, v[18:19]
	s_waitcnt lgkmcnt(0)
	s_barrier
	buffer_gl0_inv
	v_cmpx_gt_u32_e32 8, v0
	s_cbranch_execz .LBB75_59
; %bb.44:
	v_cmp_eq_u32_e64 s3, 1, v0
	s_mov_b32 s5, exec_lo
	s_delay_alu instid0(VALU_DEP_1) | instskip(SKIP_2) | instid1(VALU_DEP_1)
	v_cndmask_b32_e64 v26, v3, v5, s3
	v_cndmask_b32_e64 v27, v2, v4, s3
	v_cmp_eq_u32_e64 s3, 2, v0
	v_cndmask_b32_e64 v26, v26, v7, s3
	s_delay_alu instid0(VALU_DEP_3) | instskip(SKIP_1) | instid1(VALU_DEP_1)
	v_cndmask_b32_e64 v27, v27, v6, s3
	v_cmp_eq_u32_e64 s3, 3, v0
	v_cndmask_b32_e64 v26, v26, v9, s3
	s_delay_alu instid0(VALU_DEP_3) | instskip(SKIP_1) | instid1(VALU_DEP_1)
	;; [unrolled: 4-line block ×6, first 2 shown]
	v_cndmask_b32_e64 v27, v27, v16, s3
	v_cmp_eq_u32_e64 s3, 8, v0
	v_cndmask_b32_e64 v28, v26, v19, s3
	s_delay_alu instid0(VALU_DEP_3)
	v_cndmask_b32_e64 v29, v27, v18, s3
	v_cmp_eq_u32_e64 s3, 9, v0
	ds_load_b64 v[26:27], v30
	v_cndmask_b32_e64 v28, v28, v21, s3
	v_cndmask_b32_e64 v29, v29, v20, s3
	v_cmp_eq_u32_e64 s3, 10, v0
	s_delay_alu instid0(VALU_DEP_1) | instskip(NEXT) | instid1(VALU_DEP_3)
	v_cndmask_b32_e64 v28, v28, v23, s3
	v_cndmask_b32_e64 v31, v29, v22, s3
	v_cmp_eq_u32_e64 s3, 11, v0
	s_delay_alu instid0(VALU_DEP_1) | instskip(NEXT) | instid1(VALU_DEP_3)
	v_cndmask_b32_e64 v29, v28, v25, s3
	v_cndmask_b32_e64 v28, v31, v24, s3
	s_waitcnt lgkmcnt(0)
	s_delay_alu instid0(VALU_DEP_1)
	v_fma_f64 v[26:27], v[28:29], v[26:27], 0
	v_cmpx_ne_u32_e32 7, v0
	s_cbranch_execz .LBB75_58
; %bb.45:
	v_add_nc_u32_e32 v31, 1, v0
	s_delay_alu instid0(VALU_DEP_1) | instskip(NEXT) | instid1(VALU_DEP_1)
	v_cmp_eq_u32_e64 s3, 1, v31
	v_cndmask_b32_e64 v28, v3, v5, s3
	v_cndmask_b32_e64 v29, v2, v4, s3
	v_cmp_eq_u32_e64 s3, 2, v31
	s_delay_alu instid0(VALU_DEP_1) | instskip(NEXT) | instid1(VALU_DEP_3)
	v_cndmask_b32_e64 v28, v28, v7, s3
	v_cndmask_b32_e64 v29, v29, v6, s3
	v_cmp_eq_u32_e64 s3, 3, v31
	s_delay_alu instid0(VALU_DEP_1) | instskip(NEXT) | instid1(VALU_DEP_3)
	v_cndmask_b32_e64 v28, v28, v9, s3
	v_cndmask_b32_e64 v29, v29, v8, s3
	v_cmp_eq_u32_e64 s3, 4, v31
	s_delay_alu instid0(VALU_DEP_1) | instskip(NEXT) | instid1(VALU_DEP_3)
	v_cndmask_b32_e64 v28, v28, v11, s3
	v_cndmask_b32_e64 v29, v29, v10, s3
	v_cmp_eq_u32_e64 s3, 5, v31
	s_delay_alu instid0(VALU_DEP_1) | instskip(NEXT) | instid1(VALU_DEP_3)
	v_cndmask_b32_e64 v28, v28, v13, s3
	v_cndmask_b32_e64 v29, v29, v12, s3
	v_cmp_eq_u32_e64 s3, 6, v31
	s_delay_alu instid0(VALU_DEP_1) | instskip(NEXT) | instid1(VALU_DEP_3)
	v_cndmask_b32_e64 v28, v28, v15, s3
	v_cndmask_b32_e64 v29, v29, v14, s3
	v_cmp_eq_u32_e64 s3, 7, v31
	s_delay_alu instid0(VALU_DEP_1) | instskip(NEXT) | instid1(VALU_DEP_3)
	v_cndmask_b32_e64 v28, v28, v17, s3
	v_cndmask_b32_e64 v29, v29, v16, s3
	v_cmp_eq_u32_e64 s3, 8, v31
	s_delay_alu instid0(VALU_DEP_1) | instskip(NEXT) | instid1(VALU_DEP_3)
	v_cndmask_b32_e64 v32, v28, v19, s3
	v_cndmask_b32_e64 v33, v29, v18, s3
	v_cmp_eq_u32_e64 s3, 9, v31
	ds_load_b64 v[28:29], v30 offset:8
	v_cndmask_b32_e64 v32, v32, v21, s3
	v_cndmask_b32_e64 v33, v33, v20, s3
	v_cmp_eq_u32_e64 s3, 10, v31
	s_delay_alu instid0(VALU_DEP_1) | instskip(NEXT) | instid1(VALU_DEP_3)
	v_cndmask_b32_e64 v32, v32, v23, s3
	v_cndmask_b32_e64 v33, v33, v22, s3
	v_cmp_eq_u32_e64 s3, 11, v31
	s_delay_alu instid0(VALU_DEP_1) | instskip(NEXT) | instid1(VALU_DEP_3)
	v_cndmask_b32_e64 v32, v32, v25, s3
	v_cndmask_b32_e64 v31, v33, v24, s3
	s_waitcnt lgkmcnt(0)
	s_delay_alu instid0(VALU_DEP_1)
	v_fma_f64 v[26:27], v[31:32], v[28:29], v[26:27]
	s_and_saveexec_b32 s3, s2
	s_cbranch_execz .LBB75_57
; %bb.46:
	v_add_nc_u32_e32 v31, 2, v0
	s_mov_b32 s6, exec_lo
	s_delay_alu instid0(VALU_DEP_1) | instskip(NEXT) | instid1(VALU_DEP_1)
	v_cmp_eq_u32_e64 s2, 1, v31
	v_cndmask_b32_e64 v28, v3, v5, s2
	v_cndmask_b32_e64 v29, v2, v4, s2
	v_cmp_eq_u32_e64 s2, 2, v31
	s_delay_alu instid0(VALU_DEP_1) | instskip(NEXT) | instid1(VALU_DEP_3)
	v_cndmask_b32_e64 v28, v28, v7, s2
	v_cndmask_b32_e64 v29, v29, v6, s2
	v_cmp_eq_u32_e64 s2, 3, v31
	s_delay_alu instid0(VALU_DEP_1) | instskip(NEXT) | instid1(VALU_DEP_3)
	;; [unrolled: 4-line block ×7, first 2 shown]
	v_cndmask_b32_e64 v32, v28, v19, s2
	v_cndmask_b32_e64 v33, v29, v18, s2
	v_cmp_eq_u32_e64 s2, 9, v31
	ds_load_b64 v[28:29], v30 offset:16
	v_cndmask_b32_e64 v32, v32, v21, s2
	v_cndmask_b32_e64 v33, v33, v20, s2
	v_cmp_eq_u32_e64 s2, 10, v31
	s_delay_alu instid0(VALU_DEP_1) | instskip(NEXT) | instid1(VALU_DEP_3)
	v_cndmask_b32_e64 v32, v32, v23, s2
	v_cndmask_b32_e64 v33, v33, v22, s2
	v_cmp_eq_u32_e64 s2, 11, v31
	s_delay_alu instid0(VALU_DEP_1) | instskip(NEXT) | instid1(VALU_DEP_3)
	v_cndmask_b32_e64 v32, v32, v25, s2
	v_cndmask_b32_e64 v31, v33, v24, s2
	s_waitcnt lgkmcnt(0)
	s_delay_alu instid0(VALU_DEP_1)
	v_fma_f64 v[26:27], v[31:32], v[28:29], v[26:27]
	v_cmpx_ne_u32_e32 5, v0
	s_cbranch_execz .LBB75_56
; %bb.47:
	v_add_nc_u32_e32 v31, 3, v0
	s_delay_alu instid0(VALU_DEP_1) | instskip(NEXT) | instid1(VALU_DEP_1)
	v_cmp_eq_u32_e64 s2, 1, v31
	v_cndmask_b32_e64 v28, v3, v5, s2
	v_cndmask_b32_e64 v29, v2, v4, s2
	v_cmp_eq_u32_e64 s2, 2, v31
	s_delay_alu instid0(VALU_DEP_1) | instskip(NEXT) | instid1(VALU_DEP_3)
	v_cndmask_b32_e64 v28, v28, v7, s2
	v_cndmask_b32_e64 v29, v29, v6, s2
	v_cmp_eq_u32_e64 s2, 3, v31
	s_delay_alu instid0(VALU_DEP_1) | instskip(NEXT) | instid1(VALU_DEP_3)
	;; [unrolled: 4-line block ×7, first 2 shown]
	v_cndmask_b32_e64 v32, v28, v19, s2
	v_cndmask_b32_e64 v33, v29, v18, s2
	v_cmp_eq_u32_e64 s2, 9, v31
	ds_load_b64 v[28:29], v30 offset:24
	v_cndmask_b32_e64 v32, v32, v21, s2
	v_cndmask_b32_e64 v33, v33, v20, s2
	v_cmp_eq_u32_e64 s2, 10, v31
	s_delay_alu instid0(VALU_DEP_1) | instskip(NEXT) | instid1(VALU_DEP_3)
	v_cndmask_b32_e64 v32, v32, v23, s2
	v_cndmask_b32_e64 v33, v33, v22, s2
	v_cmp_eq_u32_e64 s2, 11, v31
	s_delay_alu instid0(VALU_DEP_1) | instskip(NEXT) | instid1(VALU_DEP_3)
	v_cndmask_b32_e64 v32, v32, v25, s2
	v_cndmask_b32_e64 v31, v33, v24, s2
	s_waitcnt lgkmcnt(0)
	s_delay_alu instid0(VALU_DEP_1)
	v_fma_f64 v[26:27], v[31:32], v[28:29], v[26:27]
	s_and_saveexec_b32 s2, s1
	s_cbranch_execz .LBB75_55
; %bb.48:
	v_or_b32_e32 v31, 4, v0
	s_mov_b32 s7, exec_lo
	s_delay_alu instid0(VALU_DEP_1) | instskip(NEXT) | instid1(VALU_DEP_1)
	v_cmp_eq_u32_e64 s1, 1, v31
	v_cndmask_b32_e64 v28, v3, v5, s1
	v_cndmask_b32_e64 v29, v2, v4, s1
	v_cmp_eq_u32_e64 s1, 2, v31
	s_delay_alu instid0(VALU_DEP_1) | instskip(NEXT) | instid1(VALU_DEP_3)
	v_cndmask_b32_e64 v28, v28, v7, s1
	v_cndmask_b32_e64 v29, v29, v6, s1
	v_cmp_eq_u32_e64 s1, 3, v31
	s_delay_alu instid0(VALU_DEP_1) | instskip(NEXT) | instid1(VALU_DEP_3)
	;; [unrolled: 4-line block ×7, first 2 shown]
	v_cndmask_b32_e64 v32, v28, v19, s1
	v_cndmask_b32_e64 v33, v29, v18, s1
	v_cmp_eq_u32_e64 s1, 9, v31
	ds_load_b64 v[28:29], v30 offset:32
	v_cndmask_b32_e64 v32, v32, v21, s1
	v_cndmask_b32_e64 v33, v33, v20, s1
	v_cmp_eq_u32_e64 s1, 10, v31
	s_delay_alu instid0(VALU_DEP_1) | instskip(NEXT) | instid1(VALU_DEP_3)
	v_cndmask_b32_e64 v32, v32, v23, s1
	v_cndmask_b32_e64 v33, v33, v22, s1
	v_cmp_eq_u32_e64 s1, 11, v31
	s_delay_alu instid0(VALU_DEP_1) | instskip(NEXT) | instid1(VALU_DEP_3)
	v_cndmask_b32_e64 v32, v32, v25, s1
	v_cndmask_b32_e64 v31, v33, v24, s1
	s_waitcnt lgkmcnt(0)
	s_delay_alu instid0(VALU_DEP_1)
	v_fma_f64 v[26:27], v[31:32], v[28:29], v[26:27]
	v_cmpx_ne_u32_e32 3, v0
	s_cbranch_execz .LBB75_54
; %bb.49:
	v_add_nc_u32_e32 v31, 5, v0
	s_delay_alu instid0(VALU_DEP_1) | instskip(NEXT) | instid1(VALU_DEP_1)
	v_cmp_eq_u32_e64 s1, 1, v31
	v_cndmask_b32_e64 v28, v3, v5, s1
	v_cndmask_b32_e64 v29, v2, v4, s1
	v_cmp_eq_u32_e64 s1, 2, v31
	s_delay_alu instid0(VALU_DEP_1) | instskip(NEXT) | instid1(VALU_DEP_3)
	v_cndmask_b32_e64 v28, v28, v7, s1
	v_cndmask_b32_e64 v29, v29, v6, s1
	v_cmp_eq_u32_e64 s1, 3, v31
	s_delay_alu instid0(VALU_DEP_1) | instskip(NEXT) | instid1(VALU_DEP_3)
	;; [unrolled: 4-line block ×7, first 2 shown]
	v_cndmask_b32_e64 v32, v28, v19, s1
	v_cndmask_b32_e64 v33, v29, v18, s1
	v_cmp_eq_u32_e64 s1, 9, v31
	ds_load_b64 v[28:29], v30 offset:40
	v_cndmask_b32_e64 v32, v32, v21, s1
	v_cndmask_b32_e64 v33, v33, v20, s1
	v_cmp_eq_u32_e64 s1, 10, v31
	s_delay_alu instid0(VALU_DEP_1) | instskip(NEXT) | instid1(VALU_DEP_3)
	v_cndmask_b32_e64 v32, v32, v23, s1
	v_cndmask_b32_e64 v33, v33, v22, s1
	v_cmp_eq_u32_e64 s1, 11, v31
	s_delay_alu instid0(VALU_DEP_1) | instskip(NEXT) | instid1(VALU_DEP_3)
	v_cndmask_b32_e64 v32, v32, v25, s1
	v_cndmask_b32_e64 v31, v33, v24, s1
	s_waitcnt lgkmcnt(0)
	s_delay_alu instid0(VALU_DEP_1)
	v_fma_f64 v[26:27], v[31:32], v[28:29], v[26:27]
	s_and_saveexec_b32 s1, vcc_lo
	s_cbranch_execz .LBB75_53
; %bb.50:
	v_or_b32_e32 v28, 6, v0
	s_delay_alu instid0(VALU_DEP_1) | instskip(SKIP_3) | instid1(VALU_DEP_3)
	v_cmp_eq_u32_e32 vcc_lo, 1, v28
	v_cndmask_b32_e32 v29, v3, v5, vcc_lo
	v_cndmask_b32_e32 v31, v2, v4, vcc_lo
	v_cmp_eq_u32_e32 vcc_lo, 2, v28
	v_cndmask_b32_e32 v29, v29, v7, vcc_lo
	s_delay_alu instid0(VALU_DEP_3) | instskip(SKIP_1) | instid1(VALU_DEP_3)
	v_cndmask_b32_e32 v31, v31, v6, vcc_lo
	v_cmp_eq_u32_e32 vcc_lo, 3, v28
	v_cndmask_b32_e32 v29, v29, v9, vcc_lo
	s_delay_alu instid0(VALU_DEP_3) | instskip(SKIP_1) | instid1(VALU_DEP_3)
	;; [unrolled: 4-line block ×6, first 2 shown]
	v_cndmask_b32_e32 v31, v31, v16, vcc_lo
	v_cmp_eq_u32_e32 vcc_lo, 8, v28
	v_cndmask_b32_e32 v29, v29, v19, vcc_lo
	s_delay_alu instid0(VALU_DEP_3)
	v_cndmask_b32_e32 v31, v31, v18, vcc_lo
	v_cmp_eq_u32_e32 vcc_lo, 9, v28
	ds_load_b64 v[18:19], v30 offset:48
	v_cndmask_b32_e32 v29, v29, v21, vcc_lo
	v_cndmask_b32_e32 v31, v31, v20, vcc_lo
	v_cmp_eq_u32_e32 vcc_lo, 10, v28
	s_delay_alu instid0(VALU_DEP_3) | instskip(NEXT) | instid1(VALU_DEP_3)
	v_cndmask_b32_e32 v29, v29, v23, vcc_lo
	v_cndmask_b32_e32 v31, v31, v22, vcc_lo
	v_cmp_eq_u32_e32 vcc_lo, 11, v28
	s_delay_alu instid0(VALU_DEP_2) | instskip(SKIP_1) | instid1(VALU_DEP_1)
	v_dual_cndmask_b32 v28, v31, v24 :: v_dual_cndmask_b32 v29, v29, v25
	s_waitcnt lgkmcnt(0)
	v_fma_f64 v[26:27], v[28:29], v[18:19], v[26:27]
	s_and_saveexec_b32 s8, s0
	s_cbranch_execz .LBB75_52
; %bb.51:
	ds_load_b64 v[18:19], v30 offset:56
	s_waitcnt lgkmcnt(0)
	v_fma_f64 v[26:27], v[16:17], v[18:19], v[26:27]
.LBB75_52:
	s_or_b32 exec_lo, exec_lo, s8
.LBB75_53:
	s_delay_alu instid0(SALU_CYCLE_1)
	s_or_b32 exec_lo, exec_lo, s1
.LBB75_54:
	s_delay_alu instid0(SALU_CYCLE_1)
	s_or_b32 exec_lo, exec_lo, s7
.LBB75_55:
	s_delay_alu instid0(SALU_CYCLE_1)
	s_or_b32 exec_lo, exec_lo, s2
.LBB75_56:
	s_delay_alu instid0(SALU_CYCLE_1)
	s_or_b32 exec_lo, exec_lo, s6
.LBB75_57:
	s_delay_alu instid0(SALU_CYCLE_1)
	s_or_b32 exec_lo, exec_lo, s3
.LBB75_58:
	s_delay_alu instid0(SALU_CYCLE_1)
	s_or_b32 exec_lo, exec_lo, s5
	v_mov_b32_e32 v18, 0
	ds_load_b64 v[18:19], v18 offset:64
	s_waitcnt lgkmcnt(0)
	v_mul_f64 v[18:19], v[26:27], v[18:19]
.LBB75_59:
	s_or_b32 exec_lo, exec_lo, s4
	s_delay_alu instid0(SALU_CYCLE_1)
	s_mov_b32 s1, exec_lo
	s_barrier
	buffer_gl0_inv
	ds_store_b64 v30, v[20:21]
	s_waitcnt lgkmcnt(0)
	s_barrier
	buffer_gl0_inv
	v_cmpx_gt_u32_e32 9, v0
	s_cbranch_execz .LBB75_63
; %bb.60:
	v_dual_mov_b32 v26, 0 :: v_dual_mov_b32 v29, v1
	v_lshl_add_u32 v31, v0, 3, 0x60
	v_dual_mov_b32 v27, 0 :: v_dual_mov_b32 v28, v0
	s_mov_b32 s2, 0
.LBB75_61:                              ; =>This Inner Loop Header: Depth=1
	s_delay_alu instid0(VALU_DEP_1) | instskip(SKIP_3) | instid1(VALU_DEP_2)
	v_cmp_eq_u32_e32 vcc_lo, 1, v28
	v_cmp_eq_u32_e64 s0, 2, v28
	v_dual_cndmask_b32 v32, v3, v5 :: v_dual_cndmask_b32 v33, v2, v4
	v_cmp_eq_u32_e32 vcc_lo, 3, v28
	v_cndmask_b32_e64 v32, v32, v7, s0
	s_delay_alu instid0(VALU_DEP_3) | instskip(SKIP_1) | instid1(VALU_DEP_2)
	v_cndmask_b32_e64 v33, v33, v6, s0
	v_cmp_eq_u32_e64 s0, 4, v28
	v_dual_cndmask_b32 v32, v32, v9 :: v_dual_cndmask_b32 v33, v33, v8
	v_cmp_eq_u32_e32 vcc_lo, 5, v28
	s_delay_alu instid0(VALU_DEP_2) | instskip(NEXT) | instid1(VALU_DEP_3)
	v_cndmask_b32_e64 v32, v32, v11, s0
	v_cndmask_b32_e64 v33, v33, v10, s0
	v_cmp_eq_u32_e64 s0, 6, v28
	s_delay_alu instid0(VALU_DEP_2) | instskip(SKIP_1) | instid1(VALU_DEP_2)
	v_dual_cndmask_b32 v32, v32, v13 :: v_dual_cndmask_b32 v33, v33, v12
	v_cmp_eq_u32_e32 vcc_lo, 7, v28
	v_cndmask_b32_e64 v32, v32, v15, s0
	s_delay_alu instid0(VALU_DEP_3) | instskip(SKIP_1) | instid1(VALU_DEP_2)
	v_cndmask_b32_e64 v33, v33, v14, s0
	v_cmp_eq_u32_e64 s0, 8, v28
	v_dual_cndmask_b32 v34, v32, v17 :: v_dual_cndmask_b32 v35, v33, v16
	ds_load_b64 v[32:33], v31
	v_cmp_eq_u32_e32 vcc_lo, 9, v28
	v_add_nc_u32_e32 v31, 8, v31
	v_cndmask_b32_e64 v34, v34, v19, s0
	v_cndmask_b32_e64 v35, v35, v18, s0
	v_cmp_eq_u32_e64 s0, 10, v28
	s_delay_alu instid0(VALU_DEP_2) | instskip(SKIP_1) | instid1(VALU_DEP_2)
	v_dual_cndmask_b32 v34, v34, v21 :: v_dual_cndmask_b32 v35, v35, v20
	v_cmp_eq_u32_e32 vcc_lo, 11, v28
	v_cndmask_b32_e64 v34, v34, v23, s0
	s_delay_alu instid0(VALU_DEP_3) | instskip(NEXT) | instid1(VALU_DEP_1)
	v_cndmask_b32_e64 v36, v35, v22, s0
	v_dual_cndmask_b32 v35, v34, v25 :: v_dual_cndmask_b32 v34, v36, v24
	v_add_co_u32 v28, vcc_lo, v28, 1
	v_add_co_ci_u32_e32 v29, vcc_lo, 0, v29, vcc_lo
	s_waitcnt lgkmcnt(0)
	s_delay_alu instid0(VALU_DEP_3) | instskip(NEXT) | instid1(VALU_DEP_3)
	v_fma_f64 v[26:27], v[34:35], v[32:33], v[26:27]
	v_add_nc_u32_e32 v32, -1, v28
	s_delay_alu instid0(VALU_DEP_1) | instskip(SKIP_1) | instid1(SALU_CYCLE_1)
	v_cmp_lt_u32_e32 vcc_lo, 7, v32
	s_or_b32 s2, vcc_lo, s2
	s_and_not1_b32 exec_lo, exec_lo, s2
	s_cbranch_execnz .LBB75_61
; %bb.62:
	s_or_b32 exec_lo, exec_lo, s2
	v_mov_b32_e32 v20, 0
	ds_load_b64 v[20:21], v20 offset:72
	s_waitcnt lgkmcnt(0)
	v_mul_f64 v[20:21], v[26:27], v[20:21]
.LBB75_63:
	s_or_b32 exec_lo, exec_lo, s1
	s_delay_alu instid0(SALU_CYCLE_1)
	s_mov_b32 s1, exec_lo
	s_barrier
	buffer_gl0_inv
	ds_store_b64 v30, v[22:23]
	s_waitcnt lgkmcnt(0)
	s_barrier
	buffer_gl0_inv
	v_cmpx_gt_u32_e32 10, v0
	s_cbranch_execz .LBB75_67
; %bb.64:
	v_dual_mov_b32 v26, 0 :: v_dual_mov_b32 v29, v1
	v_lshl_add_u32 v31, v0, 3, 0x60
	v_dual_mov_b32 v27, 0 :: v_dual_mov_b32 v28, v0
	s_mov_b32 s2, 0
.LBB75_65:                              ; =>This Inner Loop Header: Depth=1
	s_delay_alu instid0(VALU_DEP_1) | instskip(SKIP_3) | instid1(VALU_DEP_2)
	v_cmp_eq_u32_e32 vcc_lo, 1, v28
	v_cmp_eq_u32_e64 s0, 2, v28
	v_dual_cndmask_b32 v32, v3, v5 :: v_dual_cndmask_b32 v33, v2, v4
	v_cmp_eq_u32_e32 vcc_lo, 3, v28
	v_cndmask_b32_e64 v32, v32, v7, s0
	s_delay_alu instid0(VALU_DEP_3) | instskip(SKIP_1) | instid1(VALU_DEP_2)
	v_cndmask_b32_e64 v33, v33, v6, s0
	v_cmp_eq_u32_e64 s0, 4, v28
	v_dual_cndmask_b32 v32, v32, v9 :: v_dual_cndmask_b32 v33, v33, v8
	v_cmp_eq_u32_e32 vcc_lo, 5, v28
	s_delay_alu instid0(VALU_DEP_2) | instskip(NEXT) | instid1(VALU_DEP_3)
	v_cndmask_b32_e64 v32, v32, v11, s0
	v_cndmask_b32_e64 v33, v33, v10, s0
	v_cmp_eq_u32_e64 s0, 6, v28
	s_delay_alu instid0(VALU_DEP_2) | instskip(SKIP_1) | instid1(VALU_DEP_2)
	v_dual_cndmask_b32 v32, v32, v13 :: v_dual_cndmask_b32 v33, v33, v12
	v_cmp_eq_u32_e32 vcc_lo, 7, v28
	v_cndmask_b32_e64 v32, v32, v15, s0
	s_delay_alu instid0(VALU_DEP_3) | instskip(SKIP_1) | instid1(VALU_DEP_2)
	v_cndmask_b32_e64 v33, v33, v14, s0
	v_cmp_eq_u32_e64 s0, 8, v28
	v_dual_cndmask_b32 v34, v32, v17 :: v_dual_cndmask_b32 v35, v33, v16
	ds_load_b64 v[32:33], v31
	v_cmp_eq_u32_e32 vcc_lo, 9, v28
	v_add_nc_u32_e32 v31, 8, v31
	v_cndmask_b32_e64 v34, v34, v19, s0
	v_cndmask_b32_e64 v35, v35, v18, s0
	v_cmp_eq_u32_e64 s0, 10, v28
	s_delay_alu instid0(VALU_DEP_2) | instskip(SKIP_1) | instid1(VALU_DEP_2)
	v_dual_cndmask_b32 v34, v34, v21 :: v_dual_cndmask_b32 v35, v35, v20
	v_cmp_eq_u32_e32 vcc_lo, 11, v28
	v_cndmask_b32_e64 v34, v34, v23, s0
	s_delay_alu instid0(VALU_DEP_3) | instskip(NEXT) | instid1(VALU_DEP_1)
	v_cndmask_b32_e64 v36, v35, v22, s0
	v_dual_cndmask_b32 v35, v34, v25 :: v_dual_cndmask_b32 v34, v36, v24
	v_add_co_u32 v28, vcc_lo, v28, 1
	v_add_co_ci_u32_e32 v29, vcc_lo, 0, v29, vcc_lo
	s_waitcnt lgkmcnt(0)
	s_delay_alu instid0(VALU_DEP_3) | instskip(NEXT) | instid1(VALU_DEP_3)
	v_fma_f64 v[26:27], v[34:35], v[32:33], v[26:27]
	v_add_nc_u32_e32 v32, -1, v28
	s_delay_alu instid0(VALU_DEP_1) | instskip(SKIP_1) | instid1(SALU_CYCLE_1)
	v_cmp_lt_u32_e32 vcc_lo, 8, v32
	s_or_b32 s2, vcc_lo, s2
	s_and_not1_b32 exec_lo, exec_lo, s2
	s_cbranch_execnz .LBB75_65
; %bb.66:
	s_or_b32 exec_lo, exec_lo, s2
	v_mov_b32_e32 v22, 0
	ds_load_b64 v[22:23], v22 offset:80
	s_waitcnt lgkmcnt(0)
	v_mul_f64 v[22:23], v[26:27], v[22:23]
.LBB75_67:
	s_or_b32 exec_lo, exec_lo, s1
	s_delay_alu instid0(SALU_CYCLE_1)
	s_mov_b32 s1, exec_lo
	s_barrier
	buffer_gl0_inv
	ds_store_b64 v30, v[24:25]
	s_waitcnt lgkmcnt(0)
	s_barrier
	buffer_gl0_inv
	v_cmpx_ne_u32_e32 11, v0
	s_cbranch_execz .LBB75_71
; %bb.68:
	v_dual_mov_b32 v26, 0 :: v_dual_mov_b32 v29, v1
	v_lshl_add_u32 v30, v0, 3, 0x60
	v_dual_mov_b32 v27, 0 :: v_dual_mov_b32 v28, v0
	s_mov_b32 s2, 0
.LBB75_69:                              ; =>This Inner Loop Header: Depth=1
	s_delay_alu instid0(VALU_DEP_1) | instskip(SKIP_4) | instid1(VALU_DEP_3)
	v_cmp_eq_u32_e32 vcc_lo, 1, v28
	v_cmp_eq_u32_e64 s0, 2, v28
	v_cndmask_b32_e32 v1, v3, v5, vcc_lo
	v_cndmask_b32_e32 v31, v2, v4, vcc_lo
	v_cmp_eq_u32_e32 vcc_lo, 3, v28
	v_cndmask_b32_e64 v1, v1, v7, s0
	s_delay_alu instid0(VALU_DEP_3) | instskip(SKIP_1) | instid1(VALU_DEP_3)
	v_cndmask_b32_e64 v31, v31, v6, s0
	v_cmp_eq_u32_e64 s0, 4, v28
	v_cndmask_b32_e32 v1, v1, v9, vcc_lo
	s_delay_alu instid0(VALU_DEP_3) | instskip(SKIP_1) | instid1(VALU_DEP_3)
	v_cndmask_b32_e32 v31, v31, v8, vcc_lo
	v_cmp_eq_u32_e32 vcc_lo, 5, v28
	v_cndmask_b32_e64 v1, v1, v11, s0
	s_delay_alu instid0(VALU_DEP_3) | instskip(SKIP_1) | instid1(VALU_DEP_3)
	v_cndmask_b32_e64 v31, v31, v10, s0
	v_cmp_eq_u32_e64 s0, 6, v28
	v_cndmask_b32_e32 v1, v1, v13, vcc_lo
	s_delay_alu instid0(VALU_DEP_3) | instskip(SKIP_1) | instid1(VALU_DEP_3)
	v_cndmask_b32_e32 v31, v31, v12, vcc_lo
	v_cmp_eq_u32_e32 vcc_lo, 7, v28
	v_cndmask_b32_e64 v1, v1, v15, s0
	s_delay_alu instid0(VALU_DEP_3) | instskip(SKIP_1) | instid1(VALU_DEP_3)
	v_cndmask_b32_e64 v31, v31, v14, s0
	v_cmp_eq_u32_e64 s0, 8, v28
	v_cndmask_b32_e32 v1, v1, v17, vcc_lo
	s_delay_alu instid0(VALU_DEP_3)
	v_cndmask_b32_e32 v33, v31, v16, vcc_lo
	ds_load_b64 v[31:32], v30
	v_cmp_eq_u32_e32 vcc_lo, 9, v28
	v_add_nc_u32_e32 v30, 8, v30
	v_cndmask_b32_e64 v1, v1, v19, s0
	v_cndmask_b32_e64 v33, v33, v18, s0
	v_cmp_eq_u32_e64 s0, 10, v28
	s_delay_alu instid0(VALU_DEP_3) | instskip(NEXT) | instid1(VALU_DEP_3)
	v_cndmask_b32_e32 v1, v1, v21, vcc_lo
	v_cndmask_b32_e32 v33, v33, v20, vcc_lo
	v_cmp_eq_u32_e32 vcc_lo, 11, v28
	s_delay_alu instid0(VALU_DEP_3) | instskip(NEXT) | instid1(VALU_DEP_3)
	v_cndmask_b32_e64 v1, v1, v23, s0
	v_cndmask_b32_e64 v33, v33, v22, s0
	s_delay_alu instid0(VALU_DEP_2) | instskip(NEXT) | instid1(VALU_DEP_2)
	v_cndmask_b32_e32 v34, v1, v25, vcc_lo
	v_cndmask_b32_e32 v33, v33, v24, vcc_lo
	v_add_co_u32 v28, vcc_lo, v28, 1
	v_add_co_ci_u32_e32 v29, vcc_lo, 0, v29, vcc_lo
	s_waitcnt lgkmcnt(0)
	s_delay_alu instid0(VALU_DEP_3) | instskip(NEXT) | instid1(VALU_DEP_3)
	v_fma_f64 v[26:27], v[33:34], v[31:32], v[26:27]
	v_add_nc_u32_e32 v1, -1, v28
	s_delay_alu instid0(VALU_DEP_1) | instskip(SKIP_1) | instid1(SALU_CYCLE_1)
	v_cmp_lt_u32_e32 vcc_lo, 9, v1
	s_or_b32 s2, vcc_lo, s2
	s_and_not1_b32 exec_lo, exec_lo, s2
	s_cbranch_execnz .LBB75_69
; %bb.70:
	s_or_b32 exec_lo, exec_lo, s2
	v_mov_b32_e32 v1, 0
	ds_load_b64 v[24:25], v1 offset:88
	s_waitcnt lgkmcnt(0)
	v_mul_f64 v[24:25], v[26:27], v[24:25]
.LBB75_71:
	s_or_b32 exec_lo, exec_lo, s1
	s_barrier
	buffer_gl0_inv
	s_cbranch_execnz .LBB75_15
	s_branch .LBB75_16
.LBB75_72:
	v_lshl_add_u32 v1, v0, 3, 0x60
	s_mov_b32 s0, exec_lo
	v_cmpx_eq_u32_e32 11, v0
	s_cbranch_execz .LBB75_74
; %bb.73:
	v_dual_mov_b32 v46, 0 :: v_dual_mov_b32 v27, v3
	v_dual_mov_b32 v26, v2 :: v_dual_mov_b32 v29, v5
	;; [unrolled: 1-line block ×12, first 2 shown]
	ds_store_b64 v1, v[22:23]
	v_mov_b32_e32 v2, v26
	v_dual_mov_b32 v3, v27 :: v_dual_mov_b32 v4, v28
	v_dual_mov_b32 v5, v29 :: v_dual_mov_b32 v6, v30
	;; [unrolled: 1-line block ×12, first 2 shown]
	v_mov_b32_e32 v27, v51
	v_mov_b32_e32 v28, v52
	;; [unrolled: 1-line block ×7, first 2 shown]
.LBB75_74:
	s_or_b32 exec_lo, exec_lo, s0
	v_mov_b32_e32 v44, 0
	s_waitcnt lgkmcnt(0)
	s_waitcnt_vscnt null, 0x0
	s_barrier
	buffer_gl0_inv
	s_mov_b32 s0, exec_lo
	ds_load_b64 v[26:27], v44 offset:184
	s_waitcnt lgkmcnt(0)
	v_fma_f64 v[26:27], v[24:25], v[26:27], 0
	s_delay_alu instid0(VALU_DEP_1)
	v_add_f64 v[22:23], v[22:23], -v[26:27]
	v_cmpx_lt_u32_e32 9, v0
	s_cbranch_execz .LBB75_76
; %bb.75:
	v_dual_mov_b32 v26, v2 :: v_dual_mov_b32 v27, v3
	v_dual_mov_b32 v34, v10 :: v_dual_mov_b32 v35, v11
	;; [unrolled: 1-line block ×11, first 2 shown]
	v_mov_b32_e32 v33, v9
	ds_store_b64 v1, v[20:21]
	v_mov_b32_e32 v2, v26
	v_dual_mov_b32 v3, v27 :: v_dual_mov_b32 v4, v28
	v_dual_mov_b32 v5, v29 :: v_dual_mov_b32 v6, v30
	;; [unrolled: 1-line block ×12, first 2 shown]
	v_mov_b32_e32 v27, v51
	v_mov_b32_e32 v28, v52
	;; [unrolled: 1-line block ×7, first 2 shown]
.LBB75_76:
	s_or_b32 exec_lo, exec_lo, s0
	s_waitcnt lgkmcnt(0)
	s_barrier
	buffer_gl0_inv
	ds_load_b128 v[26:29], v44 offset:176
	s_mov_b32 s0, exec_lo
	s_waitcnt lgkmcnt(0)
	v_fma_f64 v[26:27], v[22:23], v[26:27], 0
	s_delay_alu instid0(VALU_DEP_1) | instskip(NEXT) | instid1(VALU_DEP_1)
	v_fma_f64 v[26:27], v[24:25], v[28:29], v[26:27]
	v_add_f64 v[20:21], v[20:21], -v[26:27]
	v_cmpx_lt_u32_e32 8, v0
	s_cbranch_execz .LBB75_78
; %bb.77:
	v_dual_mov_b32 v42, 0 :: v_dual_mov_b32 v27, v3
	v_dual_mov_b32 v26, v2 :: v_dual_mov_b32 v29, v5
	;; [unrolled: 1-line block ×12, first 2 shown]
	ds_store_b64 v1, v[18:19]
	v_mov_b32_e32 v2, v26
	v_dual_mov_b32 v3, v27 :: v_dual_mov_b32 v4, v28
	v_dual_mov_b32 v5, v29 :: v_dual_mov_b32 v6, v30
	;; [unrolled: 1-line block ×12, first 2 shown]
	v_mov_b32_e32 v27, v51
	v_mov_b32_e32 v28, v52
	;; [unrolled: 1-line block ×7, first 2 shown]
.LBB75_78:
	s_or_b32 exec_lo, exec_lo, s0
	v_mov_b32_e32 v40, 0
	s_waitcnt lgkmcnt(0)
	s_barrier
	buffer_gl0_inv
	s_mov_b32 s0, exec_lo
	ds_load_2addr_b64 v[26:29], v40 offset0:21 offset1:22
	ds_load_b64 v[30:31], v40 offset:184
	s_waitcnt lgkmcnt(1)
	v_fma_f64 v[26:27], v[20:21], v[26:27], 0
	s_delay_alu instid0(VALU_DEP_1) | instskip(SKIP_1) | instid1(VALU_DEP_1)
	v_fma_f64 v[26:27], v[22:23], v[28:29], v[26:27]
	s_waitcnt lgkmcnt(0)
	v_fma_f64 v[26:27], v[24:25], v[30:31], v[26:27]
	s_delay_alu instid0(VALU_DEP_1)
	v_add_f64 v[18:19], v[18:19], -v[26:27]
	v_cmpx_lt_u32_e32 7, v0
	s_cbranch_execz .LBB75_80
; %bb.79:
	v_dual_mov_b32 v26, v2 :: v_dual_mov_b32 v27, v3
	v_dual_mov_b32 v34, v10 :: v_dual_mov_b32 v35, v11
	;; [unrolled: 1-line block ×11, first 2 shown]
	v_mov_b32_e32 v33, v9
	ds_store_b64 v1, v[16:17]
	v_mov_b32_e32 v2, v26
	v_dual_mov_b32 v3, v27 :: v_dual_mov_b32 v4, v28
	v_dual_mov_b32 v5, v29 :: v_dual_mov_b32 v6, v30
	;; [unrolled: 1-line block ×12, first 2 shown]
	v_mov_b32_e32 v27, v51
	v_mov_b32_e32 v28, v52
	;; [unrolled: 1-line block ×7, first 2 shown]
.LBB75_80:
	s_or_b32 exec_lo, exec_lo, s0
	s_waitcnt lgkmcnt(0)
	s_barrier
	buffer_gl0_inv
	ds_load_b128 v[26:29], v40 offset:160
	ds_load_b128 v[30:33], v40 offset:176
	s_mov_b32 s0, exec_lo
	s_waitcnt lgkmcnt(1)
	v_fma_f64 v[26:27], v[18:19], v[26:27], 0
	s_delay_alu instid0(VALU_DEP_1) | instskip(SKIP_1) | instid1(VALU_DEP_1)
	v_fma_f64 v[26:27], v[20:21], v[28:29], v[26:27]
	s_waitcnt lgkmcnt(0)
	v_fma_f64 v[26:27], v[22:23], v[30:31], v[26:27]
	s_delay_alu instid0(VALU_DEP_1) | instskip(NEXT) | instid1(VALU_DEP_1)
	v_fma_f64 v[26:27], v[24:25], v[32:33], v[26:27]
	v_add_f64 v[16:17], v[16:17], -v[26:27]
	v_cmpx_lt_u32_e32 6, v0
	s_cbranch_execz .LBB75_82
; %bb.81:
	v_dual_mov_b32 v38, 0 :: v_dual_mov_b32 v27, v3
	v_dual_mov_b32 v26, v2 :: v_dual_mov_b32 v29, v5
	;; [unrolled: 1-line block ×4, first 2 shown]
	s_delay_alu instid0(VALU_DEP_4)
	v_dual_mov_b32 v36, v12 :: v_dual_mov_b32 v39, v38
	v_dual_mov_b32 v40, v16 :: v_dual_mov_b32 v41, v17
	;; [unrolled: 1-line block ×8, first 2 shown]
	ds_store_b64 v1, v[14:15]
	v_mov_b32_e32 v2, v26
	v_dual_mov_b32 v3, v27 :: v_dual_mov_b32 v4, v28
	v_dual_mov_b32 v5, v29 :: v_dual_mov_b32 v6, v30
	v_dual_mov_b32 v7, v31 :: v_dual_mov_b32 v8, v32
	v_dual_mov_b32 v9, v33 :: v_dual_mov_b32 v10, v34
	v_dual_mov_b32 v11, v35 :: v_dual_mov_b32 v12, v36
	v_dual_mov_b32 v13, v37 :: v_dual_mov_b32 v14, v38
	v_dual_mov_b32 v15, v39 :: v_dual_mov_b32 v16, v40
	v_dual_mov_b32 v17, v41 :: v_dual_mov_b32 v18, v42
	v_dual_mov_b32 v19, v43 :: v_dual_mov_b32 v20, v44
	v_dual_mov_b32 v21, v45 :: v_dual_mov_b32 v22, v46
	v_dual_mov_b32 v23, v47 :: v_dual_mov_b32 v24, v48
	v_dual_mov_b32 v25, v49 :: v_dual_mov_b32 v26, v50
	v_mov_b32_e32 v27, v51
	v_mov_b32_e32 v28, v52
	;; [unrolled: 1-line block ×7, first 2 shown]
.LBB75_82:
	s_or_b32 exec_lo, exec_lo, s0
	v_mov_b32_e32 v36, 0
	s_waitcnt lgkmcnt(0)
	s_barrier
	buffer_gl0_inv
	s_mov_b32 s0, exec_lo
	ds_load_2addr_b64 v[26:29], v36 offset0:19 offset1:20
	ds_load_2addr_b64 v[30:33], v36 offset0:21 offset1:22
	s_waitcnt lgkmcnt(1)
	v_fma_f64 v[26:27], v[16:17], v[26:27], 0
	s_delay_alu instid0(VALU_DEP_1) | instskip(SKIP_3) | instid1(VALU_DEP_1)
	v_fma_f64 v[26:27], v[18:19], v[28:29], v[26:27]
	ds_load_b64 v[28:29], v36 offset:184
	s_waitcnt lgkmcnt(1)
	v_fma_f64 v[26:27], v[20:21], v[30:31], v[26:27]
	v_fma_f64 v[26:27], v[22:23], v[32:33], v[26:27]
	s_waitcnt lgkmcnt(0)
	s_delay_alu instid0(VALU_DEP_1) | instskip(NEXT) | instid1(VALU_DEP_1)
	v_fma_f64 v[26:27], v[24:25], v[28:29], v[26:27]
	v_add_f64 v[14:15], v[14:15], -v[26:27]
	v_cmpx_lt_u32_e32 5, v0
	s_cbranch_execz .LBB75_84
; %bb.83:
	v_dual_mov_b32 v26, v2 :: v_dual_mov_b32 v27, v3
	v_dual_mov_b32 v34, v10 :: v_dual_mov_b32 v35, v11
	s_delay_alu instid0(VALU_DEP_4)
	v_dual_mov_b32 v37, v36 :: v_dual_mov_b32 v38, v14
	v_dual_mov_b32 v39, v15 :: v_dual_mov_b32 v40, v16
	v_dual_mov_b32 v41, v17 :: v_dual_mov_b32 v42, v18
	v_dual_mov_b32 v43, v19 :: v_dual_mov_b32 v44, v20
	v_dual_mov_b32 v45, v21 :: v_dual_mov_b32 v46, v22
	v_dual_mov_b32 v47, v23 :: v_dual_mov_b32 v48, v24
	v_dual_mov_b32 v49, v25 :: v_dual_mov_b32 v28, v4
	v_dual_mov_b32 v29, v5 :: v_dual_mov_b32 v30, v6
	v_dual_mov_b32 v31, v7 :: v_dual_mov_b32 v32, v8
	v_mov_b32_e32 v33, v9
	ds_store_b64 v1, v[12:13]
	v_mov_b32_e32 v2, v26
	v_dual_mov_b32 v3, v27 :: v_dual_mov_b32 v4, v28
	v_dual_mov_b32 v5, v29 :: v_dual_mov_b32 v6, v30
	;; [unrolled: 1-line block ×12, first 2 shown]
	v_mov_b32_e32 v27, v51
	v_mov_b32_e32 v28, v52
	;; [unrolled: 1-line block ×7, first 2 shown]
.LBB75_84:
	s_or_b32 exec_lo, exec_lo, s0
	s_waitcnt lgkmcnt(0)
	s_barrier
	buffer_gl0_inv
	ds_load_b128 v[26:29], v36 offset:144
	ds_load_b128 v[30:33], v36 offset:160
	s_mov_b32 s0, exec_lo
	s_waitcnt lgkmcnt(1)
	v_fma_f64 v[26:27], v[14:15], v[26:27], 0
	s_delay_alu instid0(VALU_DEP_1) | instskip(SKIP_1) | instid1(VALU_DEP_1)
	v_fma_f64 v[26:27], v[16:17], v[28:29], v[26:27]
	s_waitcnt lgkmcnt(0)
	v_fma_f64 v[26:27], v[18:19], v[30:31], v[26:27]
	s_delay_alu instid0(VALU_DEP_1) | instskip(SKIP_3) | instid1(VALU_DEP_1)
	v_fma_f64 v[30:31], v[20:21], v[32:33], v[26:27]
	ds_load_b128 v[26:29], v36 offset:176
	s_waitcnt lgkmcnt(0)
	v_fma_f64 v[26:27], v[22:23], v[26:27], v[30:31]
	v_fma_f64 v[26:27], v[24:25], v[28:29], v[26:27]
	s_delay_alu instid0(VALU_DEP_1)
	v_add_f64 v[12:13], v[12:13], -v[26:27]
	v_cmpx_lt_u32_e32 4, v0
	s_cbranch_execz .LBB75_86
; %bb.85:
	v_dual_mov_b32 v34, 0 :: v_dual_mov_b32 v27, v3
	v_dual_mov_b32 v26, v2 :: v_dual_mov_b32 v29, v5
	s_delay_alu instid0(VALU_DEP_2)
	v_dual_mov_b32 v32, v8 :: v_dual_mov_b32 v35, v34
	v_dual_mov_b32 v36, v12 :: v_dual_mov_b32 v37, v13
	;; [unrolled: 1-line block ×10, first 2 shown]
	ds_store_b64 v1, v[10:11]
	v_mov_b32_e32 v2, v26
	v_dual_mov_b32 v3, v27 :: v_dual_mov_b32 v4, v28
	v_dual_mov_b32 v5, v29 :: v_dual_mov_b32 v6, v30
	;; [unrolled: 1-line block ×12, first 2 shown]
	v_mov_b32_e32 v27, v51
	v_mov_b32_e32 v28, v52
	;; [unrolled: 1-line block ×7, first 2 shown]
.LBB75_86:
	s_or_b32 exec_lo, exec_lo, s0
	v_mov_b32_e32 v34, 0
	s_waitcnt lgkmcnt(0)
	s_barrier
	buffer_gl0_inv
	s_mov_b32 s0, exec_lo
	ds_load_2addr_b64 v[26:29], v34 offset0:17 offset1:18
	ds_load_2addr_b64 v[30:33], v34 offset0:19 offset1:20
	s_waitcnt lgkmcnt(1)
	v_fma_f64 v[26:27], v[12:13], v[26:27], 0
	s_delay_alu instid0(VALU_DEP_1) | instskip(SKIP_1) | instid1(VALU_DEP_1)
	v_fma_f64 v[26:27], v[14:15], v[28:29], v[26:27]
	s_waitcnt lgkmcnt(0)
	v_fma_f64 v[26:27], v[16:17], v[30:31], v[26:27]
	s_delay_alu instid0(VALU_DEP_1) | instskip(SKIP_4) | instid1(VALU_DEP_1)
	v_fma_f64 v[30:31], v[18:19], v[32:33], v[26:27]
	ds_load_2addr_b64 v[26:29], v34 offset0:21 offset1:22
	ds_load_b64 v[32:33], v34 offset:184
	s_waitcnt lgkmcnt(1)
	v_fma_f64 v[26:27], v[20:21], v[26:27], v[30:31]
	v_fma_f64 v[26:27], v[22:23], v[28:29], v[26:27]
	s_waitcnt lgkmcnt(0)
	s_delay_alu instid0(VALU_DEP_1) | instskip(NEXT) | instid1(VALU_DEP_1)
	v_fma_f64 v[26:27], v[24:25], v[32:33], v[26:27]
	v_add_f64 v[10:11], v[10:11], -v[26:27]
	v_cmpx_lt_u32_e32 3, v0
	s_cbranch_execz .LBB75_88
; %bb.87:
	v_dual_mov_b32 v28, v2 :: v_dual_mov_b32 v29, v3
	v_dual_mov_b32 v35, v34 :: v_dual_mov_b32 v38, v12
	s_delay_alu instid0(VALU_DEP_4)
	v_dual_mov_b32 v36, v10 :: v_dual_mov_b32 v37, v11
	v_dual_mov_b32 v39, v13 :: v_dual_mov_b32 v40, v14
	;; [unrolled: 1-line block ×9, first 2 shown]
	v_mov_b32_e32 v33, v7
	ds_store_b64 v1, v[8:9]
	v_mov_b32_e32 v2, v28
	v_dual_mov_b32 v3, v29 :: v_dual_mov_b32 v4, v30
	v_dual_mov_b32 v5, v31 :: v_dual_mov_b32 v6, v32
	;; [unrolled: 1-line block ×13, first 2 shown]
	v_mov_b32_e32 v29, v55
	v_mov_b32_e32 v30, v56
	;; [unrolled: 1-line block ×5, first 2 shown]
.LBB75_88:
	s_or_b32 exec_lo, exec_lo, s0
	s_waitcnt lgkmcnt(0)
	s_barrier
	buffer_gl0_inv
	ds_load_b128 v[26:29], v34 offset:128
	ds_load_b128 v[30:33], v34 offset:144
	s_mov_b32 s0, exec_lo
	s_waitcnt lgkmcnt(1)
	v_fma_f64 v[26:27], v[10:11], v[26:27], 0
	s_delay_alu instid0(VALU_DEP_1) | instskip(SKIP_1) | instid1(VALU_DEP_1)
	v_fma_f64 v[26:27], v[12:13], v[28:29], v[26:27]
	s_waitcnt lgkmcnt(0)
	v_fma_f64 v[26:27], v[14:15], v[30:31], v[26:27]
	s_delay_alu instid0(VALU_DEP_1) | instskip(SKIP_4) | instid1(VALU_DEP_1)
	v_fma_f64 v[35:36], v[16:17], v[32:33], v[26:27]
	ds_load_b128 v[26:29], v34 offset:160
	ds_load_b128 v[30:33], v34 offset:176
	s_waitcnt lgkmcnt(1)
	v_fma_f64 v[26:27], v[18:19], v[26:27], v[35:36]
	v_fma_f64 v[26:27], v[20:21], v[28:29], v[26:27]
	s_waitcnt lgkmcnt(0)
	s_delay_alu instid0(VALU_DEP_1) | instskip(NEXT) | instid1(VALU_DEP_1)
	v_fma_f64 v[26:27], v[22:23], v[30:31], v[26:27]
	v_fma_f64 v[26:27], v[24:25], v[32:33], v[26:27]
	s_delay_alu instid0(VALU_DEP_1)
	v_add_f64 v[8:9], v[8:9], -v[26:27]
	v_cmpx_lt_u32_e32 2, v0
	s_cbranch_execz .LBB75_90
; %bb.89:
	v_dual_mov_b32 v30, 0 :: v_dual_mov_b32 v27, v3
	v_dual_mov_b32 v26, v2 :: v_dual_mov_b32 v29, v5
	;; [unrolled: 1-line block ×12, first 2 shown]
	ds_store_b64 v1, v[6:7]
	v_mov_b32_e32 v2, v26
	v_dual_mov_b32 v3, v27 :: v_dual_mov_b32 v4, v28
	v_dual_mov_b32 v5, v29 :: v_dual_mov_b32 v6, v30
	;; [unrolled: 1-line block ×12, first 2 shown]
	v_mov_b32_e32 v27, v51
	v_mov_b32_e32 v28, v52
	;; [unrolled: 1-line block ×7, first 2 shown]
.LBB75_90:
	s_or_b32 exec_lo, exec_lo, s0
	v_mov_b32_e32 v34, 0
	s_waitcnt lgkmcnt(0)
	s_barrier
	buffer_gl0_inv
	s_mov_b32 s0, exec_lo
	ds_load_2addr_b64 v[26:29], v34 offset0:15 offset1:16
	ds_load_2addr_b64 v[30:33], v34 offset0:17 offset1:18
	s_waitcnt lgkmcnt(1)
	v_fma_f64 v[26:27], v[8:9], v[26:27], 0
	s_delay_alu instid0(VALU_DEP_1) | instskip(SKIP_1) | instid1(VALU_DEP_1)
	v_fma_f64 v[26:27], v[10:11], v[28:29], v[26:27]
	s_waitcnt lgkmcnt(0)
	v_fma_f64 v[26:27], v[12:13], v[30:31], v[26:27]
	s_delay_alu instid0(VALU_DEP_1) | instskip(SKIP_4) | instid1(VALU_DEP_1)
	v_fma_f64 v[35:36], v[14:15], v[32:33], v[26:27]
	ds_load_2addr_b64 v[26:29], v34 offset0:19 offset1:20
	ds_load_2addr_b64 v[30:33], v34 offset0:21 offset1:22
	s_waitcnt lgkmcnt(1)
	v_fma_f64 v[26:27], v[16:17], v[26:27], v[35:36]
	v_fma_f64 v[26:27], v[18:19], v[28:29], v[26:27]
	ds_load_b64 v[28:29], v34 offset:184
	s_waitcnt lgkmcnt(1)
	v_fma_f64 v[26:27], v[20:21], v[30:31], v[26:27]
	s_delay_alu instid0(VALU_DEP_1) | instskip(SKIP_1) | instid1(VALU_DEP_1)
	v_fma_f64 v[26:27], v[22:23], v[32:33], v[26:27]
	s_waitcnt lgkmcnt(0)
	v_fma_f64 v[26:27], v[24:25], v[28:29], v[26:27]
	s_delay_alu instid0(VALU_DEP_1)
	v_add_f64 v[6:7], v[6:7], -v[26:27]
	v_cmpx_lt_u32_e32 1, v0
	s_cbranch_execz .LBB75_92
; %bb.91:
	v_dual_mov_b32 v32, v2 :: v_dual_mov_b32 v33, v3
	v_dual_mov_b32 v35, v34 :: v_dual_mov_b32 v38, v8
	s_delay_alu instid0(VALU_DEP_4)
	v_dual_mov_b32 v36, v6 :: v_dual_mov_b32 v37, v7
	v_dual_mov_b32 v39, v9 :: v_dual_mov_b32 v40, v10
	;; [unrolled: 1-line block ×26, first 2 shown]
	v_mov_b32_e32 v33, v63
	ds_store_b64 v1, v[80:81]
.LBB75_92:
	s_or_b32 exec_lo, exec_lo, s0
	s_waitcnt lgkmcnt(0)
	s_barrier
	buffer_gl0_inv
	ds_load_b128 v[26:29], v34 offset:112
	ds_load_b128 v[30:33], v34 offset:128
	s_mov_b32 s0, exec_lo
	s_waitcnt lgkmcnt(1)
	v_fma_f64 v[26:27], v[6:7], v[26:27], 0
	s_delay_alu instid0(VALU_DEP_1) | instskip(SKIP_1) | instid1(VALU_DEP_1)
	v_fma_f64 v[26:27], v[8:9], v[28:29], v[26:27]
	s_waitcnt lgkmcnt(0)
	v_fma_f64 v[26:27], v[10:11], v[30:31], v[26:27]
	s_delay_alu instid0(VALU_DEP_1) | instskip(SKIP_4) | instid1(VALU_DEP_1)
	v_fma_f64 v[35:36], v[12:13], v[32:33], v[26:27]
	ds_load_b128 v[26:29], v34 offset:144
	ds_load_b128 v[30:33], v34 offset:160
	s_waitcnt lgkmcnt(1)
	v_fma_f64 v[26:27], v[14:15], v[26:27], v[35:36]
	v_fma_f64 v[26:27], v[16:17], v[28:29], v[26:27]
	s_waitcnt lgkmcnt(0)
	s_delay_alu instid0(VALU_DEP_1) | instskip(NEXT) | instid1(VALU_DEP_1)
	v_fma_f64 v[26:27], v[18:19], v[30:31], v[26:27]
	v_fma_f64 v[30:31], v[20:21], v[32:33], v[26:27]
	ds_load_b128 v[26:29], v34 offset:176
	s_waitcnt lgkmcnt(0)
	v_fma_f64 v[26:27], v[22:23], v[26:27], v[30:31]
	s_delay_alu instid0(VALU_DEP_1) | instskip(NEXT) | instid1(VALU_DEP_1)
	v_fma_f64 v[26:27], v[24:25], v[28:29], v[26:27]
	v_add_f64 v[4:5], v[4:5], -v[26:27]
	v_cmpx_ne_u32_e32 0, v0
	s_cbranch_execz .LBB75_94
; %bb.93:
	s_delay_alu instid0(VALU_DEP_2)
	v_dual_mov_b32 v26, 0 :: v_dual_mov_b32 v29, v5
	v_dual_mov_b32 v34, v10 :: v_dual_mov_b32 v35, v11
	;; [unrolled: 1-line block ×13, first 2 shown]
	v_mov_b32_e32 v2, v26
	s_delay_alu instid0(VALU_DEP_3)
	v_dual_mov_b32 v3, v27 :: v_dual_mov_b32 v4, v28
	v_dual_mov_b32 v5, v29 :: v_dual_mov_b32 v6, v30
	;; [unrolled: 1-line block ×12, first 2 shown]
	v_mov_b32_e32 v27, v51
	v_mov_b32_e32 v28, v52
	v_mov_b32_e32 v29, v53
	v_mov_b32_e32 v30, v54
	v_mov_b32_e32 v31, v55
	v_mov_b32_e32 v32, v56
	v_mov_b32_e32 v33, v57
	ds_store_b64 v1, v[50:51]
.LBB75_94:
	s_or_b32 exec_lo, exec_lo, s0
	v_mov_b32_e32 v34, 0
	s_waitcnt lgkmcnt(0)
	s_barrier
	buffer_gl0_inv
	s_and_b32 vcc_lo, exec_lo, s11
	ds_load_2addr_b64 v[26:29], v34 offset0:13 offset1:14
	ds_load_2addr_b64 v[30:33], v34 offset0:15 offset1:16
	s_waitcnt lgkmcnt(1)
	v_fma_f64 v[0:1], v[4:5], v[26:27], 0
	s_delay_alu instid0(VALU_DEP_1) | instskip(SKIP_1) | instid1(VALU_DEP_1)
	v_fma_f64 v[0:1], v[6:7], v[28:29], v[0:1]
	s_waitcnt lgkmcnt(0)
	v_fma_f64 v[0:1], v[8:9], v[30:31], v[0:1]
	s_delay_alu instid0(VALU_DEP_1) | instskip(SKIP_4) | instid1(VALU_DEP_1)
	v_fma_f64 v[0:1], v[10:11], v[32:33], v[0:1]
	ds_load_2addr_b64 v[26:29], v34 offset0:17 offset1:18
	ds_load_2addr_b64 v[30:33], v34 offset0:19 offset1:20
	s_waitcnt lgkmcnt(1)
	v_fma_f64 v[0:1], v[12:13], v[26:27], v[0:1]
	v_fma_f64 v[0:1], v[14:15], v[28:29], v[0:1]
	s_waitcnt lgkmcnt(0)
	s_delay_alu instid0(VALU_DEP_1) | instskip(SKIP_4) | instid1(VALU_DEP_1)
	v_fma_f64 v[0:1], v[16:17], v[30:31], v[0:1]
	ds_load_2addr_b64 v[26:29], v34 offset0:21 offset1:22
	ds_load_b64 v[30:31], v34 offset:184
	v_fma_f64 v[0:1], v[18:19], v[32:33], v[0:1]
	s_waitcnt lgkmcnt(1)
	v_fma_f64 v[0:1], v[20:21], v[26:27], v[0:1]
	s_delay_alu instid0(VALU_DEP_1) | instskip(SKIP_1) | instid1(VALU_DEP_1)
	v_fma_f64 v[0:1], v[22:23], v[28:29], v[0:1]
	s_waitcnt lgkmcnt(0)
	v_fma_f64 v[0:1], v[24:25], v[30:31], v[0:1]
	s_delay_alu instid0(VALU_DEP_1)
	v_add_f64 v[2:3], v[2:3], -v[0:1]
	s_cbranch_vccz .LBB75_118
; %bb.95:
	v_dual_mov_b32 v0, s16 :: v_dual_mov_b32 v1, s17
	s_mov_b32 s6, exec_lo
	flat_load_b32 v0, v[0:1] offset:40
	s_waitcnt vmcnt(0) lgkmcnt(0)
	v_add_nc_u32_e32 v0, -1, v0
	s_delay_alu instid0(VALU_DEP_1)
	v_cmpx_ne_u32_e32 10, v0
	s_cbranch_execz .LBB75_97
; %bb.96:
	v_cmp_eq_u32_e32 vcc_lo, 1, v0
	v_cmp_eq_u32_e64 s0, 2, v0
	v_cmp_eq_u32_e64 s1, 3, v0
	;; [unrolled: 1-line block ×4, first 2 shown]
	v_dual_cndmask_b32 v1, v2, v4 :: v_dual_cndmask_b32 v26, v3, v5
	v_cmp_eq_u32_e64 s4, 6, v0
	v_cmp_eq_u32_e64 s5, 0, v0
	v_cndmask_b32_e64 v30, v7, v23, s0
	s_delay_alu instid0(VALU_DEP_4)
	v_cndmask_b32_e64 v1, v1, v6, s0
	v_cndmask_b32_e64 v26, v26, v7, s0
	;; [unrolled: 1-line block ×3, first 2 shown]
	v_cmp_eq_u32_e64 s0, 7, v0
	v_cndmask_b32_e32 v28, v5, v23, vcc_lo
	v_cndmask_b32_e64 v1, v1, v8, s1
	v_cndmask_b32_e64 v26, v26, v9, s1
	v_cndmask_b32_e64 v32, v9, v23, s1
	v_cndmask_b32_e64 v31, v8, v22, s1
	v_cmp_eq_u32_e64 s1, 9, v0
	v_cndmask_b32_e64 v1, v1, v10, s2
	v_cndmask_b32_e64 v26, v26, v11, s2
	;; [unrolled: 1-line block ×4, first 2 shown]
	v_cmp_eq_u32_e64 s2, 10, v0
	v_cndmask_b32_e64 v1, v1, v12, s3
	v_cndmask_b32_e64 v27, v26, v13, s3
	;; [unrolled: 1-line block ×7, first 2 shown]
	v_cndmask_b32_e32 v27, v4, v22, vcc_lo
	v_cmp_eq_u32_e32 vcc_lo, 8, v0
	v_cndmask_b32_e64 v36, v13, v23, s3
	v_cndmask_b32_e64 v1, v1, v16, s0
	;; [unrolled: 1-line block ×3, first 2 shown]
	v_cmp_eq_u32_e64 s0, 11, v0
	v_cndmask_b32_e64 v35, v12, v22, s3
	v_cndmask_b32_e64 v38, v15, v23, s4
	v_dual_cndmask_b32 v1, v1, v18 :: v_dual_cndmask_b32 v42, v19, v23
	v_cndmask_b32_e64 v37, v14, v22, s4
	v_cndmask_b32_e32 v41, v18, v22, vcc_lo
	v_cndmask_b32_e64 v44, v21, v23, s1
	s_delay_alu instid0(VALU_DEP_4) | instskip(SKIP_3) | instid1(VALU_DEP_4)
	v_cndmask_b32_e64 v1, v1, v20, s1
	v_cndmask_b32_e64 v43, v20, v22, s1
	;; [unrolled: 1-line block ×5, first 2 shown]
	s_delay_alu instid0(VALU_DEP_1) | instskip(NEXT) | instid1(VALU_DEP_1)
	v_cndmask_b32_e64 v0, v1, v24, s0
	v_cndmask_b32_e64 v45, v0, v22, s2
	v_cndmask_b32_e32 v3, v3, v19, vcc_lo
	s_delay_alu instid0(VALU_DEP_1) | instskip(NEXT) | instid1(VALU_DEP_1)
	v_cndmask_b32_e64 v3, v3, v21, s1
	v_cndmask_b32_e64 v3, v3, v23, s2
	s_delay_alu instid0(VALU_DEP_1) | instskip(SKIP_1) | instid1(VALU_DEP_2)
	v_cndmask_b32_e64 v1, v3, v25, s0
	v_cndmask_b32_e64 v25, v2, v22, s5
	;; [unrolled: 1-line block ×3, first 2 shown]
	s_delay_alu instid0(VALU_DEP_2)
	v_mov_b32_e32 v2, v25
	v_dual_mov_b32 v6, v29 :: v_dual_mov_b32 v3, v26
	v_dual_mov_b32 v4, v27 :: v_dual_mov_b32 v5, v28
	;; [unrolled: 1-line block ×11, first 2 shown]
	v_mov_b32_e32 v25, v48
	v_mov_b32_e32 v26, v49
	;; [unrolled: 1-line block ×9, first 2 shown]
.LBB75_97:
	s_or_b32 exec_lo, exec_lo, s6
	v_dual_mov_b32 v0, s16 :: v_dual_mov_b32 v1, s17
	s_mov_b32 s6, exec_lo
	flat_load_b32 v0, v[0:1] offset:36
	s_waitcnt vmcnt(0) lgkmcnt(0)
	v_add_nc_u32_e32 v0, -1, v0
	s_delay_alu instid0(VALU_DEP_1)
	v_cmpx_ne_u32_e32 9, v0
	s_cbranch_execz .LBB75_99
; %bb.98:
	v_cmp_eq_u32_e32 vcc_lo, 1, v0
	v_cmp_eq_u32_e64 s0, 2, v0
	v_cmp_eq_u32_e64 s1, 3, v0
	;; [unrolled: 1-line block ×4, first 2 shown]
	v_dual_cndmask_b32 v1, v2, v4 :: v_dual_cndmask_b32 v26, v3, v5
	v_cmp_eq_u32_e64 s4, 6, v0
	v_cmp_eq_u32_e64 s5, 0, v0
	v_cndmask_b32_e64 v30, v7, v21, s0
	s_delay_alu instid0(VALU_DEP_4)
	v_cndmask_b32_e64 v1, v1, v6, s0
	v_cndmask_b32_e64 v26, v26, v7, s0
	;; [unrolled: 1-line block ×3, first 2 shown]
	v_cmp_eq_u32_e64 s0, 7, v0
	v_cndmask_b32_e32 v28, v5, v21, vcc_lo
	v_cndmask_b32_e64 v1, v1, v8, s1
	v_cndmask_b32_e64 v26, v26, v9, s1
	;; [unrolled: 1-line block ×4, first 2 shown]
	v_cmp_eq_u32_e64 s1, 9, v0
	v_cndmask_b32_e64 v1, v1, v10, s2
	v_cndmask_b32_e64 v26, v26, v11, s2
	;; [unrolled: 1-line block ×4, first 2 shown]
	v_cmp_eq_u32_e64 s2, 10, v0
	v_cndmask_b32_e64 v1, v1, v12, s3
	v_cndmask_b32_e64 v27, v26, v13, s3
	;; [unrolled: 1-line block ×7, first 2 shown]
	v_cndmask_b32_e32 v27, v4, v20, vcc_lo
	v_cmp_eq_u32_e32 vcc_lo, 8, v0
	v_cndmask_b32_e64 v36, v13, v21, s3
	v_cndmask_b32_e64 v1, v1, v16, s0
	;; [unrolled: 1-line block ×3, first 2 shown]
	v_cmp_eq_u32_e64 s0, 11, v0
	v_cndmask_b32_e64 v35, v12, v20, s3
	v_cndmask_b32_e64 v38, v15, v21, s4
	v_dual_cndmask_b32 v1, v1, v18 :: v_dual_cndmask_b32 v42, v19, v21
	v_cndmask_b32_e64 v37, v14, v20, s4
	v_cndmask_b32_e32 v41, v18, v20, vcc_lo
	v_cndmask_b32_e64 v46, v23, v21, s2
	s_delay_alu instid0(VALU_DEP_4) | instskip(SKIP_3) | instid1(VALU_DEP_4)
	v_cndmask_b32_e64 v1, v1, v20, s1
	v_cndmask_b32_e64 v45, v22, v20, s2
	v_cndmask_b32_e64 v48, v25, v21, s0
	v_cndmask_b32_e64 v47, v24, v20, s0
	v_cndmask_b32_e64 v1, v1, v22, s2
	s_delay_alu instid0(VALU_DEP_1) | instskip(NEXT) | instid1(VALU_DEP_1)
	v_cndmask_b32_e64 v0, v1, v24, s0
	v_cndmask_b32_e64 v43, v0, v20, s1
	v_cndmask_b32_e32 v3, v3, v19, vcc_lo
	s_delay_alu instid0(VALU_DEP_1) | instskip(NEXT) | instid1(VALU_DEP_1)
	v_cndmask_b32_e64 v3, v3, v21, s1
	v_cndmask_b32_e64 v3, v3, v23, s2
	s_delay_alu instid0(VALU_DEP_1) | instskip(SKIP_1) | instid1(VALU_DEP_2)
	v_cndmask_b32_e64 v1, v3, v25, s0
	v_cndmask_b32_e64 v25, v2, v20, s5
	;; [unrolled: 1-line block ×3, first 2 shown]
	s_delay_alu instid0(VALU_DEP_2)
	v_mov_b32_e32 v2, v25
	v_dual_mov_b32 v6, v29 :: v_dual_mov_b32 v3, v26
	v_dual_mov_b32 v4, v27 :: v_dual_mov_b32 v5, v28
	;; [unrolled: 1-line block ×11, first 2 shown]
	v_mov_b32_e32 v25, v48
	v_mov_b32_e32 v26, v49
	;; [unrolled: 1-line block ×9, first 2 shown]
.LBB75_99:
	s_or_b32 exec_lo, exec_lo, s6
	v_dual_mov_b32 v0, s16 :: v_dual_mov_b32 v1, s17
	s_mov_b32 s6, exec_lo
	flat_load_b32 v0, v[0:1] offset:32
	s_waitcnt vmcnt(0) lgkmcnt(0)
	v_add_nc_u32_e32 v0, -1, v0
	s_delay_alu instid0(VALU_DEP_1)
	v_cmpx_ne_u32_e32 8, v0
	s_cbranch_execz .LBB75_101
; %bb.100:
	v_cmp_eq_u32_e32 vcc_lo, 1, v0
	v_cmp_eq_u32_e64 s0, 2, v0
	v_cmp_eq_u32_e64 s1, 3, v0
	;; [unrolled: 1-line block ×4, first 2 shown]
	v_dual_cndmask_b32 v1, v2, v4 :: v_dual_cndmask_b32 v26, v3, v5
	v_cmp_eq_u32_e64 s4, 6, v0
	v_cmp_eq_u32_e64 s5, 0, v0
	v_cndmask_b32_e64 v30, v7, v19, s0
	s_delay_alu instid0(VALU_DEP_4)
	v_cndmask_b32_e64 v1, v1, v6, s0
	v_cndmask_b32_e64 v26, v26, v7, s0
	;; [unrolled: 1-line block ×3, first 2 shown]
	v_cmp_eq_u32_e64 s0, 7, v0
	v_cndmask_b32_e32 v28, v5, v19, vcc_lo
	v_cndmask_b32_e64 v1, v1, v8, s1
	v_cndmask_b32_e64 v26, v26, v9, s1
	;; [unrolled: 1-line block ×8, first 2 shown]
	v_cmp_eq_u32_e64 s1, 9, v0
	v_cmp_eq_u32_e64 s2, 10, v0
	v_cndmask_b32_e64 v1, v1, v12, s3
	v_cndmask_b32_e64 v27, v26, v13, s3
	v_cndmask_b32_e64 v26, v3, v19, s5
	v_cndmask_b32_e64 v40, v17, v19, s0
	v_cndmask_b32_e64 v39, v16, v18, s0
	v_cndmask_b32_e64 v1, v1, v14, s4
	v_cndmask_b32_e64 v3, v27, v15, s4
	v_cndmask_b32_e32 v27, v4, v18, vcc_lo
	v_cmp_eq_u32_e32 vcc_lo, 8, v0
	v_cndmask_b32_e64 v36, v13, v19, s3
	v_cndmask_b32_e64 v1, v1, v16, s0
	;; [unrolled: 1-line block ×3, first 2 shown]
	v_cmp_eq_u32_e64 s0, 11, v0
	v_cndmask_b32_e64 v35, v12, v18, s3
	v_cndmask_b32_e64 v38, v15, v19, s4
	;; [unrolled: 1-line block ×9, first 2 shown]
	v_cndmask_b32_e32 v1, v1, v18, vcc_lo
	s_delay_alu instid0(VALU_DEP_1) | instskip(NEXT) | instid1(VALU_DEP_1)
	v_cndmask_b32_e64 v1, v1, v20, s1
	v_cndmask_b32_e64 v1, v1, v22, s2
	s_delay_alu instid0(VALU_DEP_1) | instskip(NEXT) | instid1(VALU_DEP_1)
	v_cndmask_b32_e64 v0, v1, v24, s0
	v_cndmask_b32_e32 v41, v0, v18, vcc_lo
	v_cndmask_b32_e32 v3, v3, v19, vcc_lo
	s_delay_alu instid0(VALU_DEP_1) | instskip(NEXT) | instid1(VALU_DEP_1)
	v_cndmask_b32_e64 v3, v3, v21, s1
	v_cndmask_b32_e64 v3, v3, v23, s2
	s_delay_alu instid0(VALU_DEP_1) | instskip(SKIP_1) | instid1(VALU_DEP_2)
	v_cndmask_b32_e64 v1, v3, v25, s0
	v_cndmask_b32_e64 v25, v2, v18, s5
	v_cndmask_b32_e32 v42, v1, v19, vcc_lo
	s_delay_alu instid0(VALU_DEP_2)
	v_mov_b32_e32 v2, v25
	v_dual_mov_b32 v6, v29 :: v_dual_mov_b32 v3, v26
	v_mov_b32_e32 v8, v31
	v_dual_mov_b32 v4, v27 :: v_dual_mov_b32 v5, v28
	v_dual_mov_b32 v10, v33 :: v_dual_mov_b32 v7, v30
	;; [unrolled: 1-line block ×9, first 2 shown]
	v_mov_b32_e32 v23, v46
	v_mov_b32_e32 v25, v48
	;; [unrolled: 1-line block ×10, first 2 shown]
.LBB75_101:
	s_or_b32 exec_lo, exec_lo, s6
	v_dual_mov_b32 v0, s16 :: v_dual_mov_b32 v1, s17
	s_mov_b32 s6, exec_lo
	flat_load_b32 v0, v[0:1] offset:28
	s_waitcnt vmcnt(0) lgkmcnt(0)
	v_add_nc_u32_e32 v0, -1, v0
	s_delay_alu instid0(VALU_DEP_1)
	v_cmpx_ne_u32_e32 7, v0
	s_cbranch_execz .LBB75_103
; %bb.102:
	v_cmp_eq_u32_e32 vcc_lo, 1, v0
	v_cmp_eq_u32_e64 s0, 2, v0
	v_cmp_eq_u32_e64 s1, 3, v0
	;; [unrolled: 1-line block ×4, first 2 shown]
	v_dual_cndmask_b32 v1, v2, v4 :: v_dual_cndmask_b32 v26, v3, v5
	v_cmp_eq_u32_e64 s4, 6, v0
	v_cmp_eq_u32_e64 s5, 0, v0
	v_cndmask_b32_e64 v30, v7, v17, s0
	s_delay_alu instid0(VALU_DEP_4)
	v_cndmask_b32_e64 v1, v1, v6, s0
	v_cndmask_b32_e64 v26, v26, v7, s0
	;; [unrolled: 1-line block ×3, first 2 shown]
	v_cmp_eq_u32_e64 s0, 7, v0
	v_cndmask_b32_e32 v28, v5, v17, vcc_lo
	v_cndmask_b32_e64 v1, v1, v8, s1
	v_cndmask_b32_e64 v26, v26, v9, s1
	v_cndmask_b32_e64 v32, v9, v17, s1
	v_cndmask_b32_e64 v31, v8, v16, s1
	v_cmp_eq_u32_e64 s1, 9, v0
	v_cndmask_b32_e64 v1, v1, v10, s2
	v_cndmask_b32_e64 v26, v26, v11, s2
	;; [unrolled: 1-line block ×4, first 2 shown]
	v_cmp_eq_u32_e64 s2, 10, v0
	v_cndmask_b32_e64 v1, v1, v12, s3
	v_cndmask_b32_e64 v27, v26, v13, s3
	;; [unrolled: 1-line block ×7, first 2 shown]
	v_cndmask_b32_e32 v27, v4, v16, vcc_lo
	v_cmp_eq_u32_e32 vcc_lo, 8, v0
	v_cndmask_b32_e64 v38, v15, v17, s4
	v_cndmask_b32_e64 v1, v1, v16, s0
	;; [unrolled: 1-line block ×4, first 2 shown]
	v_cndmask_b32_e32 v41, v18, v16, vcc_lo
	v_cndmask_b32_e64 v44, v21, v17, s1
	v_dual_cndmask_b32 v1, v1, v18 :: v_dual_cndmask_b32 v42, v19, v17
	v_cndmask_b32_e64 v43, v20, v16, s1
	v_cndmask_b32_e64 v46, v23, v17, s2
	;; [unrolled: 1-line block ×3, first 2 shown]
	s_delay_alu instid0(VALU_DEP_4) | instskip(NEXT) | instid1(VALU_DEP_1)
	v_cndmask_b32_e64 v1, v1, v20, s1
	v_cndmask_b32_e64 v1, v1, v22, s2
	v_cndmask_b32_e32 v3, v3, v19, vcc_lo
	v_cmp_eq_u32_e32 vcc_lo, 11, v0
	s_delay_alu instid0(VALU_DEP_3) | instskip(NEXT) | instid1(VALU_DEP_3)
	v_cndmask_b32_e32 v0, v1, v24, vcc_lo
	v_cndmask_b32_e64 v3, v3, v21, s1
	v_dual_cndmask_b32 v48, v25, v17 :: v_dual_cndmask_b32 v47, v24, v16
	s_delay_alu instid0(VALU_DEP_3) | instskip(NEXT) | instid1(VALU_DEP_3)
	v_cndmask_b32_e64 v39, v0, v16, s0
	v_cndmask_b32_e64 v3, v3, v23, s2
	s_delay_alu instid0(VALU_DEP_1) | instskip(SKIP_1) | instid1(VALU_DEP_2)
	v_cndmask_b32_e32 v1, v3, v25, vcc_lo
	v_cndmask_b32_e64 v25, v2, v16, s5
	v_cndmask_b32_e64 v40, v1, v17, s0
	s_delay_alu instid0(VALU_DEP_2)
	v_mov_b32_e32 v2, v25
	v_dual_mov_b32 v3, v26 :: v_dual_mov_b32 v4, v27
	v_dual_mov_b32 v5, v28 :: v_dual_mov_b32 v6, v29
	;; [unrolled: 1-line block ×11, first 2 shown]
	v_mov_b32_e32 v25, v48
	v_mov_b32_e32 v26, v49
	;; [unrolled: 1-line block ×9, first 2 shown]
.LBB75_103:
	s_or_b32 exec_lo, exec_lo, s6
	v_dual_mov_b32 v0, s16 :: v_dual_mov_b32 v1, s17
	s_mov_b32 s6, exec_lo
	flat_load_b32 v0, v[0:1] offset:24
	s_waitcnt vmcnt(0) lgkmcnt(0)
	v_add_nc_u32_e32 v0, -1, v0
	s_delay_alu instid0(VALU_DEP_1)
	v_cmpx_ne_u32_e32 6, v0
	s_cbranch_execz .LBB75_105
; %bb.104:
	v_cmp_eq_u32_e32 vcc_lo, 1, v0
	v_cmp_eq_u32_e64 s0, 2, v0
	v_cmp_eq_u32_e64 s1, 3, v0
	;; [unrolled: 1-line block ×4, first 2 shown]
	v_dual_cndmask_b32 v1, v2, v4 :: v_dual_cndmask_b32 v26, v3, v5
	v_cmp_eq_u32_e64 s4, 6, v0
	v_cmp_eq_u32_e64 s5, 0, v0
	v_cndmask_b32_e64 v30, v7, v15, s0
	s_delay_alu instid0(VALU_DEP_4)
	v_cndmask_b32_e64 v1, v1, v6, s0
	v_cndmask_b32_e64 v26, v26, v7, s0
	;; [unrolled: 1-line block ×3, first 2 shown]
	v_cmp_eq_u32_e64 s0, 7, v0
	v_cndmask_b32_e32 v28, v5, v15, vcc_lo
	v_cndmask_b32_e64 v1, v1, v8, s1
	v_cndmask_b32_e64 v26, v26, v9, s1
	;; [unrolled: 1-line block ×4, first 2 shown]
	v_cmp_eq_u32_e64 s1, 9, v0
	v_cndmask_b32_e64 v1, v1, v10, s2
	v_cndmask_b32_e64 v26, v26, v11, s2
	;; [unrolled: 1-line block ×4, first 2 shown]
	v_cmp_eq_u32_e64 s2, 10, v0
	v_cndmask_b32_e64 v1, v1, v12, s3
	v_cndmask_b32_e64 v27, v26, v13, s3
	;; [unrolled: 1-line block ×7, first 2 shown]
	v_cndmask_b32_e32 v27, v4, v14, vcc_lo
	v_cmp_eq_u32_e32 vcc_lo, 8, v0
	v_cndmask_b32_e64 v40, v17, v15, s0
	v_cndmask_b32_e64 v1, v1, v16, s0
	;; [unrolled: 1-line block ×4, first 2 shown]
	v_cndmask_b32_e32 v41, v18, v14, vcc_lo
	v_cndmask_b32_e64 v44, v21, v15, s1
	v_dual_cndmask_b32 v1, v1, v18 :: v_dual_cndmask_b32 v42, v19, v15
	v_cndmask_b32_e64 v43, v20, v14, s1
	v_cndmask_b32_e64 v46, v23, v15, s2
	;; [unrolled: 1-line block ×3, first 2 shown]
	s_delay_alu instid0(VALU_DEP_4) | instskip(NEXT) | instid1(VALU_DEP_1)
	v_cndmask_b32_e64 v1, v1, v20, s1
	v_cndmask_b32_e64 v1, v1, v22, s2
	v_cndmask_b32_e32 v3, v3, v19, vcc_lo
	v_cmp_eq_u32_e32 vcc_lo, 11, v0
	s_delay_alu instid0(VALU_DEP_3) | instskip(NEXT) | instid1(VALU_DEP_3)
	v_cndmask_b32_e32 v0, v1, v24, vcc_lo
	v_cndmask_b32_e64 v3, v3, v21, s1
	v_dual_cndmask_b32 v48, v25, v15 :: v_dual_cndmask_b32 v47, v24, v14
	s_delay_alu instid0(VALU_DEP_3) | instskip(NEXT) | instid1(VALU_DEP_3)
	v_cndmask_b32_e64 v37, v0, v14, s4
	v_cndmask_b32_e64 v3, v3, v23, s2
	s_delay_alu instid0(VALU_DEP_1) | instskip(SKIP_1) | instid1(VALU_DEP_2)
	v_cndmask_b32_e32 v1, v3, v25, vcc_lo
	v_cndmask_b32_e64 v25, v2, v14, s5
	v_cndmask_b32_e64 v38, v1, v15, s4
	s_delay_alu instid0(VALU_DEP_2)
	v_mov_b32_e32 v2, v25
	v_dual_mov_b32 v3, v26 :: v_dual_mov_b32 v4, v27
	v_dual_mov_b32 v5, v28 :: v_dual_mov_b32 v6, v29
	;; [unrolled: 1-line block ×11, first 2 shown]
	v_mov_b32_e32 v25, v48
	v_mov_b32_e32 v26, v49
	v_mov_b32_e32 v27, v50
	v_mov_b32_e32 v28, v51
	v_mov_b32_e32 v29, v52
	v_mov_b32_e32 v30, v53
	v_mov_b32_e32 v31, v54
	v_mov_b32_e32 v32, v55
	v_mov_b32_e32 v33, v56
.LBB75_105:
	s_or_b32 exec_lo, exec_lo, s6
	v_dual_mov_b32 v0, s16 :: v_dual_mov_b32 v1, s17
	s_mov_b32 s6, exec_lo
	flat_load_b32 v0, v[0:1] offset:20
	s_waitcnt vmcnt(0) lgkmcnt(0)
	v_add_nc_u32_e32 v0, -1, v0
	s_delay_alu instid0(VALU_DEP_1)
	v_cmpx_ne_u32_e32 5, v0
	s_cbranch_execz .LBB75_107
; %bb.106:
	v_cmp_eq_u32_e32 vcc_lo, 1, v0
	v_cmp_eq_u32_e64 s0, 2, v0
	v_cmp_eq_u32_e64 s1, 3, v0
	;; [unrolled: 1-line block ×4, first 2 shown]
	v_dual_cndmask_b32 v1, v2, v4 :: v_dual_cndmask_b32 v26, v3, v5
	v_cmp_eq_u32_e64 s4, 6, v0
	v_cmp_eq_u32_e64 s5, 0, v0
	v_cndmask_b32_e64 v30, v7, v13, s0
	s_delay_alu instid0(VALU_DEP_4)
	v_cndmask_b32_e64 v1, v1, v6, s0
	v_cndmask_b32_e64 v26, v26, v7, s0
	;; [unrolled: 1-line block ×3, first 2 shown]
	v_cmp_eq_u32_e64 s0, 7, v0
	v_cndmask_b32_e32 v28, v5, v13, vcc_lo
	v_cndmask_b32_e64 v1, v1, v8, s1
	v_cndmask_b32_e64 v26, v26, v9, s1
	;; [unrolled: 1-line block ×4, first 2 shown]
	v_cmp_eq_u32_e64 s1, 9, v0
	v_cndmask_b32_e64 v1, v1, v10, s2
	v_cndmask_b32_e64 v26, v26, v11, s2
	;; [unrolled: 1-line block ×4, first 2 shown]
	v_cmp_eq_u32_e64 s2, 10, v0
	v_cndmask_b32_e64 v1, v1, v12, s3
	v_cndmask_b32_e64 v27, v26, v13, s3
	v_cndmask_b32_e64 v26, v3, v13, s5
	v_cndmask_b32_e64 v38, v15, v13, s4
	v_cndmask_b32_e64 v37, v14, v12, s4
	v_cndmask_b32_e64 v1, v1, v14, s4
	v_cndmask_b32_e64 v3, v27, v15, s4
	v_cndmask_b32_e32 v27, v4, v12, vcc_lo
	v_cmp_eq_u32_e32 vcc_lo, 8, v0
	v_cndmask_b32_e64 v40, v17, v13, s0
	v_cndmask_b32_e64 v1, v1, v16, s0
	;; [unrolled: 1-line block ×4, first 2 shown]
	v_cndmask_b32_e32 v41, v18, v12, vcc_lo
	v_cndmask_b32_e64 v44, v21, v13, s1
	v_dual_cndmask_b32 v1, v1, v18 :: v_dual_cndmask_b32 v42, v19, v13
	v_cndmask_b32_e64 v43, v20, v12, s1
	v_cndmask_b32_e64 v46, v23, v13, s2
	;; [unrolled: 1-line block ×3, first 2 shown]
	s_delay_alu instid0(VALU_DEP_4) | instskip(NEXT) | instid1(VALU_DEP_1)
	v_cndmask_b32_e64 v1, v1, v20, s1
	v_cndmask_b32_e64 v1, v1, v22, s2
	v_cndmask_b32_e32 v3, v3, v19, vcc_lo
	v_cmp_eq_u32_e32 vcc_lo, 11, v0
	s_delay_alu instid0(VALU_DEP_3) | instskip(NEXT) | instid1(VALU_DEP_3)
	v_cndmask_b32_e32 v0, v1, v24, vcc_lo
	v_cndmask_b32_e64 v3, v3, v21, s1
	v_dual_cndmask_b32 v48, v25, v13 :: v_dual_cndmask_b32 v47, v24, v12
	s_delay_alu instid0(VALU_DEP_3) | instskip(NEXT) | instid1(VALU_DEP_3)
	v_cndmask_b32_e64 v35, v0, v12, s3
	v_cndmask_b32_e64 v3, v3, v23, s2
	s_delay_alu instid0(VALU_DEP_1) | instskip(SKIP_1) | instid1(VALU_DEP_2)
	v_cndmask_b32_e32 v1, v3, v25, vcc_lo
	v_cndmask_b32_e64 v25, v2, v12, s5
	v_cndmask_b32_e64 v36, v1, v13, s3
	s_delay_alu instid0(VALU_DEP_2)
	v_mov_b32_e32 v2, v25
	v_dual_mov_b32 v3, v26 :: v_dual_mov_b32 v4, v27
	v_dual_mov_b32 v5, v28 :: v_dual_mov_b32 v6, v29
	;; [unrolled: 1-line block ×11, first 2 shown]
	v_mov_b32_e32 v25, v48
	v_mov_b32_e32 v26, v49
	;; [unrolled: 1-line block ×9, first 2 shown]
.LBB75_107:
	s_or_b32 exec_lo, exec_lo, s6
	v_dual_mov_b32 v0, s16 :: v_dual_mov_b32 v1, s17
	s_mov_b32 s6, exec_lo
	flat_load_b32 v0, v[0:1] offset:16
	s_waitcnt vmcnt(0) lgkmcnt(0)
	v_add_nc_u32_e32 v0, -1, v0
	s_delay_alu instid0(VALU_DEP_1)
	v_cmpx_ne_u32_e32 4, v0
	s_cbranch_execz .LBB75_109
; %bb.108:
	v_cmp_eq_u32_e32 vcc_lo, 1, v0
	v_cmp_eq_u32_e64 s0, 2, v0
	v_cmp_eq_u32_e64 s1, 3, v0
	;; [unrolled: 1-line block ×4, first 2 shown]
	v_dual_cndmask_b32 v1, v2, v4 :: v_dual_cndmask_b32 v26, v3, v5
	v_cmp_eq_u32_e64 s4, 6, v0
	v_cmp_eq_u32_e64 s5, 0, v0
	v_cndmask_b32_e64 v30, v7, v11, s0
	s_delay_alu instid0(VALU_DEP_4)
	v_cndmask_b32_e64 v1, v1, v6, s0
	v_cndmask_b32_e64 v26, v26, v7, s0
	;; [unrolled: 1-line block ×3, first 2 shown]
	v_cmp_eq_u32_e64 s0, 7, v0
	v_cndmask_b32_e32 v28, v5, v11, vcc_lo
	v_cndmask_b32_e64 v1, v1, v8, s1
	v_cndmask_b32_e64 v26, v26, v9, s1
	;; [unrolled: 1-line block ×4, first 2 shown]
	v_cmp_eq_u32_e64 s1, 9, v0
	v_cndmask_b32_e64 v1, v1, v10, s2
	v_cndmask_b32_e64 v26, v26, v11, s2
	;; [unrolled: 1-line block ×8, first 2 shown]
	v_cmp_eq_u32_e64 s3, 10, v0
	v_cndmask_b32_e64 v37, v14, v10, s4
	v_cndmask_b32_e64 v1, v1, v14, s4
	;; [unrolled: 1-line block ×3, first 2 shown]
	v_cndmask_b32_e32 v27, v4, v10, vcc_lo
	v_cmp_eq_u32_e32 vcc_lo, 8, v0
	v_cndmask_b32_e64 v40, v17, v11, s0
	v_cndmask_b32_e64 v1, v1, v16, s0
	v_cndmask_b32_e64 v3, v3, v17, s0
	v_cndmask_b32_e64 v39, v16, v10, s0
	v_cndmask_b32_e32 v41, v18, v10, vcc_lo
	v_cndmask_b32_e64 v44, v21, v11, s1
	v_dual_cndmask_b32 v1, v1, v18 :: v_dual_cndmask_b32 v42, v19, v11
	v_cndmask_b32_e64 v43, v20, v10, s1
	v_cndmask_b32_e64 v46, v23, v11, s3
	;; [unrolled: 1-line block ×3, first 2 shown]
	s_delay_alu instid0(VALU_DEP_4) | instskip(NEXT) | instid1(VALU_DEP_1)
	v_cndmask_b32_e64 v1, v1, v20, s1
	v_cndmask_b32_e64 v1, v1, v22, s3
	v_cndmask_b32_e32 v3, v3, v19, vcc_lo
	v_cmp_eq_u32_e32 vcc_lo, 11, v0
	s_delay_alu instid0(VALU_DEP_3) | instskip(NEXT) | instid1(VALU_DEP_3)
	v_cndmask_b32_e32 v0, v1, v24, vcc_lo
	v_cndmask_b32_e64 v3, v3, v21, s1
	v_dual_cndmask_b32 v48, v25, v11 :: v_dual_cndmask_b32 v47, v24, v10
	s_delay_alu instid0(VALU_DEP_3) | instskip(NEXT) | instid1(VALU_DEP_3)
	v_cndmask_b32_e64 v33, v0, v10, s2
	v_cndmask_b32_e64 v3, v3, v23, s3
	s_delay_alu instid0(VALU_DEP_1) | instskip(SKIP_1) | instid1(VALU_DEP_2)
	v_cndmask_b32_e32 v1, v3, v25, vcc_lo
	v_cndmask_b32_e64 v25, v2, v10, s5
	v_cndmask_b32_e64 v34, v1, v11, s2
	s_delay_alu instid0(VALU_DEP_2)
	v_mov_b32_e32 v2, v25
	v_dual_mov_b32 v3, v26 :: v_dual_mov_b32 v4, v27
	v_dual_mov_b32 v5, v28 :: v_dual_mov_b32 v6, v29
	v_dual_mov_b32 v7, v30 :: v_dual_mov_b32 v8, v31
	v_dual_mov_b32 v9, v32 :: v_dual_mov_b32 v10, v33
	v_dual_mov_b32 v11, v34 :: v_dual_mov_b32 v12, v35
	v_dual_mov_b32 v13, v36 :: v_dual_mov_b32 v14, v37
	v_dual_mov_b32 v15, v38 :: v_dual_mov_b32 v16, v39
	v_dual_mov_b32 v17, v40 :: v_dual_mov_b32 v18, v41
	v_dual_mov_b32 v19, v42 :: v_dual_mov_b32 v20, v43
	v_dual_mov_b32 v21, v44 :: v_dual_mov_b32 v22, v45
	v_dual_mov_b32 v23, v46 :: v_dual_mov_b32 v24, v47
	v_mov_b32_e32 v25, v48
	v_mov_b32_e32 v26, v49
	;; [unrolled: 1-line block ×9, first 2 shown]
.LBB75_109:
	s_or_b32 exec_lo, exec_lo, s6
	v_dual_mov_b32 v0, s16 :: v_dual_mov_b32 v1, s17
	s_mov_b32 s6, exec_lo
	flat_load_b32 v0, v[0:1] offset:12
	s_waitcnt vmcnt(0) lgkmcnt(0)
	v_add_nc_u32_e32 v0, -1, v0
	s_delay_alu instid0(VALU_DEP_1)
	v_cmpx_ne_u32_e32 3, v0
	s_cbranch_execz .LBB75_111
; %bb.110:
	v_cmp_eq_u32_e32 vcc_lo, 1, v0
	v_cmp_eq_u32_e64 s0, 2, v0
	v_cmp_eq_u32_e64 s1, 3, v0
	;; [unrolled: 1-line block ×4, first 2 shown]
	v_dual_cndmask_b32 v1, v2, v4 :: v_dual_cndmask_b32 v26, v3, v5
	v_cmp_eq_u32_e64 s4, 6, v0
	v_cmp_eq_u32_e64 s5, 0, v0
	v_cndmask_b32_e64 v30, v7, v9, s0
	s_delay_alu instid0(VALU_DEP_4)
	v_cndmask_b32_e64 v1, v1, v6, s0
	v_cndmask_b32_e64 v26, v26, v7, s0
	;; [unrolled: 1-line block ×3, first 2 shown]
	v_cmp_eq_u32_e64 s0, 7, v0
	v_cndmask_b32_e32 v28, v5, v9, vcc_lo
	v_cndmask_b32_e64 v1, v1, v8, s1
	v_cndmask_b32_e64 v26, v26, v9, s1
	;; [unrolled: 1-line block ×7, first 2 shown]
	v_cmp_eq_u32_e64 s2, 9, v0
	v_cndmask_b32_e64 v35, v12, v8, s3
	v_cndmask_b32_e64 v38, v15, v9, s4
	;; [unrolled: 1-line block ×5, first 2 shown]
	v_cmp_eq_u32_e64 s3, 10, v0
	v_cndmask_b32_e64 v37, v14, v8, s4
	v_cndmask_b32_e64 v1, v1, v14, s4
	;; [unrolled: 1-line block ×3, first 2 shown]
	v_cndmask_b32_e32 v27, v4, v8, vcc_lo
	v_cmp_eq_u32_e32 vcc_lo, 8, v0
	v_cndmask_b32_e64 v40, v17, v9, s0
	v_cndmask_b32_e64 v1, v1, v16, s0
	;; [unrolled: 1-line block ×4, first 2 shown]
	v_cndmask_b32_e32 v41, v18, v8, vcc_lo
	v_cndmask_b32_e64 v44, v21, v9, s2
	v_dual_cndmask_b32 v1, v1, v18 :: v_dual_cndmask_b32 v42, v19, v9
	v_cndmask_b32_e64 v43, v20, v8, s2
	v_cndmask_b32_e64 v46, v23, v9, s3
	v_cndmask_b32_e64 v45, v22, v8, s3
	s_delay_alu instid0(VALU_DEP_4) | instskip(NEXT) | instid1(VALU_DEP_1)
	v_cndmask_b32_e64 v1, v1, v20, s2
	v_cndmask_b32_e64 v1, v1, v22, s3
	v_cndmask_b32_e32 v3, v3, v19, vcc_lo
	v_cmp_eq_u32_e32 vcc_lo, 11, v0
	s_delay_alu instid0(VALU_DEP_3) | instskip(NEXT) | instid1(VALU_DEP_3)
	v_cndmask_b32_e32 v0, v1, v24, vcc_lo
	v_cndmask_b32_e64 v3, v3, v21, s2
	v_dual_cndmask_b32 v48, v25, v9 :: v_dual_cndmask_b32 v47, v24, v8
	s_delay_alu instid0(VALU_DEP_3) | instskip(NEXT) | instid1(VALU_DEP_3)
	v_cndmask_b32_e64 v31, v0, v8, s1
	v_cndmask_b32_e64 v3, v3, v23, s3
	s_delay_alu instid0(VALU_DEP_1) | instskip(SKIP_1) | instid1(VALU_DEP_2)
	v_cndmask_b32_e32 v1, v3, v25, vcc_lo
	v_cndmask_b32_e64 v25, v2, v8, s5
	v_cndmask_b32_e64 v32, v1, v9, s1
	s_delay_alu instid0(VALU_DEP_2)
	v_mov_b32_e32 v2, v25
	v_dual_mov_b32 v3, v26 :: v_dual_mov_b32 v4, v27
	v_dual_mov_b32 v5, v28 :: v_dual_mov_b32 v6, v29
	;; [unrolled: 1-line block ×11, first 2 shown]
	v_mov_b32_e32 v25, v48
	v_mov_b32_e32 v26, v49
	;; [unrolled: 1-line block ×9, first 2 shown]
.LBB75_111:
	s_or_b32 exec_lo, exec_lo, s6
	v_dual_mov_b32 v0, s16 :: v_dual_mov_b32 v1, s17
	s_mov_b32 s6, exec_lo
	flat_load_b32 v0, v[0:1] offset:8
	s_waitcnt vmcnt(0) lgkmcnt(0)
	v_add_nc_u32_e32 v0, -1, v0
	s_delay_alu instid0(VALU_DEP_1)
	v_cmpx_ne_u32_e32 2, v0
	s_cbranch_execz .LBB75_113
; %bb.112:
	v_cmp_eq_u32_e32 vcc_lo, 1, v0
	v_cmp_eq_u32_e64 s0, 2, v0
	v_cmp_eq_u32_e64 s1, 3, v0
	;; [unrolled: 1-line block ×4, first 2 shown]
	v_dual_cndmask_b32 v1, v2, v4 :: v_dual_cndmask_b32 v26, v3, v5
	v_cmp_eq_u32_e64 s4, 6, v0
	v_cmp_eq_u32_e64 s5, 0, v0
	v_dual_cndmask_b32 v28, v5, v7 :: v_dual_cndmask_b32 v27, v4, v6
	s_delay_alu instid0(VALU_DEP_4)
	v_cndmask_b32_e64 v1, v1, v6, s0
	v_cndmask_b32_e64 v26, v26, v7, s0
	v_cmp_eq_u32_e32 vcc_lo, 7, v0
	v_cndmask_b32_e64 v32, v9, v7, s1
	v_cndmask_b32_e64 v31, v8, v6, s1
	;; [unrolled: 1-line block ×5, first 2 shown]
	v_cmp_eq_u32_e64 s1, 8, v0
	v_cndmask_b32_e64 v33, v10, v6, s2
	v_cndmask_b32_e64 v1, v1, v10, s2
	;; [unrolled: 1-line block ×5, first 2 shown]
	v_cmp_eq_u32_e64 s2, 9, v0
	v_cndmask_b32_e64 v1, v1, v12, s3
	v_cndmask_b32_e64 v29, v26, v13, s3
	;; [unrolled: 1-line block ×3, first 2 shown]
	v_cmp_eq_u32_e64 s3, 10, v0
	v_cndmask_b32_e64 v38, v15, v7, s4
	v_cndmask_b32_e64 v1, v1, v14, s4
	v_cndmask_b32_e64 v3, v29, v15, s4
	v_cndmask_b32_e64 v37, v14, v6, s4
	v_dual_cndmask_b32 v39, v16, v6 :: v_dual_cndmask_b32 v40, v17, v7
	v_cndmask_b32_e64 v42, v19, v7, s1
	s_delay_alu instid0(VALU_DEP_4)
	v_cndmask_b32_e32 v3, v3, v17, vcc_lo
	v_cndmask_b32_e64 v41, v18, v6, s1
	v_cndmask_b32_e64 v44, v21, v7, s2
	;; [unrolled: 1-line block ×5, first 2 shown]
	v_cndmask_b32_e32 v1, v1, v16, vcc_lo
	v_cndmask_b32_e64 v3, v3, v19, s1
	v_cmp_eq_u32_e32 vcc_lo, 11, v0
	s_delay_alu instid0(VALU_DEP_3) | instskip(NEXT) | instid1(VALU_DEP_3)
	v_cndmask_b32_e64 v1, v1, v18, s1
	v_cndmask_b32_e64 v3, v3, v21, s2
	v_dual_cndmask_b32 v47, v24, v6 :: v_dual_cndmask_b32 v48, v25, v7
	s_delay_alu instid0(VALU_DEP_3) | instskip(NEXT) | instid1(VALU_DEP_3)
	v_cndmask_b32_e64 v1, v1, v20, s2
	v_cndmask_b32_e64 v3, v3, v23, s3
	s_delay_alu instid0(VALU_DEP_2) | instskip(NEXT) | instid1(VALU_DEP_1)
	v_cndmask_b32_e64 v1, v1, v22, s3
	v_dual_cndmask_b32 v0, v1, v24 :: v_dual_cndmask_b32 v1, v3, v25
	v_cndmask_b32_e64 v25, v2, v6, s5
	s_delay_alu instid0(VALU_DEP_2) | instskip(NEXT) | instid1(VALU_DEP_3)
	v_cndmask_b32_e64 v29, v0, v6, s0
	v_cndmask_b32_e64 v30, v1, v7, s0
	s_delay_alu instid0(VALU_DEP_3) | instskip(NEXT) | instid1(VALU_DEP_3)
	v_mov_b32_e32 v2, v25
	v_dual_mov_b32 v3, v26 :: v_dual_mov_b32 v6, v29
	v_dual_mov_b32 v4, v27 :: v_dual_mov_b32 v5, v28
	s_delay_alu instid0(VALU_DEP_4)
	v_dual_mov_b32 v8, v31 :: v_dual_mov_b32 v7, v30
	v_dual_mov_b32 v10, v33 :: v_dual_mov_b32 v9, v32
	v_dual_mov_b32 v12, v35 :: v_dual_mov_b32 v11, v34
	v_dual_mov_b32 v14, v37 :: v_dual_mov_b32 v13, v36
	v_dual_mov_b32 v16, v39 :: v_dual_mov_b32 v15, v38
	v_dual_mov_b32 v18, v41 :: v_dual_mov_b32 v17, v40
	v_dual_mov_b32 v20, v43 :: v_dual_mov_b32 v19, v42
	v_dual_mov_b32 v22, v45 :: v_dual_mov_b32 v21, v44
	v_dual_mov_b32 v24, v47 :: v_dual_mov_b32 v23, v46
	v_mov_b32_e32 v25, v48
	v_mov_b32_e32 v26, v49
	;; [unrolled: 1-line block ×9, first 2 shown]
.LBB75_113:
	s_or_b32 exec_lo, exec_lo, s6
	v_dual_mov_b32 v0, s16 :: v_dual_mov_b32 v1, s17
	s_mov_b32 s6, exec_lo
	flat_load_b32 v0, v[0:1] offset:4
	s_waitcnt vmcnt(0) lgkmcnt(0)
	v_add_nc_u32_e32 v0, -1, v0
	s_delay_alu instid0(VALU_DEP_1)
	v_cmpx_ne_u32_e32 1, v0
	s_cbranch_execz .LBB75_115
; %bb.114:
	v_cmp_eq_u32_e32 vcc_lo, 1, v0
	v_cmp_eq_u32_e64 s0, 2, v0
	v_cmp_eq_u32_e64 s1, 3, v0
	;; [unrolled: 1-line block ×4, first 2 shown]
	v_dual_cndmask_b32 v1, v2, v4 :: v_dual_cndmask_b32 v26, v3, v5
	v_cmp_eq_u32_e64 s4, 6, v0
	v_cmp_eq_u32_e64 s5, 0, v0
	v_cndmask_b32_e64 v30, v7, v5, s0
	s_delay_alu instid0(VALU_DEP_4)
	v_cndmask_b32_e64 v1, v1, v6, s0
	v_cndmask_b32_e64 v26, v26, v7, s0
	v_cndmask_b32_e64 v29, v6, v4, s0
	v_cmp_eq_u32_e64 s0, 7, v0
	v_cndmask_b32_e64 v32, v9, v5, s1
	v_cndmask_b32_e64 v1, v1, v8, s1
	v_cndmask_b32_e64 v26, v26, v9, s1
	v_cndmask_b32_e64 v31, v8, v4, s1
	v_cmp_eq_u32_e64 s1, 8, v0
	v_cndmask_b32_e64 v34, v11, v5, s2
	;; [unrolled: 5-line block ×3, first 2 shown]
	v_cndmask_b32_e64 v1, v1, v12, s3
	v_cndmask_b32_e64 v27, v26, v13, s3
	;; [unrolled: 1-line block ×4, first 2 shown]
	v_cmp_eq_u32_e64 s3, 10, v0
	v_cndmask_b32_e64 v1, v1, v14, s4
	v_cndmask_b32_e64 v3, v27, v15, s4
	;; [unrolled: 1-line block ×7, first 2 shown]
	v_cmp_eq_u32_e64 s0, 11, v0
	v_cndmask_b32_e64 v37, v14, v4, s4
	v_cndmask_b32_e64 v42, v19, v5, s1
	;; [unrolled: 1-line block ×15, first 2 shown]
	s_delay_alu instid0(VALU_DEP_3) | instskip(NEXT) | instid1(VALU_DEP_3)
	v_cndmask_b32_e64 v0, v1, v24, s0
	v_cndmask_b32_e64 v1, v3, v25, s0
	;; [unrolled: 1-line block ×3, first 2 shown]
	s_delay_alu instid0(VALU_DEP_2) | instskip(NEXT) | instid1(VALU_DEP_2)
	v_dual_cndmask_b32 v27, v0, v4 :: v_dual_cndmask_b32 v28, v1, v5
	v_mov_b32_e32 v2, v25
	s_delay_alu instid0(VALU_DEP_2) | instskip(NEXT) | instid1(VALU_DEP_3)
	v_dual_mov_b32 v3, v26 :: v_dual_mov_b32 v4, v27
	v_dual_mov_b32 v5, v28 :: v_dual_mov_b32 v6, v29
	;; [unrolled: 1-line block ×11, first 2 shown]
	v_mov_b32_e32 v25, v48
	v_mov_b32_e32 v26, v49
	;; [unrolled: 1-line block ×9, first 2 shown]
.LBB75_115:
	s_or_b32 exec_lo, exec_lo, s6
	v_dual_mov_b32 v0, s16 :: v_dual_mov_b32 v1, s17
	s_mov_b32 s5, exec_lo
	flat_load_b32 v0, v[0:1]
	s_waitcnt vmcnt(0) lgkmcnt(0)
	v_add_nc_u32_e32 v0, -1, v0
	s_delay_alu instid0(VALU_DEP_1)
	v_cmpx_ne_u32_e32 0, v0
	s_cbranch_execz .LBB75_117
; %bb.116:
	v_cmp_eq_u32_e32 vcc_lo, 1, v0
	v_cmp_eq_u32_e64 s0, 2, v0
	v_cmp_eq_u32_e64 s1, 3, v0
	;; [unrolled: 1-line block ×4, first 2 shown]
	v_dual_cndmask_b32 v1, v2, v4 :: v_dual_cndmask_b32 v26, v3, v5
	v_cmp_eq_u32_e64 s4, 6, v0
	v_cndmask_b32_e64 v28, v7, v3, s0
	v_cndmask_b32_e64 v27, v6, v2, s0
	s_delay_alu instid0(VALU_DEP_4)
	v_cndmask_b32_e64 v1, v1, v6, s0
	v_cndmask_b32_e64 v26, v26, v7, s0
	v_cmp_eq_u32_e64 s0, 7, v0
	v_cndmask_b32_e64 v30, v9, v3, s1
	v_cndmask_b32_e64 v32, v11, v3, s2
	;; [unrolled: 1-line block ×9, first 2 shown]
	v_cmp_eq_u32_e64 s2, 9, v0
	v_cndmask_b32_e64 v38, v17, v3, s0
	v_cndmask_b32_e64 v37, v16, v2, s0
	;; [unrolled: 1-line block ×4, first 2 shown]
	v_cndmask_b32_e32 v26, v5, v3, vcc_lo
	v_cmp_eq_u32_e64 s3, 10, v0
	v_cndmask_b32_e64 v36, v15, v3, s4
	v_cndmask_b32_e64 v1, v1, v14, s4
	;; [unrolled: 1-line block ×4, first 2 shown]
	v_cmp_eq_u32_e64 s1, 8, v0
	v_cndmask_b32_e64 v44, v23, v3, s3
	v_cndmask_b32_e64 v1, v1, v16, s0
	;; [unrolled: 1-line block ×3, first 2 shown]
	v_cmp_eq_u32_e64 s0, 11, v0
	v_cndmask_b32_e64 v40, v19, v3, s1
	v_cndmask_b32_e64 v39, v18, v2, s1
	;; [unrolled: 1-line block ×4, first 2 shown]
	v_cmp_eq_u32_e64 s1, 0, v0
	v_cndmask_b32_e64 v35, v14, v2, s4
	v_cndmask_b32_e64 v42, v21, v3, s2
	;; [unrolled: 1-line block ×10, first 2 shown]
	s_delay_alu instid0(VALU_DEP_3) | instskip(NEXT) | instid1(VALU_DEP_3)
	v_cndmask_b32_e64 v1, v1, v24, s0
	v_cndmask_b32_e64 v5, v5, v25, s0
	v_cndmask_b32_e32 v25, v4, v2, vcc_lo
	s_delay_alu instid0(VALU_DEP_3) | instskip(NEXT) | instid1(VALU_DEP_3)
	v_cndmask_b32_e64 v23, v1, v2, s1
	v_cndmask_b32_e64 v24, v5, v3, s1
	s_delay_alu instid0(VALU_DEP_2) | instskip(NEXT) | instid1(VALU_DEP_2)
	v_mov_b32_e32 v2, v23
	v_dual_mov_b32 v3, v24 :: v_dual_mov_b32 v4, v25
	v_dual_mov_b32 v5, v26 :: v_dual_mov_b32 v6, v27
	v_dual_mov_b32 v7, v28 :: v_dual_mov_b32 v8, v29
	v_dual_mov_b32 v9, v30 :: v_dual_mov_b32 v10, v31
	v_dual_mov_b32 v11, v32 :: v_dual_mov_b32 v12, v33
	v_dual_mov_b32 v13, v34 :: v_dual_mov_b32 v14, v35
	v_dual_mov_b32 v15, v36 :: v_dual_mov_b32 v16, v37
	v_dual_mov_b32 v17, v38 :: v_dual_mov_b32 v18, v39
	v_dual_mov_b32 v19, v40 :: v_dual_mov_b32 v20, v41
	v_dual_mov_b32 v21, v42 :: v_dual_mov_b32 v22, v43
	v_mov_b32_e32 v23, v44
	v_mov_b32_e32 v24, v45
	;; [unrolled: 1-line block ×11, first 2 shown]
.LBB75_117:
	s_or_b32 exec_lo, exec_lo, s5
.LBB75_118:
	s_delay_alu instid0(VALU_DEP_1)
	v_dual_mov_b32 v1, v3 :: v_dual_mov_b32 v0, v2
	v_dual_mov_b32 v3, v5 :: v_dual_mov_b32 v2, v4
	;; [unrolled: 1-line block ×3, first 2 shown]
	s_clause 0x1
	global_store_b64 v[56:57], v[0:1], off
	global_store_b64 v[60:61], v[2:3], off
	v_dual_mov_b32 v1, v7 :: v_dual_mov_b32 v0, v6
	v_dual_mov_b32 v3, v9 :: v_dual_mov_b32 v2, v8
	v_dual_mov_b32 v7, v13 :: v_dual_mov_b32 v6, v12
	v_dual_mov_b32 v9, v15 :: v_dual_mov_b32 v8, v14
	s_clause 0x4
	global_store_b64 v[58:59], v[0:1], off
	global_store_b64 v[62:63], v[2:3], off
	;; [unrolled: 1-line block ×5, first 2 shown]
	v_dual_mov_b32 v1, v17 :: v_dual_mov_b32 v0, v16
	v_dual_mov_b32 v3, v19 :: v_dual_mov_b32 v2, v18
	;; [unrolled: 1-line block ×5, first 2 shown]
	s_clause 0x4
	global_store_b64 v[68:69], v[0:1], off
	global_store_b64 v[72:73], v[2:3], off
	;; [unrolled: 1-line block ×5, first 2 shown]
	s_nop 0
	s_sendmsg sendmsg(MSG_DEALLOC_VGPRS)
	s_endpgm
	.section	.rodata,"a",@progbits
	.p2align	6, 0x0
	.amdhsa_kernel _ZN9rocsolver6v33100L18getri_kernel_smallILi12EdPKPdEEvT1_iilPiilS6_bb
		.amdhsa_group_segment_fixed_size 200
		.amdhsa_private_segment_fixed_size 0
		.amdhsa_kernarg_size 60
		.amdhsa_user_sgpr_count 15
		.amdhsa_user_sgpr_dispatch_ptr 0
		.amdhsa_user_sgpr_queue_ptr 0
		.amdhsa_user_sgpr_kernarg_segment_ptr 1
		.amdhsa_user_sgpr_dispatch_id 0
		.amdhsa_user_sgpr_private_segment_size 0
		.amdhsa_wavefront_size32 1
		.amdhsa_uses_dynamic_stack 0
		.amdhsa_enable_private_segment 0
		.amdhsa_system_sgpr_workgroup_id_x 1
		.amdhsa_system_sgpr_workgroup_id_y 0
		.amdhsa_system_sgpr_workgroup_id_z 0
		.amdhsa_system_sgpr_workgroup_info 0
		.amdhsa_system_vgpr_workitem_id 0
		.amdhsa_next_free_vgpr 82
		.amdhsa_next_free_sgpr 20
		.amdhsa_reserve_vcc 1
		.amdhsa_float_round_mode_32 0
		.amdhsa_float_round_mode_16_64 0
		.amdhsa_float_denorm_mode_32 3
		.amdhsa_float_denorm_mode_16_64 3
		.amdhsa_dx10_clamp 1
		.amdhsa_ieee_mode 1
		.amdhsa_fp16_overflow 0
		.amdhsa_workgroup_processor_mode 1
		.amdhsa_memory_ordered 1
		.amdhsa_forward_progress 0
		.amdhsa_shared_vgpr_count 0
		.amdhsa_exception_fp_ieee_invalid_op 0
		.amdhsa_exception_fp_denorm_src 0
		.amdhsa_exception_fp_ieee_div_zero 0
		.amdhsa_exception_fp_ieee_overflow 0
		.amdhsa_exception_fp_ieee_underflow 0
		.amdhsa_exception_fp_ieee_inexact 0
		.amdhsa_exception_int_div_zero 0
	.end_amdhsa_kernel
	.section	.text._ZN9rocsolver6v33100L18getri_kernel_smallILi12EdPKPdEEvT1_iilPiilS6_bb,"axG",@progbits,_ZN9rocsolver6v33100L18getri_kernel_smallILi12EdPKPdEEvT1_iilPiilS6_bb,comdat
.Lfunc_end75:
	.size	_ZN9rocsolver6v33100L18getri_kernel_smallILi12EdPKPdEEvT1_iilPiilS6_bb, .Lfunc_end75-_ZN9rocsolver6v33100L18getri_kernel_smallILi12EdPKPdEEvT1_iilPiilS6_bb
                                        ; -- End function
	.section	.AMDGPU.csdata,"",@progbits
; Kernel info:
; codeLenInByte = 19296
; NumSgprs: 22
; NumVgprs: 82
; ScratchSize: 0
; MemoryBound: 0
; FloatMode: 240
; IeeeMode: 1
; LDSByteSize: 200 bytes/workgroup (compile time only)
; SGPRBlocks: 2
; VGPRBlocks: 10
; NumSGPRsForWavesPerEU: 22
; NumVGPRsForWavesPerEU: 82
; Occupancy: 16
; WaveLimiterHint : 1
; COMPUTE_PGM_RSRC2:SCRATCH_EN: 0
; COMPUTE_PGM_RSRC2:USER_SGPR: 15
; COMPUTE_PGM_RSRC2:TRAP_HANDLER: 0
; COMPUTE_PGM_RSRC2:TGID_X_EN: 1
; COMPUTE_PGM_RSRC2:TGID_Y_EN: 0
; COMPUTE_PGM_RSRC2:TGID_Z_EN: 0
; COMPUTE_PGM_RSRC2:TIDIG_COMP_CNT: 0
	.section	.text._ZN9rocsolver6v33100L18getri_kernel_smallILi13EdPKPdEEvT1_iilPiilS6_bb,"axG",@progbits,_ZN9rocsolver6v33100L18getri_kernel_smallILi13EdPKPdEEvT1_iilPiilS6_bb,comdat
	.globl	_ZN9rocsolver6v33100L18getri_kernel_smallILi13EdPKPdEEvT1_iilPiilS6_bb ; -- Begin function _ZN9rocsolver6v33100L18getri_kernel_smallILi13EdPKPdEEvT1_iilPiilS6_bb
	.p2align	8
	.type	_ZN9rocsolver6v33100L18getri_kernel_smallILi13EdPKPdEEvT1_iilPiilS6_bb,@function
_ZN9rocsolver6v33100L18getri_kernel_smallILi13EdPKPdEEvT1_iilPiilS6_bb: ; @_ZN9rocsolver6v33100L18getri_kernel_smallILi13EdPKPdEEvT1_iilPiilS6_bb
; %bb.0:
	s_mov_b32 s2, exec_lo
	v_cmpx_gt_u32_e32 13, v0
	s_cbranch_execz .LBB76_16
; %bb.1:
	s_clause 0x1
	s_load_b32 s4, s[0:1], 0x38
	s_load_b64 s[2:3], s[0:1], 0x0
	s_mov_b32 s18, s15
                                        ; implicit-def: $sgpr16_sgpr17
	s_waitcnt lgkmcnt(0)
	s_bitcmp1_b32 s4, 8
	s_cselect_b32 s20, -1, 0
	s_ashr_i32 s19, s15, 31
	s_load_b128 s[12:15], s[0:1], 0x28
	s_lshl_b64 s[6:7], s[18:19], 3
	s_delay_alu instid0(SALU_CYCLE_1)
	s_add_u32 s2, s2, s6
	s_addc_u32 s3, s3, s7
	s_bfe_u32 s5, s4, 0x10008
	s_load_b64 s[2:3], s[2:3], 0x0
	s_cmp_eq_u32 s5, 0
	s_cbranch_scc1 .LBB76_3
; %bb.2:
	s_clause 0x1
	s_load_b32 s6, s[0:1], 0x20
	s_load_b64 s[8:9], s[0:1], 0x18
	s_waitcnt lgkmcnt(0)
	s_mul_i32 s5, s18, s13
	s_mul_hi_u32 s7, s18, s12
	s_mul_i32 s11, s19, s12
	s_add_i32 s5, s7, s5
	s_mul_i32 s10, s18, s12
	s_add_i32 s11, s5, s11
	s_delay_alu instid0(SALU_CYCLE_1) | instskip(SKIP_4) | instid1(SALU_CYCLE_1)
	s_lshl_b64 s[10:11], s[10:11], 2
	s_ashr_i32 s7, s6, 31
	s_add_u32 s5, s8, s10
	s_addc_u32 s8, s9, s11
	s_lshl_b64 s[6:7], s[6:7], 2
	s_add_u32 s16, s5, s6
	s_addc_u32 s17, s8, s7
.LBB76_3:
	s_load_b64 s[0:1], s[0:1], 0x8
	v_dual_mov_b32 v1, 0 :: v_dual_lshlrev_b32 v30, 3, v0
	s_waitcnt lgkmcnt(0)
	v_add3_u32 v4, s1, s1, v0
	s_ashr_i32 s7, s0, 31
	s_mov_b32 s6, s0
	s_mov_b32 s8, s1
	s_lshl_b64 s[6:7], s[6:7], 3
	v_add_nc_u32_e32 v6, s1, v4
	v_ashrrev_i32_e32 v5, 31, v4
	s_add_u32 s2, s2, s6
	s_addc_u32 s3, s3, s7
	v_add_co_u32 v60, s0, s2, v30
	v_add_nc_u32_e32 v8, s1, v6
	s_ashr_i32 s9, s1, 31
	v_add_co_ci_u32_e64 v61, null, s3, 0, s0
	v_lshlrev_b64 v[4:5], 3, v[4:5]
	s_lshl_b64 s[6:7], s[8:9], 3
	v_ashrrev_i32_e32 v9, 31, v8
	v_add_co_u32 v62, vcc_lo, v60, s6
	v_add_nc_u32_e32 v10, s1, v8
	v_ashrrev_i32_e32 v7, 31, v6
	v_add_co_ci_u32_e32 v63, vcc_lo, s7, v61, vcc_lo
	v_add_co_u32 v66, vcc_lo, s2, v4
	v_add_co_ci_u32_e32 v67, vcc_lo, s3, v5, vcc_lo
	v_lshlrev_b64 v[4:5], 3, v[8:9]
	v_add_nc_u32_e32 v8, s1, v10
	v_lshlrev_b64 v[6:7], 3, v[6:7]
	v_ashrrev_i32_e32 v11, 31, v10
	global_load_b64 v[2:3], v30, s[2:3]
	s_bitcmp0_b32 s4, 0
	v_add_nc_u32_e32 v14, s1, v8
	v_ashrrev_i32_e32 v9, 31, v8
	v_add_co_u32 v64, vcc_lo, s2, v6
	v_lshlrev_b64 v[12:13], 3, v[10:11]
	v_add_co_ci_u32_e32 v65, vcc_lo, s3, v7, vcc_lo
	v_add_co_u32 v68, vcc_lo, s2, v4
	v_ashrrev_i32_e32 v15, 31, v14
	v_add_nc_u32_e32 v18, s1, v14
	v_add_co_ci_u32_e32 v69, vcc_lo, s3, v5, vcc_lo
	v_lshlrev_b64 v[16:17], 3, v[8:9]
	v_add_co_u32 v70, vcc_lo, s2, v12
	v_add_co_ci_u32_e32 v71, vcc_lo, s3, v13, vcc_lo
	v_lshlrev_b64 v[12:13], 3, v[14:15]
	v_ashrrev_i32_e32 v19, 31, v18
	v_add_nc_u32_e32 v14, s1, v18
	v_add_co_u32 v72, vcc_lo, s2, v16
	v_add_co_ci_u32_e32 v73, vcc_lo, s3, v17, vcc_lo
	s_delay_alu instid0(VALU_DEP_4) | instskip(NEXT) | instid1(VALU_DEP_4)
	v_lshlrev_b64 v[16:17], 3, v[18:19]
	v_ashrrev_i32_e32 v15, 31, v14
	v_add_nc_u32_e32 v18, s1, v14
	v_add_co_u32 v76, vcc_lo, s2, v12
	v_add_co_ci_u32_e32 v77, vcc_lo, s3, v13, vcc_lo
	s_delay_alu instid0(VALU_DEP_4) | instskip(NEXT) | instid1(VALU_DEP_4)
	;; [unrolled: 6-line block ×3, first 2 shown]
	v_lshlrev_b64 v[16:17], 3, v[18:19]
	v_add_nc_u32_e32 v18, s1, v14
	v_ashrrev_i32_e32 v15, 31, v14
	v_add_co_u32 v78, vcc_lo, s2, v12
	v_add_co_ci_u32_e32 v79, vcc_lo, s3, v13, vcc_lo
	s_delay_alu instid0(VALU_DEP_4) | instskip(NEXT) | instid1(VALU_DEP_4)
	v_ashrrev_i32_e32 v19, 31, v18
	v_lshlrev_b64 v[12:13], 3, v[14:15]
	v_add_co_u32 v80, vcc_lo, s2, v16
	v_add_co_ci_u32_e32 v81, vcc_lo, s3, v17, vcc_lo
	s_delay_alu instid0(VALU_DEP_4) | instskip(NEXT) | instid1(VALU_DEP_4)
	v_lshlrev_b64 v[14:15], 3, v[18:19]
	v_add_co_u32 v84, vcc_lo, s2, v12
	v_add_co_ci_u32_e32 v85, vcc_lo, s3, v13, vcc_lo
	s_clause 0x3
	global_load_b64 v[4:5], v[62:63], off
	global_load_b64 v[6:7], v[66:67], off
	;; [unrolled: 1-line block ×4, first 2 shown]
	v_add_co_u32 v82, vcc_lo, s2, v14
	v_add_co_ci_u32_e32 v83, vcc_lo, s3, v15, vcc_lo
	s_clause 0x7
	global_load_b64 v[12:13], v[70:71], off
	global_load_b64 v[14:15], v[72:73], off
	;; [unrolled: 1-line block ×8, first 2 shown]
	s_mov_b32 s0, -1
	s_cbranch_scc1 .LBB76_14
; %bb.4:
	v_cmp_eq_u32_e64 s0, 0, v0
	s_delay_alu instid0(VALU_DEP_1)
	s_and_saveexec_b32 s1, s0
	s_cbranch_execz .LBB76_6
; %bb.5:
	v_mov_b32_e32 v28, 0
	ds_store_b32 v28, v28 offset:104
.LBB76_6:
	s_or_b32 exec_lo, exec_lo, s1
	v_cmp_eq_u32_e32 vcc_lo, 1, v0
	s_mov_b32 s2, exec_lo
	s_waitcnt vmcnt(0) lgkmcnt(0)
	s_barrier
	buffer_gl0_inv
	v_dual_cndmask_b32 v28, v3, v5 :: v_dual_cndmask_b32 v29, v2, v4
	v_cmp_eq_u32_e32 vcc_lo, 2, v0
	s_delay_alu instid0(VALU_DEP_2) | instskip(SKIP_1) | instid1(VALU_DEP_2)
	v_dual_cndmask_b32 v28, v28, v7 :: v_dual_cndmask_b32 v29, v29, v6
	v_cmp_eq_u32_e32 vcc_lo, 3, v0
	v_dual_cndmask_b32 v28, v28, v9 :: v_dual_cndmask_b32 v29, v29, v8
	v_cmp_eq_u32_e32 vcc_lo, 4, v0
	s_delay_alu instid0(VALU_DEP_2) | instskip(SKIP_1) | instid1(VALU_DEP_2)
	v_dual_cndmask_b32 v28, v28, v11 :: v_dual_cndmask_b32 v29, v29, v10
	v_cmp_eq_u32_e32 vcc_lo, 5, v0
	;; [unrolled: 5-line block ×5, first 2 shown]
	v_dual_cndmask_b32 v28, v28, v25 :: v_dual_cndmask_b32 v31, v29, v24
	v_cmp_eq_u32_e32 vcc_lo, 12, v0
	s_delay_alu instid0(VALU_DEP_2) | instskip(NEXT) | instid1(VALU_DEP_1)
	v_dual_cndmask_b32 v29, v28, v27 :: v_dual_cndmask_b32 v28, v31, v26
	v_cmpx_eq_f64_e32 0, v[28:29]
	s_cbranch_execz .LBB76_10
; %bb.7:
	v_mov_b32_e32 v31, 0
	s_mov_b32 s3, 0
	ds_load_b32 v32, v31 offset:104
	s_waitcnt lgkmcnt(0)
	v_readfirstlane_b32 s1, v32
	v_add_nc_u32_e32 v32, 1, v0
	s_delay_alu instid0(VALU_DEP_2) | instskip(NEXT) | instid1(VALU_DEP_1)
	s_cmp_eq_u32 s1, 0
	v_cmp_gt_i32_e32 vcc_lo, s1, v32
	s_cselect_b32 s4, -1, 0
	s_delay_alu instid0(SALU_CYCLE_1) | instskip(NEXT) | instid1(SALU_CYCLE_1)
	s_or_b32 s4, s4, vcc_lo
	s_and_b32 exec_lo, exec_lo, s4
	s_cbranch_execz .LBB76_10
; %bb.8:
	v_mov_b32_e32 v33, s1
.LBB76_9:                               ; =>This Inner Loop Header: Depth=1
	ds_cmpstore_rtn_b32 v33, v31, v32, v33 offset:104
	s_waitcnt lgkmcnt(0)
	v_cmp_ne_u32_e32 vcc_lo, 0, v33
	v_cmp_le_i32_e64 s1, v33, v32
	s_delay_alu instid0(VALU_DEP_1) | instskip(NEXT) | instid1(SALU_CYCLE_1)
	s_and_b32 s1, vcc_lo, s1
	s_and_b32 s1, exec_lo, s1
	s_delay_alu instid0(SALU_CYCLE_1) | instskip(NEXT) | instid1(SALU_CYCLE_1)
	s_or_b32 s3, s1, s3
	s_and_not1_b32 exec_lo, exec_lo, s3
	s_cbranch_execnz .LBB76_9
.LBB76_10:
	s_or_b32 exec_lo, exec_lo, s2
	v_mov_b32_e32 v31, 0
	s_barrier
	buffer_gl0_inv
	ds_load_b32 v32, v31 offset:104
	s_and_saveexec_b32 s1, s0
	s_cbranch_execz .LBB76_12
; %bb.11:
	s_lshl_b64 s[2:3], s[18:19], 2
	s_delay_alu instid0(SALU_CYCLE_1)
	s_add_u32 s2, s14, s2
	s_addc_u32 s3, s15, s3
	s_waitcnt lgkmcnt(0)
	global_store_b32 v31, v32, s[2:3]
.LBB76_12:
	s_or_b32 exec_lo, exec_lo, s1
	s_waitcnt lgkmcnt(0)
	v_cmp_ne_u32_e32 vcc_lo, 0, v32
	s_cbranch_vccz .LBB76_17
; %bb.13:
	s_mov_b32 s0, 0
                                        ; implicit-def: $vgpr2_vgpr3_vgpr4_vgpr5_vgpr6_vgpr7_vgpr8_vgpr9_vgpr10_vgpr11_vgpr12_vgpr13_vgpr14_vgpr15_vgpr16_vgpr17_vgpr18_vgpr19_vgpr20_vgpr21_vgpr22_vgpr23_vgpr24_vgpr25_vgpr26_vgpr27_vgpr28_vgpr29_vgpr30_vgpr31_vgpr32_vgpr33
.LBB76_14:
	s_delay_alu instid0(SALU_CYCLE_1)
	s_and_b32 vcc_lo, exec_lo, s0
	s_cbranch_vccz .LBB76_16
.LBB76_15:
	s_lshl_b64 s[0:1], s[18:19], 2
	v_mov_b32_e32 v1, 0
	s_add_u32 s0, s14, s0
	s_addc_u32 s1, s15, s1
	global_load_b32 v1, v1, s[0:1]
	s_waitcnt vmcnt(0)
	v_cmp_ne_u32_e32 vcc_lo, 0, v1
	s_cbranch_vccz .LBB76_76
.LBB76_16:
	s_nop 0
	s_sendmsg sendmsg(MSG_DEALLOC_VGPRS)
	s_endpgm
.LBB76_17:
	v_div_scale_f64 v[31:32], null, v[28:29], v[28:29], 1.0
	v_div_scale_f64 v[37:38], vcc_lo, 1.0, v[28:29], 1.0
	v_cmp_eq_u32_e64 s1, 10, v0
	v_cmp_eq_u32_e64 s2, 9, v0
	;; [unrolled: 1-line block ×11, first 2 shown]
	v_rcp_f64_e32 v[33:34], v[31:32]
	s_waitcnt_depctr 0xfff
	v_fma_f64 v[35:36], -v[31:32], v[33:34], 1.0
	s_delay_alu instid0(VALU_DEP_1) | instskip(NEXT) | instid1(VALU_DEP_1)
	v_fma_f64 v[33:34], v[33:34], v[35:36], v[33:34]
	v_fma_f64 v[35:36], -v[31:32], v[33:34], 1.0
	s_delay_alu instid0(VALU_DEP_1) | instskip(NEXT) | instid1(VALU_DEP_1)
	v_fma_f64 v[33:34], v[33:34], v[35:36], v[33:34]
	v_mul_f64 v[35:36], v[37:38], v[33:34]
	s_delay_alu instid0(VALU_DEP_1) | instskip(NEXT) | instid1(VALU_DEP_1)
	v_fma_f64 v[31:32], -v[31:32], v[35:36], v[37:38]
	v_div_fmas_f64 v[31:32], v[31:32], v[33:34], v[35:36]
	v_cmp_eq_u32_e32 vcc_lo, 11, v0
	s_delay_alu instid0(VALU_DEP_2) | instskip(NEXT) | instid1(VALU_DEP_1)
	v_div_fixup_f64 v[28:29], v[31:32], v[28:29], 1.0
	v_dual_cndmask_b32 v25, v25, v29 :: v_dual_add_nc_u32 v32, 0x70, v30
	s_delay_alu instid0(VALU_DEP_2)
	v_cndmask_b32_e32 v24, v24, v28, vcc_lo
	v_cmp_eq_u32_e32 vcc_lo, 2, v0
	v_cndmask_b32_e64 v27, v27, v29, s8
	v_cndmask_b32_e64 v26, v26, v28, s8
	;; [unrolled: 1-line block ×4, first 2 shown]
	v_cndmask_b32_e32 v7, v7, v29, vcc_lo
	v_cndmask_b32_e64 v21, v21, v29, s2
	v_cndmask_b32_e64 v20, v20, v28, s2
	v_cndmask_b32_e64 v19, v19, v29, s3
	v_cndmask_b32_e64 v18, v18, v28, s3
	v_cndmask_b32_e64 v17, v17, v29, s4
	v_cndmask_b32_e64 v16, v16, v28, s4
	v_cndmask_b32_e64 v15, v15, v29, s5
	v_cndmask_b32_e64 v14, v14, v28, s5
	v_cndmask_b32_e64 v13, v13, v29, s6
	v_cndmask_b32_e64 v12, v12, v28, s6
	v_cndmask_b32_e64 v11, v11, v29, s7
	v_cndmask_b32_e64 v10, v10, v28, s7
	v_cndmask_b32_e64 v9, v9, v29, s9
	v_cndmask_b32_e64 v8, v8, v28, s9
	v_cndmask_b32_e64 v5, v5, v29, s10
	v_cndmask_b32_e64 v4, v4, v28, s10
	v_xor_b32_e32 v34, 0x80000000, v29
	v_dual_mov_b32 v33, v28 :: v_dual_cndmask_b32 v6, v6, v28
	v_cndmask_b32_e64 v3, v3, v29, s11
	v_cndmask_b32_e64 v2, v2, v28, s11
	ds_store_2addr_b64 v30, v[33:34], v[4:5] offset1:14
	s_waitcnt lgkmcnt(0)
	s_waitcnt_vscnt null, 0x0
	s_barrier
	buffer_gl0_inv
	s_and_saveexec_b32 s1, s0
	s_cbranch_execz .LBB76_19
; %bb.18:
	ds_load_b64 v[4:5], v32
	v_mov_b32_e32 v30, 0
	ds_load_b64 v[30:31], v30 offset:8
	s_waitcnt lgkmcnt(1)
	v_fma_f64 v[4:5], v[28:29], v[4:5], 0
	s_waitcnt lgkmcnt(0)
	s_delay_alu instid0(VALU_DEP_1)
	v_mul_f64 v[4:5], v[4:5], v[30:31]
.LBB76_19:
	s_or_b32 exec_lo, exec_lo, s1
	v_cmp_gt_u32_e32 vcc_lo, 2, v0
	s_barrier
	buffer_gl0_inv
	ds_store_b64 v32, v[6:7]
	s_waitcnt lgkmcnt(0)
	s_barrier
	buffer_gl0_inv
	s_and_saveexec_b32 s2, vcc_lo
	s_cbranch_execz .LBB76_23
; %bb.20:
	v_cmp_eq_u32_e64 s1, 1, v0
	s_delay_alu instid0(VALU_DEP_1) | instskip(SKIP_2) | instid1(VALU_DEP_1)
	v_cndmask_b32_e64 v28, v3, v5, s1
	v_cndmask_b32_e64 v29, v2, v4, s1
	v_cmp_eq_u32_e64 s1, 2, v0
	v_cndmask_b32_e64 v7, v28, v7, s1
	s_delay_alu instid0(VALU_DEP_3) | instskip(SKIP_1) | instid1(VALU_DEP_1)
	v_cndmask_b32_e64 v6, v29, v6, s1
	v_cmp_eq_u32_e64 s1, 3, v0
	v_cndmask_b32_e64 v7, v7, v9, s1
	s_delay_alu instid0(VALU_DEP_3) | instskip(SKIP_1) | instid1(VALU_DEP_1)
	;; [unrolled: 4-line block ×7, first 2 shown]
	v_cndmask_b32_e64 v6, v6, v18, s1
	v_cmp_eq_u32_e64 s1, 9, v0
	v_cndmask_b32_e64 v28, v7, v21, s1
	s_delay_alu instid0(VALU_DEP_3)
	v_cndmask_b32_e64 v29, v6, v20, s1
	v_cmp_eq_u32_e64 s1, 10, v0
	ds_load_b64 v[6:7], v32
	v_cndmask_b32_e64 v28, v28, v23, s1
	v_cndmask_b32_e64 v29, v29, v22, s1
	v_cmp_eq_u32_e64 s1, 11, v0
	s_delay_alu instid0(VALU_DEP_1) | instskip(NEXT) | instid1(VALU_DEP_3)
	v_cndmask_b32_e64 v28, v28, v25, s1
	v_cndmask_b32_e64 v30, v29, v24, s1
	v_cmp_eq_u32_e64 s1, 12, v0
	s_delay_alu instid0(VALU_DEP_1) | instskip(NEXT) | instid1(VALU_DEP_3)
	v_cndmask_b32_e64 v29, v28, v27, s1
	v_cndmask_b32_e64 v28, v30, v26, s1
	s_waitcnt lgkmcnt(0)
	s_delay_alu instid0(VALU_DEP_1)
	v_fma_f64 v[6:7], v[28:29], v[6:7], 0
	s_and_saveexec_b32 s1, s0
	s_cbranch_execz .LBB76_22
; %bb.21:
	v_mov_b32_e32 v28, 0
	ds_load_b64 v[28:29], v28 offset:120
	s_waitcnt lgkmcnt(0)
	v_fma_f64 v[6:7], v[4:5], v[28:29], v[6:7]
.LBB76_22:
	s_or_b32 exec_lo, exec_lo, s1
	v_mov_b32_e32 v28, 0
	ds_load_b64 v[28:29], v28 offset:16
	s_waitcnt lgkmcnt(0)
	v_mul_f64 v[6:7], v[6:7], v[28:29]
.LBB76_23:
	s_or_b32 exec_lo, exec_lo, s2
	s_delay_alu instid0(SALU_CYCLE_1)
	s_mov_b32 s3, exec_lo
	s_barrier
	buffer_gl0_inv
	ds_store_b64 v32, v[8:9]
	s_waitcnt lgkmcnt(0)
	s_barrier
	buffer_gl0_inv
	v_cmpx_gt_u32_e32 3, v0
	s_cbranch_execz .LBB76_27
; %bb.24:
	v_dual_mov_b32 v28, 0 :: v_dual_mov_b32 v31, v1
	v_lshl_add_u32 v33, v0, 3, 0x70
	v_dual_mov_b32 v29, 0 :: v_dual_mov_b32 v30, v0
	s_mov_b32 s4, 0
.LBB76_25:                              ; =>This Inner Loop Header: Depth=1
	s_delay_alu instid0(VALU_DEP_1) | instskip(SKIP_1) | instid1(VALU_DEP_2)
	v_cmp_eq_u32_e64 s1, 1, v30
	v_cmp_eq_u32_e64 s2, 2, v30
	v_cndmask_b32_e64 v34, v3, v5, s1
	v_cndmask_b32_e64 v35, v2, v4, s1
	v_cmp_eq_u32_e64 s1, 3, v30
	s_delay_alu instid0(VALU_DEP_3) | instskip(NEXT) | instid1(VALU_DEP_3)
	v_cndmask_b32_e64 v34, v34, v7, s2
	v_cndmask_b32_e64 v35, v35, v6, s2
	v_cmp_eq_u32_e64 s2, 4, v30
	s_delay_alu instid0(VALU_DEP_3) | instskip(NEXT) | instid1(VALU_DEP_3)
	v_cndmask_b32_e64 v34, v34, v9, s1
	v_cndmask_b32_e64 v35, v35, v8, s1
	v_cmp_eq_u32_e64 s1, 5, v30
	s_delay_alu instid0(VALU_DEP_3) | instskip(NEXT) | instid1(VALU_DEP_3)
	v_cndmask_b32_e64 v34, v34, v11, s2
	v_cndmask_b32_e64 v35, v35, v10, s2
	v_cmp_eq_u32_e64 s2, 6, v30
	s_delay_alu instid0(VALU_DEP_3) | instskip(NEXT) | instid1(VALU_DEP_3)
	v_cndmask_b32_e64 v34, v34, v13, s1
	v_cndmask_b32_e64 v35, v35, v12, s1
	v_cmp_eq_u32_e64 s1, 7, v30
	s_delay_alu instid0(VALU_DEP_3) | instskip(NEXT) | instid1(VALU_DEP_3)
	v_cndmask_b32_e64 v34, v34, v15, s2
	v_cndmask_b32_e64 v35, v35, v14, s2
	v_cmp_eq_u32_e64 s2, 8, v30
	s_delay_alu instid0(VALU_DEP_3) | instskip(NEXT) | instid1(VALU_DEP_3)
	v_cndmask_b32_e64 v34, v34, v17, s1
	v_cndmask_b32_e64 v35, v35, v16, s1
	v_cmp_eq_u32_e64 s1, 9, v30
	s_delay_alu instid0(VALU_DEP_3) | instskip(NEXT) | instid1(VALU_DEP_3)
	v_cndmask_b32_e64 v36, v34, v19, s2
	v_cndmask_b32_e64 v37, v35, v18, s2
	ds_load_b64 v[34:35], v33
	v_cmp_eq_u32_e64 s2, 10, v30
	v_add_nc_u32_e32 v33, 8, v33
	v_cndmask_b32_e64 v36, v36, v21, s1
	v_cndmask_b32_e64 v37, v37, v20, s1
	v_cmp_eq_u32_e64 s1, 11, v30
	s_delay_alu instid0(VALU_DEP_3) | instskip(NEXT) | instid1(VALU_DEP_3)
	v_cndmask_b32_e64 v36, v36, v23, s2
	v_cndmask_b32_e64 v37, v37, v22, s2
	v_cmp_eq_u32_e64 s2, 12, v30
	s_delay_alu instid0(VALU_DEP_3) | instskip(NEXT) | instid1(VALU_DEP_3)
	v_cndmask_b32_e64 v36, v36, v25, s1
	v_cndmask_b32_e64 v38, v37, v24, s1
	v_add_co_u32 v30, s1, v30, 1
	s_delay_alu instid0(VALU_DEP_1) | instskip(NEXT) | instid1(VALU_DEP_4)
	v_add_co_ci_u32_e64 v31, s1, 0, v31, s1
	v_cndmask_b32_e64 v37, v36, v27, s2
	s_delay_alu instid0(VALU_DEP_4) | instskip(SKIP_1) | instid1(VALU_DEP_1)
	v_cndmask_b32_e64 v36, v38, v26, s2
	s_waitcnt lgkmcnt(0)
	v_fma_f64 v[28:29], v[36:37], v[34:35], v[28:29]
	v_add_nc_u32_e32 v34, -1, v30
	s_delay_alu instid0(VALU_DEP_1) | instskip(NEXT) | instid1(VALU_DEP_1)
	v_cmp_lt_u32_e64 s1, 1, v34
	s_or_b32 s4, s1, s4
	s_delay_alu instid0(SALU_CYCLE_1)
	s_and_not1_b32 exec_lo, exec_lo, s4
	s_cbranch_execnz .LBB76_25
; %bb.26:
	s_or_b32 exec_lo, exec_lo, s4
	v_mov_b32_e32 v8, 0
	ds_load_b64 v[8:9], v8 offset:24
	s_waitcnt lgkmcnt(0)
	v_mul_f64 v[8:9], v[28:29], v[8:9]
.LBB76_27:
	s_or_b32 exec_lo, exec_lo, s3
	v_cmp_gt_u32_e64 s1, 4, v0
	s_barrier
	buffer_gl0_inv
	ds_store_b64 v32, v[10:11]
	s_waitcnt lgkmcnt(0)
	s_barrier
	buffer_gl0_inv
	s_and_saveexec_b32 s4, s1
	s_cbranch_execz .LBB76_31
; %bb.28:
	v_dual_mov_b32 v28, 0 :: v_dual_mov_b32 v31, v1
	v_lshl_add_u32 v33, v0, 3, 0x70
	v_dual_mov_b32 v29, 0 :: v_dual_mov_b32 v30, v0
	s_mov_b32 s5, 0
.LBB76_29:                              ; =>This Inner Loop Header: Depth=1
	s_delay_alu instid0(VALU_DEP_1) | instskip(SKIP_1) | instid1(VALU_DEP_2)
	v_cmp_eq_u32_e64 s2, 1, v30
	v_cmp_eq_u32_e64 s3, 2, v30
	v_cndmask_b32_e64 v34, v3, v5, s2
	v_cndmask_b32_e64 v35, v2, v4, s2
	v_cmp_eq_u32_e64 s2, 3, v30
	s_delay_alu instid0(VALU_DEP_3) | instskip(NEXT) | instid1(VALU_DEP_3)
	v_cndmask_b32_e64 v34, v34, v7, s3
	v_cndmask_b32_e64 v35, v35, v6, s3
	v_cmp_eq_u32_e64 s3, 4, v30
	s_delay_alu instid0(VALU_DEP_3) | instskip(NEXT) | instid1(VALU_DEP_3)
	;; [unrolled: 4-line block ×7, first 2 shown]
	v_cndmask_b32_e64 v36, v34, v19, s3
	v_cndmask_b32_e64 v37, v35, v18, s3
	ds_load_b64 v[34:35], v33
	v_cmp_eq_u32_e64 s3, 10, v30
	v_add_nc_u32_e32 v33, 8, v33
	v_cndmask_b32_e64 v36, v36, v21, s2
	v_cndmask_b32_e64 v37, v37, v20, s2
	v_cmp_eq_u32_e64 s2, 11, v30
	s_delay_alu instid0(VALU_DEP_3) | instskip(NEXT) | instid1(VALU_DEP_3)
	v_cndmask_b32_e64 v36, v36, v23, s3
	v_cndmask_b32_e64 v37, v37, v22, s3
	v_cmp_eq_u32_e64 s3, 12, v30
	s_delay_alu instid0(VALU_DEP_3) | instskip(NEXT) | instid1(VALU_DEP_3)
	v_cndmask_b32_e64 v36, v36, v25, s2
	v_cndmask_b32_e64 v38, v37, v24, s2
	v_add_co_u32 v30, s2, v30, 1
	s_delay_alu instid0(VALU_DEP_1) | instskip(NEXT) | instid1(VALU_DEP_4)
	v_add_co_ci_u32_e64 v31, s2, 0, v31, s2
	v_cndmask_b32_e64 v37, v36, v27, s3
	s_delay_alu instid0(VALU_DEP_4) | instskip(SKIP_1) | instid1(VALU_DEP_1)
	v_cndmask_b32_e64 v36, v38, v26, s3
	s_waitcnt lgkmcnt(0)
	v_fma_f64 v[28:29], v[36:37], v[34:35], v[28:29]
	v_add_nc_u32_e32 v34, -1, v30
	s_delay_alu instid0(VALU_DEP_1) | instskip(NEXT) | instid1(VALU_DEP_1)
	v_cmp_lt_u32_e64 s2, 2, v34
	s_or_b32 s5, s2, s5
	s_delay_alu instid0(SALU_CYCLE_1)
	s_and_not1_b32 exec_lo, exec_lo, s5
	s_cbranch_execnz .LBB76_29
; %bb.30:
	s_or_b32 exec_lo, exec_lo, s5
	v_mov_b32_e32 v10, 0
	ds_load_b64 v[10:11], v10 offset:32
	s_waitcnt lgkmcnt(0)
	v_mul_f64 v[10:11], v[28:29], v[10:11]
.LBB76_31:
	s_or_b32 exec_lo, exec_lo, s4
	s_delay_alu instid0(SALU_CYCLE_1)
	s_mov_b32 s4, exec_lo
	s_barrier
	buffer_gl0_inv
	ds_store_b64 v32, v[12:13]
	s_waitcnt lgkmcnt(0)
	s_barrier
	buffer_gl0_inv
	v_cmpx_gt_u32_e32 5, v0
	s_cbranch_execz .LBB76_35
; %bb.32:
	v_dual_mov_b32 v28, 0 :: v_dual_mov_b32 v31, v1
	v_lshl_add_u32 v33, v0, 3, 0x70
	v_dual_mov_b32 v29, 0 :: v_dual_mov_b32 v30, v0
	s_mov_b32 s5, 0
.LBB76_33:                              ; =>This Inner Loop Header: Depth=1
	s_delay_alu instid0(VALU_DEP_1) | instskip(SKIP_1) | instid1(VALU_DEP_2)
	v_cmp_eq_u32_e64 s2, 1, v30
	v_cmp_eq_u32_e64 s3, 2, v30
	v_cndmask_b32_e64 v34, v3, v5, s2
	v_cndmask_b32_e64 v35, v2, v4, s2
	v_cmp_eq_u32_e64 s2, 3, v30
	s_delay_alu instid0(VALU_DEP_3) | instskip(NEXT) | instid1(VALU_DEP_3)
	v_cndmask_b32_e64 v34, v34, v7, s3
	v_cndmask_b32_e64 v35, v35, v6, s3
	v_cmp_eq_u32_e64 s3, 4, v30
	s_delay_alu instid0(VALU_DEP_3) | instskip(NEXT) | instid1(VALU_DEP_3)
	;; [unrolled: 4-line block ×7, first 2 shown]
	v_cndmask_b32_e64 v36, v34, v19, s3
	v_cndmask_b32_e64 v37, v35, v18, s3
	ds_load_b64 v[34:35], v33
	v_cmp_eq_u32_e64 s3, 10, v30
	v_add_nc_u32_e32 v33, 8, v33
	v_cndmask_b32_e64 v36, v36, v21, s2
	v_cndmask_b32_e64 v37, v37, v20, s2
	v_cmp_eq_u32_e64 s2, 11, v30
	s_delay_alu instid0(VALU_DEP_3) | instskip(NEXT) | instid1(VALU_DEP_3)
	v_cndmask_b32_e64 v36, v36, v23, s3
	v_cndmask_b32_e64 v37, v37, v22, s3
	v_cmp_eq_u32_e64 s3, 12, v30
	s_delay_alu instid0(VALU_DEP_3) | instskip(NEXT) | instid1(VALU_DEP_3)
	v_cndmask_b32_e64 v36, v36, v25, s2
	v_cndmask_b32_e64 v38, v37, v24, s2
	v_add_co_u32 v30, s2, v30, 1
	s_delay_alu instid0(VALU_DEP_1) | instskip(NEXT) | instid1(VALU_DEP_4)
	v_add_co_ci_u32_e64 v31, s2, 0, v31, s2
	v_cndmask_b32_e64 v37, v36, v27, s3
	s_delay_alu instid0(VALU_DEP_4) | instskip(SKIP_1) | instid1(VALU_DEP_1)
	v_cndmask_b32_e64 v36, v38, v26, s3
	s_waitcnt lgkmcnt(0)
	v_fma_f64 v[28:29], v[36:37], v[34:35], v[28:29]
	v_add_nc_u32_e32 v34, -1, v30
	s_delay_alu instid0(VALU_DEP_1) | instskip(NEXT) | instid1(VALU_DEP_1)
	v_cmp_lt_u32_e64 s2, 3, v34
	s_or_b32 s5, s2, s5
	s_delay_alu instid0(SALU_CYCLE_1)
	s_and_not1_b32 exec_lo, exec_lo, s5
	s_cbranch_execnz .LBB76_33
; %bb.34:
	s_or_b32 exec_lo, exec_lo, s5
	v_mov_b32_e32 v12, 0
	ds_load_b64 v[12:13], v12 offset:40
	s_waitcnt lgkmcnt(0)
	v_mul_f64 v[12:13], v[28:29], v[12:13]
.LBB76_35:
	s_or_b32 exec_lo, exec_lo, s4
	v_cmp_gt_u32_e64 s2, 6, v0
	s_barrier
	buffer_gl0_inv
	ds_store_b64 v32, v[14:15]
	s_waitcnt lgkmcnt(0)
	s_barrier
	buffer_gl0_inv
	s_and_saveexec_b32 s5, s2
	s_cbranch_execz .LBB76_39
; %bb.36:
	v_dual_mov_b32 v28, 0 :: v_dual_mov_b32 v31, v1
	v_lshl_add_u32 v33, v0, 3, 0x70
	v_dual_mov_b32 v29, 0 :: v_dual_mov_b32 v30, v0
	s_mov_b32 s6, 0
.LBB76_37:                              ; =>This Inner Loop Header: Depth=1
	s_delay_alu instid0(VALU_DEP_1) | instskip(SKIP_1) | instid1(VALU_DEP_2)
	v_cmp_eq_u32_e64 s3, 1, v30
	v_cmp_eq_u32_e64 s4, 2, v30
	v_cndmask_b32_e64 v34, v3, v5, s3
	v_cndmask_b32_e64 v35, v2, v4, s3
	v_cmp_eq_u32_e64 s3, 3, v30
	s_delay_alu instid0(VALU_DEP_3) | instskip(NEXT) | instid1(VALU_DEP_3)
	v_cndmask_b32_e64 v34, v34, v7, s4
	v_cndmask_b32_e64 v35, v35, v6, s4
	v_cmp_eq_u32_e64 s4, 4, v30
	s_delay_alu instid0(VALU_DEP_3) | instskip(NEXT) | instid1(VALU_DEP_3)
	;; [unrolled: 4-line block ×7, first 2 shown]
	v_cndmask_b32_e64 v36, v34, v19, s4
	v_cndmask_b32_e64 v37, v35, v18, s4
	ds_load_b64 v[34:35], v33
	v_cmp_eq_u32_e64 s4, 10, v30
	v_add_nc_u32_e32 v33, 8, v33
	v_cndmask_b32_e64 v36, v36, v21, s3
	v_cndmask_b32_e64 v37, v37, v20, s3
	v_cmp_eq_u32_e64 s3, 11, v30
	s_delay_alu instid0(VALU_DEP_3) | instskip(NEXT) | instid1(VALU_DEP_3)
	v_cndmask_b32_e64 v36, v36, v23, s4
	v_cndmask_b32_e64 v37, v37, v22, s4
	v_cmp_eq_u32_e64 s4, 12, v30
	s_delay_alu instid0(VALU_DEP_3) | instskip(NEXT) | instid1(VALU_DEP_3)
	v_cndmask_b32_e64 v36, v36, v25, s3
	v_cndmask_b32_e64 v38, v37, v24, s3
	v_add_co_u32 v30, s3, v30, 1
	s_delay_alu instid0(VALU_DEP_1) | instskip(NEXT) | instid1(VALU_DEP_4)
	v_add_co_ci_u32_e64 v31, s3, 0, v31, s3
	v_cndmask_b32_e64 v37, v36, v27, s4
	s_delay_alu instid0(VALU_DEP_4) | instskip(SKIP_1) | instid1(VALU_DEP_1)
	v_cndmask_b32_e64 v36, v38, v26, s4
	s_waitcnt lgkmcnt(0)
	v_fma_f64 v[28:29], v[36:37], v[34:35], v[28:29]
	v_add_nc_u32_e32 v34, -1, v30
	s_delay_alu instid0(VALU_DEP_1) | instskip(NEXT) | instid1(VALU_DEP_1)
	v_cmp_lt_u32_e64 s3, 4, v34
	s_or_b32 s6, s3, s6
	s_delay_alu instid0(SALU_CYCLE_1)
	s_and_not1_b32 exec_lo, exec_lo, s6
	s_cbranch_execnz .LBB76_37
; %bb.38:
	s_or_b32 exec_lo, exec_lo, s6
	v_mov_b32_e32 v14, 0
	ds_load_b64 v[14:15], v14 offset:48
	s_waitcnt lgkmcnt(0)
	v_mul_f64 v[14:15], v[28:29], v[14:15]
.LBB76_39:
	s_or_b32 exec_lo, exec_lo, s5
	s_delay_alu instid0(SALU_CYCLE_1)
	s_mov_b32 s5, exec_lo
	s_barrier
	buffer_gl0_inv
	ds_store_b64 v32, v[16:17]
	s_waitcnt lgkmcnt(0)
	s_barrier
	buffer_gl0_inv
	v_cmpx_gt_u32_e32 7, v0
	s_cbranch_execz .LBB76_43
; %bb.40:
	v_dual_mov_b32 v28, 0 :: v_dual_mov_b32 v31, v1
	v_lshl_add_u32 v33, v0, 3, 0x70
	v_dual_mov_b32 v29, 0 :: v_dual_mov_b32 v30, v0
	s_mov_b32 s6, 0
.LBB76_41:                              ; =>This Inner Loop Header: Depth=1
	s_delay_alu instid0(VALU_DEP_1) | instskip(SKIP_1) | instid1(VALU_DEP_2)
	v_cmp_eq_u32_e64 s3, 1, v30
	v_cmp_eq_u32_e64 s4, 2, v30
	v_cndmask_b32_e64 v34, v3, v5, s3
	v_cndmask_b32_e64 v35, v2, v4, s3
	v_cmp_eq_u32_e64 s3, 3, v30
	s_delay_alu instid0(VALU_DEP_3) | instskip(NEXT) | instid1(VALU_DEP_3)
	v_cndmask_b32_e64 v34, v34, v7, s4
	v_cndmask_b32_e64 v35, v35, v6, s4
	v_cmp_eq_u32_e64 s4, 4, v30
	s_delay_alu instid0(VALU_DEP_3) | instskip(NEXT) | instid1(VALU_DEP_3)
	;; [unrolled: 4-line block ×7, first 2 shown]
	v_cndmask_b32_e64 v36, v34, v19, s4
	v_cndmask_b32_e64 v37, v35, v18, s4
	ds_load_b64 v[34:35], v33
	v_cmp_eq_u32_e64 s4, 10, v30
	v_add_nc_u32_e32 v33, 8, v33
	v_cndmask_b32_e64 v36, v36, v21, s3
	v_cndmask_b32_e64 v37, v37, v20, s3
	v_cmp_eq_u32_e64 s3, 11, v30
	s_delay_alu instid0(VALU_DEP_3) | instskip(NEXT) | instid1(VALU_DEP_3)
	v_cndmask_b32_e64 v36, v36, v23, s4
	v_cndmask_b32_e64 v37, v37, v22, s4
	v_cmp_eq_u32_e64 s4, 12, v30
	s_delay_alu instid0(VALU_DEP_3) | instskip(NEXT) | instid1(VALU_DEP_3)
	v_cndmask_b32_e64 v36, v36, v25, s3
	v_cndmask_b32_e64 v38, v37, v24, s3
	v_add_co_u32 v30, s3, v30, 1
	s_delay_alu instid0(VALU_DEP_1) | instskip(NEXT) | instid1(VALU_DEP_4)
	v_add_co_ci_u32_e64 v31, s3, 0, v31, s3
	v_cndmask_b32_e64 v37, v36, v27, s4
	s_delay_alu instid0(VALU_DEP_4) | instskip(SKIP_1) | instid1(VALU_DEP_1)
	v_cndmask_b32_e64 v36, v38, v26, s4
	s_waitcnt lgkmcnt(0)
	v_fma_f64 v[28:29], v[36:37], v[34:35], v[28:29]
	v_add_nc_u32_e32 v34, -1, v30
	s_delay_alu instid0(VALU_DEP_1) | instskip(NEXT) | instid1(VALU_DEP_1)
	v_cmp_lt_u32_e64 s3, 5, v34
	s_or_b32 s6, s3, s6
	s_delay_alu instid0(SALU_CYCLE_1)
	s_and_not1_b32 exec_lo, exec_lo, s6
	s_cbranch_execnz .LBB76_41
; %bb.42:
	s_or_b32 exec_lo, exec_lo, s6
	v_mov_b32_e32 v16, 0
	ds_load_b64 v[16:17], v16 offset:56
	s_waitcnt lgkmcnt(0)
	v_mul_f64 v[16:17], v[28:29], v[16:17]
.LBB76_43:
	s_or_b32 exec_lo, exec_lo, s5
	s_delay_alu instid0(SALU_CYCLE_1)
	s_mov_b32 s4, exec_lo
	s_barrier
	buffer_gl0_inv
	ds_store_b64 v32, v[18:19]
	s_waitcnt lgkmcnt(0)
	s_barrier
	buffer_gl0_inv
	v_cmpx_gt_u32_e32 8, v0
	s_cbranch_execz .LBB76_59
; %bb.44:
	v_cmp_eq_u32_e64 s3, 1, v0
	s_mov_b32 s5, exec_lo
	s_delay_alu instid0(VALU_DEP_1) | instskip(SKIP_2) | instid1(VALU_DEP_1)
	v_cndmask_b32_e64 v28, v3, v5, s3
	v_cndmask_b32_e64 v29, v2, v4, s3
	v_cmp_eq_u32_e64 s3, 2, v0
	v_cndmask_b32_e64 v28, v28, v7, s3
	s_delay_alu instid0(VALU_DEP_3) | instskip(SKIP_1) | instid1(VALU_DEP_1)
	v_cndmask_b32_e64 v29, v29, v6, s3
	v_cmp_eq_u32_e64 s3, 3, v0
	v_cndmask_b32_e64 v28, v28, v9, s3
	s_delay_alu instid0(VALU_DEP_3) | instskip(SKIP_1) | instid1(VALU_DEP_1)
	;; [unrolled: 4-line block ×7, first 2 shown]
	v_cndmask_b32_e64 v29, v29, v18, s3
	v_cmp_eq_u32_e64 s3, 9, v0
	v_cndmask_b32_e64 v30, v28, v21, s3
	s_delay_alu instid0(VALU_DEP_3)
	v_cndmask_b32_e64 v31, v29, v20, s3
	v_cmp_eq_u32_e64 s3, 10, v0
	ds_load_b64 v[28:29], v32
	v_cndmask_b32_e64 v30, v30, v23, s3
	v_cndmask_b32_e64 v31, v31, v22, s3
	v_cmp_eq_u32_e64 s3, 11, v0
	s_delay_alu instid0(VALU_DEP_1) | instskip(NEXT) | instid1(VALU_DEP_3)
	v_cndmask_b32_e64 v30, v30, v25, s3
	v_cndmask_b32_e64 v33, v31, v24, s3
	v_cmp_eq_u32_e64 s3, 12, v0
	s_delay_alu instid0(VALU_DEP_1) | instskip(NEXT) | instid1(VALU_DEP_3)
	v_cndmask_b32_e64 v31, v30, v27, s3
	v_cndmask_b32_e64 v30, v33, v26, s3
	s_waitcnt lgkmcnt(0)
	s_delay_alu instid0(VALU_DEP_1)
	v_fma_f64 v[28:29], v[30:31], v[28:29], 0
	v_cmpx_ne_u32_e32 7, v0
	s_cbranch_execz .LBB76_58
; %bb.45:
	v_add_nc_u32_e32 v33, 1, v0
	s_delay_alu instid0(VALU_DEP_1) | instskip(NEXT) | instid1(VALU_DEP_1)
	v_cmp_eq_u32_e64 s3, 1, v33
	v_cndmask_b32_e64 v30, v3, v5, s3
	v_cndmask_b32_e64 v31, v2, v4, s3
	v_cmp_eq_u32_e64 s3, 2, v33
	s_delay_alu instid0(VALU_DEP_1) | instskip(NEXT) | instid1(VALU_DEP_3)
	v_cndmask_b32_e64 v30, v30, v7, s3
	v_cndmask_b32_e64 v31, v31, v6, s3
	v_cmp_eq_u32_e64 s3, 3, v33
	s_delay_alu instid0(VALU_DEP_1) | instskip(NEXT) | instid1(VALU_DEP_3)
	;; [unrolled: 4-line block ×8, first 2 shown]
	v_cndmask_b32_e64 v34, v30, v21, s3
	v_cndmask_b32_e64 v35, v31, v20, s3
	v_cmp_eq_u32_e64 s3, 10, v33
	ds_load_b64 v[30:31], v32 offset:8
	v_cndmask_b32_e64 v34, v34, v23, s3
	v_cndmask_b32_e64 v35, v35, v22, s3
	v_cmp_eq_u32_e64 s3, 11, v33
	s_delay_alu instid0(VALU_DEP_1) | instskip(NEXT) | instid1(VALU_DEP_3)
	v_cndmask_b32_e64 v34, v34, v25, s3
	v_cndmask_b32_e64 v35, v35, v24, s3
	v_cmp_eq_u32_e64 s3, 12, v33
	s_delay_alu instid0(VALU_DEP_1) | instskip(NEXT) | instid1(VALU_DEP_3)
	v_cndmask_b32_e64 v34, v34, v27, s3
	v_cndmask_b32_e64 v33, v35, v26, s3
	s_waitcnt lgkmcnt(0)
	s_delay_alu instid0(VALU_DEP_1)
	v_fma_f64 v[28:29], v[33:34], v[30:31], v[28:29]
	s_and_saveexec_b32 s3, s2
	s_cbranch_execz .LBB76_57
; %bb.46:
	v_add_nc_u32_e32 v33, 2, v0
	s_mov_b32 s6, exec_lo
	s_delay_alu instid0(VALU_DEP_1) | instskip(NEXT) | instid1(VALU_DEP_1)
	v_cmp_eq_u32_e64 s2, 1, v33
	v_cndmask_b32_e64 v30, v3, v5, s2
	v_cndmask_b32_e64 v31, v2, v4, s2
	v_cmp_eq_u32_e64 s2, 2, v33
	s_delay_alu instid0(VALU_DEP_1) | instskip(NEXT) | instid1(VALU_DEP_3)
	v_cndmask_b32_e64 v30, v30, v7, s2
	v_cndmask_b32_e64 v31, v31, v6, s2
	v_cmp_eq_u32_e64 s2, 3, v33
	s_delay_alu instid0(VALU_DEP_1) | instskip(NEXT) | instid1(VALU_DEP_3)
	;; [unrolled: 4-line block ×8, first 2 shown]
	v_cndmask_b32_e64 v34, v30, v21, s2
	v_cndmask_b32_e64 v35, v31, v20, s2
	v_cmp_eq_u32_e64 s2, 10, v33
	ds_load_b64 v[30:31], v32 offset:16
	v_cndmask_b32_e64 v34, v34, v23, s2
	v_cndmask_b32_e64 v35, v35, v22, s2
	v_cmp_eq_u32_e64 s2, 11, v33
	s_delay_alu instid0(VALU_DEP_1) | instskip(NEXT) | instid1(VALU_DEP_3)
	v_cndmask_b32_e64 v34, v34, v25, s2
	v_cndmask_b32_e64 v35, v35, v24, s2
	v_cmp_eq_u32_e64 s2, 12, v33
	s_delay_alu instid0(VALU_DEP_1) | instskip(NEXT) | instid1(VALU_DEP_3)
	v_cndmask_b32_e64 v34, v34, v27, s2
	v_cndmask_b32_e64 v33, v35, v26, s2
	s_waitcnt lgkmcnt(0)
	s_delay_alu instid0(VALU_DEP_1)
	v_fma_f64 v[28:29], v[33:34], v[30:31], v[28:29]
	v_cmpx_ne_u32_e32 5, v0
	s_cbranch_execz .LBB76_56
; %bb.47:
	v_add_nc_u32_e32 v33, 3, v0
	s_delay_alu instid0(VALU_DEP_1) | instskip(NEXT) | instid1(VALU_DEP_1)
	v_cmp_eq_u32_e64 s2, 1, v33
	v_cndmask_b32_e64 v30, v3, v5, s2
	v_cndmask_b32_e64 v31, v2, v4, s2
	v_cmp_eq_u32_e64 s2, 2, v33
	s_delay_alu instid0(VALU_DEP_1) | instskip(NEXT) | instid1(VALU_DEP_3)
	v_cndmask_b32_e64 v30, v30, v7, s2
	v_cndmask_b32_e64 v31, v31, v6, s2
	v_cmp_eq_u32_e64 s2, 3, v33
	s_delay_alu instid0(VALU_DEP_1) | instskip(NEXT) | instid1(VALU_DEP_3)
	v_cndmask_b32_e64 v30, v30, v9, s2
	v_cndmask_b32_e64 v31, v31, v8, s2
	v_cmp_eq_u32_e64 s2, 4, v33
	s_delay_alu instid0(VALU_DEP_1) | instskip(NEXT) | instid1(VALU_DEP_3)
	v_cndmask_b32_e64 v30, v30, v11, s2
	v_cndmask_b32_e64 v31, v31, v10, s2
	v_cmp_eq_u32_e64 s2, 5, v33
	s_delay_alu instid0(VALU_DEP_1) | instskip(NEXT) | instid1(VALU_DEP_3)
	v_cndmask_b32_e64 v30, v30, v13, s2
	v_cndmask_b32_e64 v31, v31, v12, s2
	v_cmp_eq_u32_e64 s2, 6, v33
	s_delay_alu instid0(VALU_DEP_1) | instskip(NEXT) | instid1(VALU_DEP_3)
	v_cndmask_b32_e64 v30, v30, v15, s2
	v_cndmask_b32_e64 v31, v31, v14, s2
	v_cmp_eq_u32_e64 s2, 7, v33
	s_delay_alu instid0(VALU_DEP_1) | instskip(NEXT) | instid1(VALU_DEP_3)
	v_cndmask_b32_e64 v30, v30, v17, s2
	v_cndmask_b32_e64 v31, v31, v16, s2
	v_cmp_eq_u32_e64 s2, 8, v33
	s_delay_alu instid0(VALU_DEP_1) | instskip(NEXT) | instid1(VALU_DEP_3)
	v_cndmask_b32_e64 v30, v30, v19, s2
	v_cndmask_b32_e64 v31, v31, v18, s2
	v_cmp_eq_u32_e64 s2, 9, v33
	s_delay_alu instid0(VALU_DEP_1) | instskip(NEXT) | instid1(VALU_DEP_3)
	v_cndmask_b32_e64 v34, v30, v21, s2
	v_cndmask_b32_e64 v35, v31, v20, s2
	v_cmp_eq_u32_e64 s2, 10, v33
	ds_load_b64 v[30:31], v32 offset:24
	v_cndmask_b32_e64 v34, v34, v23, s2
	v_cndmask_b32_e64 v35, v35, v22, s2
	v_cmp_eq_u32_e64 s2, 11, v33
	s_delay_alu instid0(VALU_DEP_1) | instskip(NEXT) | instid1(VALU_DEP_3)
	v_cndmask_b32_e64 v34, v34, v25, s2
	v_cndmask_b32_e64 v35, v35, v24, s2
	v_cmp_eq_u32_e64 s2, 12, v33
	s_delay_alu instid0(VALU_DEP_1) | instskip(NEXT) | instid1(VALU_DEP_3)
	v_cndmask_b32_e64 v34, v34, v27, s2
	v_cndmask_b32_e64 v33, v35, v26, s2
	s_waitcnt lgkmcnt(0)
	s_delay_alu instid0(VALU_DEP_1)
	v_fma_f64 v[28:29], v[33:34], v[30:31], v[28:29]
	s_and_saveexec_b32 s2, s1
	s_cbranch_execz .LBB76_55
; %bb.48:
	v_or_b32_e32 v33, 4, v0
	s_mov_b32 s7, exec_lo
	s_delay_alu instid0(VALU_DEP_1) | instskip(NEXT) | instid1(VALU_DEP_1)
	v_cmp_eq_u32_e64 s1, 1, v33
	v_cndmask_b32_e64 v30, v3, v5, s1
	v_cndmask_b32_e64 v31, v2, v4, s1
	v_cmp_eq_u32_e64 s1, 2, v33
	s_delay_alu instid0(VALU_DEP_1) | instskip(NEXT) | instid1(VALU_DEP_3)
	v_cndmask_b32_e64 v30, v30, v7, s1
	v_cndmask_b32_e64 v31, v31, v6, s1
	v_cmp_eq_u32_e64 s1, 3, v33
	s_delay_alu instid0(VALU_DEP_1) | instskip(NEXT) | instid1(VALU_DEP_3)
	;; [unrolled: 4-line block ×8, first 2 shown]
	v_cndmask_b32_e64 v34, v30, v21, s1
	v_cndmask_b32_e64 v35, v31, v20, s1
	v_cmp_eq_u32_e64 s1, 10, v33
	ds_load_b64 v[30:31], v32 offset:32
	v_cndmask_b32_e64 v34, v34, v23, s1
	v_cndmask_b32_e64 v35, v35, v22, s1
	v_cmp_eq_u32_e64 s1, 11, v33
	s_delay_alu instid0(VALU_DEP_1) | instskip(NEXT) | instid1(VALU_DEP_3)
	v_cndmask_b32_e64 v34, v34, v25, s1
	v_cndmask_b32_e64 v35, v35, v24, s1
	v_cmp_eq_u32_e64 s1, 12, v33
	s_delay_alu instid0(VALU_DEP_1) | instskip(NEXT) | instid1(VALU_DEP_3)
	v_cndmask_b32_e64 v34, v34, v27, s1
	v_cndmask_b32_e64 v33, v35, v26, s1
	s_waitcnt lgkmcnt(0)
	s_delay_alu instid0(VALU_DEP_1)
	v_fma_f64 v[28:29], v[33:34], v[30:31], v[28:29]
	v_cmpx_ne_u32_e32 3, v0
	s_cbranch_execz .LBB76_54
; %bb.49:
	v_add_nc_u32_e32 v33, 5, v0
	s_delay_alu instid0(VALU_DEP_1) | instskip(NEXT) | instid1(VALU_DEP_1)
	v_cmp_eq_u32_e64 s1, 1, v33
	v_cndmask_b32_e64 v30, v3, v5, s1
	v_cndmask_b32_e64 v31, v2, v4, s1
	v_cmp_eq_u32_e64 s1, 2, v33
	s_delay_alu instid0(VALU_DEP_1) | instskip(NEXT) | instid1(VALU_DEP_3)
	v_cndmask_b32_e64 v30, v30, v7, s1
	v_cndmask_b32_e64 v31, v31, v6, s1
	v_cmp_eq_u32_e64 s1, 3, v33
	s_delay_alu instid0(VALU_DEP_1) | instskip(NEXT) | instid1(VALU_DEP_3)
	v_cndmask_b32_e64 v30, v30, v9, s1
	v_cndmask_b32_e64 v31, v31, v8, s1
	v_cmp_eq_u32_e64 s1, 4, v33
	s_delay_alu instid0(VALU_DEP_1) | instskip(NEXT) | instid1(VALU_DEP_3)
	v_cndmask_b32_e64 v30, v30, v11, s1
	v_cndmask_b32_e64 v31, v31, v10, s1
	v_cmp_eq_u32_e64 s1, 5, v33
	s_delay_alu instid0(VALU_DEP_1) | instskip(NEXT) | instid1(VALU_DEP_3)
	v_cndmask_b32_e64 v30, v30, v13, s1
	v_cndmask_b32_e64 v31, v31, v12, s1
	v_cmp_eq_u32_e64 s1, 6, v33
	s_delay_alu instid0(VALU_DEP_1) | instskip(NEXT) | instid1(VALU_DEP_3)
	v_cndmask_b32_e64 v30, v30, v15, s1
	v_cndmask_b32_e64 v31, v31, v14, s1
	v_cmp_eq_u32_e64 s1, 7, v33
	s_delay_alu instid0(VALU_DEP_1) | instskip(NEXT) | instid1(VALU_DEP_3)
	v_cndmask_b32_e64 v30, v30, v17, s1
	v_cndmask_b32_e64 v31, v31, v16, s1
	v_cmp_eq_u32_e64 s1, 8, v33
	s_delay_alu instid0(VALU_DEP_1) | instskip(NEXT) | instid1(VALU_DEP_3)
	v_cndmask_b32_e64 v30, v30, v19, s1
	v_cndmask_b32_e64 v31, v31, v18, s1
	v_cmp_eq_u32_e64 s1, 9, v33
	s_delay_alu instid0(VALU_DEP_1) | instskip(NEXT) | instid1(VALU_DEP_3)
	v_cndmask_b32_e64 v34, v30, v21, s1
	v_cndmask_b32_e64 v35, v31, v20, s1
	v_cmp_eq_u32_e64 s1, 10, v33
	ds_load_b64 v[30:31], v32 offset:40
	v_cndmask_b32_e64 v34, v34, v23, s1
	v_cndmask_b32_e64 v35, v35, v22, s1
	v_cmp_eq_u32_e64 s1, 11, v33
	s_delay_alu instid0(VALU_DEP_1) | instskip(NEXT) | instid1(VALU_DEP_3)
	v_cndmask_b32_e64 v34, v34, v25, s1
	v_cndmask_b32_e64 v35, v35, v24, s1
	v_cmp_eq_u32_e64 s1, 12, v33
	s_delay_alu instid0(VALU_DEP_1) | instskip(NEXT) | instid1(VALU_DEP_3)
	v_cndmask_b32_e64 v34, v34, v27, s1
	v_cndmask_b32_e64 v33, v35, v26, s1
	s_waitcnt lgkmcnt(0)
	s_delay_alu instid0(VALU_DEP_1)
	v_fma_f64 v[28:29], v[33:34], v[30:31], v[28:29]
	s_and_saveexec_b32 s1, vcc_lo
	s_cbranch_execz .LBB76_53
; %bb.50:
	v_or_b32_e32 v30, 6, v0
	s_delay_alu instid0(VALU_DEP_1) | instskip(SKIP_3) | instid1(VALU_DEP_3)
	v_cmp_eq_u32_e32 vcc_lo, 1, v30
	v_cndmask_b32_e32 v31, v3, v5, vcc_lo
	v_cndmask_b32_e32 v33, v2, v4, vcc_lo
	v_cmp_eq_u32_e32 vcc_lo, 2, v30
	v_cndmask_b32_e32 v31, v31, v7, vcc_lo
	s_delay_alu instid0(VALU_DEP_3) | instskip(SKIP_1) | instid1(VALU_DEP_3)
	v_cndmask_b32_e32 v33, v33, v6, vcc_lo
	v_cmp_eq_u32_e32 vcc_lo, 3, v30
	v_cndmask_b32_e32 v31, v31, v9, vcc_lo
	s_delay_alu instid0(VALU_DEP_3) | instskip(SKIP_1) | instid1(VALU_DEP_3)
	;; [unrolled: 4-line block ×5, first 2 shown]
	v_cndmask_b32_e32 v33, v33, v14, vcc_lo
	v_cmp_eq_u32_e32 vcc_lo, 7, v30
	v_cndmask_b32_e32 v31, v31, v17, vcc_lo
	s_delay_alu instid0(VALU_DEP_3) | instskip(SKIP_1) | instid1(VALU_DEP_2)
	v_cndmask_b32_e32 v33, v33, v16, vcc_lo
	v_cmp_eq_u32_e32 vcc_lo, 8, v30
	v_dual_cndmask_b32 v19, v31, v19 :: v_dual_cndmask_b32 v18, v33, v18
	v_cmp_eq_u32_e32 vcc_lo, 9, v30
	s_delay_alu instid0(VALU_DEP_2) | instskip(NEXT) | instid1(VALU_DEP_3)
	v_cndmask_b32_e32 v31, v19, v21, vcc_lo
	v_cndmask_b32_e32 v33, v18, v20, vcc_lo
	v_cmp_eq_u32_e32 vcc_lo, 10, v30
	ds_load_b64 v[18:19], v32 offset:48
	v_cndmask_b32_e32 v31, v31, v23, vcc_lo
	v_cndmask_b32_e32 v33, v33, v22, vcc_lo
	v_cmp_eq_u32_e32 vcc_lo, 11, v30
	s_delay_alu instid0(VALU_DEP_3) | instskip(NEXT) | instid1(VALU_DEP_3)
	v_cndmask_b32_e32 v31, v31, v25, vcc_lo
	v_cndmask_b32_e32 v33, v33, v24, vcc_lo
	v_cmp_eq_u32_e32 vcc_lo, 12, v30
	s_delay_alu instid0(VALU_DEP_2) | instskip(SKIP_1) | instid1(VALU_DEP_1)
	v_dual_cndmask_b32 v30, v33, v26 :: v_dual_cndmask_b32 v31, v31, v27
	s_waitcnt lgkmcnt(0)
	v_fma_f64 v[28:29], v[30:31], v[18:19], v[28:29]
	s_and_saveexec_b32 s8, s0
	s_cbranch_execz .LBB76_52
; %bb.51:
	ds_load_b64 v[18:19], v32 offset:56
	s_waitcnt lgkmcnt(0)
	v_fma_f64 v[28:29], v[16:17], v[18:19], v[28:29]
.LBB76_52:
	s_or_b32 exec_lo, exec_lo, s8
.LBB76_53:
	s_delay_alu instid0(SALU_CYCLE_1)
	s_or_b32 exec_lo, exec_lo, s1
.LBB76_54:
	s_delay_alu instid0(SALU_CYCLE_1)
	s_or_b32 exec_lo, exec_lo, s7
.LBB76_55:
	s_delay_alu instid0(SALU_CYCLE_1)
	s_or_b32 exec_lo, exec_lo, s2
.LBB76_56:
	s_delay_alu instid0(SALU_CYCLE_1)
	s_or_b32 exec_lo, exec_lo, s6
.LBB76_57:
	s_delay_alu instid0(SALU_CYCLE_1)
	s_or_b32 exec_lo, exec_lo, s3
.LBB76_58:
	s_delay_alu instid0(SALU_CYCLE_1)
	s_or_b32 exec_lo, exec_lo, s5
	v_mov_b32_e32 v18, 0
	ds_load_b64 v[18:19], v18 offset:64
	s_waitcnt lgkmcnt(0)
	v_mul_f64 v[18:19], v[28:29], v[18:19]
.LBB76_59:
	s_or_b32 exec_lo, exec_lo, s4
	s_delay_alu instid0(SALU_CYCLE_1)
	s_mov_b32 s1, exec_lo
	s_barrier
	buffer_gl0_inv
	ds_store_b64 v32, v[20:21]
	s_waitcnt lgkmcnt(0)
	s_barrier
	buffer_gl0_inv
	v_cmpx_gt_u32_e32 9, v0
	s_cbranch_execz .LBB76_63
; %bb.60:
	v_dual_mov_b32 v28, 0 :: v_dual_mov_b32 v31, v1
	v_lshl_add_u32 v33, v0, 3, 0x70
	v_dual_mov_b32 v29, 0 :: v_dual_mov_b32 v30, v0
	s_mov_b32 s2, 0
.LBB76_61:                              ; =>This Inner Loop Header: Depth=1
	s_delay_alu instid0(VALU_DEP_1) | instskip(SKIP_3) | instid1(VALU_DEP_2)
	v_cmp_eq_u32_e32 vcc_lo, 1, v30
	v_cmp_eq_u32_e64 s0, 2, v30
	v_dual_cndmask_b32 v34, v3, v5 :: v_dual_cndmask_b32 v35, v2, v4
	v_cmp_eq_u32_e32 vcc_lo, 3, v30
	v_cndmask_b32_e64 v34, v34, v7, s0
	s_delay_alu instid0(VALU_DEP_3) | instskip(SKIP_1) | instid1(VALU_DEP_2)
	v_cndmask_b32_e64 v35, v35, v6, s0
	v_cmp_eq_u32_e64 s0, 4, v30
	v_dual_cndmask_b32 v34, v34, v9 :: v_dual_cndmask_b32 v35, v35, v8
	v_cmp_eq_u32_e32 vcc_lo, 5, v30
	s_delay_alu instid0(VALU_DEP_2) | instskip(NEXT) | instid1(VALU_DEP_3)
	v_cndmask_b32_e64 v34, v34, v11, s0
	v_cndmask_b32_e64 v35, v35, v10, s0
	v_cmp_eq_u32_e64 s0, 6, v30
	s_delay_alu instid0(VALU_DEP_2) | instskip(SKIP_1) | instid1(VALU_DEP_2)
	v_dual_cndmask_b32 v34, v34, v13 :: v_dual_cndmask_b32 v35, v35, v12
	v_cmp_eq_u32_e32 vcc_lo, 7, v30
	v_cndmask_b32_e64 v34, v34, v15, s0
	s_delay_alu instid0(VALU_DEP_3) | instskip(SKIP_1) | instid1(VALU_DEP_2)
	v_cndmask_b32_e64 v35, v35, v14, s0
	v_cmp_eq_u32_e64 s0, 8, v30
	v_dual_cndmask_b32 v34, v34, v17 :: v_dual_cndmask_b32 v35, v35, v16
	v_cmp_eq_u32_e32 vcc_lo, 9, v30
	s_delay_alu instid0(VALU_DEP_2) | instskip(NEXT) | instid1(VALU_DEP_3)
	v_cndmask_b32_e64 v36, v34, v19, s0
	v_cndmask_b32_e64 v37, v35, v18, s0
	ds_load_b64 v[34:35], v33
	v_cmp_eq_u32_e64 s0, 10, v30
	v_add_nc_u32_e32 v33, 8, v33
	v_dual_cndmask_b32 v36, v36, v21 :: v_dual_cndmask_b32 v37, v37, v20
	v_cmp_eq_u32_e32 vcc_lo, 11, v30
	s_delay_alu instid0(VALU_DEP_2) | instskip(NEXT) | instid1(VALU_DEP_3)
	v_cndmask_b32_e64 v36, v36, v23, s0
	v_cndmask_b32_e64 v37, v37, v22, s0
	v_cmp_eq_u32_e64 s0, 12, v30
	s_delay_alu instid0(VALU_DEP_3) | instskip(NEXT) | instid1(VALU_DEP_3)
	v_cndmask_b32_e32 v36, v36, v25, vcc_lo
	v_cndmask_b32_e32 v38, v37, v24, vcc_lo
	v_add_co_u32 v30, vcc_lo, v30, 1
	v_add_co_ci_u32_e32 v31, vcc_lo, 0, v31, vcc_lo
	s_delay_alu instid0(VALU_DEP_4) | instskip(NEXT) | instid1(VALU_DEP_4)
	v_cndmask_b32_e64 v37, v36, v27, s0
	v_cndmask_b32_e64 v36, v38, v26, s0
	s_waitcnt lgkmcnt(0)
	s_delay_alu instid0(VALU_DEP_1) | instskip(SKIP_1) | instid1(VALU_DEP_1)
	v_fma_f64 v[28:29], v[36:37], v[34:35], v[28:29]
	v_add_nc_u32_e32 v34, -1, v30
	v_cmp_lt_u32_e32 vcc_lo, 7, v34
	s_or_b32 s2, vcc_lo, s2
	s_delay_alu instid0(SALU_CYCLE_1)
	s_and_not1_b32 exec_lo, exec_lo, s2
	s_cbranch_execnz .LBB76_61
; %bb.62:
	s_or_b32 exec_lo, exec_lo, s2
	v_mov_b32_e32 v20, 0
	ds_load_b64 v[20:21], v20 offset:72
	s_waitcnt lgkmcnt(0)
	v_mul_f64 v[20:21], v[28:29], v[20:21]
.LBB76_63:
	s_or_b32 exec_lo, exec_lo, s1
	s_delay_alu instid0(SALU_CYCLE_1)
	s_mov_b32 s1, exec_lo
	s_barrier
	buffer_gl0_inv
	ds_store_b64 v32, v[22:23]
	s_waitcnt lgkmcnt(0)
	s_barrier
	buffer_gl0_inv
	v_cmpx_gt_u32_e32 10, v0
	s_cbranch_execz .LBB76_67
; %bb.64:
	v_dual_mov_b32 v28, 0 :: v_dual_mov_b32 v31, v1
	v_lshl_add_u32 v33, v0, 3, 0x70
	v_dual_mov_b32 v29, 0 :: v_dual_mov_b32 v30, v0
	s_mov_b32 s2, 0
.LBB76_65:                              ; =>This Inner Loop Header: Depth=1
	s_delay_alu instid0(VALU_DEP_1) | instskip(SKIP_3) | instid1(VALU_DEP_2)
	v_cmp_eq_u32_e32 vcc_lo, 1, v30
	v_cmp_eq_u32_e64 s0, 2, v30
	v_dual_cndmask_b32 v34, v3, v5 :: v_dual_cndmask_b32 v35, v2, v4
	v_cmp_eq_u32_e32 vcc_lo, 3, v30
	v_cndmask_b32_e64 v34, v34, v7, s0
	s_delay_alu instid0(VALU_DEP_3) | instskip(SKIP_1) | instid1(VALU_DEP_2)
	v_cndmask_b32_e64 v35, v35, v6, s0
	v_cmp_eq_u32_e64 s0, 4, v30
	v_dual_cndmask_b32 v34, v34, v9 :: v_dual_cndmask_b32 v35, v35, v8
	v_cmp_eq_u32_e32 vcc_lo, 5, v30
	s_delay_alu instid0(VALU_DEP_2) | instskip(NEXT) | instid1(VALU_DEP_3)
	v_cndmask_b32_e64 v34, v34, v11, s0
	v_cndmask_b32_e64 v35, v35, v10, s0
	v_cmp_eq_u32_e64 s0, 6, v30
	s_delay_alu instid0(VALU_DEP_2) | instskip(SKIP_1) | instid1(VALU_DEP_2)
	v_dual_cndmask_b32 v34, v34, v13 :: v_dual_cndmask_b32 v35, v35, v12
	v_cmp_eq_u32_e32 vcc_lo, 7, v30
	v_cndmask_b32_e64 v34, v34, v15, s0
	s_delay_alu instid0(VALU_DEP_3) | instskip(SKIP_1) | instid1(VALU_DEP_2)
	v_cndmask_b32_e64 v35, v35, v14, s0
	v_cmp_eq_u32_e64 s0, 8, v30
	v_dual_cndmask_b32 v34, v34, v17 :: v_dual_cndmask_b32 v35, v35, v16
	v_cmp_eq_u32_e32 vcc_lo, 9, v30
	s_delay_alu instid0(VALU_DEP_2) | instskip(NEXT) | instid1(VALU_DEP_3)
	v_cndmask_b32_e64 v36, v34, v19, s0
	v_cndmask_b32_e64 v37, v35, v18, s0
	ds_load_b64 v[34:35], v33
	v_cmp_eq_u32_e64 s0, 10, v30
	v_add_nc_u32_e32 v33, 8, v33
	v_dual_cndmask_b32 v36, v36, v21 :: v_dual_cndmask_b32 v37, v37, v20
	v_cmp_eq_u32_e32 vcc_lo, 11, v30
	s_delay_alu instid0(VALU_DEP_2) | instskip(NEXT) | instid1(VALU_DEP_3)
	v_cndmask_b32_e64 v36, v36, v23, s0
	v_cndmask_b32_e64 v37, v37, v22, s0
	v_cmp_eq_u32_e64 s0, 12, v30
	s_delay_alu instid0(VALU_DEP_3) | instskip(NEXT) | instid1(VALU_DEP_3)
	v_cndmask_b32_e32 v36, v36, v25, vcc_lo
	v_cndmask_b32_e32 v38, v37, v24, vcc_lo
	v_add_co_u32 v30, vcc_lo, v30, 1
	v_add_co_ci_u32_e32 v31, vcc_lo, 0, v31, vcc_lo
	s_delay_alu instid0(VALU_DEP_4) | instskip(NEXT) | instid1(VALU_DEP_4)
	v_cndmask_b32_e64 v37, v36, v27, s0
	v_cndmask_b32_e64 v36, v38, v26, s0
	s_waitcnt lgkmcnt(0)
	s_delay_alu instid0(VALU_DEP_1) | instskip(SKIP_1) | instid1(VALU_DEP_1)
	v_fma_f64 v[28:29], v[36:37], v[34:35], v[28:29]
	v_add_nc_u32_e32 v34, -1, v30
	v_cmp_lt_u32_e32 vcc_lo, 8, v34
	s_or_b32 s2, vcc_lo, s2
	s_delay_alu instid0(SALU_CYCLE_1)
	s_and_not1_b32 exec_lo, exec_lo, s2
	s_cbranch_execnz .LBB76_65
; %bb.66:
	s_or_b32 exec_lo, exec_lo, s2
	v_mov_b32_e32 v22, 0
	ds_load_b64 v[22:23], v22 offset:80
	s_waitcnt lgkmcnt(0)
	v_mul_f64 v[22:23], v[28:29], v[22:23]
.LBB76_67:
	s_or_b32 exec_lo, exec_lo, s1
	s_delay_alu instid0(SALU_CYCLE_1)
	s_mov_b32 s1, exec_lo
	s_barrier
	buffer_gl0_inv
	ds_store_b64 v32, v[24:25]
	s_waitcnt lgkmcnt(0)
	s_barrier
	buffer_gl0_inv
	v_cmpx_gt_u32_e32 11, v0
	s_cbranch_execz .LBB76_71
; %bb.68:
	v_dual_mov_b32 v28, 0 :: v_dual_mov_b32 v31, v1
	v_lshl_add_u32 v33, v0, 3, 0x70
	v_dual_mov_b32 v29, 0 :: v_dual_mov_b32 v30, v0
	s_mov_b32 s2, 0
.LBB76_69:                              ; =>This Inner Loop Header: Depth=1
	s_delay_alu instid0(VALU_DEP_1) | instskip(SKIP_3) | instid1(VALU_DEP_2)
	v_cmp_eq_u32_e32 vcc_lo, 1, v30
	v_cmp_eq_u32_e64 s0, 2, v30
	v_dual_cndmask_b32 v34, v3, v5 :: v_dual_cndmask_b32 v35, v2, v4
	v_cmp_eq_u32_e32 vcc_lo, 3, v30
	v_cndmask_b32_e64 v34, v34, v7, s0
	s_delay_alu instid0(VALU_DEP_3) | instskip(SKIP_1) | instid1(VALU_DEP_2)
	v_cndmask_b32_e64 v35, v35, v6, s0
	v_cmp_eq_u32_e64 s0, 4, v30
	v_dual_cndmask_b32 v34, v34, v9 :: v_dual_cndmask_b32 v35, v35, v8
	v_cmp_eq_u32_e32 vcc_lo, 5, v30
	s_delay_alu instid0(VALU_DEP_2) | instskip(NEXT) | instid1(VALU_DEP_3)
	v_cndmask_b32_e64 v34, v34, v11, s0
	v_cndmask_b32_e64 v35, v35, v10, s0
	v_cmp_eq_u32_e64 s0, 6, v30
	s_delay_alu instid0(VALU_DEP_2) | instskip(SKIP_1) | instid1(VALU_DEP_2)
	v_dual_cndmask_b32 v34, v34, v13 :: v_dual_cndmask_b32 v35, v35, v12
	v_cmp_eq_u32_e32 vcc_lo, 7, v30
	v_cndmask_b32_e64 v34, v34, v15, s0
	s_delay_alu instid0(VALU_DEP_3) | instskip(SKIP_1) | instid1(VALU_DEP_2)
	v_cndmask_b32_e64 v35, v35, v14, s0
	v_cmp_eq_u32_e64 s0, 8, v30
	v_dual_cndmask_b32 v34, v34, v17 :: v_dual_cndmask_b32 v35, v35, v16
	v_cmp_eq_u32_e32 vcc_lo, 9, v30
	s_delay_alu instid0(VALU_DEP_2) | instskip(NEXT) | instid1(VALU_DEP_3)
	v_cndmask_b32_e64 v36, v34, v19, s0
	v_cndmask_b32_e64 v37, v35, v18, s0
	ds_load_b64 v[34:35], v33
	v_cmp_eq_u32_e64 s0, 10, v30
	v_add_nc_u32_e32 v33, 8, v33
	v_dual_cndmask_b32 v36, v36, v21 :: v_dual_cndmask_b32 v37, v37, v20
	v_cmp_eq_u32_e32 vcc_lo, 11, v30
	s_delay_alu instid0(VALU_DEP_2) | instskip(NEXT) | instid1(VALU_DEP_3)
	v_cndmask_b32_e64 v36, v36, v23, s0
	v_cndmask_b32_e64 v37, v37, v22, s0
	v_cmp_eq_u32_e64 s0, 12, v30
	s_delay_alu instid0(VALU_DEP_3) | instskip(NEXT) | instid1(VALU_DEP_3)
	v_cndmask_b32_e32 v36, v36, v25, vcc_lo
	v_cndmask_b32_e32 v38, v37, v24, vcc_lo
	v_add_co_u32 v30, vcc_lo, v30, 1
	v_add_co_ci_u32_e32 v31, vcc_lo, 0, v31, vcc_lo
	s_delay_alu instid0(VALU_DEP_4) | instskip(NEXT) | instid1(VALU_DEP_4)
	v_cndmask_b32_e64 v37, v36, v27, s0
	v_cndmask_b32_e64 v36, v38, v26, s0
	s_waitcnt lgkmcnt(0)
	s_delay_alu instid0(VALU_DEP_1) | instskip(SKIP_1) | instid1(VALU_DEP_1)
	v_fma_f64 v[28:29], v[36:37], v[34:35], v[28:29]
	v_add_nc_u32_e32 v34, -1, v30
	v_cmp_lt_u32_e32 vcc_lo, 9, v34
	s_or_b32 s2, vcc_lo, s2
	s_delay_alu instid0(SALU_CYCLE_1)
	s_and_not1_b32 exec_lo, exec_lo, s2
	s_cbranch_execnz .LBB76_69
; %bb.70:
	s_or_b32 exec_lo, exec_lo, s2
	v_mov_b32_e32 v24, 0
	ds_load_b64 v[24:25], v24 offset:88
	s_waitcnt lgkmcnt(0)
	v_mul_f64 v[24:25], v[28:29], v[24:25]
.LBB76_71:
	s_or_b32 exec_lo, exec_lo, s1
	s_delay_alu instid0(SALU_CYCLE_1)
	s_mov_b32 s1, exec_lo
	s_barrier
	buffer_gl0_inv
	ds_store_b64 v32, v[26:27]
	s_waitcnt lgkmcnt(0)
	s_barrier
	buffer_gl0_inv
	v_cmpx_ne_u32_e32 12, v0
	s_cbranch_execz .LBB76_75
; %bb.72:
	v_dual_mov_b32 v28, 0 :: v_dual_mov_b32 v31, v1
	v_lshl_add_u32 v32, v0, 3, 0x70
	v_dual_mov_b32 v29, 0 :: v_dual_mov_b32 v30, v0
	s_mov_b32 s2, 0
.LBB76_73:                              ; =>This Inner Loop Header: Depth=1
	s_delay_alu instid0(VALU_DEP_1) | instskip(SKIP_4) | instid1(VALU_DEP_3)
	v_cmp_eq_u32_e32 vcc_lo, 1, v30
	v_cmp_eq_u32_e64 s0, 2, v30
	v_cndmask_b32_e32 v1, v3, v5, vcc_lo
	v_cndmask_b32_e32 v33, v2, v4, vcc_lo
	v_cmp_eq_u32_e32 vcc_lo, 3, v30
	v_cndmask_b32_e64 v1, v1, v7, s0
	s_delay_alu instid0(VALU_DEP_3) | instskip(SKIP_1) | instid1(VALU_DEP_3)
	v_cndmask_b32_e64 v33, v33, v6, s0
	v_cmp_eq_u32_e64 s0, 4, v30
	v_cndmask_b32_e32 v1, v1, v9, vcc_lo
	s_delay_alu instid0(VALU_DEP_3) | instskip(SKIP_1) | instid1(VALU_DEP_3)
	v_cndmask_b32_e32 v33, v33, v8, vcc_lo
	v_cmp_eq_u32_e32 vcc_lo, 5, v30
	v_cndmask_b32_e64 v1, v1, v11, s0
	s_delay_alu instid0(VALU_DEP_3) | instskip(SKIP_1) | instid1(VALU_DEP_3)
	v_cndmask_b32_e64 v33, v33, v10, s0
	v_cmp_eq_u32_e64 s0, 6, v30
	v_cndmask_b32_e32 v1, v1, v13, vcc_lo
	s_delay_alu instid0(VALU_DEP_3) | instskip(SKIP_1) | instid1(VALU_DEP_3)
	;; [unrolled: 8-line block ×3, first 2 shown]
	v_cndmask_b32_e32 v33, v33, v16, vcc_lo
	v_cmp_eq_u32_e32 vcc_lo, 9, v30
	v_cndmask_b32_e64 v1, v1, v19, s0
	s_delay_alu instid0(VALU_DEP_3)
	v_cndmask_b32_e64 v35, v33, v18, s0
	ds_load_b64 v[33:34], v32
	v_add_nc_u32_e32 v32, 8, v32
	v_cmp_eq_u32_e64 s0, 10, v30
	v_cndmask_b32_e32 v1, v1, v21, vcc_lo
	v_cndmask_b32_e32 v35, v35, v20, vcc_lo
	v_cmp_eq_u32_e32 vcc_lo, 11, v30
	s_delay_alu instid0(VALU_DEP_3) | instskip(NEXT) | instid1(VALU_DEP_3)
	v_cndmask_b32_e64 v1, v1, v23, s0
	v_cndmask_b32_e64 v35, v35, v22, s0
	v_cmp_eq_u32_e64 s0, 12, v30
	s_delay_alu instid0(VALU_DEP_3) | instskip(NEXT) | instid1(VALU_DEP_3)
	v_cndmask_b32_e32 v1, v1, v25, vcc_lo
	v_cndmask_b32_e32 v35, v35, v24, vcc_lo
	v_add_co_u32 v30, vcc_lo, v30, 1
	v_add_co_ci_u32_e32 v31, vcc_lo, 0, v31, vcc_lo
	s_delay_alu instid0(VALU_DEP_4) | instskip(NEXT) | instid1(VALU_DEP_4)
	v_cndmask_b32_e64 v36, v1, v27, s0
	v_cndmask_b32_e64 v35, v35, v26, s0
	s_delay_alu instid0(VALU_DEP_4) | instskip(SKIP_1) | instid1(VALU_DEP_2)
	v_add_nc_u32_e32 v1, -1, v30
	s_waitcnt lgkmcnt(0)
	v_fma_f64 v[28:29], v[35:36], v[33:34], v[28:29]
	s_delay_alu instid0(VALU_DEP_2) | instskip(SKIP_1) | instid1(SALU_CYCLE_1)
	v_cmp_lt_u32_e32 vcc_lo, 10, v1
	s_or_b32 s2, vcc_lo, s2
	s_and_not1_b32 exec_lo, exec_lo, s2
	s_cbranch_execnz .LBB76_73
; %bb.74:
	s_or_b32 exec_lo, exec_lo, s2
	v_mov_b32_e32 v1, 0
	ds_load_b64 v[26:27], v1 offset:96
	s_waitcnt lgkmcnt(0)
	v_mul_f64 v[26:27], v[28:29], v[26:27]
.LBB76_75:
	s_or_b32 exec_lo, exec_lo, s1
	s_barrier
	buffer_gl0_inv
	s_cbranch_execnz .LBB76_15
	s_branch .LBB76_16
.LBB76_76:
	v_lshl_add_u32 v1, v0, 3, 0x70
	s_mov_b32 s0, exec_lo
	v_cmpx_eq_u32_e32 12, v0
	s_cbranch_execz .LBB76_78
; %bb.77:
	v_dual_mov_b32 v50, 0 :: v_dual_mov_b32 v29, v3
	v_dual_mov_b32 v28, v2 :: v_dual_mov_b32 v31, v5
	;; [unrolled: 1-line block ×11, first 2 shown]
	v_mov_b32_e32 v51, v50
	v_mov_b32_e32 v52, v26
	v_dual_mov_b32 v30, v4 :: v_dual_mov_b32 v33, v7
	ds_store_b64 v1, v[24:25]
	v_mov_b32_e32 v2, v28
	v_dual_mov_b32 v3, v29 :: v_dual_mov_b32 v4, v30
	v_dual_mov_b32 v5, v31 :: v_dual_mov_b32 v6, v32
	;; [unrolled: 1-line block ×13, first 2 shown]
	v_mov_b32_e32 v29, v55
	v_mov_b32_e32 v30, v56
	;; [unrolled: 1-line block ×5, first 2 shown]
.LBB76_78:
	s_or_b32 exec_lo, exec_lo, s0
	v_mov_b32_e32 v48, 0
	s_waitcnt lgkmcnt(0)
	s_waitcnt_vscnt null, 0x0
	s_barrier
	buffer_gl0_inv
	s_mov_b32 s0, exec_lo
	ds_load_b64 v[28:29], v48 offset:208
	s_waitcnt lgkmcnt(0)
	v_fma_f64 v[28:29], v[26:27], v[28:29], 0
	s_delay_alu instid0(VALU_DEP_1)
	v_add_f64 v[24:25], v[24:25], -v[28:29]
	v_cmpx_lt_u32_e32 10, v0
	s_cbranch_execz .LBB76_80
; %bb.79:
	v_dual_mov_b32 v28, v2 :: v_dual_mov_b32 v29, v3
	v_dual_mov_b32 v34, v8 :: v_dual_mov_b32 v35, v9
	;; [unrolled: 1-line block ×12, first 2 shown]
	v_mov_b32_e32 v33, v7
	ds_store_b64 v1, v[22:23]
	v_mov_b32_e32 v2, v28
	v_dual_mov_b32 v3, v29 :: v_dual_mov_b32 v4, v30
	v_dual_mov_b32 v5, v31 :: v_dual_mov_b32 v6, v32
	;; [unrolled: 1-line block ×13, first 2 shown]
	v_mov_b32_e32 v29, v55
	v_mov_b32_e32 v30, v56
	;; [unrolled: 1-line block ×5, first 2 shown]
.LBB76_80:
	s_or_b32 exec_lo, exec_lo, s0
	s_waitcnt lgkmcnt(0)
	s_barrier
	buffer_gl0_inv
	ds_load_2addr_b64 v[28:31], v48 offset0:25 offset1:26
	s_mov_b32 s0, exec_lo
	s_waitcnt lgkmcnt(0)
	v_fma_f64 v[28:29], v[24:25], v[28:29], 0
	s_delay_alu instid0(VALU_DEP_1) | instskip(NEXT) | instid1(VALU_DEP_1)
	v_fma_f64 v[28:29], v[26:27], v[30:31], v[28:29]
	v_add_f64 v[22:23], v[22:23], -v[28:29]
	v_cmpx_lt_u32_e32 9, v0
	s_cbranch_execz .LBB76_82
; %bb.81:
	v_dual_mov_b32 v46, 0 :: v_dual_mov_b32 v29, v3
	v_dual_mov_b32 v28, v2 :: v_dual_mov_b32 v31, v5
	;; [unrolled: 1-line block ×13, first 2 shown]
	ds_store_b64 v1, v[20:21]
	v_mov_b32_e32 v2, v28
	v_dual_mov_b32 v3, v29 :: v_dual_mov_b32 v4, v30
	v_dual_mov_b32 v5, v31 :: v_dual_mov_b32 v6, v32
	;; [unrolled: 1-line block ×13, first 2 shown]
	v_mov_b32_e32 v29, v55
	v_mov_b32_e32 v30, v56
	;; [unrolled: 1-line block ×5, first 2 shown]
.LBB76_82:
	s_or_b32 exec_lo, exec_lo, s0
	v_mov_b32_e32 v44, 0
	s_waitcnt lgkmcnt(0)
	s_barrier
	buffer_gl0_inv
	s_mov_b32 s0, exec_lo
	ds_load_b128 v[28:31], v44 offset:192
	ds_load_b64 v[32:33], v44 offset:208
	s_waitcnt lgkmcnt(1)
	v_fma_f64 v[28:29], v[22:23], v[28:29], 0
	s_delay_alu instid0(VALU_DEP_1) | instskip(SKIP_1) | instid1(VALU_DEP_1)
	v_fma_f64 v[28:29], v[24:25], v[30:31], v[28:29]
	s_waitcnt lgkmcnt(0)
	v_fma_f64 v[28:29], v[26:27], v[32:33], v[28:29]
	s_delay_alu instid0(VALU_DEP_1)
	v_add_f64 v[20:21], v[20:21], -v[28:29]
	v_cmpx_lt_u32_e32 8, v0
	s_cbranch_execz .LBB76_84
; %bb.83:
	v_dual_mov_b32 v28, v2 :: v_dual_mov_b32 v29, v3
	v_dual_mov_b32 v34, v8 :: v_dual_mov_b32 v35, v9
	;; [unrolled: 1-line block ×12, first 2 shown]
	v_mov_b32_e32 v33, v7
	ds_store_b64 v1, v[18:19]
	v_mov_b32_e32 v2, v28
	v_dual_mov_b32 v3, v29 :: v_dual_mov_b32 v4, v30
	v_dual_mov_b32 v5, v31 :: v_dual_mov_b32 v6, v32
	;; [unrolled: 1-line block ×13, first 2 shown]
	v_mov_b32_e32 v29, v55
	v_mov_b32_e32 v30, v56
	;; [unrolled: 1-line block ×5, first 2 shown]
.LBB76_84:
	s_or_b32 exec_lo, exec_lo, s0
	s_waitcnt lgkmcnt(0)
	s_barrier
	buffer_gl0_inv
	ds_load_2addr_b64 v[28:31], v44 offset0:23 offset1:24
	ds_load_2addr_b64 v[32:35], v44 offset0:25 offset1:26
	s_mov_b32 s0, exec_lo
	s_waitcnt lgkmcnt(1)
	v_fma_f64 v[28:29], v[20:21], v[28:29], 0
	s_delay_alu instid0(VALU_DEP_1) | instskip(SKIP_1) | instid1(VALU_DEP_1)
	v_fma_f64 v[28:29], v[22:23], v[30:31], v[28:29]
	s_waitcnt lgkmcnt(0)
	v_fma_f64 v[28:29], v[24:25], v[32:33], v[28:29]
	s_delay_alu instid0(VALU_DEP_1) | instskip(NEXT) | instid1(VALU_DEP_1)
	v_fma_f64 v[28:29], v[26:27], v[34:35], v[28:29]
	v_add_f64 v[18:19], v[18:19], -v[28:29]
	v_cmpx_lt_u32_e32 7, v0
	s_cbranch_execz .LBB76_86
; %bb.85:
	v_dual_mov_b32 v42, 0 :: v_dual_mov_b32 v29, v3
	v_dual_mov_b32 v28, v2 :: v_dual_mov_b32 v31, v5
	v_dual_mov_b32 v32, v6 :: v_dual_mov_b32 v35, v9
	v_dual_mov_b32 v34, v8 :: v_dual_mov_b32 v37, v11
	v_dual_mov_b32 v36, v10 :: v_dual_mov_b32 v39, v13
	v_dual_mov_b32 v38, v12 :: v_dual_mov_b32 v41, v15
	v_dual_mov_b32 v40, v14 :: v_dual_mov_b32 v45, v19
	v_dual_mov_b32 v43, v42 :: v_dual_mov_b32 v46, v20
	v_dual_mov_b32 v44, v18 :: v_dual_mov_b32 v47, v21
	v_dual_mov_b32 v48, v22 :: v_dual_mov_b32 v49, v23
	v_dual_mov_b32 v50, v24 :: v_dual_mov_b32 v51, v25
	v_dual_mov_b32 v52, v26 :: v_dual_mov_b32 v53, v27
	v_dual_mov_b32 v30, v4 :: v_dual_mov_b32 v33, v7
	ds_store_b64 v1, v[16:17]
	v_mov_b32_e32 v2, v28
	v_dual_mov_b32 v3, v29 :: v_dual_mov_b32 v4, v30
	v_dual_mov_b32 v5, v31 :: v_dual_mov_b32 v6, v32
	v_dual_mov_b32 v7, v33 :: v_dual_mov_b32 v8, v34
	v_dual_mov_b32 v9, v35 :: v_dual_mov_b32 v10, v36
	v_dual_mov_b32 v11, v37 :: v_dual_mov_b32 v12, v38
	v_dual_mov_b32 v13, v39 :: v_dual_mov_b32 v14, v40
	v_dual_mov_b32 v15, v41 :: v_dual_mov_b32 v16, v42
	v_dual_mov_b32 v17, v43 :: v_dual_mov_b32 v18, v44
	v_dual_mov_b32 v19, v45 :: v_dual_mov_b32 v20, v46
	v_dual_mov_b32 v21, v47 :: v_dual_mov_b32 v22, v48
	v_dual_mov_b32 v23, v49 :: v_dual_mov_b32 v24, v50
	v_dual_mov_b32 v25, v51 :: v_dual_mov_b32 v26, v52
	v_dual_mov_b32 v27, v53 :: v_dual_mov_b32 v28, v54
	v_mov_b32_e32 v29, v55
	v_mov_b32_e32 v30, v56
	v_mov_b32_e32 v31, v57
	v_mov_b32_e32 v32, v58
	v_mov_b32_e32 v33, v59
.LBB76_86:
	s_or_b32 exec_lo, exec_lo, s0
	v_mov_b32_e32 v40, 0
	s_waitcnt lgkmcnt(0)
	s_barrier
	buffer_gl0_inv
	s_mov_b32 s0, exec_lo
	ds_load_b128 v[28:31], v40 offset:176
	ds_load_b128 v[32:35], v40 offset:192
	s_waitcnt lgkmcnt(1)
	v_fma_f64 v[28:29], v[18:19], v[28:29], 0
	s_delay_alu instid0(VALU_DEP_1) | instskip(SKIP_3) | instid1(VALU_DEP_1)
	v_fma_f64 v[28:29], v[20:21], v[30:31], v[28:29]
	ds_load_b64 v[30:31], v40 offset:208
	s_waitcnt lgkmcnt(1)
	v_fma_f64 v[28:29], v[22:23], v[32:33], v[28:29]
	v_fma_f64 v[28:29], v[24:25], v[34:35], v[28:29]
	s_waitcnt lgkmcnt(0)
	s_delay_alu instid0(VALU_DEP_1) | instskip(NEXT) | instid1(VALU_DEP_1)
	v_fma_f64 v[28:29], v[26:27], v[30:31], v[28:29]
	v_add_f64 v[16:17], v[16:17], -v[28:29]
	v_cmpx_lt_u32_e32 6, v0
	s_cbranch_execz .LBB76_88
; %bb.87:
	v_dual_mov_b32 v28, v2 :: v_dual_mov_b32 v29, v3
	v_dual_mov_b32 v34, v8 :: v_dual_mov_b32 v35, v9
	;; [unrolled: 1-line block ×12, first 2 shown]
	v_mov_b32_e32 v33, v7
	ds_store_b64 v1, v[14:15]
	v_mov_b32_e32 v2, v28
	v_dual_mov_b32 v3, v29 :: v_dual_mov_b32 v4, v30
	v_dual_mov_b32 v5, v31 :: v_dual_mov_b32 v6, v32
	;; [unrolled: 1-line block ×13, first 2 shown]
	v_mov_b32_e32 v29, v55
	v_mov_b32_e32 v30, v56
	;; [unrolled: 1-line block ×5, first 2 shown]
.LBB76_88:
	s_or_b32 exec_lo, exec_lo, s0
	s_waitcnt lgkmcnt(0)
	s_barrier
	buffer_gl0_inv
	ds_load_2addr_b64 v[28:31], v40 offset0:21 offset1:22
	ds_load_2addr_b64 v[32:35], v40 offset0:23 offset1:24
	s_mov_b32 s0, exec_lo
	s_waitcnt lgkmcnt(1)
	v_fma_f64 v[28:29], v[16:17], v[28:29], 0
	s_delay_alu instid0(VALU_DEP_1) | instskip(SKIP_1) | instid1(VALU_DEP_1)
	v_fma_f64 v[28:29], v[18:19], v[30:31], v[28:29]
	s_waitcnt lgkmcnt(0)
	v_fma_f64 v[28:29], v[20:21], v[32:33], v[28:29]
	s_delay_alu instid0(VALU_DEP_1) | instskip(SKIP_3) | instid1(VALU_DEP_1)
	v_fma_f64 v[32:33], v[22:23], v[34:35], v[28:29]
	ds_load_2addr_b64 v[28:31], v40 offset0:25 offset1:26
	s_waitcnt lgkmcnt(0)
	v_fma_f64 v[28:29], v[24:25], v[28:29], v[32:33]
	v_fma_f64 v[28:29], v[26:27], v[30:31], v[28:29]
	s_delay_alu instid0(VALU_DEP_1)
	v_add_f64 v[14:15], v[14:15], -v[28:29]
	v_cmpx_lt_u32_e32 5, v0
	s_cbranch_execz .LBB76_90
; %bb.89:
	v_dual_mov_b32 v38, 0 :: v_dual_mov_b32 v29, v3
	v_dual_mov_b32 v28, v2 :: v_dual_mov_b32 v31, v5
	;; [unrolled: 1-line block ×13, first 2 shown]
	ds_store_b64 v1, v[12:13]
	v_mov_b32_e32 v2, v28
	v_dual_mov_b32 v3, v29 :: v_dual_mov_b32 v4, v30
	v_dual_mov_b32 v5, v31 :: v_dual_mov_b32 v6, v32
	;; [unrolled: 1-line block ×13, first 2 shown]
	v_mov_b32_e32 v29, v55
	v_mov_b32_e32 v30, v56
	;; [unrolled: 1-line block ×5, first 2 shown]
.LBB76_90:
	s_or_b32 exec_lo, exec_lo, s0
	v_mov_b32_e32 v36, 0
	s_waitcnt lgkmcnt(0)
	s_barrier
	buffer_gl0_inv
	s_mov_b32 s0, exec_lo
	ds_load_b128 v[28:31], v36 offset:160
	ds_load_b128 v[32:35], v36 offset:176
	s_waitcnt lgkmcnt(1)
	v_fma_f64 v[28:29], v[14:15], v[28:29], 0
	s_delay_alu instid0(VALU_DEP_1) | instskip(SKIP_1) | instid1(VALU_DEP_1)
	v_fma_f64 v[28:29], v[16:17], v[30:31], v[28:29]
	s_waitcnt lgkmcnt(0)
	v_fma_f64 v[28:29], v[18:19], v[32:33], v[28:29]
	s_delay_alu instid0(VALU_DEP_1) | instskip(SKIP_4) | instid1(VALU_DEP_1)
	v_fma_f64 v[32:33], v[20:21], v[34:35], v[28:29]
	ds_load_b128 v[28:31], v36 offset:192
	ds_load_b64 v[34:35], v36 offset:208
	s_waitcnt lgkmcnt(1)
	v_fma_f64 v[28:29], v[22:23], v[28:29], v[32:33]
	v_fma_f64 v[28:29], v[24:25], v[30:31], v[28:29]
	s_waitcnt lgkmcnt(0)
	s_delay_alu instid0(VALU_DEP_1) | instskip(NEXT) | instid1(VALU_DEP_1)
	v_fma_f64 v[28:29], v[26:27], v[34:35], v[28:29]
	v_add_f64 v[12:13], v[12:13], -v[28:29]
	v_cmpx_lt_u32_e32 4, v0
	s_cbranch_execz .LBB76_92
; %bb.91:
	v_dual_mov_b32 v28, v2 :: v_dual_mov_b32 v29, v3
	v_dual_mov_b32 v34, v8 :: v_dual_mov_b32 v35, v9
	;; [unrolled: 1-line block ×12, first 2 shown]
	v_mov_b32_e32 v33, v7
	ds_store_b64 v1, v[10:11]
	v_mov_b32_e32 v2, v28
	v_dual_mov_b32 v3, v29 :: v_dual_mov_b32 v4, v30
	v_dual_mov_b32 v5, v31 :: v_dual_mov_b32 v6, v32
	;; [unrolled: 1-line block ×13, first 2 shown]
	v_mov_b32_e32 v29, v55
	v_mov_b32_e32 v30, v56
	;; [unrolled: 1-line block ×5, first 2 shown]
.LBB76_92:
	s_or_b32 exec_lo, exec_lo, s0
	s_waitcnt lgkmcnt(0)
	s_barrier
	buffer_gl0_inv
	ds_load_2addr_b64 v[28:31], v36 offset0:19 offset1:20
	ds_load_2addr_b64 v[32:35], v36 offset0:21 offset1:22
	s_mov_b32 s0, exec_lo
	s_waitcnt lgkmcnt(1)
	v_fma_f64 v[28:29], v[12:13], v[28:29], 0
	s_delay_alu instid0(VALU_DEP_1) | instskip(SKIP_1) | instid1(VALU_DEP_1)
	v_fma_f64 v[28:29], v[14:15], v[30:31], v[28:29]
	s_waitcnt lgkmcnt(0)
	v_fma_f64 v[28:29], v[16:17], v[32:33], v[28:29]
	s_delay_alu instid0(VALU_DEP_1) | instskip(SKIP_4) | instid1(VALU_DEP_1)
	v_fma_f64 v[37:38], v[18:19], v[34:35], v[28:29]
	ds_load_2addr_b64 v[28:31], v36 offset0:23 offset1:24
	ds_load_2addr_b64 v[32:35], v36 offset0:25 offset1:26
	s_waitcnt lgkmcnt(1)
	v_fma_f64 v[28:29], v[20:21], v[28:29], v[37:38]
	v_fma_f64 v[28:29], v[22:23], v[30:31], v[28:29]
	s_waitcnt lgkmcnt(0)
	s_delay_alu instid0(VALU_DEP_1) | instskip(NEXT) | instid1(VALU_DEP_1)
	v_fma_f64 v[28:29], v[24:25], v[32:33], v[28:29]
	v_fma_f64 v[28:29], v[26:27], v[34:35], v[28:29]
	s_delay_alu instid0(VALU_DEP_1)
	v_add_f64 v[10:11], v[10:11], -v[28:29]
	v_cmpx_lt_u32_e32 3, v0
	s_cbranch_execz .LBB76_94
; %bb.93:
	v_dual_mov_b32 v34, 0 :: v_dual_mov_b32 v29, v3
	v_dual_mov_b32 v28, v2 :: v_dual_mov_b32 v31, v5
	s_delay_alu instid0(VALU_DEP_4) | instskip(NEXT) | instid1(VALU_DEP_3)
	v_dual_mov_b32 v32, v6 :: v_dual_mov_b32 v37, v11
	v_dual_mov_b32 v35, v34 :: v_dual_mov_b32 v38, v12
	;; [unrolled: 1-line block ×12, first 2 shown]
	v_mov_b32_e32 v2, v28
	s_delay_alu instid0(VALU_DEP_3)
	v_dual_mov_b32 v3, v29 :: v_dual_mov_b32 v4, v30
	v_dual_mov_b32 v5, v31 :: v_dual_mov_b32 v6, v32
	;; [unrolled: 1-line block ×13, first 2 shown]
	v_mov_b32_e32 v29, v55
	v_mov_b32_e32 v30, v56
	;; [unrolled: 1-line block ×5, first 2 shown]
	ds_store_b64 v1, v[54:55]
.LBB76_94:
	s_or_b32 exec_lo, exec_lo, s0
	v_mov_b32_e32 v34, 0
	s_waitcnt lgkmcnt(0)
	s_barrier
	buffer_gl0_inv
	s_mov_b32 s0, exec_lo
	ds_load_b128 v[28:31], v34 offset:144
	ds_load_b128 v[35:38], v34 offset:160
	s_waitcnt lgkmcnt(1)
	v_fma_f64 v[28:29], v[10:11], v[28:29], 0
	s_delay_alu instid0(VALU_DEP_1) | instskip(SKIP_1) | instid1(VALU_DEP_1)
	v_fma_f64 v[28:29], v[12:13], v[30:31], v[28:29]
	s_waitcnt lgkmcnt(0)
	v_fma_f64 v[28:29], v[14:15], v[35:36], v[28:29]
	s_delay_alu instid0(VALU_DEP_1) | instskip(SKIP_4) | instid1(VALU_DEP_1)
	v_fma_f64 v[32:33], v[16:17], v[37:38], v[28:29]
	ds_load_b128 v[28:31], v34 offset:176
	ds_load_b128 v[35:38], v34 offset:192
	s_waitcnt lgkmcnt(1)
	v_fma_f64 v[28:29], v[18:19], v[28:29], v[32:33]
	v_fma_f64 v[28:29], v[20:21], v[30:31], v[28:29]
	ds_load_b64 v[30:31], v34 offset:208
	s_waitcnt lgkmcnt(1)
	v_fma_f64 v[28:29], v[22:23], v[35:36], v[28:29]
	s_delay_alu instid0(VALU_DEP_1) | instskip(SKIP_1) | instid1(VALU_DEP_1)
	v_fma_f64 v[28:29], v[24:25], v[37:38], v[28:29]
	s_waitcnt lgkmcnt(0)
	v_fma_f64 v[28:29], v[26:27], v[30:31], v[28:29]
	s_delay_alu instid0(VALU_DEP_1)
	v_add_f64 v[8:9], v[8:9], -v[28:29]
	v_cmpx_lt_u32_e32 2, v0
	s_cbranch_execz .LBB76_96
; %bb.95:
	v_dual_mov_b32 v30, v2 :: v_dual_mov_b32 v31, v3
	s_delay_alu instid0(VALU_DEP_3)
	v_dual_mov_b32 v37, v9 :: v_dual_mov_b32 v36, v8
	v_dual_mov_b32 v35, v34 :: v_dual_mov_b32 v40, v12
	;; [unrolled: 1-line block ×12, first 2 shown]
	v_mov_b32_e32 v57, v7
	v_mov_b32_e32 v2, v30
	s_delay_alu instid0(VALU_DEP_3) | instskip(NEXT) | instid1(VALU_DEP_4)
	v_dual_mov_b32 v3, v31 :: v_dual_mov_b32 v4, v32
	v_dual_mov_b32 v5, v33 :: v_dual_mov_b32 v6, v34
	;; [unrolled: 1-line block ×14, first 2 shown]
	v_mov_b32_e32 v31, v59
	v_mov_b32_e32 v32, v60
	;; [unrolled: 1-line block ×3, first 2 shown]
	ds_store_b64 v1, v[56:57]
.LBB76_96:
	s_or_b32 exec_lo, exec_lo, s0
	s_waitcnt lgkmcnt(0)
	s_barrier
	buffer_gl0_inv
	ds_load_2addr_b64 v[28:31], v34 offset0:17 offset1:18
	ds_load_2addr_b64 v[35:38], v34 offset0:19 offset1:20
	s_mov_b32 s0, exec_lo
	s_waitcnt lgkmcnt(1)
	v_fma_f64 v[28:29], v[8:9], v[28:29], 0
	s_delay_alu instid0(VALU_DEP_1) | instskip(SKIP_1) | instid1(VALU_DEP_1)
	v_fma_f64 v[28:29], v[10:11], v[30:31], v[28:29]
	s_waitcnt lgkmcnt(0)
	v_fma_f64 v[28:29], v[12:13], v[35:36], v[28:29]
	s_delay_alu instid0(VALU_DEP_1) | instskip(SKIP_4) | instid1(VALU_DEP_1)
	v_fma_f64 v[32:33], v[14:15], v[37:38], v[28:29]
	ds_load_2addr_b64 v[28:31], v34 offset0:21 offset1:22
	ds_load_2addr_b64 v[35:38], v34 offset0:23 offset1:24
	s_waitcnt lgkmcnt(1)
	v_fma_f64 v[28:29], v[16:17], v[28:29], v[32:33]
	v_fma_f64 v[28:29], v[18:19], v[30:31], v[28:29]
	s_waitcnt lgkmcnt(0)
	s_delay_alu instid0(VALU_DEP_1) | instskip(NEXT) | instid1(VALU_DEP_1)
	v_fma_f64 v[28:29], v[20:21], v[35:36], v[28:29]
	v_fma_f64 v[32:33], v[22:23], v[37:38], v[28:29]
	ds_load_2addr_b64 v[28:31], v34 offset0:25 offset1:26
	s_waitcnt lgkmcnt(0)
	v_fma_f64 v[28:29], v[24:25], v[28:29], v[32:33]
	s_delay_alu instid0(VALU_DEP_1) | instskip(NEXT) | instid1(VALU_DEP_1)
	v_fma_f64 v[28:29], v[26:27], v[30:31], v[28:29]
	v_add_f64 v[6:7], v[6:7], -v[28:29]
	v_cmpx_lt_u32_e32 1, v0
	s_cbranch_execz .LBB76_98
; %bb.97:
	s_delay_alu instid0(VALU_DEP_2) | instskip(SKIP_2) | instid1(VALU_DEP_3)
	v_dual_mov_b32 v30, 0 :: v_dual_mov_b32 v33, v7
	v_dual_mov_b32 v28, v2 :: v_dual_mov_b32 v35, v9
	;; [unrolled: 1-line block ×14, first 2 shown]
	v_mov_b32_e32 v2, v28
	s_delay_alu instid0(VALU_DEP_3) | instskip(NEXT) | instid1(VALU_DEP_4)
	v_dual_mov_b32 v3, v29 :: v_dual_mov_b32 v4, v30
	v_dual_mov_b32 v5, v31 :: v_dual_mov_b32 v6, v32
	;; [unrolled: 1-line block ×13, first 2 shown]
	v_mov_b32_e32 v29, v55
	v_mov_b32_e32 v30, v56
	;; [unrolled: 1-line block ×5, first 2 shown]
	ds_store_b64 v1, v[54:55]
.LBB76_98:
	s_or_b32 exec_lo, exec_lo, s0
	v_mov_b32_e32 v34, 0
	s_waitcnt lgkmcnt(0)
	s_barrier
	buffer_gl0_inv
	s_mov_b32 s0, exec_lo
	ds_load_b128 v[28:31], v34 offset:128
	ds_load_b128 v[35:38], v34 offset:144
	s_waitcnt lgkmcnt(1)
	v_fma_f64 v[28:29], v[6:7], v[28:29], 0
	s_delay_alu instid0(VALU_DEP_1) | instskip(SKIP_1) | instid1(VALU_DEP_1)
	v_fma_f64 v[28:29], v[8:9], v[30:31], v[28:29]
	s_waitcnt lgkmcnt(0)
	v_fma_f64 v[28:29], v[10:11], v[35:36], v[28:29]
	s_delay_alu instid0(VALU_DEP_1) | instskip(SKIP_4) | instid1(VALU_DEP_1)
	v_fma_f64 v[32:33], v[12:13], v[37:38], v[28:29]
	ds_load_b128 v[28:31], v34 offset:160
	ds_load_b128 v[35:38], v34 offset:176
	s_waitcnt lgkmcnt(1)
	v_fma_f64 v[28:29], v[14:15], v[28:29], v[32:33]
	v_fma_f64 v[28:29], v[16:17], v[30:31], v[28:29]
	s_waitcnt lgkmcnt(0)
	s_delay_alu instid0(VALU_DEP_1) | instskip(NEXT) | instid1(VALU_DEP_1)
	v_fma_f64 v[28:29], v[18:19], v[35:36], v[28:29]
	v_fma_f64 v[32:33], v[20:21], v[37:38], v[28:29]
	ds_load_b128 v[28:31], v34 offset:192
	ds_load_b64 v[35:36], v34 offset:208
	s_waitcnt lgkmcnt(1)
	v_fma_f64 v[28:29], v[22:23], v[28:29], v[32:33]
	s_delay_alu instid0(VALU_DEP_1) | instskip(SKIP_1) | instid1(VALU_DEP_1)
	v_fma_f64 v[28:29], v[24:25], v[30:31], v[28:29]
	s_waitcnt lgkmcnt(0)
	v_fma_f64 v[28:29], v[26:27], v[35:36], v[28:29]
	s_delay_alu instid0(VALU_DEP_1)
	v_add_f64 v[4:5], v[4:5], -v[28:29]
	v_cmpx_ne_u32_e32 0, v0
	s_cbranch_execz .LBB76_100
; %bb.99:
	s_delay_alu instid0(VALU_DEP_2)
	v_dual_mov_b32 v37, v5 :: v_dual_mov_b32 v36, v4
	v_dual_mov_b32 v35, v34 :: v_dual_mov_b32 v40, v8
	;; [unrolled: 1-line block ×29, first 2 shown]
	v_mov_b32_e32 v33, v65
	ds_store_b64 v1, v[86:87]
.LBB76_100:
	s_or_b32 exec_lo, exec_lo, s0
	s_waitcnt lgkmcnt(0)
	s_barrier
	buffer_gl0_inv
	ds_load_2addr_b64 v[28:31], v34 offset0:15 offset1:16
	ds_load_2addr_b64 v[35:38], v34 offset0:17 offset1:18
	s_and_b32 vcc_lo, exec_lo, s20
	s_waitcnt lgkmcnt(1)
	v_fma_f64 v[0:1], v[4:5], v[28:29], 0
	s_delay_alu instid0(VALU_DEP_1) | instskip(SKIP_1) | instid1(VALU_DEP_1)
	v_fma_f64 v[0:1], v[6:7], v[30:31], v[0:1]
	s_waitcnt lgkmcnt(0)
	v_fma_f64 v[0:1], v[8:9], v[35:36], v[0:1]
	s_delay_alu instid0(VALU_DEP_1) | instskip(SKIP_4) | instid1(VALU_DEP_1)
	v_fma_f64 v[0:1], v[10:11], v[37:38], v[0:1]
	ds_load_2addr_b64 v[28:31], v34 offset0:19 offset1:20
	ds_load_2addr_b64 v[35:38], v34 offset0:21 offset1:22
	s_waitcnt lgkmcnt(1)
	v_fma_f64 v[0:1], v[12:13], v[28:29], v[0:1]
	v_fma_f64 v[0:1], v[14:15], v[30:31], v[0:1]
	s_waitcnt lgkmcnt(0)
	s_delay_alu instid0(VALU_DEP_1) | instskip(SKIP_4) | instid1(VALU_DEP_1)
	v_fma_f64 v[0:1], v[16:17], v[35:36], v[0:1]
	ds_load_2addr_b64 v[28:31], v34 offset0:23 offset1:24
	ds_load_2addr_b64 v[32:35], v34 offset0:25 offset1:26
	v_fma_f64 v[0:1], v[18:19], v[37:38], v[0:1]
	s_waitcnt lgkmcnt(1)
	v_fma_f64 v[0:1], v[20:21], v[28:29], v[0:1]
	s_delay_alu instid0(VALU_DEP_1) | instskip(SKIP_1) | instid1(VALU_DEP_1)
	v_fma_f64 v[0:1], v[22:23], v[30:31], v[0:1]
	s_waitcnt lgkmcnt(0)
	v_fma_f64 v[0:1], v[24:25], v[32:33], v[0:1]
	s_delay_alu instid0(VALU_DEP_1) | instskip(NEXT) | instid1(VALU_DEP_1)
	v_fma_f64 v[0:1], v[26:27], v[34:35], v[0:1]
	v_add_f64 v[2:3], v[2:3], -v[0:1]
	s_cbranch_vccz .LBB76_126
; %bb.101:
	v_dual_mov_b32 v0, s16 :: v_dual_mov_b32 v1, s17
	s_mov_b32 s7, exec_lo
	flat_load_b32 v0, v[0:1] offset:44
	s_waitcnt vmcnt(0) lgkmcnt(0)
	v_add_nc_u32_e32 v0, -1, v0
	s_delay_alu instid0(VALU_DEP_1)
	v_cmpx_ne_u32_e32 11, v0
	s_cbranch_execz .LBB76_103
; %bb.102:
	v_cmp_eq_u32_e32 vcc_lo, 1, v0
	v_cmp_eq_u32_e64 s0, 2, v0
	v_cmp_eq_u32_e64 s1, 3, v0
	;; [unrolled: 1-line block ×4, first 2 shown]
	v_dual_cndmask_b32 v1, v2, v4 :: v_dual_cndmask_b32 v28, v3, v5
	v_cmp_eq_u32_e64 s4, 6, v0
	v_cmp_eq_u32_e64 s5, 0, v0
	;; [unrolled: 1-line block ×3, first 2 shown]
	s_delay_alu instid0(VALU_DEP_4)
	v_cndmask_b32_e64 v1, v1, v6, s0
	v_cndmask_b32_e64 v28, v28, v7, s0
	v_cndmask_b32_e32 v30, v5, v25, vcc_lo
	v_cndmask_b32_e64 v32, v7, v25, s0
	v_cndmask_b32_e64 v31, v6, v24, s0
	;; [unrolled: 1-line block ×4, first 2 shown]
	v_cmp_eq_u32_e64 s0, 9, v0
	v_cndmask_b32_e64 v34, v9, v25, s1
	v_cndmask_b32_e64 v33, v8, v24, s1
	;; [unrolled: 1-line block ×4, first 2 shown]
	v_cmp_eq_u32_e64 s1, 10, v0
	v_cndmask_b32_e64 v36, v11, v25, s2
	v_cndmask_b32_e64 v35, v10, v24, s2
	;; [unrolled: 1-line block ×5, first 2 shown]
	v_cmp_eq_u32_e64 s2, 11, v0
	v_cndmask_b32_e64 v38, v13, v25, s3
	v_cndmask_b32_e64 v1, v1, v14, s4
	;; [unrolled: 1-line block ×3, first 2 shown]
	v_cndmask_b32_e32 v29, v4, v24, vcc_lo
	v_cmp_eq_u32_e32 vcc_lo, 8, v0
	v_cndmask_b32_e64 v37, v12, v24, s3
	v_cndmask_b32_e64 v1, v1, v16, s6
	;; [unrolled: 1-line block ×4, first 2 shown]
	v_cndmask_b32_e32 v43, v18, v24, vcc_lo
	v_cndmask_b32_e64 v39, v14, v24, s4
	v_dual_cndmask_b32 v1, v1, v18 :: v_dual_cndmask_b32 v44, v19, v25
	v_cndmask_b32_e64 v42, v17, v25, s6
	v_cndmask_b32_e64 v41, v16, v24, s6
	;; [unrolled: 1-line block ×3, first 2 shown]
	s_delay_alu instid0(VALU_DEP_4) | instskip(SKIP_3) | instid1(VALU_DEP_4)
	v_cndmask_b32_e64 v1, v1, v20, s0
	v_cndmask_b32_e64 v45, v20, v24, s0
	;; [unrolled: 1-line block ×5, first 2 shown]
	s_delay_alu instid0(VALU_DEP_1) | instskip(SKIP_2) | instid1(VALU_DEP_3)
	v_cndmask_b32_e64 v1, v1, v24, s2
	v_cndmask_b32_e32 v3, v3, v19, vcc_lo
	v_cmp_eq_u32_e32 vcc_lo, 12, v0
	v_cndmask_b32_e32 v0, v1, v26, vcc_lo
	s_delay_alu instid0(VALU_DEP_3) | instskip(SKIP_1) | instid1(VALU_DEP_3)
	v_cndmask_b32_e64 v3, v3, v21, s0
	v_dual_cndmask_b32 v52, v27, v25 :: v_dual_cndmask_b32 v51, v26, v24
	v_cndmask_b32_e64 v49, v0, v24, s2
	s_delay_alu instid0(VALU_DEP_3) | instskip(NEXT) | instid1(VALU_DEP_1)
	v_cndmask_b32_e64 v3, v3, v23, s1
	v_cndmask_b32_e64 v3, v3, v25, s2
	s_delay_alu instid0(VALU_DEP_1) | instskip(SKIP_1) | instid1(VALU_DEP_2)
	v_cndmask_b32_e32 v1, v3, v27, vcc_lo
	v_cndmask_b32_e64 v27, v2, v24, s5
	v_cndmask_b32_e64 v50, v1, v25, s2
	s_delay_alu instid0(VALU_DEP_2)
	v_mov_b32_e32 v2, v27
	v_dual_mov_b32 v4, v29 :: v_dual_mov_b32 v3, v28
	v_dual_mov_b32 v6, v31 :: v_dual_mov_b32 v5, v30
	;; [unrolled: 1-line block ×12, first 2 shown]
	v_mov_b32_e32 v27, v52
	v_mov_b32_e32 v28, v53
	;; [unrolled: 1-line block ×7, first 2 shown]
.LBB76_103:
	s_or_b32 exec_lo, exec_lo, s7
	v_dual_mov_b32 v0, s16 :: v_dual_mov_b32 v1, s17
	s_mov_b32 s7, exec_lo
	flat_load_b32 v0, v[0:1] offset:40
	s_waitcnt vmcnt(0) lgkmcnt(0)
	v_add_nc_u32_e32 v0, -1, v0
	s_delay_alu instid0(VALU_DEP_1)
	v_cmpx_ne_u32_e32 10, v0
	s_cbranch_execz .LBB76_105
; %bb.104:
	v_cmp_eq_u32_e32 vcc_lo, 1, v0
	v_cmp_eq_u32_e64 s0, 2, v0
	v_cmp_eq_u32_e64 s1, 3, v0
	;; [unrolled: 1-line block ×4, first 2 shown]
	v_dual_cndmask_b32 v1, v2, v4 :: v_dual_cndmask_b32 v28, v3, v5
	v_cmp_eq_u32_e64 s4, 6, v0
	v_cmp_eq_u32_e64 s5, 0, v0
	;; [unrolled: 1-line block ×3, first 2 shown]
	s_delay_alu instid0(VALU_DEP_4)
	v_cndmask_b32_e64 v1, v1, v6, s0
	v_cndmask_b32_e64 v28, v28, v7, s0
	v_cndmask_b32_e32 v30, v5, v23, vcc_lo
	v_cndmask_b32_e64 v32, v7, v23, s0
	v_cndmask_b32_e64 v31, v6, v22, s0
	;; [unrolled: 1-line block ×4, first 2 shown]
	v_cmp_eq_u32_e64 s0, 9, v0
	v_cndmask_b32_e64 v34, v9, v23, s1
	v_cndmask_b32_e64 v33, v8, v22, s1
	;; [unrolled: 1-line block ×4, first 2 shown]
	v_cmp_eq_u32_e64 s1, 10, v0
	v_cndmask_b32_e64 v36, v11, v23, s2
	v_cndmask_b32_e64 v35, v10, v22, s2
	;; [unrolled: 1-line block ×5, first 2 shown]
	v_cmp_eq_u32_e64 s2, 11, v0
	v_cndmask_b32_e64 v38, v13, v23, s3
	v_cndmask_b32_e64 v1, v1, v14, s4
	;; [unrolled: 1-line block ×3, first 2 shown]
	v_cndmask_b32_e32 v29, v4, v22, vcc_lo
	v_cmp_eq_u32_e32 vcc_lo, 8, v0
	v_cndmask_b32_e64 v37, v12, v22, s3
	v_cndmask_b32_e64 v1, v1, v16, s6
	;; [unrolled: 1-line block ×4, first 2 shown]
	v_cndmask_b32_e32 v43, v18, v22, vcc_lo
	v_cndmask_b32_e64 v39, v14, v22, s4
	v_dual_cndmask_b32 v1, v1, v18 :: v_dual_cndmask_b32 v44, v19, v23
	v_cndmask_b32_e64 v42, v17, v23, s6
	v_cndmask_b32_e64 v41, v16, v22, s6
	;; [unrolled: 1-line block ×3, first 2 shown]
	s_delay_alu instid0(VALU_DEP_4) | instskip(SKIP_3) | instid1(VALU_DEP_4)
	v_cndmask_b32_e64 v1, v1, v20, s0
	v_cndmask_b32_e64 v45, v20, v22, s0
	;; [unrolled: 1-line block ×5, first 2 shown]
	s_delay_alu instid0(VALU_DEP_1) | instskip(SKIP_2) | instid1(VALU_DEP_3)
	v_cndmask_b32_e64 v1, v1, v24, s2
	v_cndmask_b32_e32 v3, v3, v19, vcc_lo
	v_cmp_eq_u32_e32 vcc_lo, 12, v0
	v_cndmask_b32_e32 v0, v1, v26, vcc_lo
	s_delay_alu instid0(VALU_DEP_3) | instskip(SKIP_1) | instid1(VALU_DEP_3)
	v_cndmask_b32_e64 v3, v3, v21, s0
	v_dual_cndmask_b32 v52, v27, v23 :: v_dual_cndmask_b32 v51, v26, v22
	v_cndmask_b32_e64 v47, v0, v22, s1
	s_delay_alu instid0(VALU_DEP_3) | instskip(NEXT) | instid1(VALU_DEP_1)
	v_cndmask_b32_e64 v3, v3, v23, s1
	v_cndmask_b32_e64 v3, v3, v25, s2
	s_delay_alu instid0(VALU_DEP_1) | instskip(SKIP_1) | instid1(VALU_DEP_2)
	v_cndmask_b32_e32 v1, v3, v27, vcc_lo
	v_cndmask_b32_e64 v27, v2, v22, s5
	v_cndmask_b32_e64 v48, v1, v23, s1
	s_delay_alu instid0(VALU_DEP_2)
	v_mov_b32_e32 v2, v27
	v_dual_mov_b32 v4, v29 :: v_dual_mov_b32 v3, v28
	v_dual_mov_b32 v6, v31 :: v_dual_mov_b32 v5, v30
	;; [unrolled: 1-line block ×12, first 2 shown]
	v_mov_b32_e32 v27, v52
	v_mov_b32_e32 v28, v53
	;; [unrolled: 1-line block ×7, first 2 shown]
.LBB76_105:
	s_or_b32 exec_lo, exec_lo, s7
	v_dual_mov_b32 v0, s16 :: v_dual_mov_b32 v1, s17
	s_mov_b32 s7, exec_lo
	flat_load_b32 v0, v[0:1] offset:36
	s_waitcnt vmcnt(0) lgkmcnt(0)
	v_add_nc_u32_e32 v0, -1, v0
	s_delay_alu instid0(VALU_DEP_1)
	v_cmpx_ne_u32_e32 9, v0
	s_cbranch_execz .LBB76_107
; %bb.106:
	v_cmp_eq_u32_e32 vcc_lo, 1, v0
	v_cmp_eq_u32_e64 s0, 2, v0
	v_cmp_eq_u32_e64 s1, 3, v0
	;; [unrolled: 1-line block ×4, first 2 shown]
	v_dual_cndmask_b32 v1, v2, v4 :: v_dual_cndmask_b32 v28, v3, v5
	v_cmp_eq_u32_e64 s4, 6, v0
	v_cmp_eq_u32_e64 s5, 0, v0
	v_cmp_eq_u32_e64 s6, 7, v0
	s_delay_alu instid0(VALU_DEP_4)
	v_cndmask_b32_e64 v1, v1, v6, s0
	v_cndmask_b32_e64 v28, v28, v7, s0
	v_cndmask_b32_e32 v30, v5, v21, vcc_lo
	v_cndmask_b32_e64 v32, v7, v21, s0
	v_cndmask_b32_e64 v31, v6, v20, s0
	;; [unrolled: 1-line block ×4, first 2 shown]
	v_cmp_eq_u32_e64 s0, 9, v0
	v_cndmask_b32_e64 v34, v9, v21, s1
	v_cndmask_b32_e64 v33, v8, v20, s1
	;; [unrolled: 1-line block ×4, first 2 shown]
	v_cmp_eq_u32_e64 s1, 10, v0
	v_cndmask_b32_e64 v36, v11, v21, s2
	v_cndmask_b32_e64 v35, v10, v20, s2
	;; [unrolled: 1-line block ×5, first 2 shown]
	v_cmp_eq_u32_e64 s2, 11, v0
	v_cndmask_b32_e64 v38, v13, v21, s3
	v_cndmask_b32_e64 v1, v1, v14, s4
	;; [unrolled: 1-line block ×3, first 2 shown]
	v_cndmask_b32_e32 v29, v4, v20, vcc_lo
	v_cmp_eq_u32_e32 vcc_lo, 8, v0
	v_cndmask_b32_e64 v37, v12, v20, s3
	v_cndmask_b32_e64 v1, v1, v16, s6
	;; [unrolled: 1-line block ×4, first 2 shown]
	v_cndmask_b32_e32 v43, v18, v20, vcc_lo
	v_cndmask_b32_e64 v39, v14, v20, s4
	v_dual_cndmask_b32 v1, v1, v18 :: v_dual_cndmask_b32 v44, v19, v21
	v_cndmask_b32_e64 v42, v17, v21, s6
	v_cndmask_b32_e64 v41, v16, v20, s6
	;; [unrolled: 1-line block ×3, first 2 shown]
	s_delay_alu instid0(VALU_DEP_4) | instskip(SKIP_3) | instid1(VALU_DEP_4)
	v_cndmask_b32_e64 v1, v1, v20, s0
	v_cndmask_b32_e64 v47, v22, v20, s1
	v_cndmask_b32_e64 v50, v25, v21, s2
	v_cndmask_b32_e64 v49, v24, v20, s2
	v_cndmask_b32_e64 v1, v1, v22, s1
	s_delay_alu instid0(VALU_DEP_1) | instskip(SKIP_2) | instid1(VALU_DEP_3)
	v_cndmask_b32_e64 v1, v1, v24, s2
	v_cndmask_b32_e32 v3, v3, v19, vcc_lo
	v_cmp_eq_u32_e32 vcc_lo, 12, v0
	v_cndmask_b32_e32 v0, v1, v26, vcc_lo
	s_delay_alu instid0(VALU_DEP_3) | instskip(SKIP_1) | instid1(VALU_DEP_3)
	v_cndmask_b32_e64 v3, v3, v21, s0
	v_dual_cndmask_b32 v52, v27, v21 :: v_dual_cndmask_b32 v51, v26, v20
	v_cndmask_b32_e64 v45, v0, v20, s0
	s_delay_alu instid0(VALU_DEP_3) | instskip(NEXT) | instid1(VALU_DEP_1)
	v_cndmask_b32_e64 v3, v3, v23, s1
	v_cndmask_b32_e64 v3, v3, v25, s2
	s_delay_alu instid0(VALU_DEP_1) | instskip(SKIP_1) | instid1(VALU_DEP_2)
	v_cndmask_b32_e32 v1, v3, v27, vcc_lo
	v_cndmask_b32_e64 v27, v2, v20, s5
	v_cndmask_b32_e64 v46, v1, v21, s0
	s_delay_alu instid0(VALU_DEP_2)
	v_mov_b32_e32 v2, v27
	v_dual_mov_b32 v4, v29 :: v_dual_mov_b32 v3, v28
	v_dual_mov_b32 v6, v31 :: v_dual_mov_b32 v5, v30
	;; [unrolled: 1-line block ×12, first 2 shown]
	v_mov_b32_e32 v27, v52
	v_mov_b32_e32 v28, v53
	;; [unrolled: 1-line block ×7, first 2 shown]
.LBB76_107:
	s_or_b32 exec_lo, exec_lo, s7
	v_dual_mov_b32 v0, s16 :: v_dual_mov_b32 v1, s17
	s_mov_b32 s7, exec_lo
	flat_load_b32 v0, v[0:1] offset:32
	s_waitcnt vmcnt(0) lgkmcnt(0)
	v_add_nc_u32_e32 v0, -1, v0
	s_delay_alu instid0(VALU_DEP_1)
	v_cmpx_ne_u32_e32 8, v0
	s_cbranch_execz .LBB76_109
; %bb.108:
	v_cmp_eq_u32_e32 vcc_lo, 1, v0
	v_cmp_eq_u32_e64 s0, 2, v0
	v_cmp_eq_u32_e64 s1, 3, v0
	;; [unrolled: 1-line block ×4, first 2 shown]
	v_dual_cndmask_b32 v1, v2, v4 :: v_dual_cndmask_b32 v28, v3, v5
	v_cmp_eq_u32_e64 s4, 6, v0
	v_cmp_eq_u32_e64 s5, 0, v0
	;; [unrolled: 1-line block ×3, first 2 shown]
	s_delay_alu instid0(VALU_DEP_4)
	v_cndmask_b32_e64 v1, v1, v6, s0
	v_cndmask_b32_e64 v28, v28, v7, s0
	;; [unrolled: 1-line block ×4, first 2 shown]
	v_cndmask_b32_e32 v30, v5, v19, vcc_lo
	v_cndmask_b32_e64 v1, v1, v8, s1
	v_cndmask_b32_e64 v28, v28, v9, s1
	;; [unrolled: 1-line block ×7, first 2 shown]
	v_cmp_eq_u32_e64 s0, 9, v0
	v_cndmask_b32_e64 v35, v10, v18, s2
	v_cmp_eq_u32_e64 s1, 10, v0
	v_cndmask_b32_e64 v1, v1, v12, s3
	v_cndmask_b32_e64 v29, v28, v13, s3
	;; [unrolled: 1-line block ×3, first 2 shown]
	v_cmp_eq_u32_e64 s2, 11, v0
	v_cndmask_b32_e64 v38, v13, v19, s3
	v_cndmask_b32_e64 v1, v1, v14, s4
	;; [unrolled: 1-line block ×3, first 2 shown]
	v_cndmask_b32_e32 v29, v4, v18, vcc_lo
	v_cmp_eq_u32_e32 vcc_lo, 8, v0
	v_cndmask_b32_e64 v37, v12, v18, s3
	v_cndmask_b32_e64 v1, v1, v16, s6
	;; [unrolled: 1-line block ×13, first 2 shown]
	v_cndmask_b32_e32 v1, v1, v18, vcc_lo
	v_cndmask_b32_e32 v3, v3, v19, vcc_lo
	s_delay_alu instid0(VALU_DEP_2) | instskip(NEXT) | instid1(VALU_DEP_2)
	v_cndmask_b32_e64 v1, v1, v20, s0
	v_cndmask_b32_e64 v3, v3, v21, s0
	v_cmp_eq_u32_e64 s0, 12, v0
	s_delay_alu instid0(VALU_DEP_3) | instskip(NEXT) | instid1(VALU_DEP_3)
	v_cndmask_b32_e64 v1, v1, v22, s1
	v_cndmask_b32_e64 v3, v3, v23, s1
	s_delay_alu instid0(VALU_DEP_3) | instskip(SKIP_1) | instid1(VALU_DEP_4)
	v_cndmask_b32_e64 v52, v27, v19, s0
	v_cndmask_b32_e64 v51, v26, v18, s0
	;; [unrolled: 1-line block ×3, first 2 shown]
	s_delay_alu instid0(VALU_DEP_4) | instskip(NEXT) | instid1(VALU_DEP_2)
	v_cndmask_b32_e64 v3, v3, v25, s2
	v_cndmask_b32_e64 v0, v1, v26, s0
	s_delay_alu instid0(VALU_DEP_2) | instskip(SKIP_1) | instid1(VALU_DEP_2)
	v_cndmask_b32_e64 v1, v3, v27, s0
	v_cndmask_b32_e64 v27, v2, v18, s5
	v_dual_cndmask_b32 v43, v0, v18 :: v_dual_cndmask_b32 v44, v1, v19
	s_delay_alu instid0(VALU_DEP_2)
	v_mov_b32_e32 v2, v27
	v_dual_mov_b32 v3, v28 :: v_dual_mov_b32 v6, v31
	v_dual_mov_b32 v4, v29 :: v_dual_mov_b32 v5, v30
	;; [unrolled: 1-line block ×12, first 2 shown]
	v_mov_b32_e32 v27, v52
	v_mov_b32_e32 v28, v53
	;; [unrolled: 1-line block ×7, first 2 shown]
.LBB76_109:
	s_or_b32 exec_lo, exec_lo, s7
	v_dual_mov_b32 v0, s16 :: v_dual_mov_b32 v1, s17
	s_mov_b32 s7, exec_lo
	flat_load_b32 v0, v[0:1] offset:28
	s_waitcnt vmcnt(0) lgkmcnt(0)
	v_add_nc_u32_e32 v0, -1, v0
	s_delay_alu instid0(VALU_DEP_1)
	v_cmpx_ne_u32_e32 7, v0
	s_cbranch_execz .LBB76_111
; %bb.110:
	v_cmp_eq_u32_e32 vcc_lo, 1, v0
	v_cmp_eq_u32_e64 s0, 2, v0
	v_cmp_eq_u32_e64 s1, 3, v0
	v_cmp_eq_u32_e64 s2, 4, v0
	v_cmp_eq_u32_e64 s3, 5, v0
	v_dual_cndmask_b32 v1, v2, v4 :: v_dual_cndmask_b32 v28, v3, v5
	v_cmp_eq_u32_e64 s4, 6, v0
	v_cmp_eq_u32_e64 s5, 0, v0
	;; [unrolled: 1-line block ×3, first 2 shown]
	s_delay_alu instid0(VALU_DEP_4)
	v_cndmask_b32_e64 v1, v1, v6, s0
	v_cndmask_b32_e64 v28, v28, v7, s0
	v_cndmask_b32_e32 v30, v5, v17, vcc_lo
	v_cndmask_b32_e64 v32, v7, v17, s0
	v_cndmask_b32_e64 v31, v6, v16, s0
	;; [unrolled: 1-line block ×4, first 2 shown]
	v_cmp_eq_u32_e64 s0, 9, v0
	v_cndmask_b32_e64 v34, v9, v17, s1
	v_cndmask_b32_e64 v33, v8, v16, s1
	;; [unrolled: 1-line block ×4, first 2 shown]
	v_cmp_eq_u32_e64 s1, 10, v0
	v_cndmask_b32_e64 v36, v11, v17, s2
	v_cndmask_b32_e64 v35, v10, v16, s2
	;; [unrolled: 1-line block ×5, first 2 shown]
	v_cmp_eq_u32_e64 s2, 11, v0
	v_cndmask_b32_e64 v38, v13, v17, s3
	v_cndmask_b32_e64 v1, v1, v14, s4
	v_cndmask_b32_e64 v3, v29, v15, s4
	v_cndmask_b32_e32 v29, v4, v16, vcc_lo
	v_cmp_eq_u32_e32 vcc_lo, 8, v0
	v_cndmask_b32_e64 v37, v12, v16, s3
	v_cndmask_b32_e64 v1, v1, v16, s6
	;; [unrolled: 1-line block ×4, first 2 shown]
	v_cndmask_b32_e32 v43, v18, v16, vcc_lo
	v_cndmask_b32_e64 v39, v14, v16, s4
	v_dual_cndmask_b32 v1, v1, v18 :: v_dual_cndmask_b32 v44, v19, v17
	v_cndmask_b32_e64 v46, v21, v17, s0
	v_cndmask_b32_e64 v45, v20, v16, s0
	;; [unrolled: 1-line block ×3, first 2 shown]
	s_delay_alu instid0(VALU_DEP_4) | instskip(SKIP_3) | instid1(VALU_DEP_4)
	v_cndmask_b32_e64 v1, v1, v20, s0
	v_cndmask_b32_e64 v47, v22, v16, s1
	;; [unrolled: 1-line block ×5, first 2 shown]
	s_delay_alu instid0(VALU_DEP_1) | instskip(SKIP_2) | instid1(VALU_DEP_3)
	v_cndmask_b32_e64 v1, v1, v24, s2
	v_cndmask_b32_e32 v3, v3, v19, vcc_lo
	v_cmp_eq_u32_e32 vcc_lo, 12, v0
	v_cndmask_b32_e32 v0, v1, v26, vcc_lo
	s_delay_alu instid0(VALU_DEP_3) | instskip(SKIP_1) | instid1(VALU_DEP_3)
	v_cndmask_b32_e64 v3, v3, v21, s0
	v_dual_cndmask_b32 v52, v27, v17 :: v_dual_cndmask_b32 v51, v26, v16
	v_cndmask_b32_e64 v41, v0, v16, s6
	s_delay_alu instid0(VALU_DEP_3) | instskip(NEXT) | instid1(VALU_DEP_1)
	v_cndmask_b32_e64 v3, v3, v23, s1
	v_cndmask_b32_e64 v3, v3, v25, s2
	s_delay_alu instid0(VALU_DEP_1) | instskip(SKIP_1) | instid1(VALU_DEP_2)
	v_cndmask_b32_e32 v1, v3, v27, vcc_lo
	v_cndmask_b32_e64 v27, v2, v16, s5
	v_cndmask_b32_e64 v42, v1, v17, s6
	s_delay_alu instid0(VALU_DEP_2)
	v_mov_b32_e32 v2, v27
	v_dual_mov_b32 v4, v29 :: v_dual_mov_b32 v3, v28
	v_dual_mov_b32 v6, v31 :: v_dual_mov_b32 v5, v30
	;; [unrolled: 1-line block ×12, first 2 shown]
	v_mov_b32_e32 v27, v52
	v_mov_b32_e32 v28, v53
	;; [unrolled: 1-line block ×7, first 2 shown]
.LBB76_111:
	s_or_b32 exec_lo, exec_lo, s7
	v_dual_mov_b32 v0, s16 :: v_dual_mov_b32 v1, s17
	s_mov_b32 s7, exec_lo
	flat_load_b32 v0, v[0:1] offset:24
	s_waitcnt vmcnt(0) lgkmcnt(0)
	v_add_nc_u32_e32 v0, -1, v0
	s_delay_alu instid0(VALU_DEP_1)
	v_cmpx_ne_u32_e32 6, v0
	s_cbranch_execz .LBB76_113
; %bb.112:
	v_cmp_eq_u32_e32 vcc_lo, 1, v0
	v_cmp_eq_u32_e64 s0, 2, v0
	v_cmp_eq_u32_e64 s1, 3, v0
	;; [unrolled: 1-line block ×4, first 2 shown]
	v_dual_cndmask_b32 v1, v2, v4 :: v_dual_cndmask_b32 v28, v3, v5
	v_cmp_eq_u32_e64 s4, 6, v0
	v_cmp_eq_u32_e64 s5, 0, v0
	;; [unrolled: 1-line block ×3, first 2 shown]
	s_delay_alu instid0(VALU_DEP_4)
	v_cndmask_b32_e64 v1, v1, v6, s0
	v_cndmask_b32_e64 v28, v28, v7, s0
	v_cndmask_b32_e32 v30, v5, v15, vcc_lo
	v_cndmask_b32_e64 v32, v7, v15, s0
	v_cndmask_b32_e64 v31, v6, v14, s0
	v_cndmask_b32_e64 v1, v1, v8, s1
	v_cndmask_b32_e64 v28, v28, v9, s1
	v_cmp_eq_u32_e64 s0, 9, v0
	v_cndmask_b32_e64 v34, v9, v15, s1
	v_cndmask_b32_e64 v33, v8, v14, s1
	;; [unrolled: 1-line block ×4, first 2 shown]
	v_cmp_eq_u32_e64 s1, 10, v0
	v_cndmask_b32_e64 v36, v11, v15, s2
	v_cndmask_b32_e64 v35, v10, v14, s2
	v_cndmask_b32_e64 v1, v1, v12, s3
	v_cndmask_b32_e64 v29, v28, v13, s3
	v_cndmask_b32_e64 v28, v3, v15, s5
	v_cmp_eq_u32_e64 s2, 11, v0
	v_cndmask_b32_e64 v38, v13, v15, s3
	v_cndmask_b32_e64 v1, v1, v14, s4
	;; [unrolled: 1-line block ×3, first 2 shown]
	v_cndmask_b32_e32 v29, v4, v14, vcc_lo
	v_cmp_eq_u32_e32 vcc_lo, 8, v0
	v_cndmask_b32_e64 v37, v12, v14, s3
	v_cndmask_b32_e64 v1, v1, v16, s6
	;; [unrolled: 1-line block ×4, first 2 shown]
	v_cndmask_b32_e32 v43, v18, v14, vcc_lo
	v_cndmask_b32_e64 v41, v16, v14, s6
	v_dual_cndmask_b32 v1, v1, v18 :: v_dual_cndmask_b32 v44, v19, v15
	v_cndmask_b32_e64 v46, v21, v15, s0
	v_cndmask_b32_e64 v45, v20, v14, s0
	;; [unrolled: 1-line block ×3, first 2 shown]
	s_delay_alu instid0(VALU_DEP_4) | instskip(SKIP_3) | instid1(VALU_DEP_4)
	v_cndmask_b32_e64 v1, v1, v20, s0
	v_cndmask_b32_e64 v47, v22, v14, s1
	;; [unrolled: 1-line block ×5, first 2 shown]
	s_delay_alu instid0(VALU_DEP_1) | instskip(SKIP_2) | instid1(VALU_DEP_3)
	v_cndmask_b32_e64 v1, v1, v24, s2
	v_cndmask_b32_e32 v3, v3, v19, vcc_lo
	v_cmp_eq_u32_e32 vcc_lo, 12, v0
	v_cndmask_b32_e32 v0, v1, v26, vcc_lo
	s_delay_alu instid0(VALU_DEP_3) | instskip(SKIP_1) | instid1(VALU_DEP_3)
	v_cndmask_b32_e64 v3, v3, v21, s0
	v_dual_cndmask_b32 v52, v27, v15 :: v_dual_cndmask_b32 v51, v26, v14
	v_cndmask_b32_e64 v39, v0, v14, s4
	s_delay_alu instid0(VALU_DEP_3) | instskip(NEXT) | instid1(VALU_DEP_1)
	v_cndmask_b32_e64 v3, v3, v23, s1
	v_cndmask_b32_e64 v3, v3, v25, s2
	s_delay_alu instid0(VALU_DEP_1) | instskip(SKIP_1) | instid1(VALU_DEP_2)
	v_cndmask_b32_e32 v1, v3, v27, vcc_lo
	v_cndmask_b32_e64 v27, v2, v14, s5
	v_cndmask_b32_e64 v40, v1, v15, s4
	s_delay_alu instid0(VALU_DEP_2)
	v_mov_b32_e32 v2, v27
	v_dual_mov_b32 v4, v29 :: v_dual_mov_b32 v3, v28
	v_dual_mov_b32 v6, v31 :: v_dual_mov_b32 v5, v30
	v_dual_mov_b32 v8, v33 :: v_dual_mov_b32 v7, v32
	v_dual_mov_b32 v10, v35 :: v_dual_mov_b32 v9, v34
	v_dual_mov_b32 v12, v37 :: v_dual_mov_b32 v11, v36
	v_dual_mov_b32 v14, v39 :: v_dual_mov_b32 v13, v38
	v_dual_mov_b32 v16, v41 :: v_dual_mov_b32 v15, v40
	v_dual_mov_b32 v18, v43 :: v_dual_mov_b32 v17, v42
	v_dual_mov_b32 v20, v45 :: v_dual_mov_b32 v19, v44
	v_dual_mov_b32 v22, v47 :: v_dual_mov_b32 v21, v46
	v_dual_mov_b32 v24, v49 :: v_dual_mov_b32 v23, v48
	v_dual_mov_b32 v26, v51 :: v_dual_mov_b32 v25, v50
	v_mov_b32_e32 v27, v52
	v_mov_b32_e32 v28, v53
	;; [unrolled: 1-line block ×7, first 2 shown]
.LBB76_113:
	s_or_b32 exec_lo, exec_lo, s7
	v_dual_mov_b32 v0, s16 :: v_dual_mov_b32 v1, s17
	s_mov_b32 s7, exec_lo
	flat_load_b32 v0, v[0:1] offset:20
	s_waitcnt vmcnt(0) lgkmcnt(0)
	v_add_nc_u32_e32 v0, -1, v0
	s_delay_alu instid0(VALU_DEP_1)
	v_cmpx_ne_u32_e32 5, v0
	s_cbranch_execz .LBB76_115
; %bb.114:
	v_cmp_eq_u32_e32 vcc_lo, 1, v0
	v_cmp_eq_u32_e64 s0, 2, v0
	v_cmp_eq_u32_e64 s1, 3, v0
	;; [unrolled: 1-line block ×4, first 2 shown]
	v_dual_cndmask_b32 v1, v2, v4 :: v_dual_cndmask_b32 v28, v3, v5
	v_cmp_eq_u32_e64 s4, 6, v0
	v_cmp_eq_u32_e64 s5, 0, v0
	;; [unrolled: 1-line block ×3, first 2 shown]
	s_delay_alu instid0(VALU_DEP_4)
	v_cndmask_b32_e64 v1, v1, v6, s0
	v_cndmask_b32_e64 v28, v28, v7, s0
	v_cndmask_b32_e32 v30, v5, v13, vcc_lo
	v_cndmask_b32_e64 v32, v7, v13, s0
	v_cndmask_b32_e64 v31, v6, v12, s0
	;; [unrolled: 1-line block ×4, first 2 shown]
	v_cmp_eq_u32_e64 s0, 9, v0
	v_cndmask_b32_e64 v34, v9, v13, s1
	v_cndmask_b32_e64 v33, v8, v12, s1
	;; [unrolled: 1-line block ×4, first 2 shown]
	v_cmp_eq_u32_e64 s1, 10, v0
	v_cndmask_b32_e64 v36, v11, v13, s2
	v_cndmask_b32_e64 v35, v10, v12, s2
	;; [unrolled: 1-line block ×5, first 2 shown]
	v_cmp_eq_u32_e64 s2, 11, v0
	v_cndmask_b32_e64 v40, v15, v13, s4
	v_cndmask_b32_e64 v1, v1, v14, s4
	v_cndmask_b32_e64 v3, v29, v15, s4
	v_cndmask_b32_e32 v29, v4, v12, vcc_lo
	v_cmp_eq_u32_e32 vcc_lo, 8, v0
	v_cndmask_b32_e64 v39, v14, v12, s4
	v_cndmask_b32_e64 v1, v1, v16, s6
	;; [unrolled: 1-line block ×4, first 2 shown]
	v_cndmask_b32_e32 v43, v18, v12, vcc_lo
	v_cndmask_b32_e64 v41, v16, v12, s6
	v_dual_cndmask_b32 v1, v1, v18 :: v_dual_cndmask_b32 v44, v19, v13
	v_cndmask_b32_e64 v46, v21, v13, s0
	v_cndmask_b32_e64 v45, v20, v12, s0
	v_cndmask_b32_e64 v48, v23, v13, s1
	s_delay_alu instid0(VALU_DEP_4) | instskip(SKIP_3) | instid1(VALU_DEP_4)
	v_cndmask_b32_e64 v1, v1, v20, s0
	v_cndmask_b32_e64 v47, v22, v12, s1
	;; [unrolled: 1-line block ×5, first 2 shown]
	s_delay_alu instid0(VALU_DEP_1) | instskip(SKIP_2) | instid1(VALU_DEP_3)
	v_cndmask_b32_e64 v1, v1, v24, s2
	v_cndmask_b32_e32 v3, v3, v19, vcc_lo
	v_cmp_eq_u32_e32 vcc_lo, 12, v0
	v_cndmask_b32_e32 v0, v1, v26, vcc_lo
	s_delay_alu instid0(VALU_DEP_3) | instskip(SKIP_1) | instid1(VALU_DEP_3)
	v_cndmask_b32_e64 v3, v3, v21, s0
	v_dual_cndmask_b32 v52, v27, v13 :: v_dual_cndmask_b32 v51, v26, v12
	v_cndmask_b32_e64 v37, v0, v12, s3
	s_delay_alu instid0(VALU_DEP_3) | instskip(NEXT) | instid1(VALU_DEP_1)
	v_cndmask_b32_e64 v3, v3, v23, s1
	v_cndmask_b32_e64 v3, v3, v25, s2
	s_delay_alu instid0(VALU_DEP_1) | instskip(SKIP_1) | instid1(VALU_DEP_2)
	v_cndmask_b32_e32 v1, v3, v27, vcc_lo
	v_cndmask_b32_e64 v27, v2, v12, s5
	v_cndmask_b32_e64 v38, v1, v13, s3
	s_delay_alu instid0(VALU_DEP_2)
	v_mov_b32_e32 v2, v27
	v_dual_mov_b32 v4, v29 :: v_dual_mov_b32 v3, v28
	v_dual_mov_b32 v6, v31 :: v_dual_mov_b32 v5, v30
	;; [unrolled: 1-line block ×12, first 2 shown]
	v_mov_b32_e32 v27, v52
	v_mov_b32_e32 v28, v53
	;; [unrolled: 1-line block ×7, first 2 shown]
.LBB76_115:
	s_or_b32 exec_lo, exec_lo, s7
	v_dual_mov_b32 v0, s16 :: v_dual_mov_b32 v1, s17
	s_mov_b32 s7, exec_lo
	flat_load_b32 v0, v[0:1] offset:16
	s_waitcnt vmcnt(0) lgkmcnt(0)
	v_add_nc_u32_e32 v0, -1, v0
	s_delay_alu instid0(VALU_DEP_1)
	v_cmpx_ne_u32_e32 4, v0
	s_cbranch_execz .LBB76_117
; %bb.116:
	v_cmp_eq_u32_e32 vcc_lo, 1, v0
	v_cmp_eq_u32_e64 s0, 2, v0
	v_cmp_eq_u32_e64 s1, 3, v0
	v_cmp_eq_u32_e64 s2, 4, v0
	v_cmp_eq_u32_e64 s3, 5, v0
	v_dual_cndmask_b32 v1, v2, v4 :: v_dual_cndmask_b32 v28, v3, v5
	v_cmp_eq_u32_e64 s4, 6, v0
	v_cmp_eq_u32_e64 s5, 0, v0
	;; [unrolled: 1-line block ×3, first 2 shown]
	s_delay_alu instid0(VALU_DEP_4)
	v_cndmask_b32_e64 v1, v1, v6, s0
	v_cndmask_b32_e64 v28, v28, v7, s0
	v_cndmask_b32_e32 v30, v5, v11, vcc_lo
	v_cndmask_b32_e64 v32, v7, v11, s0
	v_cndmask_b32_e64 v31, v6, v10, s0
	;; [unrolled: 1-line block ×4, first 2 shown]
	v_cmp_eq_u32_e64 s0, 9, v0
	v_cndmask_b32_e64 v34, v9, v11, s1
	v_cndmask_b32_e64 v33, v8, v10, s1
	v_cndmask_b32_e64 v1, v1, v10, s2
	v_cndmask_b32_e64 v28, v28, v11, s2
	v_cmp_eq_u32_e64 s1, 10, v0
	v_cndmask_b32_e64 v38, v13, v11, s3
	v_cndmask_b32_e64 v37, v12, v10, s3
	;; [unrolled: 1-line block ×5, first 2 shown]
	v_cmp_eq_u32_e64 s3, 11, v0
	v_cndmask_b32_e64 v40, v15, v11, s4
	v_cndmask_b32_e64 v1, v1, v14, s4
	;; [unrolled: 1-line block ×3, first 2 shown]
	v_cndmask_b32_e32 v29, v4, v10, vcc_lo
	v_cmp_eq_u32_e32 vcc_lo, 8, v0
	v_cndmask_b32_e64 v39, v14, v10, s4
	v_cndmask_b32_e64 v1, v1, v16, s6
	;; [unrolled: 1-line block ×4, first 2 shown]
	v_cndmask_b32_e32 v43, v18, v10, vcc_lo
	v_cndmask_b32_e64 v41, v16, v10, s6
	v_dual_cndmask_b32 v1, v1, v18 :: v_dual_cndmask_b32 v44, v19, v11
	v_cndmask_b32_e64 v46, v21, v11, s0
	v_cndmask_b32_e64 v45, v20, v10, s0
	;; [unrolled: 1-line block ×3, first 2 shown]
	s_delay_alu instid0(VALU_DEP_4) | instskip(SKIP_3) | instid1(VALU_DEP_4)
	v_cndmask_b32_e64 v1, v1, v20, s0
	v_cndmask_b32_e64 v47, v22, v10, s1
	;; [unrolled: 1-line block ×5, first 2 shown]
	s_delay_alu instid0(VALU_DEP_1) | instskip(SKIP_2) | instid1(VALU_DEP_3)
	v_cndmask_b32_e64 v1, v1, v24, s3
	v_cndmask_b32_e32 v3, v3, v19, vcc_lo
	v_cmp_eq_u32_e32 vcc_lo, 12, v0
	v_cndmask_b32_e32 v0, v1, v26, vcc_lo
	s_delay_alu instid0(VALU_DEP_3) | instskip(SKIP_1) | instid1(VALU_DEP_3)
	v_cndmask_b32_e64 v3, v3, v21, s0
	v_dual_cndmask_b32 v52, v27, v11 :: v_dual_cndmask_b32 v51, v26, v10
	v_cndmask_b32_e64 v35, v0, v10, s2
	s_delay_alu instid0(VALU_DEP_3) | instskip(NEXT) | instid1(VALU_DEP_1)
	v_cndmask_b32_e64 v3, v3, v23, s1
	v_cndmask_b32_e64 v3, v3, v25, s3
	s_delay_alu instid0(VALU_DEP_1) | instskip(SKIP_1) | instid1(VALU_DEP_2)
	v_cndmask_b32_e32 v1, v3, v27, vcc_lo
	v_cndmask_b32_e64 v27, v2, v10, s5
	v_cndmask_b32_e64 v36, v1, v11, s2
	s_delay_alu instid0(VALU_DEP_2)
	v_mov_b32_e32 v2, v27
	v_dual_mov_b32 v4, v29 :: v_dual_mov_b32 v3, v28
	v_dual_mov_b32 v6, v31 :: v_dual_mov_b32 v5, v30
	;; [unrolled: 1-line block ×12, first 2 shown]
	v_mov_b32_e32 v27, v52
	v_mov_b32_e32 v28, v53
	;; [unrolled: 1-line block ×7, first 2 shown]
.LBB76_117:
	s_or_b32 exec_lo, exec_lo, s7
	v_dual_mov_b32 v0, s16 :: v_dual_mov_b32 v1, s17
	s_mov_b32 s7, exec_lo
	flat_load_b32 v0, v[0:1] offset:12
	s_waitcnt vmcnt(0) lgkmcnt(0)
	v_add_nc_u32_e32 v0, -1, v0
	s_delay_alu instid0(VALU_DEP_1)
	v_cmpx_ne_u32_e32 3, v0
	s_cbranch_execz .LBB76_119
; %bb.118:
	v_cmp_eq_u32_e32 vcc_lo, 1, v0
	v_cmp_eq_u32_e64 s0, 2, v0
	v_cmp_eq_u32_e64 s1, 3, v0
	;; [unrolled: 1-line block ×4, first 2 shown]
	v_dual_cndmask_b32 v1, v2, v4 :: v_dual_cndmask_b32 v28, v3, v5
	v_cmp_eq_u32_e64 s4, 6, v0
	v_cmp_eq_u32_e64 s5, 0, v0
	;; [unrolled: 1-line block ×3, first 2 shown]
	s_delay_alu instid0(VALU_DEP_4)
	v_cndmask_b32_e64 v1, v1, v6, s0
	v_cndmask_b32_e64 v28, v28, v7, s0
	v_cndmask_b32_e32 v30, v5, v9, vcc_lo
	v_cndmask_b32_e64 v32, v7, v9, s0
	v_cndmask_b32_e64 v31, v6, v8, s0
	;; [unrolled: 1-line block ×4, first 2 shown]
	v_cmp_eq_u32_e64 s0, 9, v0
	v_cndmask_b32_e64 v36, v11, v9, s2
	v_cndmask_b32_e64 v35, v10, v8, s2
	;; [unrolled: 1-line block ×4, first 2 shown]
	v_cmp_eq_u32_e64 s2, 10, v0
	v_cndmask_b32_e64 v38, v13, v9, s3
	v_cndmask_b32_e64 v37, v12, v8, s3
	;; [unrolled: 1-line block ×5, first 2 shown]
	v_cmp_eq_u32_e64 s3, 11, v0
	v_cndmask_b32_e64 v40, v15, v9, s4
	v_cndmask_b32_e64 v1, v1, v14, s4
	;; [unrolled: 1-line block ×3, first 2 shown]
	v_cndmask_b32_e32 v29, v4, v8, vcc_lo
	v_cmp_eq_u32_e32 vcc_lo, 8, v0
	v_cndmask_b32_e64 v39, v14, v8, s4
	v_cndmask_b32_e64 v1, v1, v16, s6
	;; [unrolled: 1-line block ×4, first 2 shown]
	v_cndmask_b32_e32 v43, v18, v8, vcc_lo
	v_cndmask_b32_e64 v41, v16, v8, s6
	v_dual_cndmask_b32 v1, v1, v18 :: v_dual_cndmask_b32 v44, v19, v9
	v_cndmask_b32_e64 v46, v21, v9, s0
	v_cndmask_b32_e64 v45, v20, v8, s0
	;; [unrolled: 1-line block ×3, first 2 shown]
	s_delay_alu instid0(VALU_DEP_4) | instskip(SKIP_3) | instid1(VALU_DEP_4)
	v_cndmask_b32_e64 v1, v1, v20, s0
	v_cndmask_b32_e64 v47, v22, v8, s2
	v_cndmask_b32_e64 v50, v25, v9, s3
	v_cndmask_b32_e64 v49, v24, v8, s3
	v_cndmask_b32_e64 v1, v1, v22, s2
	s_delay_alu instid0(VALU_DEP_1) | instskip(SKIP_2) | instid1(VALU_DEP_3)
	v_cndmask_b32_e64 v1, v1, v24, s3
	v_cndmask_b32_e32 v3, v3, v19, vcc_lo
	v_cmp_eq_u32_e32 vcc_lo, 12, v0
	v_cndmask_b32_e32 v0, v1, v26, vcc_lo
	s_delay_alu instid0(VALU_DEP_3) | instskip(SKIP_1) | instid1(VALU_DEP_3)
	v_cndmask_b32_e64 v3, v3, v21, s0
	v_dual_cndmask_b32 v52, v27, v9 :: v_dual_cndmask_b32 v51, v26, v8
	v_cndmask_b32_e64 v33, v0, v8, s1
	s_delay_alu instid0(VALU_DEP_3) | instskip(NEXT) | instid1(VALU_DEP_1)
	v_cndmask_b32_e64 v3, v3, v23, s2
	v_cndmask_b32_e64 v3, v3, v25, s3
	s_delay_alu instid0(VALU_DEP_1) | instskip(SKIP_1) | instid1(VALU_DEP_2)
	v_cndmask_b32_e32 v1, v3, v27, vcc_lo
	v_cndmask_b32_e64 v27, v2, v8, s5
	v_cndmask_b32_e64 v34, v1, v9, s1
	s_delay_alu instid0(VALU_DEP_2)
	v_mov_b32_e32 v2, v27
	v_dual_mov_b32 v4, v29 :: v_dual_mov_b32 v3, v28
	v_dual_mov_b32 v6, v31 :: v_dual_mov_b32 v5, v30
	;; [unrolled: 1-line block ×12, first 2 shown]
	v_mov_b32_e32 v27, v52
	v_mov_b32_e32 v28, v53
	;; [unrolled: 1-line block ×7, first 2 shown]
.LBB76_119:
	s_or_b32 exec_lo, exec_lo, s7
	v_dual_mov_b32 v0, s16 :: v_dual_mov_b32 v1, s17
	s_mov_b32 s7, exec_lo
	flat_load_b32 v0, v[0:1] offset:8
	s_waitcnt vmcnt(0) lgkmcnt(0)
	v_add_nc_u32_e32 v0, -1, v0
	s_delay_alu instid0(VALU_DEP_1)
	v_cmpx_ne_u32_e32 2, v0
	s_cbranch_execz .LBB76_121
; %bb.120:
	v_cmp_eq_u32_e32 vcc_lo, 1, v0
	v_cmp_eq_u32_e64 s0, 2, v0
	v_cmp_eq_u32_e64 s1, 3, v0
	;; [unrolled: 1-line block ×4, first 2 shown]
	v_dual_cndmask_b32 v1, v2, v4 :: v_dual_cndmask_b32 v28, v3, v5
	v_cmp_eq_u32_e64 s4, 6, v0
	v_cmp_eq_u32_e64 s5, 0, v0
	;; [unrolled: 1-line block ×3, first 2 shown]
	s_delay_alu instid0(VALU_DEP_4)
	v_cndmask_b32_e64 v1, v1, v6, s0
	v_cndmask_b32_e64 v28, v28, v7, s0
	v_cndmask_b32_e32 v30, v5, v7, vcc_lo
	v_cndmask_b32_e64 v34, v9, v7, s1
	v_cndmask_b32_e64 v33, v8, v6, s1
	;; [unrolled: 1-line block ×4, first 2 shown]
	v_cmp_eq_u32_e64 s1, 9, v0
	v_cndmask_b32_e64 v36, v11, v7, s2
	v_cndmask_b32_e64 v35, v10, v6, s2
	;; [unrolled: 1-line block ×4, first 2 shown]
	v_cmp_eq_u32_e64 s2, 10, v0
	v_cndmask_b32_e64 v38, v13, v7, s3
	v_cndmask_b32_e64 v37, v12, v6, s3
	;; [unrolled: 1-line block ×5, first 2 shown]
	v_cmp_eq_u32_e64 s3, 11, v0
	v_cndmask_b32_e64 v40, v15, v7, s4
	v_cndmask_b32_e64 v1, v1, v14, s4
	;; [unrolled: 1-line block ×3, first 2 shown]
	v_cndmask_b32_e32 v29, v4, v6, vcc_lo
	v_cmp_eq_u32_e32 vcc_lo, 8, v0
	v_cndmask_b32_e64 v39, v14, v6, s4
	v_cndmask_b32_e64 v1, v1, v16, s6
	;; [unrolled: 1-line block ×4, first 2 shown]
	v_cndmask_b32_e32 v43, v18, v6, vcc_lo
	v_cndmask_b32_e64 v41, v16, v6, s6
	v_dual_cndmask_b32 v1, v1, v18 :: v_dual_cndmask_b32 v44, v19, v7
	v_cndmask_b32_e64 v46, v21, v7, s1
	v_cndmask_b32_e64 v45, v20, v6, s1
	;; [unrolled: 1-line block ×3, first 2 shown]
	s_delay_alu instid0(VALU_DEP_4) | instskip(SKIP_3) | instid1(VALU_DEP_4)
	v_cndmask_b32_e64 v1, v1, v20, s1
	v_cndmask_b32_e64 v47, v22, v6, s2
	;; [unrolled: 1-line block ×5, first 2 shown]
	s_delay_alu instid0(VALU_DEP_1) | instskip(SKIP_2) | instid1(VALU_DEP_3)
	v_cndmask_b32_e64 v1, v1, v24, s3
	v_cndmask_b32_e32 v3, v3, v19, vcc_lo
	v_cmp_eq_u32_e32 vcc_lo, 12, v0
	v_cndmask_b32_e32 v0, v1, v26, vcc_lo
	s_delay_alu instid0(VALU_DEP_3) | instskip(SKIP_1) | instid1(VALU_DEP_3)
	v_cndmask_b32_e64 v3, v3, v21, s1
	v_dual_cndmask_b32 v52, v27, v7 :: v_dual_cndmask_b32 v51, v26, v6
	v_cndmask_b32_e64 v31, v0, v6, s0
	s_delay_alu instid0(VALU_DEP_3) | instskip(NEXT) | instid1(VALU_DEP_1)
	v_cndmask_b32_e64 v3, v3, v23, s2
	v_cndmask_b32_e64 v3, v3, v25, s3
	s_delay_alu instid0(VALU_DEP_1) | instskip(SKIP_1) | instid1(VALU_DEP_2)
	v_cndmask_b32_e32 v1, v3, v27, vcc_lo
	v_cndmask_b32_e64 v27, v2, v6, s5
	v_cndmask_b32_e64 v32, v1, v7, s0
	s_delay_alu instid0(VALU_DEP_2) | instskip(SKIP_2) | instid1(VALU_DEP_4)
	v_mov_b32_e32 v2, v27
	v_dual_mov_b32 v4, v29 :: v_dual_mov_b32 v3, v28
	v_dual_mov_b32 v6, v31 :: v_dual_mov_b32 v5, v30
	;; [unrolled: 1-line block ×12, first 2 shown]
	v_mov_b32_e32 v27, v52
	v_mov_b32_e32 v28, v53
	;; [unrolled: 1-line block ×7, first 2 shown]
.LBB76_121:
	s_or_b32 exec_lo, exec_lo, s7
	v_dual_mov_b32 v0, s16 :: v_dual_mov_b32 v1, s17
	s_mov_b32 s7, exec_lo
	flat_load_b32 v0, v[0:1] offset:4
	s_waitcnt vmcnt(0) lgkmcnt(0)
	v_add_nc_u32_e32 v0, -1, v0
	s_delay_alu instid0(VALU_DEP_1)
	v_cmpx_ne_u32_e32 1, v0
	s_cbranch_execz .LBB76_123
; %bb.122:
	v_cmp_eq_u32_e32 vcc_lo, 1, v0
	v_cmp_eq_u32_e64 s0, 2, v0
	v_cmp_eq_u32_e64 s1, 3, v0
	v_cmp_eq_u32_e64 s2, 4, v0
	v_cmp_eq_u32_e64 s3, 5, v0
	v_dual_cndmask_b32 v1, v2, v4 :: v_dual_cndmask_b32 v28, v3, v5
	v_cmp_eq_u32_e64 s4, 6, v0
	v_cmp_eq_u32_e64 s5, 0, v0
	;; [unrolled: 1-line block ×3, first 2 shown]
	s_delay_alu instid0(VALU_DEP_4)
	v_cndmask_b32_e64 v1, v1, v6, s0
	v_cndmask_b32_e64 v28, v28, v7, s0
	v_cndmask_b32_e64 v32, v7, v5, s0
	v_cndmask_b32_e64 v31, v6, v4, s0
	v_cmp_eq_u32_e64 s0, 8, v0
	v_cndmask_b32_e64 v1, v1, v8, s1
	v_cndmask_b32_e64 v28, v28, v9, s1
	v_cndmask_b32_e64 v34, v9, v5, s1
	v_cndmask_b32_e64 v33, v8, v4, s1
	v_cmp_eq_u32_e64 s1, 9, v0
	;; [unrolled: 5-line block ×3, first 2 shown]
	v_cndmask_b32_e64 v1, v1, v12, s3
	v_cndmask_b32_e64 v29, v28, v13, s3
	v_cndmask_b32_e64 v28, v3, v5, s5
	v_cndmask_b32_e64 v38, v13, v5, s3
	v_cndmask_b32_e64 v37, v12, v4, s3
	v_cndmask_b32_e64 v1, v1, v14, s4
	v_cndmask_b32_e64 v3, v29, v15, s4
	v_cmp_eq_u32_e64 s3, 11, v0
	v_cndmask_b32_e64 v44, v19, v5, s0
	v_cndmask_b32_e64 v43, v18, v4, s0
	v_cndmask_b32_e64 v1, v1, v16, s6
	v_cndmask_b32_e64 v3, v3, v17, s6
	v_cndmask_b32_e64 v40, v15, v5, s4
	v_cndmask_b32_e64 v39, v14, v4, s4
	v_cndmask_b32_e64 v42, v17, v5, s6
	v_cndmask_b32_e64 v1, v1, v18, s0
	v_cndmask_b32_e64 v3, v3, v19, s0
	v_cmp_eq_u32_e64 s0, 12, v0
	v_cndmask_b32_e64 v41, v16, v4, s6
	v_cndmask_b32_e64 v46, v21, v5, s1
	;; [unrolled: 1-line block ×15, first 2 shown]
	s_delay_alu instid0(VALU_DEP_3) | instskip(NEXT) | instid1(VALU_DEP_3)
	v_cndmask_b32_e64 v0, v1, v26, s0
	v_cndmask_b32_e64 v1, v3, v27, s0
	;; [unrolled: 1-line block ×3, first 2 shown]
	s_delay_alu instid0(VALU_DEP_2) | instskip(NEXT) | instid1(VALU_DEP_2)
	v_dual_cndmask_b32 v29, v0, v4 :: v_dual_cndmask_b32 v30, v1, v5
	v_mov_b32_e32 v2, v27
	s_delay_alu instid0(VALU_DEP_2) | instskip(NEXT) | instid1(VALU_DEP_3)
	v_dual_mov_b32 v3, v28 :: v_dual_mov_b32 v4, v29
	v_dual_mov_b32 v5, v30 :: v_dual_mov_b32 v6, v31
	;; [unrolled: 1-line block ×12, first 2 shown]
	v_mov_b32_e32 v27, v52
	v_mov_b32_e32 v28, v53
	;; [unrolled: 1-line block ×7, first 2 shown]
.LBB76_123:
	s_or_b32 exec_lo, exec_lo, s7
	v_dual_mov_b32 v0, s16 :: v_dual_mov_b32 v1, s17
	s_mov_b32 s5, exec_lo
	flat_load_b32 v0, v[0:1]
	s_waitcnt vmcnt(0) lgkmcnt(0)
	v_add_nc_u32_e32 v0, -1, v0
	s_delay_alu instid0(VALU_DEP_1)
	v_cmpx_ne_u32_e32 0, v0
	s_cbranch_execz .LBB76_125
; %bb.124:
	v_cmp_eq_u32_e32 vcc_lo, 1, v0
	v_cmp_eq_u32_e64 s0, 2, v0
	v_cmp_eq_u32_e64 s1, 3, v0
	;; [unrolled: 1-line block ×4, first 2 shown]
	v_dual_cndmask_b32 v1, v2, v4 :: v_dual_cndmask_b32 v28, v3, v5
	v_cmp_eq_u32_e64 s4, 6, v0
	v_cndmask_b32_e64 v30, v7, v3, s0
	v_cndmask_b32_e64 v29, v6, v2, s0
	s_delay_alu instid0(VALU_DEP_4)
	v_cndmask_b32_e64 v1, v1, v6, s0
	v_cndmask_b32_e64 v28, v28, v7, s0
	v_cmp_eq_u32_e64 s0, 7, v0
	v_cndmask_b32_e64 v32, v9, v3, s1
	v_cndmask_b32_e64 v31, v8, v2, s1
	v_cndmask_b32_e64 v1, v1, v8, s1
	v_cndmask_b32_e64 v28, v28, v9, s1
	v_cmp_eq_u32_e64 s1, 8, v0
	v_cndmask_b32_e64 v34, v11, v3, s2
	v_cndmask_b32_e64 v33, v10, v2, s2
	;; [unrolled: 5-line block ×4, first 2 shown]
	v_cndmask_b32_e64 v1, v1, v14, s4
	v_cndmask_b32_e64 v6, v28, v15, s4
	v_cndmask_b32_e32 v28, v5, v3, vcc_lo
	v_cndmask_b32_e64 v42, v19, v3, s1
	v_cndmask_b32_e64 v41, v18, v2, s1
	v_cndmask_b32_e64 v1, v1, v16, s0
	v_cndmask_b32_e64 v5, v6, v17, s0
	v_cmp_eq_u32_e64 s0, 11, v0
	v_cndmask_b32_e64 v44, v21, v3, s2
	v_cndmask_b32_e64 v43, v20, v2, s2
	v_cndmask_b32_e64 v1, v1, v18, s1
	v_cndmask_b32_e64 v5, v5, v19, s1
	v_cmp_eq_u32_e64 s1, 12, v0
	;; [unrolled: 5-line block ×3, first 2 shown]
	v_cndmask_b32_e64 v37, v14, v2, s4
	v_cndmask_b32_e64 v46, v23, v3, s3
	;; [unrolled: 1-line block ×10, first 2 shown]
	s_delay_alu instid0(VALU_DEP_3) | instskip(NEXT) | instid1(VALU_DEP_3)
	v_cndmask_b32_e64 v1, v1, v26, s1
	v_cndmask_b32_e64 v5, v5, v27, s1
	v_cndmask_b32_e32 v27, v4, v2, vcc_lo
	s_delay_alu instid0(VALU_DEP_3) | instskip(NEXT) | instid1(VALU_DEP_3)
	v_cndmask_b32_e64 v25, v1, v2, s2
	v_cndmask_b32_e64 v26, v5, v3, s2
	s_delay_alu instid0(VALU_DEP_2) | instskip(NEXT) | instid1(VALU_DEP_2)
	v_mov_b32_e32 v2, v25
	v_dual_mov_b32 v3, v26 :: v_dual_mov_b32 v4, v27
	v_dual_mov_b32 v5, v28 :: v_dual_mov_b32 v6, v29
	;; [unrolled: 1-line block ×11, first 2 shown]
	v_mov_b32_e32 v25, v48
	v_mov_b32_e32 v26, v49
	;; [unrolled: 1-line block ×9, first 2 shown]
.LBB76_125:
	s_or_b32 exec_lo, exec_lo, s5
.LBB76_126:
	s_delay_alu instid0(VALU_DEP_1)
	v_dual_mov_b32 v1, v3 :: v_dual_mov_b32 v0, v2
	v_dual_mov_b32 v3, v5 :: v_dual_mov_b32 v2, v4
	v_dual_mov_b32 v5, v7 :: v_dual_mov_b32 v4, v6
	s_clause 0x2
	global_store_b64 v[60:61], v[0:1], off
	global_store_b64 v[62:63], v[2:3], off
	;; [unrolled: 1-line block ×3, first 2 shown]
	v_dual_mov_b32 v1, v9 :: v_dual_mov_b32 v0, v8
	v_dual_mov_b32 v3, v11 :: v_dual_mov_b32 v2, v10
	;; [unrolled: 1-line block ×5, first 2 shown]
	s_clause 0x4
	global_store_b64 v[64:65], v[0:1], off
	global_store_b64 v[68:69], v[2:3], off
	;; [unrolled: 1-line block ×5, first 2 shown]
	v_dual_mov_b32 v1, v19 :: v_dual_mov_b32 v0, v18
	v_dual_mov_b32 v3, v21 :: v_dual_mov_b32 v2, v20
	;; [unrolled: 1-line block ×5, first 2 shown]
	s_clause 0x4
	global_store_b64 v[74:75], v[0:1], off
	global_store_b64 v[78:79], v[2:3], off
	;; [unrolled: 1-line block ×5, first 2 shown]
	s_nop 0
	s_sendmsg sendmsg(MSG_DEALLOC_VGPRS)
	s_endpgm
	.section	.rodata,"a",@progbits
	.p2align	6, 0x0
	.amdhsa_kernel _ZN9rocsolver6v33100L18getri_kernel_smallILi13EdPKPdEEvT1_iilPiilS6_bb
		.amdhsa_group_segment_fixed_size 216
		.amdhsa_private_segment_fixed_size 0
		.amdhsa_kernarg_size 60
		.amdhsa_user_sgpr_count 15
		.amdhsa_user_sgpr_dispatch_ptr 0
		.amdhsa_user_sgpr_queue_ptr 0
		.amdhsa_user_sgpr_kernarg_segment_ptr 1
		.amdhsa_user_sgpr_dispatch_id 0
		.amdhsa_user_sgpr_private_segment_size 0
		.amdhsa_wavefront_size32 1
		.amdhsa_uses_dynamic_stack 0
		.amdhsa_enable_private_segment 0
		.amdhsa_system_sgpr_workgroup_id_x 1
		.amdhsa_system_sgpr_workgroup_id_y 0
		.amdhsa_system_sgpr_workgroup_id_z 0
		.amdhsa_system_sgpr_workgroup_info 0
		.amdhsa_system_vgpr_workitem_id 0
		.amdhsa_next_free_vgpr 88
		.amdhsa_next_free_sgpr 21
		.amdhsa_reserve_vcc 1
		.amdhsa_float_round_mode_32 0
		.amdhsa_float_round_mode_16_64 0
		.amdhsa_float_denorm_mode_32 3
		.amdhsa_float_denorm_mode_16_64 3
		.amdhsa_dx10_clamp 1
		.amdhsa_ieee_mode 1
		.amdhsa_fp16_overflow 0
		.amdhsa_workgroup_processor_mode 1
		.amdhsa_memory_ordered 1
		.amdhsa_forward_progress 0
		.amdhsa_shared_vgpr_count 0
		.amdhsa_exception_fp_ieee_invalid_op 0
		.amdhsa_exception_fp_denorm_src 0
		.amdhsa_exception_fp_ieee_div_zero 0
		.amdhsa_exception_fp_ieee_overflow 0
		.amdhsa_exception_fp_ieee_underflow 0
		.amdhsa_exception_fp_ieee_inexact 0
		.amdhsa_exception_int_div_zero 0
	.end_amdhsa_kernel
	.section	.text._ZN9rocsolver6v33100L18getri_kernel_smallILi13EdPKPdEEvT1_iilPiilS6_bb,"axG",@progbits,_ZN9rocsolver6v33100L18getri_kernel_smallILi13EdPKPdEEvT1_iilPiilS6_bb,comdat
.Lfunc_end76:
	.size	_ZN9rocsolver6v33100L18getri_kernel_smallILi13EdPKPdEEvT1_iilPiilS6_bb, .Lfunc_end76-_ZN9rocsolver6v33100L18getri_kernel_smallILi13EdPKPdEEvT1_iilPiilS6_bb
                                        ; -- End function
	.section	.AMDGPU.csdata,"",@progbits
; Kernel info:
; codeLenInByte = 21896
; NumSgprs: 23
; NumVgprs: 88
; ScratchSize: 0
; MemoryBound: 0
; FloatMode: 240
; IeeeMode: 1
; LDSByteSize: 216 bytes/workgroup (compile time only)
; SGPRBlocks: 2
; VGPRBlocks: 10
; NumSGPRsForWavesPerEU: 23
; NumVGPRsForWavesPerEU: 88
; Occupancy: 16
; WaveLimiterHint : 1
; COMPUTE_PGM_RSRC2:SCRATCH_EN: 0
; COMPUTE_PGM_RSRC2:USER_SGPR: 15
; COMPUTE_PGM_RSRC2:TRAP_HANDLER: 0
; COMPUTE_PGM_RSRC2:TGID_X_EN: 1
; COMPUTE_PGM_RSRC2:TGID_Y_EN: 0
; COMPUTE_PGM_RSRC2:TGID_Z_EN: 0
; COMPUTE_PGM_RSRC2:TIDIG_COMP_CNT: 0
	.section	.text._ZN9rocsolver6v33100L18getri_kernel_smallILi14EdPKPdEEvT1_iilPiilS6_bb,"axG",@progbits,_ZN9rocsolver6v33100L18getri_kernel_smallILi14EdPKPdEEvT1_iilPiilS6_bb,comdat
	.globl	_ZN9rocsolver6v33100L18getri_kernel_smallILi14EdPKPdEEvT1_iilPiilS6_bb ; -- Begin function _ZN9rocsolver6v33100L18getri_kernel_smallILi14EdPKPdEEvT1_iilPiilS6_bb
	.p2align	8
	.type	_ZN9rocsolver6v33100L18getri_kernel_smallILi14EdPKPdEEvT1_iilPiilS6_bb,@function
_ZN9rocsolver6v33100L18getri_kernel_smallILi14EdPKPdEEvT1_iilPiilS6_bb: ; @_ZN9rocsolver6v33100L18getri_kernel_smallILi14EdPKPdEEvT1_iilPiilS6_bb
; %bb.0:
	s_mov_b32 s2, exec_lo
	v_cmpx_gt_u32_e32 14, v0
	s_cbranch_execz .LBB77_16
; %bb.1:
	s_clause 0x1
	s_load_b32 s4, s[0:1], 0x38
	s_load_b64 s[2:3], s[0:1], 0x0
	s_mov_b32 s18, s15
                                        ; implicit-def: $sgpr16_sgpr17
	s_waitcnt lgkmcnt(0)
	s_bitcmp1_b32 s4, 8
	s_cselect_b32 s20, -1, 0
	s_ashr_i32 s19, s15, 31
	s_load_b128 s[12:15], s[0:1], 0x28
	s_lshl_b64 s[6:7], s[18:19], 3
	s_delay_alu instid0(SALU_CYCLE_1)
	s_add_u32 s2, s2, s6
	s_addc_u32 s3, s3, s7
	s_bfe_u32 s5, s4, 0x10008
	s_load_b64 s[2:3], s[2:3], 0x0
	s_cmp_eq_u32 s5, 0
	s_cbranch_scc1 .LBB77_3
; %bb.2:
	s_clause 0x1
	s_load_b32 s6, s[0:1], 0x20
	s_load_b64 s[8:9], s[0:1], 0x18
	s_waitcnt lgkmcnt(0)
	s_mul_i32 s5, s18, s13
	s_mul_hi_u32 s7, s18, s12
	s_mul_i32 s11, s19, s12
	s_add_i32 s5, s7, s5
	s_mul_i32 s10, s18, s12
	s_add_i32 s11, s5, s11
	s_delay_alu instid0(SALU_CYCLE_1) | instskip(SKIP_4) | instid1(SALU_CYCLE_1)
	s_lshl_b64 s[10:11], s[10:11], 2
	s_ashr_i32 s7, s6, 31
	s_add_u32 s5, s8, s10
	s_addc_u32 s8, s9, s11
	s_lshl_b64 s[6:7], s[6:7], 2
	s_add_u32 s16, s5, s6
	s_addc_u32 s17, s8, s7
.LBB77_3:
	s_load_b64 s[0:1], s[0:1], 0x8
	v_lshlrev_b32_e32 v32, 3, v0
	s_waitcnt lgkmcnt(0)
	v_add3_u32 v1, s1, s1, v0
	s_ashr_i32 s7, s0, 31
	s_mov_b32 s6, s0
	s_mov_b32 s8, s1
	s_lshl_b64 s[6:7], s[6:7], 3
	v_add_nc_u32_e32 v3, s1, v1
	v_ashrrev_i32_e32 v2, 31, v1
	s_add_u32 s2, s2, s6
	s_addc_u32 s3, s3, s7
	v_add_co_u32 v60, s0, s2, v32
	v_add_nc_u32_e32 v5, s1, v3
	s_ashr_i32 s9, s1, 31
	v_add_co_ci_u32_e64 v61, null, s3, 0, s0
	v_lshlrev_b64 v[1:2], 3, v[1:2]
	s_lshl_b64 s[6:7], s[8:9], 3
	v_ashrrev_i32_e32 v6, 31, v5
	v_add_co_u32 v62, vcc_lo, v60, s6
	v_add_nc_u32_e32 v7, s1, v5
	v_ashrrev_i32_e32 v4, 31, v3
	v_add_co_ci_u32_e32 v63, vcc_lo, s7, v61, vcc_lo
	v_add_co_u32 v64, vcc_lo, s2, v1
	v_add_co_ci_u32_e32 v65, vcc_lo, s3, v2, vcc_lo
	v_lshlrev_b64 v[1:2], 3, v[5:6]
	v_add_nc_u32_e32 v5, s1, v7
	v_lshlrev_b64 v[3:4], 3, v[3:4]
	v_ashrrev_i32_e32 v8, 31, v7
	s_bitcmp0_b32 s4, 0
	s_mov_b32 s0, -1
	v_add_nc_u32_e32 v14, s1, v5
	v_ashrrev_i32_e32 v6, 31, v5
	v_add_co_u32 v68, vcc_lo, s2, v3
	v_lshlrev_b64 v[12:13], 3, v[7:8]
	v_add_co_ci_u32_e32 v69, vcc_lo, s3, v4, vcc_lo
	v_add_co_u32 v66, vcc_lo, s2, v1
	v_add_nc_u32_e32 v16, s1, v14
	v_ashrrev_i32_e32 v15, 31, v14
	v_add_co_ci_u32_e32 v67, vcc_lo, s3, v2, vcc_lo
	v_lshlrev_b64 v[1:2], 3, v[5:6]
	v_add_co_u32 v70, vcc_lo, s2, v12
	v_ashrrev_i32_e32 v17, 31, v16
	v_add_co_ci_u32_e32 v71, vcc_lo, s3, v13, vcc_lo
	v_lshlrev_b64 v[12:13], 3, v[14:15]
	v_add_nc_u32_e32 v14, s1, v16
	v_add_co_u32 v72, vcc_lo, s2, v1
	v_add_co_ci_u32_e32 v73, vcc_lo, s3, v2, vcc_lo
	v_lshlrev_b64 v[1:2], 3, v[16:17]
	s_delay_alu instid0(VALU_DEP_4)
	v_add_nc_u32_e32 v20, s1, v14
	v_add_co_u32 v74, vcc_lo, s2, v12
	v_ashrrev_i32_e32 v15, 31, v14
	v_add_co_ci_u32_e32 v75, vcc_lo, s3, v13, vcc_lo
	v_add_co_u32 v76, vcc_lo, s2, v1
	v_add_nc_u32_e32 v22, s1, v20
	v_add_co_ci_u32_e32 v77, vcc_lo, s3, v2, vcc_lo
	v_lshlrev_b64 v[1:2], 3, v[14:15]
	v_ashrrev_i32_e32 v21, 31, v20
	s_delay_alu instid0(VALU_DEP_4)
	v_ashrrev_i32_e32 v23, 31, v22
	v_add_nc_u32_e32 v24, s1, v22
	s_clause 0x7
	global_load_b64 v[4:5], v[62:63], off
	global_load_b64 v[6:7], v[64:65], off
	;; [unrolled: 1-line block ×8, first 2 shown]
	v_add_co_u32 v78, vcc_lo, s2, v1
	v_lshlrev_b64 v[20:21], 3, v[20:21]
	v_add_co_ci_u32_e32 v79, vcc_lo, s3, v2, vcc_lo
	v_lshlrev_b64 v[1:2], 3, v[22:23]
	v_add_nc_u32_e32 v22, s1, v24
	v_ashrrev_i32_e32 v25, 31, v24
	v_add_co_u32 v80, vcc_lo, s2, v20
	v_add_co_ci_u32_e32 v81, vcc_lo, s3, v21, vcc_lo
	s_delay_alu instid0(VALU_DEP_4) | instskip(NEXT) | instid1(VALU_DEP_4)
	v_ashrrev_i32_e32 v23, 31, v22
	v_lshlrev_b64 v[20:21], 3, v[24:25]
	v_add_co_u32 v82, vcc_lo, s2, v1
	v_add_co_ci_u32_e32 v83, vcc_lo, s3, v2, vcc_lo
	s_delay_alu instid0(VALU_DEP_4) | instskip(NEXT) | instid1(VALU_DEP_4)
	v_lshlrev_b64 v[1:2], 3, v[22:23]
	v_add_co_u32 v86, vcc_lo, s2, v20
	v_add_co_ci_u32_e32 v87, vcc_lo, s3, v21, vcc_lo
	s_delay_alu instid0(VALU_DEP_3)
	v_add_co_u32 v84, vcc_lo, s2, v1
	v_mov_b32_e32 v1, 0
	v_add_co_ci_u32_e32 v85, vcc_lo, s3, v2, vcc_lo
	s_clause 0x5
	global_load_b64 v[20:21], v[78:79], off
	global_load_b64 v[22:23], v[80:81], off
	;; [unrolled: 1-line block ×4, first 2 shown]
	global_load_b64 v[2:3], v32, s[2:3]
	global_load_b64 v[28:29], v[84:85], off
	s_cbranch_scc1 .LBB77_14
; %bb.4:
	v_cmp_eq_u32_e64 s0, 0, v0
	s_delay_alu instid0(VALU_DEP_1)
	s_and_saveexec_b32 s1, s0
	s_cbranch_execz .LBB77_6
; %bb.5:
	v_mov_b32_e32 v30, 0
	ds_store_b32 v30, v30 offset:224
.LBB77_6:
	s_or_b32 exec_lo, exec_lo, s1
	v_cmp_eq_u32_e32 vcc_lo, 1, v0
	s_mov_b32 s2, exec_lo
	s_waitcnt vmcnt(0) lgkmcnt(0)
	s_barrier
	buffer_gl0_inv
	v_dual_cndmask_b32 v30, v3, v5 :: v_dual_cndmask_b32 v31, v2, v4
	v_cmp_eq_u32_e32 vcc_lo, 2, v0
	s_delay_alu instid0(VALU_DEP_2) | instskip(SKIP_1) | instid1(VALU_DEP_2)
	v_dual_cndmask_b32 v30, v30, v7 :: v_dual_cndmask_b32 v31, v31, v6
	v_cmp_eq_u32_e32 vcc_lo, 3, v0
	v_dual_cndmask_b32 v30, v30, v9 :: v_dual_cndmask_b32 v31, v31, v8
	v_cmp_eq_u32_e32 vcc_lo, 4, v0
	s_delay_alu instid0(VALU_DEP_2) | instskip(SKIP_1) | instid1(VALU_DEP_2)
	v_dual_cndmask_b32 v30, v30, v11 :: v_dual_cndmask_b32 v31, v31, v10
	v_cmp_eq_u32_e32 vcc_lo, 5, v0
	;; [unrolled: 5-line block ×6, first 2 shown]
	v_dual_cndmask_b32 v31, v30, v29 :: v_dual_cndmask_b32 v30, v33, v28
	s_delay_alu instid0(VALU_DEP_1)
	v_cmpx_eq_f64_e32 0, v[30:31]
	s_cbranch_execz .LBB77_10
; %bb.7:
	v_mov_b32_e32 v33, 0
	s_mov_b32 s3, 0
	ds_load_b32 v34, v33 offset:224
	s_waitcnt lgkmcnt(0)
	v_readfirstlane_b32 s1, v34
	v_add_nc_u32_e32 v34, 1, v0
	s_delay_alu instid0(VALU_DEP_2) | instskip(NEXT) | instid1(VALU_DEP_1)
	s_cmp_eq_u32 s1, 0
	v_cmp_gt_i32_e32 vcc_lo, s1, v34
	s_cselect_b32 s4, -1, 0
	s_delay_alu instid0(SALU_CYCLE_1) | instskip(NEXT) | instid1(SALU_CYCLE_1)
	s_or_b32 s4, s4, vcc_lo
	s_and_b32 exec_lo, exec_lo, s4
	s_cbranch_execz .LBB77_10
; %bb.8:
	v_mov_b32_e32 v35, s1
.LBB77_9:                               ; =>This Inner Loop Header: Depth=1
	ds_cmpstore_rtn_b32 v35, v33, v34, v35 offset:224
	s_waitcnt lgkmcnt(0)
	v_cmp_ne_u32_e32 vcc_lo, 0, v35
	v_cmp_le_i32_e64 s1, v35, v34
	s_delay_alu instid0(VALU_DEP_1) | instskip(NEXT) | instid1(SALU_CYCLE_1)
	s_and_b32 s1, vcc_lo, s1
	s_and_b32 s1, exec_lo, s1
	s_delay_alu instid0(SALU_CYCLE_1) | instskip(NEXT) | instid1(SALU_CYCLE_1)
	s_or_b32 s3, s1, s3
	s_and_not1_b32 exec_lo, exec_lo, s3
	s_cbranch_execnz .LBB77_9
.LBB77_10:
	s_or_b32 exec_lo, exec_lo, s2
	v_mov_b32_e32 v33, 0
	s_barrier
	buffer_gl0_inv
	ds_load_b32 v34, v33 offset:224
	s_and_saveexec_b32 s1, s0
	s_cbranch_execz .LBB77_12
; %bb.11:
	s_lshl_b64 s[2:3], s[18:19], 2
	s_delay_alu instid0(SALU_CYCLE_1)
	s_add_u32 s2, s14, s2
	s_addc_u32 s3, s15, s3
	s_waitcnt lgkmcnt(0)
	global_store_b32 v33, v34, s[2:3]
.LBB77_12:
	s_or_b32 exec_lo, exec_lo, s1
	s_waitcnt lgkmcnt(0)
	v_cmp_ne_u32_e32 vcc_lo, 0, v34
	s_cbranch_vccz .LBB77_17
; %bb.13:
	s_mov_b32 s0, 0
                                        ; implicit-def: $vgpr2_vgpr3_vgpr4_vgpr5_vgpr6_vgpr7_vgpr8_vgpr9_vgpr10_vgpr11_vgpr12_vgpr13_vgpr14_vgpr15_vgpr16_vgpr17_vgpr18_vgpr19_vgpr20_vgpr21_vgpr22_vgpr23_vgpr24_vgpr25_vgpr26_vgpr27_vgpr28_vgpr29_vgpr30_vgpr31_vgpr32_vgpr33
.LBB77_14:
	s_delay_alu instid0(SALU_CYCLE_1)
	s_and_b32 vcc_lo, exec_lo, s0
	s_cbranch_vccz .LBB77_16
.LBB77_15:
	s_lshl_b64 s[0:1], s[18:19], 2
	v_mov_b32_e32 v1, 0
	s_add_u32 s0, s14, s0
	s_addc_u32 s1, s15, s1
	global_load_b32 v1, v1, s[0:1]
	s_waitcnt vmcnt(0)
	v_cmp_ne_u32_e32 vcc_lo, 0, v1
	s_cbranch_vccz .LBB77_80
.LBB77_16:
	s_nop 0
	s_sendmsg sendmsg(MSG_DEALLOC_VGPRS)
	s_endpgm
.LBB77_17:
	v_div_scale_f64 v[33:34], null, v[30:31], v[30:31], 1.0
	v_div_scale_f64 v[39:40], vcc_lo, 1.0, v[30:31], 1.0
	v_cmp_eq_u32_e64 s1, 11, v0
	v_cmp_eq_u32_e64 s2, 10, v0
	;; [unrolled: 1-line block ×12, first 2 shown]
	v_rcp_f64_e32 v[35:36], v[33:34]
	s_waitcnt_depctr 0xfff
	v_fma_f64 v[37:38], -v[33:34], v[35:36], 1.0
	s_delay_alu instid0(VALU_DEP_1) | instskip(NEXT) | instid1(VALU_DEP_1)
	v_fma_f64 v[35:36], v[35:36], v[37:38], v[35:36]
	v_fma_f64 v[37:38], -v[33:34], v[35:36], 1.0
	s_delay_alu instid0(VALU_DEP_1) | instskip(NEXT) | instid1(VALU_DEP_1)
	v_fma_f64 v[35:36], v[35:36], v[37:38], v[35:36]
	v_mul_f64 v[37:38], v[39:40], v[35:36]
	s_delay_alu instid0(VALU_DEP_1) | instskip(NEXT) | instid1(VALU_DEP_1)
	v_fma_f64 v[33:34], -v[33:34], v[37:38], v[39:40]
	v_div_fmas_f64 v[33:34], v[33:34], v[35:36], v[37:38]
	v_cmp_eq_u32_e32 vcc_lo, 12, v0
	s_delay_alu instid0(VALU_DEP_2) | instskip(NEXT) | instid1(VALU_DEP_1)
	v_div_fixup_f64 v[30:31], v[33:34], v[30:31], 1.0
	v_dual_cndmask_b32 v27, v27, v31 :: v_dual_add_nc_u32 v34, 0x70, v32
	s_delay_alu instid0(VALU_DEP_2)
	v_cndmask_b32_e32 v26, v26, v30, vcc_lo
	v_cmp_eq_u32_e32 vcc_lo, 2, v0
	v_cndmask_b32_e64 v29, v29, v31, s9
	v_cndmask_b32_e64 v28, v28, v30, s9
	;; [unrolled: 1-line block ×4, first 2 shown]
	v_cndmask_b32_e32 v7, v7, v31, vcc_lo
	v_cndmask_b32_e64 v23, v23, v31, s2
	v_cndmask_b32_e64 v22, v22, v30, s2
	v_cndmask_b32_e64 v21, v21, v31, s3
	v_cndmask_b32_e64 v20, v20, v30, s3
	v_cndmask_b32_e64 v19, v19, v31, s4
	v_cndmask_b32_e64 v18, v18, v30, s4
	v_cndmask_b32_e64 v17, v17, v31, s5
	v_cndmask_b32_e64 v16, v16, v30, s5
	v_cndmask_b32_e64 v15, v15, v31, s6
	v_cndmask_b32_e64 v14, v14, v30, s6
	v_cndmask_b32_e64 v13, v13, v31, s7
	v_cndmask_b32_e64 v12, v12, v30, s7
	v_cndmask_b32_e64 v11, v11, v31, s8
	v_cndmask_b32_e64 v10, v10, v30, s8
	v_cndmask_b32_e64 v9, v9, v31, s10
	v_cndmask_b32_e64 v8, v8, v30, s10
	v_cndmask_b32_e64 v5, v5, v31, s11
	v_cndmask_b32_e64 v4, v4, v30, s11
	v_xor_b32_e32 v36, 0x80000000, v31
	v_mov_b32_e32 v35, v30
	v_cndmask_b32_e32 v6, v6, v30, vcc_lo
	v_cndmask_b32_e64 v3, v3, v31, s12
	v_cndmask_b32_e64 v2, v2, v30, s12
	ds_store_2addr_b64 v32, v[35:36], v[4:5] offset1:14
	s_waitcnt lgkmcnt(0)
	s_waitcnt_vscnt null, 0x0
	s_barrier
	buffer_gl0_inv
	s_and_saveexec_b32 s1, s0
	s_cbranch_execz .LBB77_19
; %bb.18:
	ds_load_b64 v[4:5], v34
	v_mov_b32_e32 v32, 0
	ds_load_b64 v[32:33], v32 offset:8
	s_waitcnt lgkmcnt(1)
	v_fma_f64 v[4:5], v[30:31], v[4:5], 0
	s_waitcnt lgkmcnt(0)
	s_delay_alu instid0(VALU_DEP_1)
	v_mul_f64 v[4:5], v[4:5], v[32:33]
.LBB77_19:
	s_or_b32 exec_lo, exec_lo, s1
	v_cmp_gt_u32_e32 vcc_lo, 2, v0
	s_barrier
	buffer_gl0_inv
	ds_store_b64 v34, v[6:7]
	s_waitcnt lgkmcnt(0)
	s_barrier
	buffer_gl0_inv
	s_and_saveexec_b32 s2, vcc_lo
	s_cbranch_execz .LBB77_23
; %bb.20:
	v_cmp_eq_u32_e64 s1, 1, v0
	s_delay_alu instid0(VALU_DEP_1) | instskip(SKIP_2) | instid1(VALU_DEP_1)
	v_cndmask_b32_e64 v30, v3, v5, s1
	v_cndmask_b32_e64 v31, v2, v4, s1
	v_cmp_eq_u32_e64 s1, 2, v0
	v_cndmask_b32_e64 v7, v30, v7, s1
	s_delay_alu instid0(VALU_DEP_3) | instskip(SKIP_1) | instid1(VALU_DEP_1)
	v_cndmask_b32_e64 v6, v31, v6, s1
	v_cmp_eq_u32_e64 s1, 3, v0
	v_cndmask_b32_e64 v7, v7, v9, s1
	s_delay_alu instid0(VALU_DEP_3) | instskip(SKIP_1) | instid1(VALU_DEP_1)
	;; [unrolled: 4-line block ×8, first 2 shown]
	v_cndmask_b32_e64 v6, v6, v20, s1
	v_cmp_eq_u32_e64 s1, 10, v0
	v_cndmask_b32_e64 v30, v7, v23, s1
	s_delay_alu instid0(VALU_DEP_3)
	v_cndmask_b32_e64 v31, v6, v22, s1
	v_cmp_eq_u32_e64 s1, 11, v0
	ds_load_b64 v[6:7], v34
	v_cndmask_b32_e64 v30, v30, v25, s1
	v_cndmask_b32_e64 v31, v31, v24, s1
	v_cmp_eq_u32_e64 s1, 12, v0
	s_delay_alu instid0(VALU_DEP_1) | instskip(NEXT) | instid1(VALU_DEP_3)
	v_cndmask_b32_e64 v30, v30, v27, s1
	v_cndmask_b32_e64 v32, v31, v26, s1
	v_cmp_eq_u32_e64 s1, 13, v0
	s_delay_alu instid0(VALU_DEP_1) | instskip(NEXT) | instid1(VALU_DEP_3)
	v_cndmask_b32_e64 v31, v30, v29, s1
	v_cndmask_b32_e64 v30, v32, v28, s1
	s_waitcnt lgkmcnt(0)
	s_delay_alu instid0(VALU_DEP_1)
	v_fma_f64 v[6:7], v[30:31], v[6:7], 0
	s_and_saveexec_b32 s1, s0
	s_cbranch_execz .LBB77_22
; %bb.21:
	v_mov_b32_e32 v30, 0
	ds_load_b64 v[30:31], v30 offset:120
	s_waitcnt lgkmcnt(0)
	v_fma_f64 v[6:7], v[4:5], v[30:31], v[6:7]
.LBB77_22:
	s_or_b32 exec_lo, exec_lo, s1
	v_mov_b32_e32 v30, 0
	ds_load_b64 v[30:31], v30 offset:16
	s_waitcnt lgkmcnt(0)
	v_mul_f64 v[6:7], v[6:7], v[30:31]
.LBB77_23:
	s_or_b32 exec_lo, exec_lo, s2
	s_delay_alu instid0(SALU_CYCLE_1)
	s_mov_b32 s3, exec_lo
	s_barrier
	buffer_gl0_inv
	ds_store_b64 v34, v[8:9]
	s_waitcnt lgkmcnt(0)
	s_barrier
	buffer_gl0_inv
	v_cmpx_gt_u32_e32 3, v0
	s_cbranch_execz .LBB77_27
; %bb.24:
	v_dual_mov_b32 v30, 0 :: v_dual_mov_b32 v33, v1
	v_lshl_add_u32 v35, v0, 3, 0x70
	v_dual_mov_b32 v31, 0 :: v_dual_mov_b32 v32, v0
	s_mov_b32 s4, 0
.LBB77_25:                              ; =>This Inner Loop Header: Depth=1
	s_delay_alu instid0(VALU_DEP_1) | instskip(SKIP_1) | instid1(VALU_DEP_2)
	v_cmp_eq_u32_e64 s1, 1, v32
	v_cmp_eq_u32_e64 s2, 2, v32
	v_cndmask_b32_e64 v36, v3, v5, s1
	v_cndmask_b32_e64 v37, v2, v4, s1
	v_cmp_eq_u32_e64 s1, 3, v32
	s_delay_alu instid0(VALU_DEP_3) | instskip(NEXT) | instid1(VALU_DEP_3)
	v_cndmask_b32_e64 v36, v36, v7, s2
	v_cndmask_b32_e64 v37, v37, v6, s2
	v_cmp_eq_u32_e64 s2, 4, v32
	s_delay_alu instid0(VALU_DEP_3) | instskip(NEXT) | instid1(VALU_DEP_3)
	;; [unrolled: 4-line block ×8, first 2 shown]
	v_cndmask_b32_e64 v38, v36, v21, s1
	v_cndmask_b32_e64 v39, v37, v20, s1
	ds_load_b64 v[36:37], v35
	v_cmp_eq_u32_e64 s1, 11, v32
	v_add_nc_u32_e32 v35, 8, v35
	v_cndmask_b32_e64 v38, v38, v23, s2
	v_cndmask_b32_e64 v39, v39, v22, s2
	v_cmp_eq_u32_e64 s2, 12, v32
	s_delay_alu instid0(VALU_DEP_3) | instskip(NEXT) | instid1(VALU_DEP_3)
	v_cndmask_b32_e64 v38, v38, v25, s1
	v_cndmask_b32_e64 v39, v39, v24, s1
	v_cmp_eq_u32_e64 s1, 13, v32
	s_delay_alu instid0(VALU_DEP_3) | instskip(NEXT) | instid1(VALU_DEP_3)
	v_cndmask_b32_e64 v38, v38, v27, s2
	v_cndmask_b32_e64 v40, v39, v26, s2
	s_delay_alu instid0(VALU_DEP_2) | instskip(NEXT) | instid1(VALU_DEP_2)
	v_cndmask_b32_e64 v39, v38, v29, s1
	v_cndmask_b32_e64 v38, v40, v28, s1
	v_add_co_u32 v32, s1, v32, 1
	s_delay_alu instid0(VALU_DEP_1) | instskip(SKIP_1) | instid1(VALU_DEP_3)
	v_add_co_ci_u32_e64 v33, s1, 0, v33, s1
	s_waitcnt lgkmcnt(0)
	v_fma_f64 v[30:31], v[38:39], v[36:37], v[30:31]
	s_delay_alu instid0(VALU_DEP_3) | instskip(NEXT) | instid1(VALU_DEP_1)
	v_add_nc_u32_e32 v36, -1, v32
	v_cmp_lt_u32_e64 s1, 1, v36
	s_delay_alu instid0(VALU_DEP_1) | instskip(NEXT) | instid1(SALU_CYCLE_1)
	s_or_b32 s4, s1, s4
	s_and_not1_b32 exec_lo, exec_lo, s4
	s_cbranch_execnz .LBB77_25
; %bb.26:
	s_or_b32 exec_lo, exec_lo, s4
	v_mov_b32_e32 v8, 0
	ds_load_b64 v[8:9], v8 offset:24
	s_waitcnt lgkmcnt(0)
	v_mul_f64 v[8:9], v[30:31], v[8:9]
.LBB77_27:
	s_or_b32 exec_lo, exec_lo, s3
	v_cmp_gt_u32_e64 s1, 4, v0
	s_barrier
	buffer_gl0_inv
	ds_store_b64 v34, v[10:11]
	s_waitcnt lgkmcnt(0)
	s_barrier
	buffer_gl0_inv
	s_and_saveexec_b32 s4, s1
	s_cbranch_execz .LBB77_31
; %bb.28:
	v_dual_mov_b32 v30, 0 :: v_dual_mov_b32 v33, v1
	v_lshl_add_u32 v35, v0, 3, 0x70
	v_dual_mov_b32 v31, 0 :: v_dual_mov_b32 v32, v0
	s_mov_b32 s5, 0
.LBB77_29:                              ; =>This Inner Loop Header: Depth=1
	s_delay_alu instid0(VALU_DEP_1) | instskip(SKIP_1) | instid1(VALU_DEP_2)
	v_cmp_eq_u32_e64 s2, 1, v32
	v_cmp_eq_u32_e64 s3, 2, v32
	v_cndmask_b32_e64 v36, v3, v5, s2
	v_cndmask_b32_e64 v37, v2, v4, s2
	v_cmp_eq_u32_e64 s2, 3, v32
	s_delay_alu instid0(VALU_DEP_3) | instskip(NEXT) | instid1(VALU_DEP_3)
	v_cndmask_b32_e64 v36, v36, v7, s3
	v_cndmask_b32_e64 v37, v37, v6, s3
	v_cmp_eq_u32_e64 s3, 4, v32
	s_delay_alu instid0(VALU_DEP_3) | instskip(NEXT) | instid1(VALU_DEP_3)
	;; [unrolled: 4-line block ×8, first 2 shown]
	v_cndmask_b32_e64 v38, v36, v21, s2
	v_cndmask_b32_e64 v39, v37, v20, s2
	ds_load_b64 v[36:37], v35
	v_cmp_eq_u32_e64 s2, 11, v32
	v_add_nc_u32_e32 v35, 8, v35
	v_cndmask_b32_e64 v38, v38, v23, s3
	v_cndmask_b32_e64 v39, v39, v22, s3
	v_cmp_eq_u32_e64 s3, 12, v32
	s_delay_alu instid0(VALU_DEP_3) | instskip(NEXT) | instid1(VALU_DEP_3)
	v_cndmask_b32_e64 v38, v38, v25, s2
	v_cndmask_b32_e64 v39, v39, v24, s2
	v_cmp_eq_u32_e64 s2, 13, v32
	s_delay_alu instid0(VALU_DEP_3) | instskip(NEXT) | instid1(VALU_DEP_3)
	v_cndmask_b32_e64 v38, v38, v27, s3
	v_cndmask_b32_e64 v40, v39, v26, s3
	s_delay_alu instid0(VALU_DEP_2) | instskip(NEXT) | instid1(VALU_DEP_2)
	v_cndmask_b32_e64 v39, v38, v29, s2
	v_cndmask_b32_e64 v38, v40, v28, s2
	v_add_co_u32 v32, s2, v32, 1
	s_delay_alu instid0(VALU_DEP_1) | instskip(SKIP_1) | instid1(VALU_DEP_3)
	v_add_co_ci_u32_e64 v33, s2, 0, v33, s2
	s_waitcnt lgkmcnt(0)
	v_fma_f64 v[30:31], v[38:39], v[36:37], v[30:31]
	s_delay_alu instid0(VALU_DEP_3) | instskip(NEXT) | instid1(VALU_DEP_1)
	v_add_nc_u32_e32 v36, -1, v32
	v_cmp_lt_u32_e64 s2, 2, v36
	s_delay_alu instid0(VALU_DEP_1) | instskip(NEXT) | instid1(SALU_CYCLE_1)
	s_or_b32 s5, s2, s5
	s_and_not1_b32 exec_lo, exec_lo, s5
	s_cbranch_execnz .LBB77_29
; %bb.30:
	s_or_b32 exec_lo, exec_lo, s5
	v_mov_b32_e32 v10, 0
	ds_load_b64 v[10:11], v10 offset:32
	s_waitcnt lgkmcnt(0)
	v_mul_f64 v[10:11], v[30:31], v[10:11]
.LBB77_31:
	s_or_b32 exec_lo, exec_lo, s4
	s_delay_alu instid0(SALU_CYCLE_1)
	s_mov_b32 s4, exec_lo
	s_barrier
	buffer_gl0_inv
	ds_store_b64 v34, v[12:13]
	s_waitcnt lgkmcnt(0)
	s_barrier
	buffer_gl0_inv
	v_cmpx_gt_u32_e32 5, v0
	s_cbranch_execz .LBB77_35
; %bb.32:
	v_dual_mov_b32 v30, 0 :: v_dual_mov_b32 v33, v1
	v_lshl_add_u32 v35, v0, 3, 0x70
	v_dual_mov_b32 v31, 0 :: v_dual_mov_b32 v32, v0
	s_mov_b32 s5, 0
.LBB77_33:                              ; =>This Inner Loop Header: Depth=1
	s_delay_alu instid0(VALU_DEP_1) | instskip(SKIP_1) | instid1(VALU_DEP_2)
	v_cmp_eq_u32_e64 s2, 1, v32
	v_cmp_eq_u32_e64 s3, 2, v32
	v_cndmask_b32_e64 v36, v3, v5, s2
	v_cndmask_b32_e64 v37, v2, v4, s2
	v_cmp_eq_u32_e64 s2, 3, v32
	s_delay_alu instid0(VALU_DEP_3) | instskip(NEXT) | instid1(VALU_DEP_3)
	v_cndmask_b32_e64 v36, v36, v7, s3
	v_cndmask_b32_e64 v37, v37, v6, s3
	v_cmp_eq_u32_e64 s3, 4, v32
	s_delay_alu instid0(VALU_DEP_3) | instskip(NEXT) | instid1(VALU_DEP_3)
	;; [unrolled: 4-line block ×8, first 2 shown]
	v_cndmask_b32_e64 v38, v36, v21, s2
	v_cndmask_b32_e64 v39, v37, v20, s2
	ds_load_b64 v[36:37], v35
	v_cmp_eq_u32_e64 s2, 11, v32
	v_add_nc_u32_e32 v35, 8, v35
	v_cndmask_b32_e64 v38, v38, v23, s3
	v_cndmask_b32_e64 v39, v39, v22, s3
	v_cmp_eq_u32_e64 s3, 12, v32
	s_delay_alu instid0(VALU_DEP_3) | instskip(NEXT) | instid1(VALU_DEP_3)
	v_cndmask_b32_e64 v38, v38, v25, s2
	v_cndmask_b32_e64 v39, v39, v24, s2
	v_cmp_eq_u32_e64 s2, 13, v32
	s_delay_alu instid0(VALU_DEP_3) | instskip(NEXT) | instid1(VALU_DEP_3)
	v_cndmask_b32_e64 v38, v38, v27, s3
	v_cndmask_b32_e64 v40, v39, v26, s3
	s_delay_alu instid0(VALU_DEP_2) | instskip(NEXT) | instid1(VALU_DEP_2)
	v_cndmask_b32_e64 v39, v38, v29, s2
	v_cndmask_b32_e64 v38, v40, v28, s2
	v_add_co_u32 v32, s2, v32, 1
	s_delay_alu instid0(VALU_DEP_1) | instskip(SKIP_1) | instid1(VALU_DEP_3)
	v_add_co_ci_u32_e64 v33, s2, 0, v33, s2
	s_waitcnt lgkmcnt(0)
	v_fma_f64 v[30:31], v[38:39], v[36:37], v[30:31]
	s_delay_alu instid0(VALU_DEP_3) | instskip(NEXT) | instid1(VALU_DEP_1)
	v_add_nc_u32_e32 v36, -1, v32
	v_cmp_lt_u32_e64 s2, 3, v36
	s_delay_alu instid0(VALU_DEP_1) | instskip(NEXT) | instid1(SALU_CYCLE_1)
	s_or_b32 s5, s2, s5
	s_and_not1_b32 exec_lo, exec_lo, s5
	s_cbranch_execnz .LBB77_33
; %bb.34:
	s_or_b32 exec_lo, exec_lo, s5
	v_mov_b32_e32 v12, 0
	ds_load_b64 v[12:13], v12 offset:40
	s_waitcnt lgkmcnt(0)
	v_mul_f64 v[12:13], v[30:31], v[12:13]
.LBB77_35:
	s_or_b32 exec_lo, exec_lo, s4
	v_cmp_gt_u32_e64 s2, 6, v0
	s_barrier
	buffer_gl0_inv
	ds_store_b64 v34, v[14:15]
	s_waitcnt lgkmcnt(0)
	s_barrier
	buffer_gl0_inv
	s_and_saveexec_b32 s5, s2
	s_cbranch_execz .LBB77_39
; %bb.36:
	v_dual_mov_b32 v30, 0 :: v_dual_mov_b32 v33, v1
	v_lshl_add_u32 v35, v0, 3, 0x70
	v_dual_mov_b32 v31, 0 :: v_dual_mov_b32 v32, v0
	s_mov_b32 s6, 0
.LBB77_37:                              ; =>This Inner Loop Header: Depth=1
	s_delay_alu instid0(VALU_DEP_1) | instskip(SKIP_1) | instid1(VALU_DEP_2)
	v_cmp_eq_u32_e64 s3, 1, v32
	v_cmp_eq_u32_e64 s4, 2, v32
	v_cndmask_b32_e64 v36, v3, v5, s3
	v_cndmask_b32_e64 v37, v2, v4, s3
	v_cmp_eq_u32_e64 s3, 3, v32
	s_delay_alu instid0(VALU_DEP_3) | instskip(NEXT) | instid1(VALU_DEP_3)
	v_cndmask_b32_e64 v36, v36, v7, s4
	v_cndmask_b32_e64 v37, v37, v6, s4
	v_cmp_eq_u32_e64 s4, 4, v32
	s_delay_alu instid0(VALU_DEP_3) | instskip(NEXT) | instid1(VALU_DEP_3)
	;; [unrolled: 4-line block ×8, first 2 shown]
	v_cndmask_b32_e64 v38, v36, v21, s3
	v_cndmask_b32_e64 v39, v37, v20, s3
	ds_load_b64 v[36:37], v35
	v_cmp_eq_u32_e64 s3, 11, v32
	v_add_nc_u32_e32 v35, 8, v35
	v_cndmask_b32_e64 v38, v38, v23, s4
	v_cndmask_b32_e64 v39, v39, v22, s4
	v_cmp_eq_u32_e64 s4, 12, v32
	s_delay_alu instid0(VALU_DEP_3) | instskip(NEXT) | instid1(VALU_DEP_3)
	v_cndmask_b32_e64 v38, v38, v25, s3
	v_cndmask_b32_e64 v39, v39, v24, s3
	v_cmp_eq_u32_e64 s3, 13, v32
	s_delay_alu instid0(VALU_DEP_3) | instskip(NEXT) | instid1(VALU_DEP_3)
	v_cndmask_b32_e64 v38, v38, v27, s4
	v_cndmask_b32_e64 v40, v39, v26, s4
	s_delay_alu instid0(VALU_DEP_2) | instskip(NEXT) | instid1(VALU_DEP_2)
	v_cndmask_b32_e64 v39, v38, v29, s3
	v_cndmask_b32_e64 v38, v40, v28, s3
	v_add_co_u32 v32, s3, v32, 1
	s_delay_alu instid0(VALU_DEP_1) | instskip(SKIP_1) | instid1(VALU_DEP_3)
	v_add_co_ci_u32_e64 v33, s3, 0, v33, s3
	s_waitcnt lgkmcnt(0)
	v_fma_f64 v[30:31], v[38:39], v[36:37], v[30:31]
	s_delay_alu instid0(VALU_DEP_3) | instskip(NEXT) | instid1(VALU_DEP_1)
	v_add_nc_u32_e32 v36, -1, v32
	v_cmp_lt_u32_e64 s3, 4, v36
	s_delay_alu instid0(VALU_DEP_1) | instskip(NEXT) | instid1(SALU_CYCLE_1)
	s_or_b32 s6, s3, s6
	s_and_not1_b32 exec_lo, exec_lo, s6
	s_cbranch_execnz .LBB77_37
; %bb.38:
	s_or_b32 exec_lo, exec_lo, s6
	v_mov_b32_e32 v14, 0
	ds_load_b64 v[14:15], v14 offset:48
	s_waitcnt lgkmcnt(0)
	v_mul_f64 v[14:15], v[30:31], v[14:15]
.LBB77_39:
	s_or_b32 exec_lo, exec_lo, s5
	s_delay_alu instid0(SALU_CYCLE_1)
	s_mov_b32 s5, exec_lo
	s_barrier
	buffer_gl0_inv
	ds_store_b64 v34, v[16:17]
	s_waitcnt lgkmcnt(0)
	s_barrier
	buffer_gl0_inv
	v_cmpx_gt_u32_e32 7, v0
	s_cbranch_execz .LBB77_43
; %bb.40:
	v_dual_mov_b32 v30, 0 :: v_dual_mov_b32 v33, v1
	v_lshl_add_u32 v35, v0, 3, 0x70
	v_dual_mov_b32 v31, 0 :: v_dual_mov_b32 v32, v0
	s_mov_b32 s6, 0
.LBB77_41:                              ; =>This Inner Loop Header: Depth=1
	s_delay_alu instid0(VALU_DEP_1) | instskip(SKIP_1) | instid1(VALU_DEP_2)
	v_cmp_eq_u32_e64 s3, 1, v32
	v_cmp_eq_u32_e64 s4, 2, v32
	v_cndmask_b32_e64 v36, v3, v5, s3
	v_cndmask_b32_e64 v37, v2, v4, s3
	v_cmp_eq_u32_e64 s3, 3, v32
	s_delay_alu instid0(VALU_DEP_3) | instskip(NEXT) | instid1(VALU_DEP_3)
	v_cndmask_b32_e64 v36, v36, v7, s4
	v_cndmask_b32_e64 v37, v37, v6, s4
	v_cmp_eq_u32_e64 s4, 4, v32
	s_delay_alu instid0(VALU_DEP_3) | instskip(NEXT) | instid1(VALU_DEP_3)
	;; [unrolled: 4-line block ×8, first 2 shown]
	v_cndmask_b32_e64 v38, v36, v21, s3
	v_cndmask_b32_e64 v39, v37, v20, s3
	ds_load_b64 v[36:37], v35
	v_cmp_eq_u32_e64 s3, 11, v32
	v_add_nc_u32_e32 v35, 8, v35
	v_cndmask_b32_e64 v38, v38, v23, s4
	v_cndmask_b32_e64 v39, v39, v22, s4
	v_cmp_eq_u32_e64 s4, 12, v32
	s_delay_alu instid0(VALU_DEP_3) | instskip(NEXT) | instid1(VALU_DEP_3)
	v_cndmask_b32_e64 v38, v38, v25, s3
	v_cndmask_b32_e64 v39, v39, v24, s3
	v_cmp_eq_u32_e64 s3, 13, v32
	s_delay_alu instid0(VALU_DEP_3) | instskip(NEXT) | instid1(VALU_DEP_3)
	v_cndmask_b32_e64 v38, v38, v27, s4
	v_cndmask_b32_e64 v40, v39, v26, s4
	s_delay_alu instid0(VALU_DEP_2) | instskip(NEXT) | instid1(VALU_DEP_2)
	v_cndmask_b32_e64 v39, v38, v29, s3
	v_cndmask_b32_e64 v38, v40, v28, s3
	v_add_co_u32 v32, s3, v32, 1
	s_delay_alu instid0(VALU_DEP_1) | instskip(SKIP_1) | instid1(VALU_DEP_3)
	v_add_co_ci_u32_e64 v33, s3, 0, v33, s3
	s_waitcnt lgkmcnt(0)
	v_fma_f64 v[30:31], v[38:39], v[36:37], v[30:31]
	s_delay_alu instid0(VALU_DEP_3) | instskip(NEXT) | instid1(VALU_DEP_1)
	v_add_nc_u32_e32 v36, -1, v32
	v_cmp_lt_u32_e64 s3, 5, v36
	s_delay_alu instid0(VALU_DEP_1) | instskip(NEXT) | instid1(SALU_CYCLE_1)
	s_or_b32 s6, s3, s6
	s_and_not1_b32 exec_lo, exec_lo, s6
	s_cbranch_execnz .LBB77_41
; %bb.42:
	s_or_b32 exec_lo, exec_lo, s6
	v_mov_b32_e32 v16, 0
	ds_load_b64 v[16:17], v16 offset:56
	s_waitcnt lgkmcnt(0)
	v_mul_f64 v[16:17], v[30:31], v[16:17]
.LBB77_43:
	s_or_b32 exec_lo, exec_lo, s5
	s_delay_alu instid0(SALU_CYCLE_1)
	s_mov_b32 s4, exec_lo
	s_barrier
	buffer_gl0_inv
	ds_store_b64 v34, v[18:19]
	s_waitcnt lgkmcnt(0)
	s_barrier
	buffer_gl0_inv
	v_cmpx_gt_u32_e32 8, v0
	s_cbranch_execz .LBB77_59
; %bb.44:
	v_cmp_eq_u32_e64 s3, 1, v0
	s_mov_b32 s5, exec_lo
	s_delay_alu instid0(VALU_DEP_1) | instskip(SKIP_2) | instid1(VALU_DEP_1)
	v_cndmask_b32_e64 v30, v3, v5, s3
	v_cndmask_b32_e64 v31, v2, v4, s3
	v_cmp_eq_u32_e64 s3, 2, v0
	v_cndmask_b32_e64 v30, v30, v7, s3
	s_delay_alu instid0(VALU_DEP_3) | instskip(SKIP_1) | instid1(VALU_DEP_1)
	v_cndmask_b32_e64 v31, v31, v6, s3
	v_cmp_eq_u32_e64 s3, 3, v0
	v_cndmask_b32_e64 v30, v30, v9, s3
	s_delay_alu instid0(VALU_DEP_3) | instskip(SKIP_1) | instid1(VALU_DEP_1)
	;; [unrolled: 4-line block ×8, first 2 shown]
	v_cndmask_b32_e64 v31, v31, v20, s3
	v_cmp_eq_u32_e64 s3, 10, v0
	v_cndmask_b32_e64 v32, v30, v23, s3
	s_delay_alu instid0(VALU_DEP_3)
	v_cndmask_b32_e64 v33, v31, v22, s3
	v_cmp_eq_u32_e64 s3, 11, v0
	ds_load_b64 v[30:31], v34
	v_cndmask_b32_e64 v32, v32, v25, s3
	v_cndmask_b32_e64 v33, v33, v24, s3
	v_cmp_eq_u32_e64 s3, 12, v0
	s_delay_alu instid0(VALU_DEP_1) | instskip(NEXT) | instid1(VALU_DEP_3)
	v_cndmask_b32_e64 v32, v32, v27, s3
	v_cndmask_b32_e64 v35, v33, v26, s3
	v_cmp_eq_u32_e64 s3, 13, v0
	s_delay_alu instid0(VALU_DEP_1) | instskip(NEXT) | instid1(VALU_DEP_3)
	v_cndmask_b32_e64 v33, v32, v29, s3
	v_cndmask_b32_e64 v32, v35, v28, s3
	s_waitcnt lgkmcnt(0)
	s_delay_alu instid0(VALU_DEP_1)
	v_fma_f64 v[30:31], v[32:33], v[30:31], 0
	v_cmpx_ne_u32_e32 7, v0
	s_cbranch_execz .LBB77_58
; %bb.45:
	v_add_nc_u32_e32 v35, 1, v0
	s_delay_alu instid0(VALU_DEP_1) | instskip(NEXT) | instid1(VALU_DEP_1)
	v_cmp_eq_u32_e64 s3, 1, v35
	v_cndmask_b32_e64 v32, v3, v5, s3
	v_cndmask_b32_e64 v33, v2, v4, s3
	v_cmp_eq_u32_e64 s3, 2, v35
	s_delay_alu instid0(VALU_DEP_1) | instskip(NEXT) | instid1(VALU_DEP_3)
	v_cndmask_b32_e64 v32, v32, v7, s3
	v_cndmask_b32_e64 v33, v33, v6, s3
	v_cmp_eq_u32_e64 s3, 3, v35
	s_delay_alu instid0(VALU_DEP_1) | instskip(NEXT) | instid1(VALU_DEP_3)
	;; [unrolled: 4-line block ×9, first 2 shown]
	v_cndmask_b32_e64 v36, v32, v23, s3
	v_cndmask_b32_e64 v37, v33, v22, s3
	v_cmp_eq_u32_e64 s3, 11, v35
	ds_load_b64 v[32:33], v34 offset:8
	v_cndmask_b32_e64 v36, v36, v25, s3
	v_cndmask_b32_e64 v37, v37, v24, s3
	v_cmp_eq_u32_e64 s3, 12, v35
	s_delay_alu instid0(VALU_DEP_1) | instskip(NEXT) | instid1(VALU_DEP_3)
	v_cndmask_b32_e64 v36, v36, v27, s3
	v_cndmask_b32_e64 v37, v37, v26, s3
	v_cmp_eq_u32_e64 s3, 13, v35
	s_delay_alu instid0(VALU_DEP_1) | instskip(NEXT) | instid1(VALU_DEP_3)
	v_cndmask_b32_e64 v36, v36, v29, s3
	v_cndmask_b32_e64 v35, v37, v28, s3
	s_waitcnt lgkmcnt(0)
	s_delay_alu instid0(VALU_DEP_1)
	v_fma_f64 v[30:31], v[35:36], v[32:33], v[30:31]
	s_and_saveexec_b32 s3, s2
	s_cbranch_execz .LBB77_57
; %bb.46:
	v_add_nc_u32_e32 v35, 2, v0
	s_mov_b32 s6, exec_lo
	s_delay_alu instid0(VALU_DEP_1) | instskip(NEXT) | instid1(VALU_DEP_1)
	v_cmp_eq_u32_e64 s2, 1, v35
	v_cndmask_b32_e64 v32, v3, v5, s2
	v_cndmask_b32_e64 v33, v2, v4, s2
	v_cmp_eq_u32_e64 s2, 2, v35
	s_delay_alu instid0(VALU_DEP_1) | instskip(NEXT) | instid1(VALU_DEP_3)
	v_cndmask_b32_e64 v32, v32, v7, s2
	v_cndmask_b32_e64 v33, v33, v6, s2
	v_cmp_eq_u32_e64 s2, 3, v35
	s_delay_alu instid0(VALU_DEP_1) | instskip(NEXT) | instid1(VALU_DEP_3)
	;; [unrolled: 4-line block ×9, first 2 shown]
	v_cndmask_b32_e64 v36, v32, v23, s2
	v_cndmask_b32_e64 v37, v33, v22, s2
	v_cmp_eq_u32_e64 s2, 11, v35
	ds_load_b64 v[32:33], v34 offset:16
	v_cndmask_b32_e64 v36, v36, v25, s2
	v_cndmask_b32_e64 v37, v37, v24, s2
	v_cmp_eq_u32_e64 s2, 12, v35
	s_delay_alu instid0(VALU_DEP_1) | instskip(NEXT) | instid1(VALU_DEP_3)
	v_cndmask_b32_e64 v36, v36, v27, s2
	v_cndmask_b32_e64 v37, v37, v26, s2
	v_cmp_eq_u32_e64 s2, 13, v35
	s_delay_alu instid0(VALU_DEP_1) | instskip(NEXT) | instid1(VALU_DEP_3)
	v_cndmask_b32_e64 v36, v36, v29, s2
	v_cndmask_b32_e64 v35, v37, v28, s2
	s_waitcnt lgkmcnt(0)
	s_delay_alu instid0(VALU_DEP_1)
	v_fma_f64 v[30:31], v[35:36], v[32:33], v[30:31]
	v_cmpx_ne_u32_e32 5, v0
	s_cbranch_execz .LBB77_56
; %bb.47:
	v_add_nc_u32_e32 v35, 3, v0
	s_delay_alu instid0(VALU_DEP_1) | instskip(NEXT) | instid1(VALU_DEP_1)
	v_cmp_eq_u32_e64 s2, 1, v35
	v_cndmask_b32_e64 v32, v3, v5, s2
	v_cndmask_b32_e64 v33, v2, v4, s2
	v_cmp_eq_u32_e64 s2, 2, v35
	s_delay_alu instid0(VALU_DEP_1) | instskip(NEXT) | instid1(VALU_DEP_3)
	v_cndmask_b32_e64 v32, v32, v7, s2
	v_cndmask_b32_e64 v33, v33, v6, s2
	v_cmp_eq_u32_e64 s2, 3, v35
	s_delay_alu instid0(VALU_DEP_1) | instskip(NEXT) | instid1(VALU_DEP_3)
	;; [unrolled: 4-line block ×9, first 2 shown]
	v_cndmask_b32_e64 v36, v32, v23, s2
	v_cndmask_b32_e64 v37, v33, v22, s2
	v_cmp_eq_u32_e64 s2, 11, v35
	ds_load_b64 v[32:33], v34 offset:24
	v_cndmask_b32_e64 v36, v36, v25, s2
	v_cndmask_b32_e64 v37, v37, v24, s2
	v_cmp_eq_u32_e64 s2, 12, v35
	s_delay_alu instid0(VALU_DEP_1) | instskip(NEXT) | instid1(VALU_DEP_3)
	v_cndmask_b32_e64 v36, v36, v27, s2
	v_cndmask_b32_e64 v37, v37, v26, s2
	v_cmp_eq_u32_e64 s2, 13, v35
	s_delay_alu instid0(VALU_DEP_1) | instskip(NEXT) | instid1(VALU_DEP_3)
	v_cndmask_b32_e64 v36, v36, v29, s2
	v_cndmask_b32_e64 v35, v37, v28, s2
	s_waitcnt lgkmcnt(0)
	s_delay_alu instid0(VALU_DEP_1)
	v_fma_f64 v[30:31], v[35:36], v[32:33], v[30:31]
	s_and_saveexec_b32 s2, s1
	s_cbranch_execz .LBB77_55
; %bb.48:
	v_or_b32_e32 v35, 4, v0
	s_mov_b32 s7, exec_lo
	s_delay_alu instid0(VALU_DEP_1) | instskip(NEXT) | instid1(VALU_DEP_1)
	v_cmp_eq_u32_e64 s1, 1, v35
	v_cndmask_b32_e64 v32, v3, v5, s1
	v_cndmask_b32_e64 v33, v2, v4, s1
	v_cmp_eq_u32_e64 s1, 2, v35
	s_delay_alu instid0(VALU_DEP_1) | instskip(NEXT) | instid1(VALU_DEP_3)
	v_cndmask_b32_e64 v32, v32, v7, s1
	v_cndmask_b32_e64 v33, v33, v6, s1
	v_cmp_eq_u32_e64 s1, 3, v35
	s_delay_alu instid0(VALU_DEP_1) | instskip(NEXT) | instid1(VALU_DEP_3)
	;; [unrolled: 4-line block ×9, first 2 shown]
	v_cndmask_b32_e64 v36, v32, v23, s1
	v_cndmask_b32_e64 v37, v33, v22, s1
	v_cmp_eq_u32_e64 s1, 11, v35
	ds_load_b64 v[32:33], v34 offset:32
	v_cndmask_b32_e64 v36, v36, v25, s1
	v_cndmask_b32_e64 v37, v37, v24, s1
	v_cmp_eq_u32_e64 s1, 12, v35
	s_delay_alu instid0(VALU_DEP_1) | instskip(NEXT) | instid1(VALU_DEP_3)
	v_cndmask_b32_e64 v36, v36, v27, s1
	v_cndmask_b32_e64 v37, v37, v26, s1
	v_cmp_eq_u32_e64 s1, 13, v35
	s_delay_alu instid0(VALU_DEP_1) | instskip(NEXT) | instid1(VALU_DEP_3)
	v_cndmask_b32_e64 v36, v36, v29, s1
	v_cndmask_b32_e64 v35, v37, v28, s1
	s_waitcnt lgkmcnt(0)
	s_delay_alu instid0(VALU_DEP_1)
	v_fma_f64 v[30:31], v[35:36], v[32:33], v[30:31]
	v_cmpx_ne_u32_e32 3, v0
	s_cbranch_execz .LBB77_54
; %bb.49:
	v_add_nc_u32_e32 v35, 5, v0
	s_delay_alu instid0(VALU_DEP_1) | instskip(NEXT) | instid1(VALU_DEP_1)
	v_cmp_eq_u32_e64 s1, 1, v35
	v_cndmask_b32_e64 v32, v3, v5, s1
	v_cndmask_b32_e64 v33, v2, v4, s1
	v_cmp_eq_u32_e64 s1, 2, v35
	s_delay_alu instid0(VALU_DEP_1) | instskip(NEXT) | instid1(VALU_DEP_3)
	v_cndmask_b32_e64 v32, v32, v7, s1
	v_cndmask_b32_e64 v33, v33, v6, s1
	v_cmp_eq_u32_e64 s1, 3, v35
	s_delay_alu instid0(VALU_DEP_1) | instskip(NEXT) | instid1(VALU_DEP_3)
	;; [unrolled: 4-line block ×9, first 2 shown]
	v_cndmask_b32_e64 v36, v32, v23, s1
	v_cndmask_b32_e64 v37, v33, v22, s1
	v_cmp_eq_u32_e64 s1, 11, v35
	ds_load_b64 v[32:33], v34 offset:40
	v_cndmask_b32_e64 v36, v36, v25, s1
	v_cndmask_b32_e64 v37, v37, v24, s1
	v_cmp_eq_u32_e64 s1, 12, v35
	s_delay_alu instid0(VALU_DEP_1) | instskip(NEXT) | instid1(VALU_DEP_3)
	v_cndmask_b32_e64 v36, v36, v27, s1
	v_cndmask_b32_e64 v37, v37, v26, s1
	v_cmp_eq_u32_e64 s1, 13, v35
	s_delay_alu instid0(VALU_DEP_1) | instskip(NEXT) | instid1(VALU_DEP_3)
	v_cndmask_b32_e64 v36, v36, v29, s1
	v_cndmask_b32_e64 v35, v37, v28, s1
	s_waitcnt lgkmcnt(0)
	s_delay_alu instid0(VALU_DEP_1)
	v_fma_f64 v[30:31], v[35:36], v[32:33], v[30:31]
	s_and_saveexec_b32 s1, vcc_lo
	s_cbranch_execz .LBB77_53
; %bb.50:
	v_or_b32_e32 v32, 6, v0
	s_delay_alu instid0(VALU_DEP_1) | instskip(SKIP_3) | instid1(VALU_DEP_3)
	v_cmp_eq_u32_e32 vcc_lo, 1, v32
	v_cndmask_b32_e32 v33, v3, v5, vcc_lo
	v_cndmask_b32_e32 v35, v2, v4, vcc_lo
	v_cmp_eq_u32_e32 vcc_lo, 2, v32
	v_cndmask_b32_e32 v33, v33, v7, vcc_lo
	s_delay_alu instid0(VALU_DEP_3) | instskip(SKIP_1) | instid1(VALU_DEP_3)
	v_cndmask_b32_e32 v35, v35, v6, vcc_lo
	v_cmp_eq_u32_e32 vcc_lo, 3, v32
	v_cndmask_b32_e32 v33, v33, v9, vcc_lo
	s_delay_alu instid0(VALU_DEP_3) | instskip(SKIP_1) | instid1(VALU_DEP_3)
	;; [unrolled: 4-line block ×5, first 2 shown]
	v_cndmask_b32_e32 v35, v35, v14, vcc_lo
	v_cmp_eq_u32_e32 vcc_lo, 7, v32
	v_cndmask_b32_e32 v33, v33, v17, vcc_lo
	s_delay_alu instid0(VALU_DEP_3) | instskip(SKIP_1) | instid1(VALU_DEP_2)
	v_cndmask_b32_e32 v35, v35, v16, vcc_lo
	v_cmp_eq_u32_e32 vcc_lo, 8, v32
	v_dual_cndmask_b32 v19, v33, v19 :: v_dual_cndmask_b32 v18, v35, v18
	v_cmp_eq_u32_e32 vcc_lo, 9, v32
	s_delay_alu instid0(VALU_DEP_2) | instskip(SKIP_1) | instid1(VALU_DEP_2)
	v_dual_cndmask_b32 v19, v19, v21 :: v_dual_cndmask_b32 v18, v18, v20
	v_cmp_eq_u32_e32 vcc_lo, 10, v32
	v_cndmask_b32_e32 v33, v19, v23, vcc_lo
	s_delay_alu instid0(VALU_DEP_3)
	v_cndmask_b32_e32 v35, v18, v22, vcc_lo
	v_cmp_eq_u32_e32 vcc_lo, 11, v32
	ds_load_b64 v[18:19], v34 offset:48
	v_cndmask_b32_e32 v33, v33, v25, vcc_lo
	v_cndmask_b32_e32 v35, v35, v24, vcc_lo
	v_cmp_eq_u32_e32 vcc_lo, 12, v32
	s_delay_alu instid0(VALU_DEP_3) | instskip(NEXT) | instid1(VALU_DEP_3)
	v_cndmask_b32_e32 v33, v33, v27, vcc_lo
	v_cndmask_b32_e32 v35, v35, v26, vcc_lo
	v_cmp_eq_u32_e32 vcc_lo, 13, v32
	s_delay_alu instid0(VALU_DEP_2) | instskip(SKIP_1) | instid1(VALU_DEP_1)
	v_dual_cndmask_b32 v32, v35, v28 :: v_dual_cndmask_b32 v33, v33, v29
	s_waitcnt lgkmcnt(0)
	v_fma_f64 v[30:31], v[32:33], v[18:19], v[30:31]
	s_and_saveexec_b32 s8, s0
	s_cbranch_execz .LBB77_52
; %bb.51:
	ds_load_b64 v[18:19], v34 offset:56
	s_waitcnt lgkmcnt(0)
	v_fma_f64 v[30:31], v[16:17], v[18:19], v[30:31]
.LBB77_52:
	s_or_b32 exec_lo, exec_lo, s8
.LBB77_53:
	s_delay_alu instid0(SALU_CYCLE_1)
	s_or_b32 exec_lo, exec_lo, s1
.LBB77_54:
	s_delay_alu instid0(SALU_CYCLE_1)
	s_or_b32 exec_lo, exec_lo, s7
.LBB77_55:
	s_delay_alu instid0(SALU_CYCLE_1)
	s_or_b32 exec_lo, exec_lo, s2
.LBB77_56:
	s_delay_alu instid0(SALU_CYCLE_1)
	s_or_b32 exec_lo, exec_lo, s6
.LBB77_57:
	s_delay_alu instid0(SALU_CYCLE_1)
	s_or_b32 exec_lo, exec_lo, s3
.LBB77_58:
	s_delay_alu instid0(SALU_CYCLE_1)
	s_or_b32 exec_lo, exec_lo, s5
	v_mov_b32_e32 v18, 0
	ds_load_b64 v[18:19], v18 offset:64
	s_waitcnt lgkmcnt(0)
	v_mul_f64 v[18:19], v[30:31], v[18:19]
.LBB77_59:
	s_or_b32 exec_lo, exec_lo, s4
	s_delay_alu instid0(SALU_CYCLE_1)
	s_mov_b32 s1, exec_lo
	s_barrier
	buffer_gl0_inv
	ds_store_b64 v34, v[20:21]
	s_waitcnt lgkmcnt(0)
	s_barrier
	buffer_gl0_inv
	v_cmpx_gt_u32_e32 9, v0
	s_cbranch_execz .LBB77_63
; %bb.60:
	v_dual_mov_b32 v30, 0 :: v_dual_mov_b32 v33, v1
	v_lshl_add_u32 v35, v0, 3, 0x70
	v_dual_mov_b32 v31, 0 :: v_dual_mov_b32 v32, v0
	s_mov_b32 s2, 0
.LBB77_61:                              ; =>This Inner Loop Header: Depth=1
	s_delay_alu instid0(VALU_DEP_1) | instskip(SKIP_3) | instid1(VALU_DEP_2)
	v_cmp_eq_u32_e32 vcc_lo, 1, v32
	v_cmp_eq_u32_e64 s0, 2, v32
	v_dual_cndmask_b32 v36, v3, v5 :: v_dual_cndmask_b32 v37, v2, v4
	v_cmp_eq_u32_e32 vcc_lo, 3, v32
	v_cndmask_b32_e64 v36, v36, v7, s0
	s_delay_alu instid0(VALU_DEP_3) | instskip(SKIP_1) | instid1(VALU_DEP_2)
	v_cndmask_b32_e64 v37, v37, v6, s0
	v_cmp_eq_u32_e64 s0, 4, v32
	v_dual_cndmask_b32 v36, v36, v9 :: v_dual_cndmask_b32 v37, v37, v8
	v_cmp_eq_u32_e32 vcc_lo, 5, v32
	s_delay_alu instid0(VALU_DEP_2) | instskip(NEXT) | instid1(VALU_DEP_3)
	v_cndmask_b32_e64 v36, v36, v11, s0
	v_cndmask_b32_e64 v37, v37, v10, s0
	v_cmp_eq_u32_e64 s0, 6, v32
	s_delay_alu instid0(VALU_DEP_2) | instskip(SKIP_1) | instid1(VALU_DEP_2)
	v_dual_cndmask_b32 v36, v36, v13 :: v_dual_cndmask_b32 v37, v37, v12
	v_cmp_eq_u32_e32 vcc_lo, 7, v32
	v_cndmask_b32_e64 v36, v36, v15, s0
	s_delay_alu instid0(VALU_DEP_3) | instskip(SKIP_1) | instid1(VALU_DEP_2)
	v_cndmask_b32_e64 v37, v37, v14, s0
	v_cmp_eq_u32_e64 s0, 8, v32
	v_dual_cndmask_b32 v36, v36, v17 :: v_dual_cndmask_b32 v37, v37, v16
	v_cmp_eq_u32_e32 vcc_lo, 9, v32
	s_delay_alu instid0(VALU_DEP_2) | instskip(NEXT) | instid1(VALU_DEP_3)
	v_cndmask_b32_e64 v36, v36, v19, s0
	v_cndmask_b32_e64 v37, v37, v18, s0
	v_cmp_eq_u32_e64 s0, 10, v32
	s_delay_alu instid0(VALU_DEP_2)
	v_dual_cndmask_b32 v38, v36, v21 :: v_dual_cndmask_b32 v39, v37, v20
	ds_load_b64 v[36:37], v35
	v_cmp_eq_u32_e32 vcc_lo, 11, v32
	v_add_nc_u32_e32 v35, 8, v35
	v_cndmask_b32_e64 v38, v38, v23, s0
	v_cndmask_b32_e64 v39, v39, v22, s0
	v_cmp_eq_u32_e64 s0, 12, v32
	s_delay_alu instid0(VALU_DEP_2) | instskip(SKIP_1) | instid1(VALU_DEP_2)
	v_dual_cndmask_b32 v38, v38, v25 :: v_dual_cndmask_b32 v39, v39, v24
	v_cmp_eq_u32_e32 vcc_lo, 13, v32
	v_cndmask_b32_e64 v38, v38, v27, s0
	s_delay_alu instid0(VALU_DEP_3) | instskip(NEXT) | instid1(VALU_DEP_1)
	v_cndmask_b32_e64 v40, v39, v26, s0
	v_dual_cndmask_b32 v39, v38, v29 :: v_dual_cndmask_b32 v38, v40, v28
	v_add_co_u32 v32, vcc_lo, v32, 1
	v_add_co_ci_u32_e32 v33, vcc_lo, 0, v33, vcc_lo
	s_waitcnt lgkmcnt(0)
	s_delay_alu instid0(VALU_DEP_3) | instskip(NEXT) | instid1(VALU_DEP_3)
	v_fma_f64 v[30:31], v[38:39], v[36:37], v[30:31]
	v_add_nc_u32_e32 v36, -1, v32
	s_delay_alu instid0(VALU_DEP_1) | instskip(SKIP_1) | instid1(SALU_CYCLE_1)
	v_cmp_lt_u32_e32 vcc_lo, 7, v36
	s_or_b32 s2, vcc_lo, s2
	s_and_not1_b32 exec_lo, exec_lo, s2
	s_cbranch_execnz .LBB77_61
; %bb.62:
	s_or_b32 exec_lo, exec_lo, s2
	v_mov_b32_e32 v20, 0
	ds_load_b64 v[20:21], v20 offset:72
	s_waitcnt lgkmcnt(0)
	v_mul_f64 v[20:21], v[30:31], v[20:21]
.LBB77_63:
	s_or_b32 exec_lo, exec_lo, s1
	s_delay_alu instid0(SALU_CYCLE_1)
	s_mov_b32 s1, exec_lo
	s_barrier
	buffer_gl0_inv
	ds_store_b64 v34, v[22:23]
	s_waitcnt lgkmcnt(0)
	s_barrier
	buffer_gl0_inv
	v_cmpx_gt_u32_e32 10, v0
	s_cbranch_execz .LBB77_67
; %bb.64:
	v_dual_mov_b32 v30, 0 :: v_dual_mov_b32 v33, v1
	v_lshl_add_u32 v35, v0, 3, 0x70
	v_dual_mov_b32 v31, 0 :: v_dual_mov_b32 v32, v0
	s_mov_b32 s2, 0
.LBB77_65:                              ; =>This Inner Loop Header: Depth=1
	s_delay_alu instid0(VALU_DEP_1) | instskip(SKIP_3) | instid1(VALU_DEP_2)
	v_cmp_eq_u32_e32 vcc_lo, 1, v32
	v_cmp_eq_u32_e64 s0, 2, v32
	v_dual_cndmask_b32 v36, v3, v5 :: v_dual_cndmask_b32 v37, v2, v4
	v_cmp_eq_u32_e32 vcc_lo, 3, v32
	v_cndmask_b32_e64 v36, v36, v7, s0
	s_delay_alu instid0(VALU_DEP_3) | instskip(SKIP_1) | instid1(VALU_DEP_2)
	v_cndmask_b32_e64 v37, v37, v6, s0
	v_cmp_eq_u32_e64 s0, 4, v32
	v_dual_cndmask_b32 v36, v36, v9 :: v_dual_cndmask_b32 v37, v37, v8
	v_cmp_eq_u32_e32 vcc_lo, 5, v32
	s_delay_alu instid0(VALU_DEP_2) | instskip(NEXT) | instid1(VALU_DEP_3)
	v_cndmask_b32_e64 v36, v36, v11, s0
	v_cndmask_b32_e64 v37, v37, v10, s0
	v_cmp_eq_u32_e64 s0, 6, v32
	s_delay_alu instid0(VALU_DEP_2) | instskip(SKIP_1) | instid1(VALU_DEP_2)
	v_dual_cndmask_b32 v36, v36, v13 :: v_dual_cndmask_b32 v37, v37, v12
	v_cmp_eq_u32_e32 vcc_lo, 7, v32
	v_cndmask_b32_e64 v36, v36, v15, s0
	s_delay_alu instid0(VALU_DEP_3) | instskip(SKIP_1) | instid1(VALU_DEP_2)
	v_cndmask_b32_e64 v37, v37, v14, s0
	v_cmp_eq_u32_e64 s0, 8, v32
	v_dual_cndmask_b32 v36, v36, v17 :: v_dual_cndmask_b32 v37, v37, v16
	v_cmp_eq_u32_e32 vcc_lo, 9, v32
	s_delay_alu instid0(VALU_DEP_2) | instskip(NEXT) | instid1(VALU_DEP_3)
	v_cndmask_b32_e64 v36, v36, v19, s0
	v_cndmask_b32_e64 v37, v37, v18, s0
	v_cmp_eq_u32_e64 s0, 10, v32
	s_delay_alu instid0(VALU_DEP_2)
	v_dual_cndmask_b32 v38, v36, v21 :: v_dual_cndmask_b32 v39, v37, v20
	ds_load_b64 v[36:37], v35
	v_cmp_eq_u32_e32 vcc_lo, 11, v32
	v_add_nc_u32_e32 v35, 8, v35
	v_cndmask_b32_e64 v38, v38, v23, s0
	v_cndmask_b32_e64 v39, v39, v22, s0
	v_cmp_eq_u32_e64 s0, 12, v32
	s_delay_alu instid0(VALU_DEP_2) | instskip(SKIP_1) | instid1(VALU_DEP_2)
	v_dual_cndmask_b32 v38, v38, v25 :: v_dual_cndmask_b32 v39, v39, v24
	v_cmp_eq_u32_e32 vcc_lo, 13, v32
	v_cndmask_b32_e64 v38, v38, v27, s0
	s_delay_alu instid0(VALU_DEP_3) | instskip(NEXT) | instid1(VALU_DEP_1)
	v_cndmask_b32_e64 v40, v39, v26, s0
	v_dual_cndmask_b32 v39, v38, v29 :: v_dual_cndmask_b32 v38, v40, v28
	v_add_co_u32 v32, vcc_lo, v32, 1
	v_add_co_ci_u32_e32 v33, vcc_lo, 0, v33, vcc_lo
	s_waitcnt lgkmcnt(0)
	s_delay_alu instid0(VALU_DEP_3) | instskip(NEXT) | instid1(VALU_DEP_3)
	v_fma_f64 v[30:31], v[38:39], v[36:37], v[30:31]
	v_add_nc_u32_e32 v36, -1, v32
	s_delay_alu instid0(VALU_DEP_1) | instskip(SKIP_1) | instid1(SALU_CYCLE_1)
	v_cmp_lt_u32_e32 vcc_lo, 8, v36
	s_or_b32 s2, vcc_lo, s2
	s_and_not1_b32 exec_lo, exec_lo, s2
	s_cbranch_execnz .LBB77_65
; %bb.66:
	s_or_b32 exec_lo, exec_lo, s2
	v_mov_b32_e32 v22, 0
	ds_load_b64 v[22:23], v22 offset:80
	s_waitcnt lgkmcnt(0)
	v_mul_f64 v[22:23], v[30:31], v[22:23]
.LBB77_67:
	s_or_b32 exec_lo, exec_lo, s1
	s_delay_alu instid0(SALU_CYCLE_1)
	s_mov_b32 s1, exec_lo
	s_barrier
	buffer_gl0_inv
	ds_store_b64 v34, v[24:25]
	s_waitcnt lgkmcnt(0)
	s_barrier
	buffer_gl0_inv
	v_cmpx_gt_u32_e32 11, v0
	s_cbranch_execz .LBB77_71
; %bb.68:
	v_dual_mov_b32 v30, 0 :: v_dual_mov_b32 v33, v1
	v_lshl_add_u32 v35, v0, 3, 0x70
	v_dual_mov_b32 v31, 0 :: v_dual_mov_b32 v32, v0
	s_mov_b32 s2, 0
.LBB77_69:                              ; =>This Inner Loop Header: Depth=1
	s_delay_alu instid0(VALU_DEP_1) | instskip(SKIP_3) | instid1(VALU_DEP_2)
	v_cmp_eq_u32_e32 vcc_lo, 1, v32
	v_cmp_eq_u32_e64 s0, 2, v32
	v_dual_cndmask_b32 v36, v3, v5 :: v_dual_cndmask_b32 v37, v2, v4
	v_cmp_eq_u32_e32 vcc_lo, 3, v32
	v_cndmask_b32_e64 v36, v36, v7, s0
	s_delay_alu instid0(VALU_DEP_3) | instskip(SKIP_1) | instid1(VALU_DEP_2)
	v_cndmask_b32_e64 v37, v37, v6, s0
	v_cmp_eq_u32_e64 s0, 4, v32
	v_dual_cndmask_b32 v36, v36, v9 :: v_dual_cndmask_b32 v37, v37, v8
	v_cmp_eq_u32_e32 vcc_lo, 5, v32
	s_delay_alu instid0(VALU_DEP_2) | instskip(NEXT) | instid1(VALU_DEP_3)
	v_cndmask_b32_e64 v36, v36, v11, s0
	v_cndmask_b32_e64 v37, v37, v10, s0
	v_cmp_eq_u32_e64 s0, 6, v32
	s_delay_alu instid0(VALU_DEP_2) | instskip(SKIP_1) | instid1(VALU_DEP_2)
	v_dual_cndmask_b32 v36, v36, v13 :: v_dual_cndmask_b32 v37, v37, v12
	v_cmp_eq_u32_e32 vcc_lo, 7, v32
	v_cndmask_b32_e64 v36, v36, v15, s0
	s_delay_alu instid0(VALU_DEP_3) | instskip(SKIP_1) | instid1(VALU_DEP_2)
	v_cndmask_b32_e64 v37, v37, v14, s0
	v_cmp_eq_u32_e64 s0, 8, v32
	v_dual_cndmask_b32 v36, v36, v17 :: v_dual_cndmask_b32 v37, v37, v16
	v_cmp_eq_u32_e32 vcc_lo, 9, v32
	s_delay_alu instid0(VALU_DEP_2) | instskip(NEXT) | instid1(VALU_DEP_3)
	v_cndmask_b32_e64 v36, v36, v19, s0
	v_cndmask_b32_e64 v37, v37, v18, s0
	v_cmp_eq_u32_e64 s0, 10, v32
	s_delay_alu instid0(VALU_DEP_2)
	v_dual_cndmask_b32 v38, v36, v21 :: v_dual_cndmask_b32 v39, v37, v20
	ds_load_b64 v[36:37], v35
	v_cmp_eq_u32_e32 vcc_lo, 11, v32
	v_add_nc_u32_e32 v35, 8, v35
	v_cndmask_b32_e64 v38, v38, v23, s0
	v_cndmask_b32_e64 v39, v39, v22, s0
	v_cmp_eq_u32_e64 s0, 12, v32
	s_delay_alu instid0(VALU_DEP_2) | instskip(SKIP_1) | instid1(VALU_DEP_2)
	v_dual_cndmask_b32 v38, v38, v25 :: v_dual_cndmask_b32 v39, v39, v24
	v_cmp_eq_u32_e32 vcc_lo, 13, v32
	v_cndmask_b32_e64 v38, v38, v27, s0
	s_delay_alu instid0(VALU_DEP_3) | instskip(NEXT) | instid1(VALU_DEP_1)
	v_cndmask_b32_e64 v40, v39, v26, s0
	v_dual_cndmask_b32 v39, v38, v29 :: v_dual_cndmask_b32 v38, v40, v28
	v_add_co_u32 v32, vcc_lo, v32, 1
	v_add_co_ci_u32_e32 v33, vcc_lo, 0, v33, vcc_lo
	s_waitcnt lgkmcnt(0)
	s_delay_alu instid0(VALU_DEP_3) | instskip(NEXT) | instid1(VALU_DEP_3)
	v_fma_f64 v[30:31], v[38:39], v[36:37], v[30:31]
	v_add_nc_u32_e32 v36, -1, v32
	s_delay_alu instid0(VALU_DEP_1) | instskip(SKIP_1) | instid1(SALU_CYCLE_1)
	v_cmp_lt_u32_e32 vcc_lo, 9, v36
	s_or_b32 s2, vcc_lo, s2
	s_and_not1_b32 exec_lo, exec_lo, s2
	s_cbranch_execnz .LBB77_69
; %bb.70:
	s_or_b32 exec_lo, exec_lo, s2
	v_mov_b32_e32 v24, 0
	ds_load_b64 v[24:25], v24 offset:88
	s_waitcnt lgkmcnt(0)
	v_mul_f64 v[24:25], v[30:31], v[24:25]
.LBB77_71:
	s_or_b32 exec_lo, exec_lo, s1
	s_delay_alu instid0(SALU_CYCLE_1)
	s_mov_b32 s1, exec_lo
	s_barrier
	buffer_gl0_inv
	ds_store_b64 v34, v[26:27]
	s_waitcnt lgkmcnt(0)
	s_barrier
	buffer_gl0_inv
	v_cmpx_gt_u32_e32 12, v0
	s_cbranch_execz .LBB77_75
; %bb.72:
	v_dual_mov_b32 v30, 0 :: v_dual_mov_b32 v33, v1
	v_lshl_add_u32 v35, v0, 3, 0x70
	v_dual_mov_b32 v31, 0 :: v_dual_mov_b32 v32, v0
	s_mov_b32 s2, 0
.LBB77_73:                              ; =>This Inner Loop Header: Depth=1
	s_delay_alu instid0(VALU_DEP_1) | instskip(SKIP_3) | instid1(VALU_DEP_2)
	v_cmp_eq_u32_e32 vcc_lo, 1, v32
	v_cmp_eq_u32_e64 s0, 2, v32
	v_dual_cndmask_b32 v36, v3, v5 :: v_dual_cndmask_b32 v37, v2, v4
	v_cmp_eq_u32_e32 vcc_lo, 3, v32
	v_cndmask_b32_e64 v36, v36, v7, s0
	s_delay_alu instid0(VALU_DEP_3) | instskip(SKIP_1) | instid1(VALU_DEP_2)
	v_cndmask_b32_e64 v37, v37, v6, s0
	v_cmp_eq_u32_e64 s0, 4, v32
	v_dual_cndmask_b32 v36, v36, v9 :: v_dual_cndmask_b32 v37, v37, v8
	v_cmp_eq_u32_e32 vcc_lo, 5, v32
	s_delay_alu instid0(VALU_DEP_2) | instskip(NEXT) | instid1(VALU_DEP_3)
	v_cndmask_b32_e64 v36, v36, v11, s0
	v_cndmask_b32_e64 v37, v37, v10, s0
	v_cmp_eq_u32_e64 s0, 6, v32
	s_delay_alu instid0(VALU_DEP_2) | instskip(SKIP_1) | instid1(VALU_DEP_2)
	v_dual_cndmask_b32 v36, v36, v13 :: v_dual_cndmask_b32 v37, v37, v12
	v_cmp_eq_u32_e32 vcc_lo, 7, v32
	v_cndmask_b32_e64 v36, v36, v15, s0
	s_delay_alu instid0(VALU_DEP_3) | instskip(SKIP_1) | instid1(VALU_DEP_2)
	v_cndmask_b32_e64 v37, v37, v14, s0
	v_cmp_eq_u32_e64 s0, 8, v32
	v_dual_cndmask_b32 v36, v36, v17 :: v_dual_cndmask_b32 v37, v37, v16
	v_cmp_eq_u32_e32 vcc_lo, 9, v32
	s_delay_alu instid0(VALU_DEP_2) | instskip(NEXT) | instid1(VALU_DEP_3)
	v_cndmask_b32_e64 v36, v36, v19, s0
	v_cndmask_b32_e64 v37, v37, v18, s0
	v_cmp_eq_u32_e64 s0, 10, v32
	s_delay_alu instid0(VALU_DEP_2)
	v_dual_cndmask_b32 v38, v36, v21 :: v_dual_cndmask_b32 v39, v37, v20
	ds_load_b64 v[36:37], v35
	v_cmp_eq_u32_e32 vcc_lo, 11, v32
	v_add_nc_u32_e32 v35, 8, v35
	v_cndmask_b32_e64 v38, v38, v23, s0
	v_cndmask_b32_e64 v39, v39, v22, s0
	v_cmp_eq_u32_e64 s0, 12, v32
	s_delay_alu instid0(VALU_DEP_2) | instskip(SKIP_1) | instid1(VALU_DEP_2)
	v_dual_cndmask_b32 v38, v38, v25 :: v_dual_cndmask_b32 v39, v39, v24
	v_cmp_eq_u32_e32 vcc_lo, 13, v32
	v_cndmask_b32_e64 v38, v38, v27, s0
	s_delay_alu instid0(VALU_DEP_3) | instskip(NEXT) | instid1(VALU_DEP_1)
	v_cndmask_b32_e64 v40, v39, v26, s0
	v_dual_cndmask_b32 v39, v38, v29 :: v_dual_cndmask_b32 v38, v40, v28
	v_add_co_u32 v32, vcc_lo, v32, 1
	v_add_co_ci_u32_e32 v33, vcc_lo, 0, v33, vcc_lo
	s_waitcnt lgkmcnt(0)
	s_delay_alu instid0(VALU_DEP_3) | instskip(NEXT) | instid1(VALU_DEP_3)
	v_fma_f64 v[30:31], v[38:39], v[36:37], v[30:31]
	v_add_nc_u32_e32 v36, -1, v32
	s_delay_alu instid0(VALU_DEP_1) | instskip(SKIP_1) | instid1(SALU_CYCLE_1)
	v_cmp_lt_u32_e32 vcc_lo, 10, v36
	s_or_b32 s2, vcc_lo, s2
	s_and_not1_b32 exec_lo, exec_lo, s2
	s_cbranch_execnz .LBB77_73
; %bb.74:
	s_or_b32 exec_lo, exec_lo, s2
	v_mov_b32_e32 v26, 0
	ds_load_b64 v[26:27], v26 offset:96
	s_waitcnt lgkmcnt(0)
	v_mul_f64 v[26:27], v[30:31], v[26:27]
.LBB77_75:
	s_or_b32 exec_lo, exec_lo, s1
	s_delay_alu instid0(SALU_CYCLE_1)
	s_mov_b32 s1, exec_lo
	s_barrier
	buffer_gl0_inv
	ds_store_b64 v34, v[28:29]
	s_waitcnt lgkmcnt(0)
	s_barrier
	buffer_gl0_inv
	v_cmpx_ne_u32_e32 13, v0
	s_cbranch_execz .LBB77_79
; %bb.76:
	v_dual_mov_b32 v30, 0 :: v_dual_mov_b32 v33, v1
	v_lshl_add_u32 v34, v0, 3, 0x70
	v_dual_mov_b32 v31, 0 :: v_dual_mov_b32 v32, v0
	s_mov_b32 s2, 0
.LBB77_77:                              ; =>This Inner Loop Header: Depth=1
	s_delay_alu instid0(VALU_DEP_1) | instskip(SKIP_4) | instid1(VALU_DEP_3)
	v_cmp_eq_u32_e32 vcc_lo, 1, v32
	v_cmp_eq_u32_e64 s0, 2, v32
	v_cndmask_b32_e32 v1, v3, v5, vcc_lo
	v_cndmask_b32_e32 v35, v2, v4, vcc_lo
	v_cmp_eq_u32_e32 vcc_lo, 3, v32
	v_cndmask_b32_e64 v1, v1, v7, s0
	s_delay_alu instid0(VALU_DEP_3) | instskip(SKIP_1) | instid1(VALU_DEP_3)
	v_cndmask_b32_e64 v35, v35, v6, s0
	v_cmp_eq_u32_e64 s0, 4, v32
	v_cndmask_b32_e32 v1, v1, v9, vcc_lo
	s_delay_alu instid0(VALU_DEP_3) | instskip(SKIP_1) | instid1(VALU_DEP_3)
	v_cndmask_b32_e32 v35, v35, v8, vcc_lo
	v_cmp_eq_u32_e32 vcc_lo, 5, v32
	v_cndmask_b32_e64 v1, v1, v11, s0
	s_delay_alu instid0(VALU_DEP_3) | instskip(SKIP_1) | instid1(VALU_DEP_3)
	v_cndmask_b32_e64 v35, v35, v10, s0
	v_cmp_eq_u32_e64 s0, 6, v32
	v_cndmask_b32_e32 v1, v1, v13, vcc_lo
	s_delay_alu instid0(VALU_DEP_3) | instskip(SKIP_1) | instid1(VALU_DEP_3)
	;; [unrolled: 8-line block ×3, first 2 shown]
	v_cndmask_b32_e32 v35, v35, v16, vcc_lo
	v_cmp_eq_u32_e32 vcc_lo, 9, v32
	v_cndmask_b32_e64 v1, v1, v19, s0
	s_delay_alu instid0(VALU_DEP_3) | instskip(SKIP_1) | instid1(VALU_DEP_3)
	v_cndmask_b32_e64 v35, v35, v18, s0
	v_cmp_eq_u32_e64 s0, 10, v32
	v_cndmask_b32_e32 v1, v1, v21, vcc_lo
	s_delay_alu instid0(VALU_DEP_3)
	v_cndmask_b32_e32 v37, v35, v20, vcc_lo
	ds_load_b64 v[35:36], v34
	v_cmp_eq_u32_e32 vcc_lo, 11, v32
	v_add_nc_u32_e32 v34, 8, v34
	v_cndmask_b32_e64 v1, v1, v23, s0
	v_cndmask_b32_e64 v37, v37, v22, s0
	v_cmp_eq_u32_e64 s0, 12, v32
	s_delay_alu instid0(VALU_DEP_3) | instskip(NEXT) | instid1(VALU_DEP_3)
	v_cndmask_b32_e32 v1, v1, v25, vcc_lo
	v_cndmask_b32_e32 v37, v37, v24, vcc_lo
	v_cmp_eq_u32_e32 vcc_lo, 13, v32
	s_delay_alu instid0(VALU_DEP_3) | instskip(NEXT) | instid1(VALU_DEP_3)
	v_cndmask_b32_e64 v1, v1, v27, s0
	v_cndmask_b32_e64 v37, v37, v26, s0
	s_delay_alu instid0(VALU_DEP_2) | instskip(NEXT) | instid1(VALU_DEP_2)
	v_cndmask_b32_e32 v38, v1, v29, vcc_lo
	v_cndmask_b32_e32 v37, v37, v28, vcc_lo
	v_add_co_u32 v32, vcc_lo, v32, 1
	v_add_co_ci_u32_e32 v33, vcc_lo, 0, v33, vcc_lo
	s_waitcnt lgkmcnt(0)
	s_delay_alu instid0(VALU_DEP_3) | instskip(NEXT) | instid1(VALU_DEP_3)
	v_fma_f64 v[30:31], v[37:38], v[35:36], v[30:31]
	v_add_nc_u32_e32 v1, -1, v32
	s_delay_alu instid0(VALU_DEP_1) | instskip(SKIP_1) | instid1(SALU_CYCLE_1)
	v_cmp_lt_u32_e32 vcc_lo, 11, v1
	s_or_b32 s2, vcc_lo, s2
	s_and_not1_b32 exec_lo, exec_lo, s2
	s_cbranch_execnz .LBB77_77
; %bb.78:
	s_or_b32 exec_lo, exec_lo, s2
	v_mov_b32_e32 v1, 0
	ds_load_b64 v[28:29], v1 offset:104
	s_waitcnt lgkmcnt(0)
	v_mul_f64 v[28:29], v[30:31], v[28:29]
.LBB77_79:
	s_or_b32 exec_lo, exec_lo, s1
	s_barrier
	buffer_gl0_inv
	s_cbranch_execnz .LBB77_15
	s_branch .LBB77_16
.LBB77_80:
	v_lshl_add_u32 v1, v0, 3, 0x70
	s_mov_b32 s0, exec_lo
	v_cmpx_eq_u32_e32 13, v0
	s_cbranch_execz .LBB77_82
; %bb.81:
	v_dual_mov_b32 v54, 0 :: v_dual_mov_b32 v31, v3
	v_dual_mov_b32 v30, v2 :: v_dual_mov_b32 v33, v5
	;; [unrolled: 1-line block ×14, first 2 shown]
	ds_store_b64 v1, v[26:27]
	v_mov_b32_e32 v2, v30
	v_dual_mov_b32 v3, v31 :: v_dual_mov_b32 v4, v32
	v_dual_mov_b32 v5, v33 :: v_dual_mov_b32 v6, v34
	v_dual_mov_b32 v7, v35 :: v_dual_mov_b32 v8, v36
	v_dual_mov_b32 v9, v37 :: v_dual_mov_b32 v10, v38
	v_dual_mov_b32 v11, v39 :: v_dual_mov_b32 v12, v40
	v_dual_mov_b32 v13, v41 :: v_dual_mov_b32 v14, v42
	v_dual_mov_b32 v15, v43 :: v_dual_mov_b32 v16, v44
	v_dual_mov_b32 v17, v45 :: v_dual_mov_b32 v18, v46
	v_dual_mov_b32 v19, v47 :: v_dual_mov_b32 v20, v48
	v_dual_mov_b32 v21, v49 :: v_dual_mov_b32 v22, v50
	v_dual_mov_b32 v23, v51 :: v_dual_mov_b32 v24, v52
	v_dual_mov_b32 v25, v53 :: v_dual_mov_b32 v26, v54
	v_dual_mov_b32 v27, v55 :: v_dual_mov_b32 v28, v56
	v_dual_mov_b32 v29, v57 :: v_dual_mov_b32 v30, v58
	v_mov_b32_e32 v31, v59
	v_mov_b32_e32 v32, v60
	;; [unrolled: 1-line block ×3, first 2 shown]
.LBB77_82:
	s_or_b32 exec_lo, exec_lo, s0
	v_mov_b32_e32 v52, 0
	s_waitcnt lgkmcnt(0)
	s_waitcnt_vscnt null, 0x0
	s_barrier
	buffer_gl0_inv
	s_mov_b32 s0, exec_lo
	ds_load_b64 v[30:31], v52 offset:216
	s_waitcnt lgkmcnt(0)
	v_fma_f64 v[30:31], v[28:29], v[30:31], 0
	s_delay_alu instid0(VALU_DEP_1)
	v_add_f64 v[26:27], v[26:27], -v[30:31]
	v_cmpx_lt_u32_e32 11, v0
	s_cbranch_execz .LBB77_84
; %bb.83:
	v_dual_mov_b32 v30, v2 :: v_dual_mov_b32 v31, v3
	v_dual_mov_b32 v34, v6 :: v_dual_mov_b32 v35, v7
	;; [unrolled: 1-line block ×13, first 2 shown]
	v_mov_b32_e32 v33, v5
	ds_store_b64 v1, v[24:25]
	v_mov_b32_e32 v2, v30
	v_dual_mov_b32 v3, v31 :: v_dual_mov_b32 v4, v32
	v_dual_mov_b32 v5, v33 :: v_dual_mov_b32 v6, v34
	;; [unrolled: 1-line block ×14, first 2 shown]
	v_mov_b32_e32 v31, v59
	v_mov_b32_e32 v32, v60
	;; [unrolled: 1-line block ×3, first 2 shown]
.LBB77_84:
	s_or_b32 exec_lo, exec_lo, s0
	s_waitcnt lgkmcnt(0)
	s_barrier
	buffer_gl0_inv
	ds_load_b128 v[30:33], v52 offset:208
	s_mov_b32 s0, exec_lo
	s_waitcnt lgkmcnt(0)
	v_fma_f64 v[30:31], v[26:27], v[30:31], 0
	s_delay_alu instid0(VALU_DEP_1) | instskip(NEXT) | instid1(VALU_DEP_1)
	v_fma_f64 v[30:31], v[28:29], v[32:33], v[30:31]
	v_add_f64 v[24:25], v[24:25], -v[30:31]
	v_cmpx_lt_u32_e32 10, v0
	s_cbranch_execz .LBB77_86
; %bb.85:
	v_dual_mov_b32 v50, 0 :: v_dual_mov_b32 v31, v3
	v_dual_mov_b32 v30, v2 :: v_dual_mov_b32 v33, v5
	v_dual_mov_b32 v32, v4 :: v_dual_mov_b32 v35, v7
	v_dual_mov_b32 v34, v6 :: v_dual_mov_b32 v37, v9
	v_dual_mov_b32 v36, v8 :: v_dual_mov_b32 v39, v11
	v_dual_mov_b32 v38, v10 :: v_dual_mov_b32 v41, v13
	v_dual_mov_b32 v40, v12 :: v_dual_mov_b32 v43, v15
	v_dual_mov_b32 v42, v14 :: v_dual_mov_b32 v45, v17
	v_dual_mov_b32 v44, v16 :: v_dual_mov_b32 v47, v19
	v_dual_mov_b32 v46, v18 :: v_dual_mov_b32 v49, v21
	v_dual_mov_b32 v48, v20 :: v_dual_mov_b32 v51, v50
	v_dual_mov_b32 v52, v24 :: v_dual_mov_b32 v53, v25
	v_dual_mov_b32 v54, v26 :: v_dual_mov_b32 v55, v27
	v_dual_mov_b32 v56, v28 :: v_dual_mov_b32 v57, v29
	ds_store_b64 v1, v[22:23]
	v_mov_b32_e32 v2, v30
	v_dual_mov_b32 v3, v31 :: v_dual_mov_b32 v4, v32
	v_dual_mov_b32 v5, v33 :: v_dual_mov_b32 v6, v34
	;; [unrolled: 1-line block ×14, first 2 shown]
	v_mov_b32_e32 v31, v59
	v_mov_b32_e32 v32, v60
	;; [unrolled: 1-line block ×3, first 2 shown]
.LBB77_86:
	s_or_b32 exec_lo, exec_lo, s0
	v_mov_b32_e32 v48, 0
	s_waitcnt lgkmcnt(0)
	s_barrier
	buffer_gl0_inv
	s_mov_b32 s0, exec_lo
	ds_load_2addr_b64 v[30:33], v48 offset0:25 offset1:26
	ds_load_b64 v[34:35], v48 offset:216
	s_waitcnt lgkmcnt(1)
	v_fma_f64 v[30:31], v[24:25], v[30:31], 0
	s_delay_alu instid0(VALU_DEP_1) | instskip(SKIP_1) | instid1(VALU_DEP_1)
	v_fma_f64 v[30:31], v[26:27], v[32:33], v[30:31]
	s_waitcnt lgkmcnt(0)
	v_fma_f64 v[30:31], v[28:29], v[34:35], v[30:31]
	s_delay_alu instid0(VALU_DEP_1)
	v_add_f64 v[22:23], v[22:23], -v[30:31]
	v_cmpx_lt_u32_e32 9, v0
	s_cbranch_execz .LBB77_88
; %bb.87:
	v_dual_mov_b32 v30, v2 :: v_dual_mov_b32 v31, v3
	v_dual_mov_b32 v34, v6 :: v_dual_mov_b32 v35, v7
	;; [unrolled: 1-line block ×13, first 2 shown]
	v_mov_b32_e32 v33, v5
	ds_store_b64 v1, v[20:21]
	v_mov_b32_e32 v2, v30
	v_dual_mov_b32 v3, v31 :: v_dual_mov_b32 v4, v32
	v_dual_mov_b32 v5, v33 :: v_dual_mov_b32 v6, v34
	;; [unrolled: 1-line block ×14, first 2 shown]
	v_mov_b32_e32 v31, v59
	v_mov_b32_e32 v32, v60
	v_mov_b32_e32 v33, v61
.LBB77_88:
	s_or_b32 exec_lo, exec_lo, s0
	s_waitcnt lgkmcnt(0)
	s_barrier
	buffer_gl0_inv
	ds_load_b128 v[30:33], v48 offset:192
	ds_load_b128 v[34:37], v48 offset:208
	s_mov_b32 s0, exec_lo
	s_waitcnt lgkmcnt(1)
	v_fma_f64 v[30:31], v[22:23], v[30:31], 0
	s_delay_alu instid0(VALU_DEP_1) | instskip(SKIP_1) | instid1(VALU_DEP_1)
	v_fma_f64 v[30:31], v[24:25], v[32:33], v[30:31]
	s_waitcnt lgkmcnt(0)
	v_fma_f64 v[30:31], v[26:27], v[34:35], v[30:31]
	s_delay_alu instid0(VALU_DEP_1) | instskip(NEXT) | instid1(VALU_DEP_1)
	v_fma_f64 v[30:31], v[28:29], v[36:37], v[30:31]
	v_add_f64 v[20:21], v[20:21], -v[30:31]
	v_cmpx_lt_u32_e32 8, v0
	s_cbranch_execz .LBB77_90
; %bb.89:
	v_dual_mov_b32 v46, 0 :: v_dual_mov_b32 v31, v3
	v_dual_mov_b32 v30, v2 :: v_dual_mov_b32 v33, v5
	;; [unrolled: 1-line block ×14, first 2 shown]
	ds_store_b64 v1, v[18:19]
	v_mov_b32_e32 v2, v30
	v_dual_mov_b32 v3, v31 :: v_dual_mov_b32 v4, v32
	v_dual_mov_b32 v5, v33 :: v_dual_mov_b32 v6, v34
	;; [unrolled: 1-line block ×14, first 2 shown]
	v_mov_b32_e32 v31, v59
	v_mov_b32_e32 v32, v60
	;; [unrolled: 1-line block ×3, first 2 shown]
.LBB77_90:
	s_or_b32 exec_lo, exec_lo, s0
	v_mov_b32_e32 v44, 0
	s_waitcnt lgkmcnt(0)
	s_barrier
	buffer_gl0_inv
	s_mov_b32 s0, exec_lo
	ds_load_2addr_b64 v[30:33], v44 offset0:23 offset1:24
	ds_load_2addr_b64 v[34:37], v44 offset0:25 offset1:26
	s_waitcnt lgkmcnt(1)
	v_fma_f64 v[30:31], v[20:21], v[30:31], 0
	s_delay_alu instid0(VALU_DEP_1) | instskip(SKIP_3) | instid1(VALU_DEP_1)
	v_fma_f64 v[30:31], v[22:23], v[32:33], v[30:31]
	ds_load_b64 v[32:33], v44 offset:216
	s_waitcnt lgkmcnt(1)
	v_fma_f64 v[30:31], v[24:25], v[34:35], v[30:31]
	v_fma_f64 v[30:31], v[26:27], v[36:37], v[30:31]
	s_waitcnt lgkmcnt(0)
	s_delay_alu instid0(VALU_DEP_1) | instskip(NEXT) | instid1(VALU_DEP_1)
	v_fma_f64 v[30:31], v[28:29], v[32:33], v[30:31]
	v_add_f64 v[18:19], v[18:19], -v[30:31]
	v_cmpx_lt_u32_e32 7, v0
	s_cbranch_execz .LBB77_92
; %bb.91:
	v_dual_mov_b32 v30, v2 :: v_dual_mov_b32 v31, v3
	v_dual_mov_b32 v34, v6 :: v_dual_mov_b32 v35, v7
	;; [unrolled: 1-line block ×13, first 2 shown]
	v_mov_b32_e32 v33, v5
	ds_store_b64 v1, v[16:17]
	v_mov_b32_e32 v2, v30
	v_dual_mov_b32 v3, v31 :: v_dual_mov_b32 v4, v32
	v_dual_mov_b32 v5, v33 :: v_dual_mov_b32 v6, v34
	;; [unrolled: 1-line block ×14, first 2 shown]
	v_mov_b32_e32 v31, v59
	v_mov_b32_e32 v32, v60
	;; [unrolled: 1-line block ×3, first 2 shown]
.LBB77_92:
	s_or_b32 exec_lo, exec_lo, s0
	s_waitcnt lgkmcnt(0)
	s_barrier
	buffer_gl0_inv
	ds_load_b128 v[30:33], v44 offset:176
	ds_load_b128 v[34:37], v44 offset:192
	s_mov_b32 s0, exec_lo
	s_waitcnt lgkmcnt(1)
	v_fma_f64 v[30:31], v[18:19], v[30:31], 0
	s_delay_alu instid0(VALU_DEP_1) | instskip(SKIP_1) | instid1(VALU_DEP_1)
	v_fma_f64 v[30:31], v[20:21], v[32:33], v[30:31]
	s_waitcnt lgkmcnt(0)
	v_fma_f64 v[30:31], v[22:23], v[34:35], v[30:31]
	s_delay_alu instid0(VALU_DEP_1) | instskip(SKIP_3) | instid1(VALU_DEP_1)
	v_fma_f64 v[34:35], v[24:25], v[36:37], v[30:31]
	ds_load_b128 v[30:33], v44 offset:208
	s_waitcnt lgkmcnt(0)
	v_fma_f64 v[30:31], v[26:27], v[30:31], v[34:35]
	v_fma_f64 v[30:31], v[28:29], v[32:33], v[30:31]
	s_delay_alu instid0(VALU_DEP_1)
	v_add_f64 v[16:17], v[16:17], -v[30:31]
	v_cmpx_lt_u32_e32 6, v0
	s_cbranch_execz .LBB77_94
; %bb.93:
	v_dual_mov_b32 v42, 0 :: v_dual_mov_b32 v31, v3
	v_dual_mov_b32 v30, v2 :: v_dual_mov_b32 v33, v5
	;; [unrolled: 1-line block ×14, first 2 shown]
	ds_store_b64 v1, v[14:15]
	v_mov_b32_e32 v2, v30
	v_dual_mov_b32 v3, v31 :: v_dual_mov_b32 v4, v32
	v_dual_mov_b32 v5, v33 :: v_dual_mov_b32 v6, v34
	;; [unrolled: 1-line block ×14, first 2 shown]
	v_mov_b32_e32 v31, v59
	v_mov_b32_e32 v32, v60
	v_mov_b32_e32 v33, v61
.LBB77_94:
	s_or_b32 exec_lo, exec_lo, s0
	v_mov_b32_e32 v40, 0
	s_waitcnt lgkmcnt(0)
	s_barrier
	buffer_gl0_inv
	s_mov_b32 s0, exec_lo
	ds_load_2addr_b64 v[30:33], v40 offset0:21 offset1:22
	ds_load_2addr_b64 v[34:37], v40 offset0:23 offset1:24
	s_waitcnt lgkmcnt(1)
	v_fma_f64 v[30:31], v[16:17], v[30:31], 0
	s_delay_alu instid0(VALU_DEP_1) | instskip(SKIP_1) | instid1(VALU_DEP_1)
	v_fma_f64 v[30:31], v[18:19], v[32:33], v[30:31]
	s_waitcnt lgkmcnt(0)
	v_fma_f64 v[30:31], v[20:21], v[34:35], v[30:31]
	s_delay_alu instid0(VALU_DEP_1) | instskip(SKIP_4) | instid1(VALU_DEP_1)
	v_fma_f64 v[34:35], v[22:23], v[36:37], v[30:31]
	ds_load_2addr_b64 v[30:33], v40 offset0:25 offset1:26
	ds_load_b64 v[36:37], v40 offset:216
	s_waitcnt lgkmcnt(1)
	v_fma_f64 v[30:31], v[24:25], v[30:31], v[34:35]
	v_fma_f64 v[30:31], v[26:27], v[32:33], v[30:31]
	s_waitcnt lgkmcnt(0)
	s_delay_alu instid0(VALU_DEP_1) | instskip(NEXT) | instid1(VALU_DEP_1)
	v_fma_f64 v[30:31], v[28:29], v[36:37], v[30:31]
	v_add_f64 v[14:15], v[14:15], -v[30:31]
	v_cmpx_lt_u32_e32 5, v0
	s_cbranch_execz .LBB77_96
; %bb.95:
	v_dual_mov_b32 v30, v2 :: v_dual_mov_b32 v31, v3
	v_dual_mov_b32 v34, v6 :: v_dual_mov_b32 v35, v7
	;; [unrolled: 1-line block ×13, first 2 shown]
	v_mov_b32_e32 v33, v5
	ds_store_b64 v1, v[12:13]
	v_mov_b32_e32 v2, v30
	v_dual_mov_b32 v3, v31 :: v_dual_mov_b32 v4, v32
	v_dual_mov_b32 v5, v33 :: v_dual_mov_b32 v6, v34
	;; [unrolled: 1-line block ×14, first 2 shown]
	v_mov_b32_e32 v31, v59
	v_mov_b32_e32 v32, v60
	v_mov_b32_e32 v33, v61
.LBB77_96:
	s_or_b32 exec_lo, exec_lo, s0
	s_waitcnt lgkmcnt(0)
	s_barrier
	buffer_gl0_inv
	ds_load_b128 v[30:33], v40 offset:160
	ds_load_b128 v[34:37], v40 offset:176
	s_mov_b32 s0, exec_lo
	s_waitcnt lgkmcnt(1)
	v_fma_f64 v[30:31], v[14:15], v[30:31], 0
	s_delay_alu instid0(VALU_DEP_1) | instskip(SKIP_1) | instid1(VALU_DEP_1)
	v_fma_f64 v[30:31], v[16:17], v[32:33], v[30:31]
	s_waitcnt lgkmcnt(0)
	v_fma_f64 v[30:31], v[18:19], v[34:35], v[30:31]
	s_delay_alu instid0(VALU_DEP_1) | instskip(SKIP_4) | instid1(VALU_DEP_1)
	v_fma_f64 v[38:39], v[20:21], v[36:37], v[30:31]
	ds_load_b128 v[30:33], v40 offset:192
	ds_load_b128 v[34:37], v40 offset:208
	s_waitcnt lgkmcnt(1)
	v_fma_f64 v[30:31], v[22:23], v[30:31], v[38:39]
	v_fma_f64 v[30:31], v[24:25], v[32:33], v[30:31]
	s_waitcnt lgkmcnt(0)
	s_delay_alu instid0(VALU_DEP_1) | instskip(NEXT) | instid1(VALU_DEP_1)
	v_fma_f64 v[30:31], v[26:27], v[34:35], v[30:31]
	v_fma_f64 v[30:31], v[28:29], v[36:37], v[30:31]
	s_delay_alu instid0(VALU_DEP_1)
	v_add_f64 v[12:13], v[12:13], -v[30:31]
	v_cmpx_lt_u32_e32 4, v0
	s_cbranch_execz .LBB77_98
; %bb.97:
	v_dual_mov_b32 v38, 0 :: v_dual_mov_b32 v31, v3
	v_dual_mov_b32 v30, v2 :: v_dual_mov_b32 v33, v5
	s_delay_alu instid0(VALU_DEP_4)
	v_dual_mov_b32 v41, v13 :: v_dual_mov_b32 v40, v12
	v_dual_mov_b32 v32, v4 :: v_dual_mov_b32 v35, v7
	;; [unrolled: 1-line block ×13, first 2 shown]
	v_mov_b32_e32 v2, v30
	v_dual_mov_b32 v3, v31 :: v_dual_mov_b32 v4, v32
	v_dual_mov_b32 v5, v33 :: v_dual_mov_b32 v6, v34
	v_dual_mov_b32 v7, v35 :: v_dual_mov_b32 v8, v36
	v_dual_mov_b32 v9, v37 :: v_dual_mov_b32 v10, v38
	v_dual_mov_b32 v11, v39 :: v_dual_mov_b32 v12, v40
	v_dual_mov_b32 v13, v41 :: v_dual_mov_b32 v14, v42
	v_dual_mov_b32 v15, v43 :: v_dual_mov_b32 v16, v44
	v_dual_mov_b32 v17, v45 :: v_dual_mov_b32 v18, v46
	v_dual_mov_b32 v19, v47 :: v_dual_mov_b32 v20, v48
	v_dual_mov_b32 v21, v49 :: v_dual_mov_b32 v22, v50
	v_dual_mov_b32 v23, v51 :: v_dual_mov_b32 v24, v52
	v_dual_mov_b32 v25, v53 :: v_dual_mov_b32 v26, v54
	v_dual_mov_b32 v27, v55 :: v_dual_mov_b32 v28, v56
	v_dual_mov_b32 v29, v57 :: v_dual_mov_b32 v30, v58
	v_mov_b32_e32 v31, v59
	v_mov_b32_e32 v32, v60
	;; [unrolled: 1-line block ×3, first 2 shown]
	ds_store_b64 v1, v[58:59]
.LBB77_98:
	s_or_b32 exec_lo, exec_lo, s0
	v_mov_b32_e32 v36, 0
	s_waitcnt lgkmcnt(0)
	s_barrier
	buffer_gl0_inv
	s_mov_b32 s0, exec_lo
	ds_load_2addr_b64 v[30:33], v36 offset0:19 offset1:20
	ds_load_2addr_b64 v[37:40], v36 offset0:21 offset1:22
	s_waitcnt lgkmcnt(1)
	v_fma_f64 v[30:31], v[12:13], v[30:31], 0
	s_delay_alu instid0(VALU_DEP_1) | instskip(SKIP_1) | instid1(VALU_DEP_1)
	v_fma_f64 v[30:31], v[14:15], v[32:33], v[30:31]
	s_waitcnt lgkmcnt(0)
	v_fma_f64 v[30:31], v[16:17], v[37:38], v[30:31]
	s_delay_alu instid0(VALU_DEP_1) | instskip(SKIP_4) | instid1(VALU_DEP_1)
	v_fma_f64 v[34:35], v[18:19], v[39:40], v[30:31]
	ds_load_2addr_b64 v[30:33], v36 offset0:23 offset1:24
	ds_load_2addr_b64 v[37:40], v36 offset0:25 offset1:26
	s_waitcnt lgkmcnt(1)
	v_fma_f64 v[30:31], v[20:21], v[30:31], v[34:35]
	v_fma_f64 v[30:31], v[22:23], v[32:33], v[30:31]
	ds_load_b64 v[32:33], v36 offset:216
	s_waitcnt lgkmcnt(1)
	v_fma_f64 v[30:31], v[24:25], v[37:38], v[30:31]
	s_delay_alu instid0(VALU_DEP_1) | instskip(SKIP_1) | instid1(VALU_DEP_1)
	v_fma_f64 v[30:31], v[26:27], v[39:40], v[30:31]
	s_waitcnt lgkmcnt(0)
	v_fma_f64 v[30:31], v[28:29], v[32:33], v[30:31]
	s_delay_alu instid0(VALU_DEP_1)
	v_add_f64 v[10:11], v[10:11], -v[30:31]
	v_cmpx_lt_u32_e32 3, v0
	s_cbranch_execz .LBB77_100
; %bb.99:
	v_dual_mov_b32 v30, v2 :: v_dual_mov_b32 v31, v3
	s_delay_alu instid0(VALU_DEP_3)
	v_dual_mov_b32 v39, v11 :: v_dual_mov_b32 v38, v10
	v_dual_mov_b32 v34, v6 :: v_dual_mov_b32 v35, v7
	;; [unrolled: 1-line block ×13, first 2 shown]
	v_mov_b32_e32 v59, v9
	v_mov_b32_e32 v2, v30
	s_delay_alu instid0(VALU_DEP_3) | instskip(NEXT) | instid1(VALU_DEP_4)
	v_dual_mov_b32 v3, v31 :: v_dual_mov_b32 v4, v32
	v_dual_mov_b32 v5, v33 :: v_dual_mov_b32 v6, v34
	;; [unrolled: 1-line block ×14, first 2 shown]
	v_mov_b32_e32 v31, v59
	v_mov_b32_e32 v32, v60
	;; [unrolled: 1-line block ×3, first 2 shown]
	ds_store_b64 v1, v[58:59]
.LBB77_100:
	s_or_b32 exec_lo, exec_lo, s0
	s_waitcnt lgkmcnt(0)
	s_barrier
	buffer_gl0_inv
	ds_load_b128 v[30:33], v36 offset:144
	ds_load_b128 v[37:40], v36 offset:160
	s_mov_b32 s0, exec_lo
	s_waitcnt lgkmcnt(1)
	v_fma_f64 v[30:31], v[10:11], v[30:31], 0
	s_delay_alu instid0(VALU_DEP_1) | instskip(SKIP_1) | instid1(VALU_DEP_1)
	v_fma_f64 v[30:31], v[12:13], v[32:33], v[30:31]
	s_waitcnt lgkmcnt(0)
	v_fma_f64 v[30:31], v[14:15], v[37:38], v[30:31]
	s_delay_alu instid0(VALU_DEP_1) | instskip(SKIP_4) | instid1(VALU_DEP_1)
	v_fma_f64 v[34:35], v[16:17], v[39:40], v[30:31]
	ds_load_b128 v[30:33], v36 offset:176
	ds_load_b128 v[37:40], v36 offset:192
	s_waitcnt lgkmcnt(1)
	v_fma_f64 v[30:31], v[18:19], v[30:31], v[34:35]
	v_fma_f64 v[30:31], v[20:21], v[32:33], v[30:31]
	s_waitcnt lgkmcnt(0)
	s_delay_alu instid0(VALU_DEP_1) | instskip(NEXT) | instid1(VALU_DEP_1)
	v_fma_f64 v[30:31], v[22:23], v[37:38], v[30:31]
	v_fma_f64 v[34:35], v[24:25], v[39:40], v[30:31]
	ds_load_b128 v[30:33], v36 offset:208
	s_waitcnt lgkmcnt(0)
	v_fma_f64 v[30:31], v[26:27], v[30:31], v[34:35]
	s_delay_alu instid0(VALU_DEP_1) | instskip(NEXT) | instid1(VALU_DEP_1)
	v_fma_f64 v[30:31], v[28:29], v[32:33], v[30:31]
	v_add_f64 v[8:9], v[8:9], -v[30:31]
	v_cmpx_lt_u32_e32 2, v0
	s_cbranch_execz .LBB77_102
; %bb.101:
	v_dual_mov_b32 v34, 0 :: v_dual_mov_b32 v31, v3
	v_dual_mov_b32 v30, v2 :: v_dual_mov_b32 v33, v5
	s_delay_alu instid0(VALU_DEP_4) | instskip(NEXT) | instid1(VALU_DEP_3)
	v_dual_mov_b32 v37, v9 :: v_dual_mov_b32 v36, v8
	v_dual_mov_b32 v32, v4 :: v_dual_mov_b32 v35, v34
	;; [unrolled: 1-line block ×13, first 2 shown]
	v_mov_b32_e32 v2, v30
	v_dual_mov_b32 v3, v31 :: v_dual_mov_b32 v4, v32
	v_dual_mov_b32 v5, v33 :: v_dual_mov_b32 v6, v34
	;; [unrolled: 1-line block ×14, first 2 shown]
	v_mov_b32_e32 v31, v59
	v_mov_b32_e32 v32, v60
	;; [unrolled: 1-line block ×3, first 2 shown]
	ds_store_b64 v1, v[58:59]
.LBB77_102:
	s_or_b32 exec_lo, exec_lo, s0
	v_mov_b32_e32 v34, 0
	s_waitcnt lgkmcnt(0)
	s_barrier
	buffer_gl0_inv
	s_mov_b32 s0, exec_lo
	ds_load_2addr_b64 v[30:33], v34 offset0:17 offset1:18
	ds_load_2addr_b64 v[35:38], v34 offset0:19 offset1:20
	s_waitcnt lgkmcnt(1)
	v_fma_f64 v[30:31], v[8:9], v[30:31], 0
	s_delay_alu instid0(VALU_DEP_1) | instskip(SKIP_1) | instid1(VALU_DEP_1)
	v_fma_f64 v[30:31], v[10:11], v[32:33], v[30:31]
	s_waitcnt lgkmcnt(0)
	v_fma_f64 v[30:31], v[12:13], v[35:36], v[30:31]
	s_delay_alu instid0(VALU_DEP_1) | instskip(SKIP_4) | instid1(VALU_DEP_1)
	v_fma_f64 v[39:40], v[14:15], v[37:38], v[30:31]
	ds_load_2addr_b64 v[30:33], v34 offset0:21 offset1:22
	ds_load_2addr_b64 v[35:38], v34 offset0:23 offset1:24
	s_waitcnt lgkmcnt(1)
	v_fma_f64 v[30:31], v[16:17], v[30:31], v[39:40]
	v_fma_f64 v[30:31], v[18:19], v[32:33], v[30:31]
	s_waitcnt lgkmcnt(0)
	s_delay_alu instid0(VALU_DEP_1) | instskip(NEXT) | instid1(VALU_DEP_1)
	v_fma_f64 v[30:31], v[20:21], v[35:36], v[30:31]
	v_fma_f64 v[35:36], v[22:23], v[37:38], v[30:31]
	ds_load_2addr_b64 v[30:33], v34 offset0:25 offset1:26
	ds_load_b64 v[37:38], v34 offset:216
	s_waitcnt lgkmcnt(1)
	v_fma_f64 v[30:31], v[24:25], v[30:31], v[35:36]
	s_delay_alu instid0(VALU_DEP_1) | instskip(SKIP_1) | instid1(VALU_DEP_1)
	v_fma_f64 v[30:31], v[26:27], v[32:33], v[30:31]
	s_waitcnt lgkmcnt(0)
	v_fma_f64 v[30:31], v[28:29], v[37:38], v[30:31]
	s_delay_alu instid0(VALU_DEP_1)
	v_add_f64 v[6:7], v[6:7], -v[30:31]
	v_cmpx_lt_u32_e32 1, v0
	s_cbranch_execz .LBB77_104
; %bb.103:
	v_dual_mov_b32 v32, v2 :: v_dual_mov_b32 v33, v3
	s_delay_alu instid0(VALU_DEP_3)
	v_dual_mov_b32 v37, v7 :: v_dual_mov_b32 v36, v6
	v_dual_mov_b32 v35, v34 :: v_dual_mov_b32 v38, v8
	;; [unrolled: 1-line block ×29, first 2 shown]
	v_mov_b32_e32 v33, v63
	ds_store_b64 v1, v[88:89]
.LBB77_104:
	s_or_b32 exec_lo, exec_lo, s0
	s_waitcnt lgkmcnt(0)
	s_barrier
	buffer_gl0_inv
	ds_load_b128 v[30:33], v34 offset:128
	ds_load_b128 v[35:38], v34 offset:144
	s_mov_b32 s0, exec_lo
	s_waitcnt lgkmcnt(1)
	v_fma_f64 v[30:31], v[6:7], v[30:31], 0
	s_delay_alu instid0(VALU_DEP_1) | instskip(SKIP_1) | instid1(VALU_DEP_1)
	v_fma_f64 v[30:31], v[8:9], v[32:33], v[30:31]
	s_waitcnt lgkmcnt(0)
	v_fma_f64 v[30:31], v[10:11], v[35:36], v[30:31]
	s_delay_alu instid0(VALU_DEP_1) | instskip(SKIP_4) | instid1(VALU_DEP_1)
	v_fma_f64 v[39:40], v[12:13], v[37:38], v[30:31]
	ds_load_b128 v[30:33], v34 offset:160
	ds_load_b128 v[35:38], v34 offset:176
	s_waitcnt lgkmcnt(1)
	v_fma_f64 v[30:31], v[14:15], v[30:31], v[39:40]
	v_fma_f64 v[30:31], v[16:17], v[32:33], v[30:31]
	s_waitcnt lgkmcnt(0)
	s_delay_alu instid0(VALU_DEP_1) | instskip(NEXT) | instid1(VALU_DEP_1)
	v_fma_f64 v[30:31], v[18:19], v[35:36], v[30:31]
	v_fma_f64 v[38:39], v[20:21], v[37:38], v[30:31]
	ds_load_b128 v[30:33], v34 offset:192
	ds_load_b128 v[34:37], v34 offset:208
	s_waitcnt lgkmcnt(1)
	v_fma_f64 v[30:31], v[22:23], v[30:31], v[38:39]
	s_delay_alu instid0(VALU_DEP_1) | instskip(SKIP_1) | instid1(VALU_DEP_1)
	v_fma_f64 v[30:31], v[24:25], v[32:33], v[30:31]
	s_waitcnt lgkmcnt(0)
	v_fma_f64 v[30:31], v[26:27], v[34:35], v[30:31]
	s_delay_alu instid0(VALU_DEP_1) | instskip(NEXT) | instid1(VALU_DEP_1)
	v_fma_f64 v[30:31], v[28:29], v[36:37], v[30:31]
	v_add_f64 v[4:5], v[4:5], -v[30:31]
	v_cmpx_ne_u32_e32 0, v0
	s_cbranch_execz .LBB77_106
; %bb.105:
	s_delay_alu instid0(VALU_DEP_2) | instskip(NEXT) | instid1(VALU_DEP_3)
	v_dual_mov_b32 v30, 0 :: v_dual_mov_b32 v33, v5
	v_dual_mov_b32 v32, v4 :: v_dual_mov_b32 v35, v7
	;; [unrolled: 1-line block ×3, first 2 shown]
	s_delay_alu instid0(VALU_DEP_3)
	v_dual_mov_b32 v31, v30 :: v_dual_mov_b32 v36, v8
	v_dual_mov_b32 v38, v10 :: v_dual_mov_b32 v39, v11
	;; [unrolled: 1-line block ×12, first 2 shown]
	v_mov_b32_e32 v2, v30
	v_dual_mov_b32 v3, v31 :: v_dual_mov_b32 v4, v32
	v_dual_mov_b32 v5, v33 :: v_dual_mov_b32 v6, v34
	v_dual_mov_b32 v7, v35 :: v_dual_mov_b32 v8, v36
	v_dual_mov_b32 v9, v37 :: v_dual_mov_b32 v10, v38
	v_dual_mov_b32 v11, v39 :: v_dual_mov_b32 v12, v40
	v_dual_mov_b32 v13, v41 :: v_dual_mov_b32 v14, v42
	v_dual_mov_b32 v15, v43 :: v_dual_mov_b32 v16, v44
	v_dual_mov_b32 v17, v45 :: v_dual_mov_b32 v18, v46
	v_dual_mov_b32 v19, v47 :: v_dual_mov_b32 v20, v48
	v_dual_mov_b32 v21, v49 :: v_dual_mov_b32 v22, v50
	v_dual_mov_b32 v23, v51 :: v_dual_mov_b32 v24, v52
	v_dual_mov_b32 v25, v53 :: v_dual_mov_b32 v26, v54
	v_dual_mov_b32 v27, v55 :: v_dual_mov_b32 v28, v56
	v_dual_mov_b32 v29, v57 :: v_dual_mov_b32 v30, v58
	v_mov_b32_e32 v31, v59
	v_mov_b32_e32 v32, v60
	v_mov_b32_e32 v33, v61
	ds_store_b64 v1, v[58:59]
.LBB77_106:
	s_or_b32 exec_lo, exec_lo, s0
	v_mov_b32_e32 v38, 0
	s_waitcnt lgkmcnt(0)
	s_barrier
	buffer_gl0_inv
	s_and_b32 vcc_lo, exec_lo, s20
	ds_load_2addr_b64 v[30:33], v38 offset0:15 offset1:16
	ds_load_2addr_b64 v[34:37], v38 offset0:17 offset1:18
	s_waitcnt lgkmcnt(1)
	v_fma_f64 v[0:1], v[4:5], v[30:31], 0
	s_delay_alu instid0(VALU_DEP_1) | instskip(SKIP_1) | instid1(VALU_DEP_1)
	v_fma_f64 v[0:1], v[6:7], v[32:33], v[0:1]
	s_waitcnt lgkmcnt(0)
	v_fma_f64 v[0:1], v[8:9], v[34:35], v[0:1]
	s_delay_alu instid0(VALU_DEP_1) | instskip(SKIP_4) | instid1(VALU_DEP_1)
	v_fma_f64 v[0:1], v[10:11], v[36:37], v[0:1]
	ds_load_2addr_b64 v[30:33], v38 offset0:19 offset1:20
	ds_load_2addr_b64 v[34:37], v38 offset0:21 offset1:22
	s_waitcnt lgkmcnt(1)
	v_fma_f64 v[0:1], v[12:13], v[30:31], v[0:1]
	v_fma_f64 v[0:1], v[14:15], v[32:33], v[0:1]
	s_waitcnt lgkmcnt(0)
	s_delay_alu instid0(VALU_DEP_1) | instskip(NEXT) | instid1(VALU_DEP_1)
	v_fma_f64 v[0:1], v[16:17], v[34:35], v[0:1]
	v_fma_f64 v[0:1], v[18:19], v[36:37], v[0:1]
	ds_load_2addr_b64 v[30:33], v38 offset0:23 offset1:24
	ds_load_2addr_b64 v[34:37], v38 offset0:25 offset1:26
	s_waitcnt lgkmcnt(1)
	v_fma_f64 v[0:1], v[20:21], v[30:31], v[0:1]
	ds_load_b64 v[30:31], v38 offset:216
	v_fma_f64 v[0:1], v[22:23], v[32:33], v[0:1]
	s_waitcnt lgkmcnt(1)
	s_delay_alu instid0(VALU_DEP_1) | instskip(NEXT) | instid1(VALU_DEP_1)
	v_fma_f64 v[0:1], v[24:25], v[34:35], v[0:1]
	v_fma_f64 v[0:1], v[26:27], v[36:37], v[0:1]
	s_waitcnt lgkmcnt(0)
	s_delay_alu instid0(VALU_DEP_1) | instskip(NEXT) | instid1(VALU_DEP_1)
	v_fma_f64 v[0:1], v[28:29], v[30:31], v[0:1]
	v_add_f64 v[2:3], v[2:3], -v[0:1]
	s_cbranch_vccz .LBB77_134
; %bb.107:
	v_dual_mov_b32 v0, s16 :: v_dual_mov_b32 v1, s17
	s_mov_b32 s7, exec_lo
	flat_load_b32 v0, v[0:1] offset:48
	s_waitcnt vmcnt(0) lgkmcnt(0)
	v_add_nc_u32_e32 v0, -1, v0
	s_delay_alu instid0(VALU_DEP_1)
	v_cmpx_ne_u32_e32 12, v0
	s_cbranch_execz .LBB77_109
; %bb.108:
	v_cmp_eq_u32_e32 vcc_lo, 1, v0
	v_cmp_eq_u32_e64 s0, 2, v0
	v_cmp_eq_u32_e64 s1, 3, v0
	;; [unrolled: 1-line block ×4, first 2 shown]
	v_dual_cndmask_b32 v1, v2, v4 :: v_dual_cndmask_b32 v30, v3, v5
	v_cmp_eq_u32_e64 s4, 6, v0
	v_cmp_eq_u32_e64 s5, 0, v0
	;; [unrolled: 1-line block ×3, first 2 shown]
	s_delay_alu instid0(VALU_DEP_4)
	v_cndmask_b32_e64 v1, v1, v6, s0
	v_cndmask_b32_e64 v30, v30, v7, s0
	;; [unrolled: 1-line block ×4, first 2 shown]
	v_cmp_eq_u32_e64 s0, 8, v0
	v_cndmask_b32_e64 v1, v1, v8, s1
	v_cndmask_b32_e64 v30, v30, v9, s1
	v_cndmask_b32_e32 v32, v5, v27, vcc_lo
	v_cndmask_b32_e64 v36, v9, v27, s1
	v_cndmask_b32_e64 v35, v8, v26, s1
	;; [unrolled: 1-line block ×6, first 2 shown]
	v_cmp_eq_u32_e64 s1, 10, v0
	v_cndmask_b32_e64 v1, v1, v12, s3
	v_cndmask_b32_e64 v31, v30, v13, s3
	;; [unrolled: 1-line block ×3, first 2 shown]
	v_cmp_eq_u32_e64 s2, 11, v0
	v_cndmask_b32_e64 v40, v13, v27, s3
	v_cndmask_b32_e64 v1, v1, v14, s4
	;; [unrolled: 1-line block ×3, first 2 shown]
	v_cndmask_b32_e32 v31, v4, v26, vcc_lo
	v_cmp_eq_u32_e32 vcc_lo, 9, v0
	v_cndmask_b32_e64 v39, v12, v26, s3
	v_cndmask_b32_e64 v1, v1, v16, s6
	;; [unrolled: 1-line block ×11, first 2 shown]
	s_delay_alu instid0(VALU_DEP_4)
	v_dual_cndmask_b32 v48, v21, v27 :: v_dual_cndmask_b32 v3, v3, v21
	v_cndmask_b32_e32 v47, v20, v26, vcc_lo
	v_cndmask_b32_e64 v50, v23, v27, s1
	v_cndmask_b32_e64 v49, v22, v26, s1
	;; [unrolled: 1-line block ×4, first 2 shown]
	v_cndmask_b32_e32 v1, v1, v20, vcc_lo
	v_cndmask_b32_e64 v3, v3, v23, s1
	v_cmp_eq_u32_e64 s3, 12, v0
	v_cmp_eq_u32_e32 vcc_lo, 13, v0
	s_delay_alu instid0(VALU_DEP_4) | instskip(NEXT) | instid1(VALU_DEP_4)
	v_cndmask_b32_e64 v1, v1, v22, s1
	v_cndmask_b32_e64 v3, v3, v25, s2
	v_dual_cndmask_b32 v55, v28, v26 :: v_dual_cndmask_b32 v56, v29, v27
	s_delay_alu instid0(VALU_DEP_3) | instskip(NEXT) | instid1(VALU_DEP_3)
	v_cndmask_b32_e64 v1, v1, v24, s2
	v_cndmask_b32_e64 v3, v3, v27, s3
	s_delay_alu instid0(VALU_DEP_2) | instskip(NEXT) | instid1(VALU_DEP_1)
	v_cndmask_b32_e64 v1, v1, v26, s3
	v_dual_cndmask_b32 v0, v1, v28 :: v_dual_cndmask_b32 v1, v3, v29
	v_cndmask_b32_e64 v29, v2, v26, s5
	s_delay_alu instid0(VALU_DEP_2) | instskip(NEXT) | instid1(VALU_DEP_3)
	v_cndmask_b32_e64 v53, v0, v26, s3
	v_cndmask_b32_e64 v54, v1, v27, s3
	s_delay_alu instid0(VALU_DEP_3)
	v_mov_b32_e32 v2, v29
	v_dual_mov_b32 v3, v30 :: v_dual_mov_b32 v6, v33
	v_dual_mov_b32 v4, v31 :: v_dual_mov_b32 v5, v32
	;; [unrolled: 1-line block ×13, first 2 shown]
	v_mov_b32_e32 v29, v56
	v_mov_b32_e32 v30, v57
	;; [unrolled: 1-line block ×5, first 2 shown]
.LBB77_109:
	s_or_b32 exec_lo, exec_lo, s7
	v_dual_mov_b32 v0, s16 :: v_dual_mov_b32 v1, s17
	s_mov_b32 s7, exec_lo
	flat_load_b32 v0, v[0:1] offset:44
	s_waitcnt vmcnt(0) lgkmcnt(0)
	v_add_nc_u32_e32 v0, -1, v0
	s_delay_alu instid0(VALU_DEP_1)
	v_cmpx_ne_u32_e32 11, v0
	s_cbranch_execz .LBB77_111
; %bb.110:
	v_cmp_eq_u32_e32 vcc_lo, 1, v0
	v_cmp_eq_u32_e64 s0, 2, v0
	v_cmp_eq_u32_e64 s1, 3, v0
	;; [unrolled: 1-line block ×4, first 2 shown]
	v_dual_cndmask_b32 v1, v2, v4 :: v_dual_cndmask_b32 v30, v3, v5
	v_cmp_eq_u32_e64 s4, 6, v0
	v_cmp_eq_u32_e64 s6, 7, v0
	;; [unrolled: 1-line block ×3, first 2 shown]
	s_delay_alu instid0(VALU_DEP_4)
	v_cndmask_b32_e64 v1, v1, v6, s0
	v_cndmask_b32_e64 v30, v30, v7, s0
	;; [unrolled: 1-line block ×4, first 2 shown]
	v_cmp_eq_u32_e64 s0, 8, v0
	v_cndmask_b32_e64 v1, v1, v8, s1
	v_cndmask_b32_e64 v30, v30, v9, s1
	v_cndmask_b32_e32 v32, v5, v25, vcc_lo
	v_cndmask_b32_e64 v36, v9, v25, s1
	v_cndmask_b32_e64 v35, v8, v24, s1
	;; [unrolled: 1-line block ×5, first 2 shown]
	v_cmp_eq_u32_e64 s1, 10, v0
	v_cndmask_b32_e64 v39, v12, v24, s3
	v_cndmask_b32_e64 v1, v1, v12, s3
	;; [unrolled: 1-line block ×4, first 2 shown]
	v_cmp_eq_u32_e64 s3, 12, v0
	v_cndmask_b32_e64 v38, v11, v25, s2
	v_cndmask_b32_e64 v1, v1, v14, s4
	;; [unrolled: 1-line block ×3, first 2 shown]
	v_cndmask_b32_e32 v31, v4, v24, vcc_lo
	v_cmp_eq_u32_e32 vcc_lo, 9, v0
	v_cndmask_b32_e64 v37, v10, v24, s2
	v_cndmask_b32_e64 v1, v1, v16, s6
	;; [unrolled: 1-line block ×9, first 2 shown]
	v_dual_cndmask_b32 v48, v21, v25 :: v_dual_cndmask_b32 v47, v20, v24
	v_cndmask_b32_e64 v50, v23, v25, s1
	v_cndmask_b32_e64 v49, v22, v24, s1
	;; [unrolled: 1-line block ×4, first 2 shown]
	v_cndmask_b32_e32 v1, v1, v20, vcc_lo
	v_cndmask_b32_e64 v3, v3, v17, s6
	v_cmp_eq_u32_e64 s2, 11, v0
	s_delay_alu instid0(VALU_DEP_3) | instskip(NEXT) | instid1(VALU_DEP_3)
	v_cndmask_b32_e64 v1, v1, v22, s1
	v_cndmask_b32_e64 v3, v3, v19, s0
	s_delay_alu instid0(VALU_DEP_2) | instskip(NEXT) | instid1(VALU_DEP_1)
	v_cndmask_b32_e64 v1, v1, v24, s2
	v_cndmask_b32_e64 v1, v1, v26, s3
	s_delay_alu instid0(VALU_DEP_3) | instskip(SKIP_1) | instid1(VALU_DEP_3)
	v_cndmask_b32_e32 v3, v3, v21, vcc_lo
	v_cmp_eq_u32_e32 vcc_lo, 13, v0
	v_cndmask_b32_e32 v0, v1, v28, vcc_lo
	s_delay_alu instid0(VALU_DEP_3) | instskip(SKIP_1) | instid1(VALU_DEP_3)
	v_cndmask_b32_e64 v3, v3, v23, s1
	v_dual_cndmask_b32 v56, v29, v25 :: v_dual_cndmask_b32 v55, v28, v24
	v_cndmask_b32_e64 v51, v0, v24, s2
	s_delay_alu instid0(VALU_DEP_3) | instskip(NEXT) | instid1(VALU_DEP_1)
	v_cndmask_b32_e64 v3, v3, v25, s2
	v_cndmask_b32_e64 v3, v3, v27, s3
	s_delay_alu instid0(VALU_DEP_1) | instskip(SKIP_1) | instid1(VALU_DEP_2)
	v_cndmask_b32_e32 v1, v3, v29, vcc_lo
	v_cndmask_b32_e64 v29, v2, v24, s5
	v_cndmask_b32_e64 v52, v1, v25, s2
	s_delay_alu instid0(VALU_DEP_2)
	v_mov_b32_e32 v2, v29
	v_dual_mov_b32 v3, v30 :: v_dual_mov_b32 v6, v33
	v_dual_mov_b32 v4, v31 :: v_dual_mov_b32 v5, v32
	;; [unrolled: 1-line block ×13, first 2 shown]
	v_mov_b32_e32 v29, v56
	v_mov_b32_e32 v30, v57
	;; [unrolled: 1-line block ×5, first 2 shown]
.LBB77_111:
	s_or_b32 exec_lo, exec_lo, s7
	v_dual_mov_b32 v0, s16 :: v_dual_mov_b32 v1, s17
	s_mov_b32 s7, exec_lo
	flat_load_b32 v0, v[0:1] offset:40
	s_waitcnt vmcnt(0) lgkmcnt(0)
	v_add_nc_u32_e32 v0, -1, v0
	s_delay_alu instid0(VALU_DEP_1)
	v_cmpx_ne_u32_e32 10, v0
	s_cbranch_execz .LBB77_113
; %bb.112:
	v_cmp_eq_u32_e32 vcc_lo, 1, v0
	v_cmp_eq_u32_e64 s0, 2, v0
	v_cmp_eq_u32_e64 s1, 3, v0
	v_cmp_eq_u32_e64 s2, 4, v0
	v_cmp_eq_u32_e64 s3, 5, v0
	v_dual_cndmask_b32 v1, v2, v4 :: v_dual_cndmask_b32 v30, v3, v5
	v_cmp_eq_u32_e64 s4, 6, v0
	v_cmp_eq_u32_e64 s5, 0, v0
	;; [unrolled: 1-line block ×3, first 2 shown]
	s_delay_alu instid0(VALU_DEP_4)
	v_cndmask_b32_e64 v1, v1, v6, s0
	v_cndmask_b32_e64 v30, v30, v7, s0
	;; [unrolled: 1-line block ×4, first 2 shown]
	v_cmp_eq_u32_e64 s0, 8, v0
	v_cndmask_b32_e64 v1, v1, v8, s1
	v_cndmask_b32_e64 v30, v30, v9, s1
	v_cndmask_b32_e32 v32, v5, v23, vcc_lo
	v_cndmask_b32_e64 v38, v11, v23, s2
	v_cndmask_b32_e64 v37, v10, v22, s2
	;; [unrolled: 1-line block ×6, first 2 shown]
	v_cmp_eq_u32_e64 s2, 11, v0
	v_cndmask_b32_e64 v1, v1, v12, s3
	v_cndmask_b32_e64 v31, v30, v13, s3
	;; [unrolled: 1-line block ×3, first 2 shown]
	v_cmp_eq_u32_e64 s3, 12, v0
	v_cndmask_b32_e64 v36, v9, v23, s1
	v_cndmask_b32_e64 v1, v1, v14, s4
	;; [unrolled: 1-line block ×3, first 2 shown]
	v_cndmask_b32_e32 v31, v4, v22, vcc_lo
	v_cmp_eq_u32_e32 vcc_lo, 9, v0
	v_cndmask_b32_e64 v35, v8, v22, s1
	v_cndmask_b32_e64 v1, v1, v16, s6
	;; [unrolled: 1-line block ×3, first 2 shown]
	v_cmp_eq_u32_e64 s1, 10, v0
	v_cndmask_b32_e64 v42, v15, v23, s4
	v_cndmask_b32_e64 v41, v14, v22, s4
	;; [unrolled: 1-line block ×8, first 2 shown]
	v_dual_cndmask_b32 v3, v3, v21 :: v_dual_cndmask_b32 v48, v21, v23
	v_cndmask_b32_e32 v47, v20, v22, vcc_lo
	v_cndmask_b32_e64 v52, v25, v23, s2
	v_cndmask_b32_e64 v51, v24, v22, s2
	;; [unrolled: 1-line block ×4, first 2 shown]
	v_cndmask_b32_e32 v1, v1, v20, vcc_lo
	v_cndmask_b32_e64 v3, v3, v23, s1
	v_cmp_eq_u32_e32 vcc_lo, 13, v0
	s_delay_alu instid0(VALU_DEP_3) | instskip(NEXT) | instid1(VALU_DEP_3)
	v_cndmask_b32_e64 v1, v1, v22, s1
	v_cndmask_b32_e64 v3, v3, v25, s2
	v_dual_cndmask_b32 v55, v28, v22 :: v_dual_cndmask_b32 v56, v29, v23
	s_delay_alu instid0(VALU_DEP_3) | instskip(NEXT) | instid1(VALU_DEP_3)
	v_cndmask_b32_e64 v1, v1, v24, s2
	v_cndmask_b32_e64 v3, v3, v27, s3
	s_delay_alu instid0(VALU_DEP_2) | instskip(NEXT) | instid1(VALU_DEP_1)
	v_cndmask_b32_e64 v1, v1, v26, s3
	v_dual_cndmask_b32 v0, v1, v28 :: v_dual_cndmask_b32 v1, v3, v29
	v_cndmask_b32_e64 v29, v2, v22, s5
	s_delay_alu instid0(VALU_DEP_2) | instskip(NEXT) | instid1(VALU_DEP_3)
	v_cndmask_b32_e64 v49, v0, v22, s1
	v_cndmask_b32_e64 v50, v1, v23, s1
	s_delay_alu instid0(VALU_DEP_3)
	v_mov_b32_e32 v2, v29
	v_dual_mov_b32 v3, v30 :: v_dual_mov_b32 v6, v33
	v_dual_mov_b32 v4, v31 :: v_dual_mov_b32 v5, v32
	;; [unrolled: 1-line block ×13, first 2 shown]
	v_mov_b32_e32 v29, v56
	v_mov_b32_e32 v30, v57
	;; [unrolled: 1-line block ×5, first 2 shown]
.LBB77_113:
	s_or_b32 exec_lo, exec_lo, s7
	v_dual_mov_b32 v0, s16 :: v_dual_mov_b32 v1, s17
	s_mov_b32 s7, exec_lo
	flat_load_b32 v0, v[0:1] offset:36
	s_waitcnt vmcnt(0) lgkmcnt(0)
	v_add_nc_u32_e32 v0, -1, v0
	s_delay_alu instid0(VALU_DEP_1)
	v_cmpx_ne_u32_e32 9, v0
	s_cbranch_execz .LBB77_115
; %bb.114:
	v_cmp_eq_u32_e32 vcc_lo, 1, v0
	v_cmp_eq_u32_e64 s0, 2, v0
	v_cmp_eq_u32_e64 s1, 3, v0
	;; [unrolled: 1-line block ×4, first 2 shown]
	v_dual_cndmask_b32 v1, v2, v4 :: v_dual_cndmask_b32 v30, v3, v5
	v_cmp_eq_u32_e64 s4, 6, v0
	v_cmp_eq_u32_e64 s5, 0, v0
	;; [unrolled: 1-line block ×3, first 2 shown]
	s_delay_alu instid0(VALU_DEP_4)
	v_cndmask_b32_e64 v1, v1, v6, s0
	v_cndmask_b32_e64 v30, v30, v7, s0
	;; [unrolled: 1-line block ×4, first 2 shown]
	v_cmp_eq_u32_e64 s0, 8, v0
	v_cndmask_b32_e64 v1, v1, v8, s1
	v_cndmask_b32_e64 v30, v30, v9, s1
	v_cndmask_b32_e32 v32, v5, v21, vcc_lo
	v_cndmask_b32_e64 v36, v9, v21, s1
	v_cndmask_b32_e64 v35, v8, v20, s1
	;; [unrolled: 1-line block ×10, first 2 shown]
	v_cmp_eq_u32_e64 s1, 10, v0
	v_cndmask_b32_e64 v39, v12, v20, s3
	v_cndmask_b32_e64 v1, v1, v14, s4
	;; [unrolled: 1-line block ×3, first 2 shown]
	v_cndmask_b32_e32 v31, v4, v20, vcc_lo
	v_cmp_eq_u32_e32 vcc_lo, 9, v0
	v_cmp_eq_u32_e64 s2, 11, v0
	v_cndmask_b32_e64 v1, v1, v16, s6
	v_cndmask_b32_e64 v3, v3, v17, s6
	v_cndmask_b32_e64 v46, v19, v21, s0
	v_cmp_eq_u32_e64 s3, 12, v0
	v_cndmask_b32_e64 v45, v18, v20, s0
	v_cndmask_b32_e64 v1, v1, v18, s0
	v_cndmask_b32_e64 v3, v3, v19, s0
	;; [unrolled: 4-line block ×3, first 2 shown]
	v_cndmask_b32_e64 v43, v16, v20, s6
	v_cndmask_b32_e64 v50, v23, v21, s1
	;; [unrolled: 1-line block ×9, first 2 shown]
	v_cndmask_b32_e32 v1, v1, v20, vcc_lo
	s_delay_alu instid0(VALU_DEP_1) | instskip(NEXT) | instid1(VALU_DEP_1)
	v_cndmask_b32_e64 v1, v1, v22, s1
	v_cndmask_b32_e64 v1, v1, v24, s2
	s_delay_alu instid0(VALU_DEP_1) | instskip(NEXT) | instid1(VALU_DEP_1)
	v_cndmask_b32_e64 v1, v1, v26, s3
	v_cndmask_b32_e64 v0, v1, v28, s0
	s_delay_alu instid0(VALU_DEP_1) | instskip(SKIP_1) | instid1(VALU_DEP_1)
	v_cndmask_b32_e32 v47, v0, v20, vcc_lo
	v_cndmask_b32_e32 v3, v3, v21, vcc_lo
	v_cndmask_b32_e64 v3, v3, v23, s1
	s_delay_alu instid0(VALU_DEP_1) | instskip(NEXT) | instid1(VALU_DEP_1)
	v_cndmask_b32_e64 v3, v3, v25, s2
	v_cndmask_b32_e64 v3, v3, v27, s3
	s_delay_alu instid0(VALU_DEP_1) | instskip(SKIP_1) | instid1(VALU_DEP_2)
	v_cndmask_b32_e64 v1, v3, v29, s0
	v_cndmask_b32_e64 v29, v2, v20, s5
	v_cndmask_b32_e32 v48, v1, v21, vcc_lo
	s_delay_alu instid0(VALU_DEP_2)
	v_mov_b32_e32 v2, v29
	v_dual_mov_b32 v6, v33 :: v_dual_mov_b32 v3, v30
	v_mov_b32_e32 v8, v35
	v_dual_mov_b32 v4, v31 :: v_dual_mov_b32 v5, v32
	v_dual_mov_b32 v10, v37 :: v_dual_mov_b32 v7, v34
	;; [unrolled: 1-line block ×11, first 2 shown]
	v_mov_b32_e32 v27, v54
	v_mov_b32_e32 v29, v56
	;; [unrolled: 1-line block ×6, first 2 shown]
.LBB77_115:
	s_or_b32 exec_lo, exec_lo, s7
	v_dual_mov_b32 v0, s16 :: v_dual_mov_b32 v1, s17
	s_mov_b32 s7, exec_lo
	flat_load_b32 v0, v[0:1] offset:32
	s_waitcnt vmcnt(0) lgkmcnt(0)
	v_add_nc_u32_e32 v0, -1, v0
	s_delay_alu instid0(VALU_DEP_1)
	v_cmpx_ne_u32_e32 8, v0
	s_cbranch_execz .LBB77_117
; %bb.116:
	v_cmp_eq_u32_e32 vcc_lo, 1, v0
	v_cmp_eq_u32_e64 s0, 2, v0
	v_cmp_eq_u32_e64 s1, 3, v0
	;; [unrolled: 1-line block ×4, first 2 shown]
	v_dual_cndmask_b32 v1, v2, v4 :: v_dual_cndmask_b32 v30, v3, v5
	v_cmp_eq_u32_e64 s4, 6, v0
	v_cmp_eq_u32_e64 s5, 0, v0
	;; [unrolled: 1-line block ×3, first 2 shown]
	s_delay_alu instid0(VALU_DEP_4)
	v_cndmask_b32_e64 v1, v1, v6, s0
	v_cndmask_b32_e64 v30, v30, v7, s0
	;; [unrolled: 1-line block ×4, first 2 shown]
	v_cmp_eq_u32_e64 s0, 8, v0
	v_cndmask_b32_e64 v1, v1, v8, s1
	v_cndmask_b32_e64 v30, v30, v9, s1
	v_cndmask_b32_e32 v32, v5, v19, vcc_lo
	v_cndmask_b32_e64 v36, v9, v19, s1
	v_cndmask_b32_e64 v35, v8, v18, s1
	v_cndmask_b32_e64 v1, v1, v10, s2
	v_cndmask_b32_e64 v30, v30, v11, s2
	v_cndmask_b32_e64 v38, v11, v19, s2
	v_cndmask_b32_e64 v37, v10, v18, s2
	v_cndmask_b32_e64 v40, v13, v19, s3
	v_cndmask_b32_e64 v1, v1, v12, s3
	v_cndmask_b32_e64 v31, v30, v13, s3
	v_cndmask_b32_e64 v30, v3, v19, s5
	v_cmp_eq_u32_e64 s1, 10, v0
	v_cndmask_b32_e64 v39, v12, v18, s3
	v_cndmask_b32_e64 v1, v1, v14, s4
	;; [unrolled: 1-line block ×3, first 2 shown]
	v_cndmask_b32_e32 v31, v4, v18, vcc_lo
	v_cmp_eq_u32_e32 vcc_lo, 9, v0
	v_cmp_eq_u32_e64 s2, 11, v0
	v_cndmask_b32_e64 v1, v1, v16, s6
	v_cndmask_b32_e64 v3, v3, v17, s6
	v_cmp_eq_u32_e64 s3, 12, v0
	v_cndmask_b32_e64 v42, v15, v19, s4
	v_cndmask_b32_e64 v41, v14, v18, s4
	;; [unrolled: 1-line block ×6, first 2 shown]
	v_dual_cndmask_b32 v47, v20, v18 :: v_dual_cndmask_b32 v48, v21, v19
	s_delay_alu instid0(VALU_DEP_4)
	v_cndmask_b32_e32 v3, v3, v21, vcc_lo
	v_cndmask_b32_e64 v50, v23, v19, s1
	v_cndmask_b32_e64 v49, v22, v18, s1
	;; [unrolled: 1-line block ×6, first 2 shown]
	v_cndmask_b32_e32 v1, v1, v20, vcc_lo
	v_cndmask_b32_e64 v3, v3, v23, s1
	v_cmp_eq_u32_e32 vcc_lo, 13, v0
	s_delay_alu instid0(VALU_DEP_3) | instskip(NEXT) | instid1(VALU_DEP_3)
	v_cndmask_b32_e64 v1, v1, v22, s1
	v_cndmask_b32_e64 v3, v3, v25, s2
	v_dual_cndmask_b32 v55, v28, v18 :: v_dual_cndmask_b32 v56, v29, v19
	s_delay_alu instid0(VALU_DEP_3) | instskip(NEXT) | instid1(VALU_DEP_3)
	v_cndmask_b32_e64 v1, v1, v24, s2
	v_cndmask_b32_e64 v3, v3, v27, s3
	s_delay_alu instid0(VALU_DEP_2) | instskip(NEXT) | instid1(VALU_DEP_1)
	v_cndmask_b32_e64 v1, v1, v26, s3
	v_dual_cndmask_b32 v0, v1, v28 :: v_dual_cndmask_b32 v1, v3, v29
	v_cndmask_b32_e64 v29, v2, v18, s5
	s_delay_alu instid0(VALU_DEP_2) | instskip(NEXT) | instid1(VALU_DEP_3)
	v_cndmask_b32_e64 v45, v0, v18, s0
	v_cndmask_b32_e64 v46, v1, v19, s0
	s_delay_alu instid0(VALU_DEP_3)
	v_mov_b32_e32 v2, v29
	v_dual_mov_b32 v3, v30 :: v_dual_mov_b32 v6, v33
	v_dual_mov_b32 v4, v31 :: v_dual_mov_b32 v5, v32
	;; [unrolled: 1-line block ×13, first 2 shown]
	v_mov_b32_e32 v29, v56
	v_mov_b32_e32 v30, v57
	;; [unrolled: 1-line block ×5, first 2 shown]
.LBB77_117:
	s_or_b32 exec_lo, exec_lo, s7
	v_dual_mov_b32 v0, s16 :: v_dual_mov_b32 v1, s17
	s_mov_b32 s7, exec_lo
	flat_load_b32 v0, v[0:1] offset:28
	s_waitcnt vmcnt(0) lgkmcnt(0)
	v_add_nc_u32_e32 v0, -1, v0
	s_delay_alu instid0(VALU_DEP_1)
	v_cmpx_ne_u32_e32 7, v0
	s_cbranch_execz .LBB77_119
; %bb.118:
	v_cmp_eq_u32_e32 vcc_lo, 1, v0
	v_cmp_eq_u32_e64 s0, 2, v0
	v_cmp_eq_u32_e64 s1, 3, v0
	v_cmp_eq_u32_e64 s2, 4, v0
	v_cmp_eq_u32_e64 s3, 5, v0
	v_dual_cndmask_b32 v1, v2, v4 :: v_dual_cndmask_b32 v30, v3, v5
	v_cmp_eq_u32_e64 s4, 6, v0
	v_cmp_eq_u32_e64 s5, 0, v0
	;; [unrolled: 1-line block ×3, first 2 shown]
	s_delay_alu instid0(VALU_DEP_4)
	v_cndmask_b32_e64 v1, v1, v6, s0
	v_cndmask_b32_e64 v30, v30, v7, s0
	;; [unrolled: 1-line block ×4, first 2 shown]
	v_cmp_eq_u32_e64 s0, 8, v0
	v_cndmask_b32_e64 v1, v1, v8, s1
	v_cndmask_b32_e64 v30, v30, v9, s1
	v_cndmask_b32_e32 v32, v5, v17, vcc_lo
	v_cndmask_b32_e64 v36, v9, v17, s1
	v_cndmask_b32_e64 v35, v8, v16, s1
	;; [unrolled: 1-line block ×6, first 2 shown]
	v_cmp_eq_u32_e64 s1, 10, v0
	v_cndmask_b32_e64 v1, v1, v12, s3
	v_cndmask_b32_e64 v31, v30, v13, s3
	;; [unrolled: 1-line block ×3, first 2 shown]
	v_cmp_eq_u32_e64 s2, 11, v0
	v_cndmask_b32_e64 v46, v19, v17, s0
	v_cndmask_b32_e64 v1, v1, v14, s4
	;; [unrolled: 1-line block ×3, first 2 shown]
	v_cndmask_b32_e32 v31, v4, v16, vcc_lo
	v_cmp_eq_u32_e32 vcc_lo, 9, v0
	v_cndmask_b32_e64 v45, v18, v16, s0
	v_cndmask_b32_e64 v1, v1, v16, s6
	;; [unrolled: 1-line block ×8, first 2 shown]
	v_cmp_eq_u32_e64 s0, 12, v0
	v_cndmask_b32_e64 v41, v14, v16, s4
	v_dual_cndmask_b32 v48, v21, v17 :: v_dual_cndmask_b32 v47, v20, v16
	v_cndmask_b32_e64 v50, v23, v17, s1
	v_cndmask_b32_e64 v49, v22, v16, s1
	;; [unrolled: 1-line block ×6, first 2 shown]
	v_cndmask_b32_e32 v1, v1, v20, vcc_lo
	s_delay_alu instid0(VALU_DEP_1) | instskip(NEXT) | instid1(VALU_DEP_1)
	v_cndmask_b32_e64 v1, v1, v22, s1
	v_cndmask_b32_e64 v1, v1, v24, s2
	s_delay_alu instid0(VALU_DEP_1) | instskip(SKIP_2) | instid1(VALU_DEP_3)
	v_cndmask_b32_e64 v1, v1, v26, s0
	v_cndmask_b32_e32 v3, v3, v21, vcc_lo
	v_cmp_eq_u32_e32 vcc_lo, 13, v0
	v_cndmask_b32_e32 v0, v1, v28, vcc_lo
	s_delay_alu instid0(VALU_DEP_3) | instskip(SKIP_1) | instid1(VALU_DEP_3)
	v_cndmask_b32_e64 v3, v3, v23, s1
	v_dual_cndmask_b32 v56, v29, v17 :: v_dual_cndmask_b32 v55, v28, v16
	v_cndmask_b32_e64 v43, v0, v16, s6
	s_delay_alu instid0(VALU_DEP_3) | instskip(NEXT) | instid1(VALU_DEP_1)
	v_cndmask_b32_e64 v3, v3, v25, s2
	v_cndmask_b32_e64 v3, v3, v27, s0
	s_delay_alu instid0(VALU_DEP_1) | instskip(SKIP_1) | instid1(VALU_DEP_2)
	v_cndmask_b32_e32 v1, v3, v29, vcc_lo
	v_cndmask_b32_e64 v29, v2, v16, s5
	v_cndmask_b32_e64 v44, v1, v17, s6
	s_delay_alu instid0(VALU_DEP_2)
	v_mov_b32_e32 v2, v29
	v_dual_mov_b32 v3, v30 :: v_dual_mov_b32 v6, v33
	v_dual_mov_b32 v4, v31 :: v_dual_mov_b32 v5, v32
	;; [unrolled: 1-line block ×13, first 2 shown]
	v_mov_b32_e32 v29, v56
	v_mov_b32_e32 v30, v57
	;; [unrolled: 1-line block ×5, first 2 shown]
.LBB77_119:
	s_or_b32 exec_lo, exec_lo, s7
	v_dual_mov_b32 v0, s16 :: v_dual_mov_b32 v1, s17
	s_mov_b32 s7, exec_lo
	flat_load_b32 v0, v[0:1] offset:24
	s_waitcnt vmcnt(0) lgkmcnt(0)
	v_add_nc_u32_e32 v0, -1, v0
	s_delay_alu instid0(VALU_DEP_1)
	v_cmpx_ne_u32_e32 6, v0
	s_cbranch_execz .LBB77_121
; %bb.120:
	v_cmp_eq_u32_e32 vcc_lo, 1, v0
	v_cmp_eq_u32_e64 s0, 2, v0
	v_cmp_eq_u32_e64 s1, 3, v0
	;; [unrolled: 1-line block ×4, first 2 shown]
	v_dual_cndmask_b32 v1, v2, v4 :: v_dual_cndmask_b32 v30, v3, v5
	v_cmp_eq_u32_e64 s4, 6, v0
	v_cmp_eq_u32_e64 s5, 0, v0
	;; [unrolled: 1-line block ×3, first 2 shown]
	s_delay_alu instid0(VALU_DEP_4)
	v_cndmask_b32_e64 v1, v1, v6, s0
	v_cndmask_b32_e64 v30, v30, v7, s0
	;; [unrolled: 1-line block ×4, first 2 shown]
	v_cmp_eq_u32_e64 s0, 8, v0
	v_cndmask_b32_e64 v1, v1, v8, s1
	v_cndmask_b32_e64 v30, v30, v9, s1
	v_cndmask_b32_e32 v32, v5, v15, vcc_lo
	v_cndmask_b32_e64 v36, v9, v15, s1
	v_cndmask_b32_e64 v35, v8, v14, s1
	;; [unrolled: 1-line block ×6, first 2 shown]
	v_cmp_eq_u32_e64 s1, 10, v0
	v_cndmask_b32_e64 v1, v1, v12, s3
	v_cndmask_b32_e64 v31, v30, v13, s3
	v_cndmask_b32_e64 v30, v3, v15, s5
	v_cmp_eq_u32_e64 s2, 11, v0
	v_cndmask_b32_e64 v46, v19, v15, s0
	v_cndmask_b32_e64 v1, v1, v14, s4
	;; [unrolled: 1-line block ×3, first 2 shown]
	v_cndmask_b32_e32 v31, v4, v14, vcc_lo
	v_cmp_eq_u32_e32 vcc_lo, 9, v0
	v_cndmask_b32_e64 v45, v18, v14, s0
	v_cndmask_b32_e64 v1, v1, v16, s6
	;; [unrolled: 1-line block ×8, first 2 shown]
	v_cmp_eq_u32_e64 s0, 12, v0
	v_cndmask_b32_e64 v43, v16, v14, s6
	v_dual_cndmask_b32 v47, v20, v14 :: v_dual_cndmask_b32 v48, v21, v15
	s_delay_alu instid0(VALU_DEP_4)
	v_cndmask_b32_e32 v3, v3, v21, vcc_lo
	v_cndmask_b32_e64 v50, v23, v15, s1
	v_cndmask_b32_e64 v49, v22, v14, s1
	;; [unrolled: 1-line block ×6, first 2 shown]
	v_cndmask_b32_e32 v1, v1, v20, vcc_lo
	v_cndmask_b32_e64 v3, v3, v23, s1
	v_cmp_eq_u32_e32 vcc_lo, 13, v0
	s_delay_alu instid0(VALU_DEP_3) | instskip(NEXT) | instid1(VALU_DEP_3)
	v_cndmask_b32_e64 v1, v1, v22, s1
	v_cndmask_b32_e64 v3, v3, v25, s2
	v_dual_cndmask_b32 v55, v28, v14 :: v_dual_cndmask_b32 v56, v29, v15
	s_delay_alu instid0(VALU_DEP_3) | instskip(NEXT) | instid1(VALU_DEP_3)
	v_cndmask_b32_e64 v1, v1, v24, s2
	v_cndmask_b32_e64 v3, v3, v27, s0
	s_delay_alu instid0(VALU_DEP_2) | instskip(NEXT) | instid1(VALU_DEP_1)
	v_cndmask_b32_e64 v1, v1, v26, s0
	v_dual_cndmask_b32 v0, v1, v28 :: v_dual_cndmask_b32 v1, v3, v29
	v_cndmask_b32_e64 v29, v2, v14, s5
	s_delay_alu instid0(VALU_DEP_2) | instskip(NEXT) | instid1(VALU_DEP_3)
	v_cndmask_b32_e64 v41, v0, v14, s4
	v_cndmask_b32_e64 v42, v1, v15, s4
	s_delay_alu instid0(VALU_DEP_3)
	v_mov_b32_e32 v2, v29
	v_dual_mov_b32 v3, v30 :: v_dual_mov_b32 v6, v33
	v_dual_mov_b32 v4, v31 :: v_dual_mov_b32 v5, v32
	;; [unrolled: 1-line block ×13, first 2 shown]
	v_mov_b32_e32 v29, v56
	v_mov_b32_e32 v30, v57
	;; [unrolled: 1-line block ×5, first 2 shown]
.LBB77_121:
	s_or_b32 exec_lo, exec_lo, s7
	v_dual_mov_b32 v0, s16 :: v_dual_mov_b32 v1, s17
	s_mov_b32 s7, exec_lo
	flat_load_b32 v0, v[0:1] offset:20
	s_waitcnt vmcnt(0) lgkmcnt(0)
	v_add_nc_u32_e32 v0, -1, v0
	s_delay_alu instid0(VALU_DEP_1)
	v_cmpx_ne_u32_e32 5, v0
	s_cbranch_execz .LBB77_123
; %bb.122:
	v_cmp_eq_u32_e32 vcc_lo, 1, v0
	v_cmp_eq_u32_e64 s0, 2, v0
	v_cmp_eq_u32_e64 s1, 3, v0
	;; [unrolled: 1-line block ×4, first 2 shown]
	v_dual_cndmask_b32 v1, v2, v4 :: v_dual_cndmask_b32 v30, v3, v5
	v_cmp_eq_u32_e64 s4, 6, v0
	v_cmp_eq_u32_e64 s5, 0, v0
	v_cmp_eq_u32_e64 s6, 7, v0
	s_delay_alu instid0(VALU_DEP_4)
	v_cndmask_b32_e64 v1, v1, v6, s0
	v_cndmask_b32_e64 v30, v30, v7, s0
	;; [unrolled: 1-line block ×4, first 2 shown]
	v_cmp_eq_u32_e64 s0, 8, v0
	v_cndmask_b32_e64 v1, v1, v8, s1
	v_cndmask_b32_e64 v30, v30, v9, s1
	v_cndmask_b32_e32 v32, v5, v13, vcc_lo
	v_cndmask_b32_e64 v36, v9, v13, s1
	v_cndmask_b32_e64 v35, v8, v12, s1
	;; [unrolled: 1-line block ×6, first 2 shown]
	v_cmp_eq_u32_e64 s1, 10, v0
	v_cndmask_b32_e64 v1, v1, v12, s3
	v_cndmask_b32_e64 v31, v30, v13, s3
	;; [unrolled: 1-line block ×3, first 2 shown]
	v_cmp_eq_u32_e64 s2, 11, v0
	v_cndmask_b32_e64 v46, v19, v13, s0
	v_cndmask_b32_e64 v1, v1, v14, s4
	;; [unrolled: 1-line block ×3, first 2 shown]
	v_cndmask_b32_e32 v31, v4, v12, vcc_lo
	v_cmp_eq_u32_e32 vcc_lo, 9, v0
	v_cndmask_b32_e64 v45, v18, v12, s0
	v_cndmask_b32_e64 v1, v1, v16, s6
	;; [unrolled: 1-line block ×8, first 2 shown]
	v_cmp_eq_u32_e64 s0, 12, v0
	v_cndmask_b32_e64 v43, v16, v12, s6
	v_dual_cndmask_b32 v48, v21, v13 :: v_dual_cndmask_b32 v47, v20, v12
	v_cndmask_b32_e64 v50, v23, v13, s1
	v_cndmask_b32_e64 v49, v22, v12, s1
	;; [unrolled: 1-line block ×6, first 2 shown]
	v_cndmask_b32_e32 v1, v1, v20, vcc_lo
	s_delay_alu instid0(VALU_DEP_1) | instskip(NEXT) | instid1(VALU_DEP_1)
	v_cndmask_b32_e64 v1, v1, v22, s1
	v_cndmask_b32_e64 v1, v1, v24, s2
	s_delay_alu instid0(VALU_DEP_1) | instskip(SKIP_2) | instid1(VALU_DEP_3)
	v_cndmask_b32_e64 v1, v1, v26, s0
	v_cndmask_b32_e32 v3, v3, v21, vcc_lo
	v_cmp_eq_u32_e32 vcc_lo, 13, v0
	v_cndmask_b32_e32 v0, v1, v28, vcc_lo
	s_delay_alu instid0(VALU_DEP_3) | instskip(SKIP_1) | instid1(VALU_DEP_3)
	v_cndmask_b32_e64 v3, v3, v23, s1
	v_dual_cndmask_b32 v56, v29, v13 :: v_dual_cndmask_b32 v55, v28, v12
	v_cndmask_b32_e64 v39, v0, v12, s3
	s_delay_alu instid0(VALU_DEP_3) | instskip(NEXT) | instid1(VALU_DEP_1)
	v_cndmask_b32_e64 v3, v3, v25, s2
	v_cndmask_b32_e64 v3, v3, v27, s0
	s_delay_alu instid0(VALU_DEP_1) | instskip(SKIP_1) | instid1(VALU_DEP_2)
	v_cndmask_b32_e32 v1, v3, v29, vcc_lo
	v_cndmask_b32_e64 v29, v2, v12, s5
	v_cndmask_b32_e64 v40, v1, v13, s3
	s_delay_alu instid0(VALU_DEP_2)
	v_mov_b32_e32 v2, v29
	v_dual_mov_b32 v3, v30 :: v_dual_mov_b32 v6, v33
	v_dual_mov_b32 v4, v31 :: v_dual_mov_b32 v5, v32
	;; [unrolled: 1-line block ×13, first 2 shown]
	v_mov_b32_e32 v29, v56
	v_mov_b32_e32 v30, v57
	;; [unrolled: 1-line block ×5, first 2 shown]
.LBB77_123:
	s_or_b32 exec_lo, exec_lo, s7
	v_dual_mov_b32 v0, s16 :: v_dual_mov_b32 v1, s17
	s_mov_b32 s7, exec_lo
	flat_load_b32 v0, v[0:1] offset:16
	s_waitcnt vmcnt(0) lgkmcnt(0)
	v_add_nc_u32_e32 v0, -1, v0
	s_delay_alu instid0(VALU_DEP_1)
	v_cmpx_ne_u32_e32 4, v0
	s_cbranch_execz .LBB77_125
; %bb.124:
	v_cmp_eq_u32_e32 vcc_lo, 1, v0
	v_cmp_eq_u32_e64 s0, 2, v0
	v_cmp_eq_u32_e64 s1, 3, v0
	;; [unrolled: 1-line block ×4, first 2 shown]
	v_dual_cndmask_b32 v1, v2, v4 :: v_dual_cndmask_b32 v30, v3, v5
	v_cmp_eq_u32_e64 s4, 6, v0
	v_cmp_eq_u32_e64 s5, 0, v0
	;; [unrolled: 1-line block ×3, first 2 shown]
	s_delay_alu instid0(VALU_DEP_4)
	v_cndmask_b32_e64 v1, v1, v6, s0
	v_cndmask_b32_e64 v30, v30, v7, s0
	;; [unrolled: 1-line block ×4, first 2 shown]
	v_cmp_eq_u32_e64 s0, 8, v0
	v_cndmask_b32_e64 v1, v1, v8, s1
	v_cndmask_b32_e64 v30, v30, v9, s1
	v_cndmask_b32_e32 v32, v5, v11, vcc_lo
	v_cndmask_b32_e64 v36, v9, v11, s1
	v_cndmask_b32_e64 v35, v8, v10, s1
	;; [unrolled: 1-line block ×6, first 2 shown]
	v_cmp_eq_u32_e64 s1, 10, v0
	v_cndmask_b32_e64 v1, v1, v12, s3
	v_cndmask_b32_e64 v31, v30, v13, s3
	;; [unrolled: 1-line block ×3, first 2 shown]
	v_cmp_eq_u32_e64 s3, 11, v0
	v_cndmask_b32_e64 v46, v19, v11, s0
	v_cndmask_b32_e64 v1, v1, v14, s4
	;; [unrolled: 1-line block ×3, first 2 shown]
	v_cndmask_b32_e32 v31, v4, v10, vcc_lo
	v_cmp_eq_u32_e32 vcc_lo, 9, v0
	v_cndmask_b32_e64 v45, v18, v10, s0
	v_cndmask_b32_e64 v1, v1, v16, s6
	;; [unrolled: 1-line block ×8, first 2 shown]
	v_cmp_eq_u32_e64 s0, 12, v0
	v_cndmask_b32_e64 v43, v16, v10, s6
	v_dual_cndmask_b32 v47, v20, v10 :: v_dual_cndmask_b32 v48, v21, v11
	s_delay_alu instid0(VALU_DEP_4)
	v_cndmask_b32_e32 v3, v3, v21, vcc_lo
	v_cndmask_b32_e64 v50, v23, v11, s1
	v_cndmask_b32_e64 v49, v22, v10, s1
	;; [unrolled: 1-line block ×6, first 2 shown]
	v_cndmask_b32_e32 v1, v1, v20, vcc_lo
	v_cndmask_b32_e64 v3, v3, v23, s1
	v_cmp_eq_u32_e32 vcc_lo, 13, v0
	s_delay_alu instid0(VALU_DEP_3) | instskip(NEXT) | instid1(VALU_DEP_3)
	v_cndmask_b32_e64 v1, v1, v22, s1
	v_cndmask_b32_e64 v3, v3, v25, s3
	v_dual_cndmask_b32 v55, v28, v10 :: v_dual_cndmask_b32 v56, v29, v11
	s_delay_alu instid0(VALU_DEP_3) | instskip(NEXT) | instid1(VALU_DEP_3)
	v_cndmask_b32_e64 v1, v1, v24, s3
	v_cndmask_b32_e64 v3, v3, v27, s0
	s_delay_alu instid0(VALU_DEP_2) | instskip(NEXT) | instid1(VALU_DEP_1)
	v_cndmask_b32_e64 v1, v1, v26, s0
	v_dual_cndmask_b32 v0, v1, v28 :: v_dual_cndmask_b32 v1, v3, v29
	v_cndmask_b32_e64 v29, v2, v10, s5
	s_delay_alu instid0(VALU_DEP_2) | instskip(NEXT) | instid1(VALU_DEP_3)
	v_cndmask_b32_e64 v37, v0, v10, s2
	v_cndmask_b32_e64 v38, v1, v11, s2
	s_delay_alu instid0(VALU_DEP_3)
	v_mov_b32_e32 v2, v29
	v_dual_mov_b32 v3, v30 :: v_dual_mov_b32 v6, v33
	v_dual_mov_b32 v4, v31 :: v_dual_mov_b32 v5, v32
	;; [unrolled: 1-line block ×13, first 2 shown]
	v_mov_b32_e32 v29, v56
	v_mov_b32_e32 v30, v57
	;; [unrolled: 1-line block ×5, first 2 shown]
.LBB77_125:
	s_or_b32 exec_lo, exec_lo, s7
	v_dual_mov_b32 v0, s16 :: v_dual_mov_b32 v1, s17
	s_mov_b32 s7, exec_lo
	flat_load_b32 v0, v[0:1] offset:12
	s_waitcnt vmcnt(0) lgkmcnt(0)
	v_add_nc_u32_e32 v0, -1, v0
	s_delay_alu instid0(VALU_DEP_1)
	v_cmpx_ne_u32_e32 3, v0
	s_cbranch_execz .LBB77_127
; %bb.126:
	v_cmp_eq_u32_e32 vcc_lo, 1, v0
	v_cmp_eq_u32_e64 s0, 2, v0
	v_cmp_eq_u32_e64 s1, 3, v0
	;; [unrolled: 1-line block ×4, first 2 shown]
	v_dual_cndmask_b32 v1, v2, v4 :: v_dual_cndmask_b32 v30, v3, v5
	v_cmp_eq_u32_e64 s4, 6, v0
	v_cmp_eq_u32_e64 s5, 0, v0
	;; [unrolled: 1-line block ×3, first 2 shown]
	s_delay_alu instid0(VALU_DEP_4)
	v_cndmask_b32_e64 v1, v1, v6, s0
	v_cndmask_b32_e64 v30, v30, v7, s0
	;; [unrolled: 1-line block ×4, first 2 shown]
	v_cmp_eq_u32_e64 s0, 8, v0
	v_cndmask_b32_e64 v1, v1, v8, s1
	v_cndmask_b32_e64 v30, v30, v9, s1
	v_cndmask_b32_e32 v32, v5, v9, vcc_lo
	v_cndmask_b32_e64 v38, v11, v9, s2
	v_cndmask_b32_e64 v37, v10, v8, s2
	;; [unrolled: 1-line block ×6, first 2 shown]
	v_cmp_eq_u32_e64 s2, 10, v0
	v_cndmask_b32_e64 v1, v1, v12, s3
	v_cndmask_b32_e64 v31, v30, v13, s3
	v_cndmask_b32_e64 v30, v3, v9, s5
	v_cmp_eq_u32_e64 s3, 11, v0
	v_cndmask_b32_e64 v46, v19, v9, s0
	v_cndmask_b32_e64 v1, v1, v14, s4
	v_cndmask_b32_e64 v3, v31, v15, s4
	v_cndmask_b32_e32 v31, v4, v8, vcc_lo
	v_cmp_eq_u32_e32 vcc_lo, 9, v0
	v_cndmask_b32_e64 v45, v18, v8, s0
	v_cndmask_b32_e64 v1, v1, v16, s6
	;; [unrolled: 1-line block ×8, first 2 shown]
	v_cmp_eq_u32_e64 s0, 12, v0
	v_cndmask_b32_e64 v43, v16, v8, s6
	v_dual_cndmask_b32 v48, v21, v9 :: v_dual_cndmask_b32 v47, v20, v8
	v_cndmask_b32_e64 v50, v23, v9, s2
	v_cndmask_b32_e64 v49, v22, v8, s2
	;; [unrolled: 1-line block ×6, first 2 shown]
	v_cndmask_b32_e32 v1, v1, v20, vcc_lo
	s_delay_alu instid0(VALU_DEP_1) | instskip(NEXT) | instid1(VALU_DEP_1)
	v_cndmask_b32_e64 v1, v1, v22, s2
	v_cndmask_b32_e64 v1, v1, v24, s3
	s_delay_alu instid0(VALU_DEP_1) | instskip(SKIP_2) | instid1(VALU_DEP_3)
	v_cndmask_b32_e64 v1, v1, v26, s0
	v_cndmask_b32_e32 v3, v3, v21, vcc_lo
	v_cmp_eq_u32_e32 vcc_lo, 13, v0
	v_cndmask_b32_e32 v0, v1, v28, vcc_lo
	s_delay_alu instid0(VALU_DEP_3) | instskip(SKIP_1) | instid1(VALU_DEP_3)
	v_cndmask_b32_e64 v3, v3, v23, s2
	v_dual_cndmask_b32 v56, v29, v9 :: v_dual_cndmask_b32 v55, v28, v8
	v_cndmask_b32_e64 v35, v0, v8, s1
	s_delay_alu instid0(VALU_DEP_3) | instskip(NEXT) | instid1(VALU_DEP_1)
	v_cndmask_b32_e64 v3, v3, v25, s3
	v_cndmask_b32_e64 v3, v3, v27, s0
	s_delay_alu instid0(VALU_DEP_1) | instskip(SKIP_1) | instid1(VALU_DEP_2)
	v_cndmask_b32_e32 v1, v3, v29, vcc_lo
	v_cndmask_b32_e64 v29, v2, v8, s5
	v_cndmask_b32_e64 v36, v1, v9, s1
	s_delay_alu instid0(VALU_DEP_2)
	v_mov_b32_e32 v2, v29
	v_dual_mov_b32 v3, v30 :: v_dual_mov_b32 v6, v33
	v_dual_mov_b32 v4, v31 :: v_dual_mov_b32 v5, v32
	;; [unrolled: 1-line block ×13, first 2 shown]
	v_mov_b32_e32 v29, v56
	v_mov_b32_e32 v30, v57
	;; [unrolled: 1-line block ×5, first 2 shown]
.LBB77_127:
	s_or_b32 exec_lo, exec_lo, s7
	v_dual_mov_b32 v0, s16 :: v_dual_mov_b32 v1, s17
	s_mov_b32 s7, exec_lo
	flat_load_b32 v0, v[0:1] offset:8
	s_waitcnt vmcnt(0) lgkmcnt(0)
	v_add_nc_u32_e32 v0, -1, v0
	s_delay_alu instid0(VALU_DEP_1)
	v_cmpx_ne_u32_e32 2, v0
	s_cbranch_execz .LBB77_129
; %bb.128:
	v_cmp_eq_u32_e32 vcc_lo, 1, v0
	v_cmp_eq_u32_e64 s0, 2, v0
	v_cmp_eq_u32_e64 s1, 3, v0
	;; [unrolled: 1-line block ×4, first 2 shown]
	v_dual_cndmask_b32 v1, v2, v4 :: v_dual_cndmask_b32 v30, v3, v5
	v_cmp_eq_u32_e64 s4, 6, v0
	v_cmp_eq_u32_e64 s5, 0, v0
	;; [unrolled: 1-line block ×3, first 2 shown]
	s_delay_alu instid0(VALU_DEP_4)
	v_cndmask_b32_e64 v1, v1, v6, s0
	v_cndmask_b32_e64 v30, v30, v7, s0
	v_cndmask_b32_e32 v32, v5, v7, vcc_lo
	v_cndmask_b32_e64 v36, v9, v7, s1
	v_cndmask_b32_e64 v35, v8, v6, s1
	;; [unrolled: 1-line block ×6, first 2 shown]
	v_cmp_eq_u32_e64 s1, 9, v0
	v_cndmask_b32_e64 v1, v1, v10, s2
	v_cndmask_b32_e64 v30, v30, v11, s2
	;; [unrolled: 1-line block ×4, first 2 shown]
	v_cmp_eq_u32_e64 s2, 10, v0
	v_cndmask_b32_e64 v1, v1, v12, s3
	v_cndmask_b32_e64 v31, v30, v13, s3
	;; [unrolled: 1-line block ×3, first 2 shown]
	v_cmp_eq_u32_e64 s3, 11, v0
	v_cndmask_b32_e64 v42, v15, v7, s4
	v_cndmask_b32_e64 v1, v1, v14, s4
	;; [unrolled: 1-line block ×3, first 2 shown]
	v_cndmask_b32_e32 v31, v4, v6, vcc_lo
	v_cmp_eq_u32_e32 vcc_lo, 8, v0
	v_cndmask_b32_e64 v41, v14, v6, s4
	v_cndmask_b32_e64 v1, v1, v16, s6
	;; [unrolled: 1-line block ×5, first 2 shown]
	v_cndmask_b32_e32 v45, v18, v6, vcc_lo
	v_dual_cndmask_b32 v1, v1, v18 :: v_dual_cndmask_b32 v46, v19, v7
	v_cndmask_b32_e64 v48, v21, v7, s1
	v_cndmask_b32_e64 v47, v20, v6, s1
	;; [unrolled: 1-line block ×6, first 2 shown]
	v_cndmask_b32_e32 v3, v3, v19, vcc_lo
	v_cndmask_b32_e64 v1, v1, v20, s1
	v_cmp_eq_u32_e32 vcc_lo, 12, v0
	s_delay_alu instid0(VALU_DEP_3) | instskip(NEXT) | instid1(VALU_DEP_3)
	v_cndmask_b32_e64 v3, v3, v21, s1
	v_cndmask_b32_e64 v1, v1, v22, s2
	v_cmp_eq_u32_e64 s1, 13, v0
	v_dual_cndmask_b32 v54, v27, v7 :: v_dual_cndmask_b32 v53, v26, v6
	s_delay_alu instid0(VALU_DEP_4) | instskip(NEXT) | instid1(VALU_DEP_4)
	v_cndmask_b32_e64 v3, v3, v23, s2
	v_cndmask_b32_e64 v1, v1, v24, s3
	s_delay_alu instid0(VALU_DEP_4) | instskip(SKIP_1) | instid1(VALU_DEP_4)
	v_cndmask_b32_e64 v56, v29, v7, s1
	v_cndmask_b32_e64 v55, v28, v6, s1
	;; [unrolled: 1-line block ×3, first 2 shown]
	s_delay_alu instid0(VALU_DEP_4) | instskip(NEXT) | instid1(VALU_DEP_2)
	v_cndmask_b32_e32 v1, v1, v26, vcc_lo
	v_cndmask_b32_e32 v3, v3, v27, vcc_lo
	s_delay_alu instid0(VALU_DEP_2) | instskip(NEXT) | instid1(VALU_DEP_2)
	v_cndmask_b32_e64 v0, v1, v28, s1
	v_cndmask_b32_e64 v1, v3, v29, s1
	v_cndmask_b32_e64 v29, v2, v6, s5
	s_delay_alu instid0(VALU_DEP_3) | instskip(NEXT) | instid1(VALU_DEP_3)
	v_cndmask_b32_e64 v33, v0, v6, s0
	v_cndmask_b32_e64 v34, v1, v7, s0
	s_delay_alu instid0(VALU_DEP_3)
	v_mov_b32_e32 v2, v29
	v_dual_mov_b32 v10, v37 :: v_dual_mov_b32 v3, v30
	v_mov_b32_e32 v8, v35
	v_dual_mov_b32 v4, v31 :: v_dual_mov_b32 v5, v32
	;; [unrolled: 2-line block ×3, first 2 shown]
	v_dual_mov_b32 v14, v41 :: v_dual_mov_b32 v9, v36
	v_dual_mov_b32 v16, v43 :: v_dual_mov_b32 v11, v38
	;; [unrolled: 1-line block ×8, first 2 shown]
	v_mov_b32_e32 v25, v52
	v_mov_b32_e32 v27, v54
	;; [unrolled: 1-line block ×7, first 2 shown]
.LBB77_129:
	s_or_b32 exec_lo, exec_lo, s7
	v_dual_mov_b32 v0, s16 :: v_dual_mov_b32 v1, s17
	s_mov_b32 s7, exec_lo
	flat_load_b32 v0, v[0:1] offset:4
	s_waitcnt vmcnt(0) lgkmcnt(0)
	v_add_nc_u32_e32 v0, -1, v0
	s_delay_alu instid0(VALU_DEP_1)
	v_cmpx_ne_u32_e32 1, v0
	s_cbranch_execz .LBB77_131
; %bb.130:
	v_cmp_eq_u32_e32 vcc_lo, 1, v0
	v_cmp_eq_u32_e64 s0, 2, v0
	v_cmp_eq_u32_e64 s1, 3, v0
	;; [unrolled: 1-line block ×4, first 2 shown]
	v_dual_cndmask_b32 v1, v2, v4 :: v_dual_cndmask_b32 v30, v3, v5
	v_cmp_eq_u32_e64 s4, 6, v0
	v_cmp_eq_u32_e64 s5, 0, v0
	;; [unrolled: 1-line block ×3, first 2 shown]
	s_delay_alu instid0(VALU_DEP_4)
	v_cndmask_b32_e64 v1, v1, v6, s0
	v_cndmask_b32_e64 v30, v30, v7, s0
	v_cndmask_b32_e64 v34, v7, v5, s0
	v_cndmask_b32_e64 v33, v6, v4, s0
	v_cmp_eq_u32_e64 s0, 8, v0
	v_cndmask_b32_e64 v1, v1, v8, s1
	v_cndmask_b32_e64 v30, v30, v9, s1
	v_cndmask_b32_e64 v36, v9, v5, s1
	v_cndmask_b32_e64 v35, v8, v4, s1
	v_cmp_eq_u32_e64 s1, 9, v0
	;; [unrolled: 5-line block ×3, first 2 shown]
	v_cndmask_b32_e64 v1, v1, v12, s3
	v_cndmask_b32_e64 v31, v30, v13, s3
	;; [unrolled: 1-line block ×7, first 2 shown]
	v_cmp_eq_u32_e64 s3, 11, v0
	v_cndmask_b32_e64 v46, v19, v5, s0
	v_cndmask_b32_e64 v45, v18, v4, s0
	;; [unrolled: 1-line block ×9, first 2 shown]
	v_cmp_eq_u32_e64 s0, 12, v0
	v_cndmask_b32_e64 v41, v14, v4, s4
	v_cndmask_b32_e64 v44, v17, v5, s6
	;; [unrolled: 1-line block ×4, first 2 shown]
	v_cmp_eq_u32_e64 s1, 13, v0
	v_cndmask_b32_e64 v43, v16, v4, s6
	v_cndmask_b32_e64 v50, v23, v5, s2
	;; [unrolled: 1-line block ×15, first 2 shown]
	s_delay_alu instid0(VALU_DEP_3) | instskip(NEXT) | instid1(VALU_DEP_3)
	v_cndmask_b32_e64 v0, v1, v28, s1
	v_cndmask_b32_e64 v1, v3, v29, s1
	;; [unrolled: 1-line block ×3, first 2 shown]
	s_delay_alu instid0(VALU_DEP_2) | instskip(NEXT) | instid1(VALU_DEP_2)
	v_dual_cndmask_b32 v31, v0, v4 :: v_dual_cndmask_b32 v32, v1, v5
	v_mov_b32_e32 v2, v29
	s_delay_alu instid0(VALU_DEP_2) | instskip(NEXT) | instid1(VALU_DEP_3)
	v_dual_mov_b32 v3, v30 :: v_dual_mov_b32 v4, v31
	v_dual_mov_b32 v5, v32 :: v_dual_mov_b32 v6, v33
	;; [unrolled: 1-line block ×13, first 2 shown]
	v_mov_b32_e32 v29, v56
	v_mov_b32_e32 v30, v57
	;; [unrolled: 1-line block ×5, first 2 shown]
.LBB77_131:
	s_or_b32 exec_lo, exec_lo, s7
	v_dual_mov_b32 v0, s16 :: v_dual_mov_b32 v1, s17
	s_mov_b32 s6, exec_lo
	flat_load_b32 v0, v[0:1]
	s_waitcnt vmcnt(0) lgkmcnt(0)
	v_add_nc_u32_e32 v0, -1, v0
	s_delay_alu instid0(VALU_DEP_1)
	v_cmpx_ne_u32_e32 0, v0
	s_cbranch_execz .LBB77_133
; %bb.132:
	v_cmp_eq_u32_e32 vcc_lo, 1, v0
	v_cmp_eq_u32_e64 s0, 2, v0
	v_cmp_eq_u32_e64 s1, 3, v0
	;; [unrolled: 1-line block ×4, first 2 shown]
	v_dual_cndmask_b32 v1, v2, v4 :: v_dual_cndmask_b32 v30, v3, v5
	v_cmp_eq_u32_e64 s4, 6, v0
	v_cmp_eq_u32_e64 s5, 7, v0
	v_cndmask_b32_e64 v32, v7, v3, s0
	s_delay_alu instid0(VALU_DEP_4)
	v_cndmask_b32_e64 v1, v1, v6, s0
	v_cndmask_b32_e64 v30, v30, v7, s0
	v_cndmask_b32_e64 v31, v6, v2, s0
	v_cmp_eq_u32_e64 s0, 8, v0
	v_cndmask_b32_e64 v34, v9, v3, s1
	v_cndmask_b32_e64 v1, v1, v8, s1
	v_cndmask_b32_e64 v30, v30, v9, s1
	v_cndmask_b32_e64 v33, v8, v2, s1
	v_cmp_eq_u32_e64 s1, 9, v0
	v_cndmask_b32_e64 v36, v11, v3, s2
	;; [unrolled: 5-line block ×4, first 2 shown]
	v_cndmask_b32_e64 v1, v1, v14, s4
	v_cndmask_b32_e64 v7, v30, v15, s4
	v_cndmask_b32_e32 v30, v5, v3, vcc_lo
	v_cndmask_b32_e64 v43, v18, v2, s0
	v_cndmask_b32_e64 v46, v21, v3, s1
	;; [unrolled: 1-line block ×9, first 2 shown]
	v_cmp_eq_u32_e64 s0, 12, v0
	v_cndmask_b32_e64 v40, v15, v3, s4
	v_cndmask_b32_e64 v39, v14, v2, s4
	v_cndmask_b32_e64 v1, v1, v20, s1
	v_cndmask_b32_e64 v5, v5, v21, s1
	v_cmp_eq_u32_e64 s1, 13, v0
	v_cndmask_b32_e64 v52, v27, v3, s0
	v_cndmask_b32_e64 v42, v17, v3, s5
	v_cndmask_b32_e64 v1, v1, v22, s2
	v_cndmask_b32_e64 v5, v5, v23, s2
	;; [unrolled: 5-line block ×3, first 2 shown]
	v_cndmask_b32_e64 v49, v24, v2, s3
	v_cndmask_b32_e64 v51, v26, v2, s0
	;; [unrolled: 1-line block ×6, first 2 shown]
	s_delay_alu instid0(VALU_DEP_3) | instskip(NEXT) | instid1(VALU_DEP_3)
	v_cndmask_b32_e64 v1, v1, v28, s1
	v_cndmask_b32_e64 v5, v5, v29, s1
	v_cndmask_b32_e32 v29, v4, v2, vcc_lo
	s_delay_alu instid0(VALU_DEP_3) | instskip(NEXT) | instid1(VALU_DEP_3)
	v_cndmask_b32_e64 v27, v1, v2, s2
	v_cndmask_b32_e64 v28, v5, v3, s2
	s_delay_alu instid0(VALU_DEP_2) | instskip(NEXT) | instid1(VALU_DEP_2)
	v_mov_b32_e32 v2, v27
	v_dual_mov_b32 v3, v28 :: v_dual_mov_b32 v4, v29
	v_dual_mov_b32 v5, v30 :: v_dual_mov_b32 v6, v31
	;; [unrolled: 1-line block ×12, first 2 shown]
	v_mov_b32_e32 v27, v52
	v_mov_b32_e32 v28, v53
	;; [unrolled: 1-line block ×7, first 2 shown]
.LBB77_133:
	s_or_b32 exec_lo, exec_lo, s6
.LBB77_134:
	s_delay_alu instid0(VALU_DEP_1)
	v_dual_mov_b32 v1, v3 :: v_dual_mov_b32 v0, v2
	v_dual_mov_b32 v3, v5 :: v_dual_mov_b32 v2, v4
	;; [unrolled: 1-line block ×4, first 2 shown]
	s_clause 0x3
	global_store_b64 v[60:61], v[0:1], off
	global_store_b64 v[62:63], v[2:3], off
	;; [unrolled: 1-line block ×4, first 2 shown]
	v_dual_mov_b32 v1, v11 :: v_dual_mov_b32 v0, v10
	v_dual_mov_b32 v3, v13 :: v_dual_mov_b32 v2, v12
	;; [unrolled: 1-line block ×5, first 2 shown]
	s_clause 0x4
	global_store_b64 v[66:67], v[0:1], off
	global_store_b64 v[70:71], v[2:3], off
	;; [unrolled: 1-line block ×5, first 2 shown]
	v_dual_mov_b32 v1, v21 :: v_dual_mov_b32 v0, v20
	v_dual_mov_b32 v3, v23 :: v_dual_mov_b32 v2, v22
	;; [unrolled: 1-line block ×5, first 2 shown]
	s_clause 0x4
	global_store_b64 v[78:79], v[0:1], off
	global_store_b64 v[80:81], v[2:3], off
	;; [unrolled: 1-line block ×5, first 2 shown]
	s_nop 0
	s_sendmsg sendmsg(MSG_DEALLOC_VGPRS)
	s_endpgm
	.section	.rodata,"a",@progbits
	.p2align	6, 0x0
	.amdhsa_kernel _ZN9rocsolver6v33100L18getri_kernel_smallILi14EdPKPdEEvT1_iilPiilS6_bb
		.amdhsa_group_segment_fixed_size 232
		.amdhsa_private_segment_fixed_size 0
		.amdhsa_kernarg_size 60
		.amdhsa_user_sgpr_count 15
		.amdhsa_user_sgpr_dispatch_ptr 0
		.amdhsa_user_sgpr_queue_ptr 0
		.amdhsa_user_sgpr_kernarg_segment_ptr 1
		.amdhsa_user_sgpr_dispatch_id 0
		.amdhsa_user_sgpr_private_segment_size 0
		.amdhsa_wavefront_size32 1
		.amdhsa_uses_dynamic_stack 0
		.amdhsa_enable_private_segment 0
		.amdhsa_system_sgpr_workgroup_id_x 1
		.amdhsa_system_sgpr_workgroup_id_y 0
		.amdhsa_system_sgpr_workgroup_id_z 0
		.amdhsa_system_sgpr_workgroup_info 0
		.amdhsa_system_vgpr_workitem_id 0
		.amdhsa_next_free_vgpr 90
		.amdhsa_next_free_sgpr 21
		.amdhsa_reserve_vcc 1
		.amdhsa_float_round_mode_32 0
		.amdhsa_float_round_mode_16_64 0
		.amdhsa_float_denorm_mode_32 3
		.amdhsa_float_denorm_mode_16_64 3
		.amdhsa_dx10_clamp 1
		.amdhsa_ieee_mode 1
		.amdhsa_fp16_overflow 0
		.amdhsa_workgroup_processor_mode 1
		.amdhsa_memory_ordered 1
		.amdhsa_forward_progress 0
		.amdhsa_shared_vgpr_count 0
		.amdhsa_exception_fp_ieee_invalid_op 0
		.amdhsa_exception_fp_denorm_src 0
		.amdhsa_exception_fp_ieee_div_zero 0
		.amdhsa_exception_fp_ieee_overflow 0
		.amdhsa_exception_fp_ieee_underflow 0
		.amdhsa_exception_fp_ieee_inexact 0
		.amdhsa_exception_int_div_zero 0
	.end_amdhsa_kernel
	.section	.text._ZN9rocsolver6v33100L18getri_kernel_smallILi14EdPKPdEEvT1_iilPiilS6_bb,"axG",@progbits,_ZN9rocsolver6v33100L18getri_kernel_smallILi14EdPKPdEEvT1_iilPiilS6_bb,comdat
.Lfunc_end77:
	.size	_ZN9rocsolver6v33100L18getri_kernel_smallILi14EdPKPdEEvT1_iilPiilS6_bb, .Lfunc_end77-_ZN9rocsolver6v33100L18getri_kernel_smallILi14EdPKPdEEvT1_iilPiilS6_bb
                                        ; -- End function
	.section	.AMDGPU.csdata,"",@progbits
; Kernel info:
; codeLenInByte = 24608
; NumSgprs: 23
; NumVgprs: 90
; ScratchSize: 0
; MemoryBound: 0
; FloatMode: 240
; IeeeMode: 1
; LDSByteSize: 232 bytes/workgroup (compile time only)
; SGPRBlocks: 2
; VGPRBlocks: 11
; NumSGPRsForWavesPerEU: 23
; NumVGPRsForWavesPerEU: 90
; Occupancy: 16
; WaveLimiterHint : 1
; COMPUTE_PGM_RSRC2:SCRATCH_EN: 0
; COMPUTE_PGM_RSRC2:USER_SGPR: 15
; COMPUTE_PGM_RSRC2:TRAP_HANDLER: 0
; COMPUTE_PGM_RSRC2:TGID_X_EN: 1
; COMPUTE_PGM_RSRC2:TGID_Y_EN: 0
; COMPUTE_PGM_RSRC2:TGID_Z_EN: 0
; COMPUTE_PGM_RSRC2:TIDIG_COMP_CNT: 0
	.section	.text._ZN9rocsolver6v33100L18getri_kernel_smallILi15EdPKPdEEvT1_iilPiilS6_bb,"axG",@progbits,_ZN9rocsolver6v33100L18getri_kernel_smallILi15EdPKPdEEvT1_iilPiilS6_bb,comdat
	.globl	_ZN9rocsolver6v33100L18getri_kernel_smallILi15EdPKPdEEvT1_iilPiilS6_bb ; -- Begin function _ZN9rocsolver6v33100L18getri_kernel_smallILi15EdPKPdEEvT1_iilPiilS6_bb
	.p2align	8
	.type	_ZN9rocsolver6v33100L18getri_kernel_smallILi15EdPKPdEEvT1_iilPiilS6_bb,@function
_ZN9rocsolver6v33100L18getri_kernel_smallILi15EdPKPdEEvT1_iilPiilS6_bb: ; @_ZN9rocsolver6v33100L18getri_kernel_smallILi15EdPKPdEEvT1_iilPiilS6_bb
; %bb.0:
	s_mov_b32 s2, exec_lo
	v_cmpx_gt_u32_e32 15, v0
	s_cbranch_execz .LBB78_16
; %bb.1:
	s_clause 0x1
	s_load_b32 s4, s[0:1], 0x38
	s_load_b64 s[2:3], s[0:1], 0x0
	s_mov_b32 s18, s15
                                        ; implicit-def: $sgpr16_sgpr17
	s_waitcnt lgkmcnt(0)
	s_bitcmp1_b32 s4, 8
	s_cselect_b32 s20, -1, 0
	s_ashr_i32 s19, s15, 31
	s_load_b128 s[12:15], s[0:1], 0x28
	s_lshl_b64 s[6:7], s[18:19], 3
	s_delay_alu instid0(SALU_CYCLE_1)
	s_add_u32 s2, s2, s6
	s_addc_u32 s3, s3, s7
	s_bfe_u32 s5, s4, 0x10008
	s_load_b64 s[2:3], s[2:3], 0x0
	s_cmp_eq_u32 s5, 0
	s_cbranch_scc1 .LBB78_3
; %bb.2:
	s_clause 0x1
	s_load_b32 s6, s[0:1], 0x20
	s_load_b64 s[8:9], s[0:1], 0x18
	s_waitcnt lgkmcnt(0)
	s_mul_i32 s5, s18, s13
	s_mul_hi_u32 s7, s18, s12
	s_mul_i32 s11, s19, s12
	s_add_i32 s5, s7, s5
	s_mul_i32 s10, s18, s12
	s_add_i32 s11, s5, s11
	s_delay_alu instid0(SALU_CYCLE_1) | instskip(SKIP_4) | instid1(SALU_CYCLE_1)
	s_lshl_b64 s[10:11], s[10:11], 2
	s_ashr_i32 s7, s6, 31
	s_add_u32 s5, s8, s10
	s_addc_u32 s8, s9, s11
	s_lshl_b64 s[6:7], s[6:7], 2
	s_add_u32 s16, s5, s6
	s_addc_u32 s17, s8, s7
.LBB78_3:
	s_load_b64 s[0:1], s[0:1], 0x8
	v_lshlrev_b32_e32 v34, 3, v0
	s_waitcnt lgkmcnt(0)
	v_add3_u32 v1, s1, s1, v0
	s_ashr_i32 s7, s0, 31
	s_mov_b32 s6, s0
	s_mov_b32 s8, s1
	s_lshl_b64 s[6:7], s[6:7], 3
	v_add_nc_u32_e32 v3, s1, v1
	v_ashrrev_i32_e32 v2, 31, v1
	s_add_u32 s2, s2, s6
	s_addc_u32 s3, s3, s7
	v_add_co_u32 v64, s0, s2, v34
	v_add_nc_u32_e32 v5, s1, v3
	s_ashr_i32 s9, s1, 31
	v_add_co_ci_u32_e64 v65, null, s3, 0, s0
	v_lshlrev_b64 v[1:2], 3, v[1:2]
	s_lshl_b64 s[6:7], s[8:9], 3
	v_ashrrev_i32_e32 v6, 31, v5
	v_add_co_u32 v66, vcc_lo, v64, s6
	v_add_nc_u32_e32 v7, s1, v5
	v_ashrrev_i32_e32 v4, 31, v3
	v_add_co_ci_u32_e32 v67, vcc_lo, s7, v65, vcc_lo
	v_add_co_u32 v68, vcc_lo, s2, v1
	v_add_co_ci_u32_e32 v69, vcc_lo, s3, v2, vcc_lo
	v_lshlrev_b64 v[1:2], 3, v[5:6]
	v_add_nc_u32_e32 v5, s1, v7
	v_lshlrev_b64 v[3:4], 3, v[3:4]
	v_ashrrev_i32_e32 v8, 31, v7
	s_bitcmp0_b32 s4, 0
	s_mov_b32 s0, -1
	v_add_nc_u32_e32 v14, s1, v5
	v_ashrrev_i32_e32 v6, 31, v5
	v_add_co_u32 v70, vcc_lo, s2, v3
	v_lshlrev_b64 v[12:13], 3, v[7:8]
	v_add_co_ci_u32_e32 v71, vcc_lo, s3, v4, vcc_lo
	v_add_co_u32 v76, vcc_lo, s2, v1
	v_add_nc_u32_e32 v16, s1, v14
	v_ashrrev_i32_e32 v15, 31, v14
	v_add_co_ci_u32_e32 v77, vcc_lo, s3, v2, vcc_lo
	v_lshlrev_b64 v[1:2], 3, v[5:6]
	v_add_co_u32 v72, vcc_lo, s2, v12
	v_ashrrev_i32_e32 v17, 31, v16
	v_add_co_ci_u32_e32 v73, vcc_lo, s3, v13, vcc_lo
	v_lshlrev_b64 v[12:13], 3, v[14:15]
	v_add_nc_u32_e32 v14, s1, v16
	v_add_co_u32 v74, vcc_lo, s2, v1
	v_add_co_ci_u32_e32 v75, vcc_lo, s3, v2, vcc_lo
	v_lshlrev_b64 v[1:2], 3, v[16:17]
	s_delay_alu instid0(VALU_DEP_4)
	v_add_nc_u32_e32 v20, s1, v14
	v_add_co_u32 v78, vcc_lo, s2, v12
	v_ashrrev_i32_e32 v15, 31, v14
	v_add_co_ci_u32_e32 v79, vcc_lo, s3, v13, vcc_lo
	v_add_co_u32 v80, vcc_lo, s2, v1
	v_add_nc_u32_e32 v22, s1, v20
	v_add_co_ci_u32_e32 v81, vcc_lo, s3, v2, vcc_lo
	v_lshlrev_b64 v[1:2], 3, v[14:15]
	v_ashrrev_i32_e32 v21, 31, v20
	s_delay_alu instid0(VALU_DEP_4)
	v_ashrrev_i32_e32 v23, 31, v22
	v_add_nc_u32_e32 v24, s1, v22
	s_clause 0x7
	global_load_b64 v[4:5], v[66:67], off
	global_load_b64 v[6:7], v[68:69], off
	global_load_b64 v[8:9], v[70:71], off
	global_load_b64 v[10:11], v[76:77], off
	global_load_b64 v[12:13], v[72:73], off
	global_load_b64 v[14:15], v[74:75], off
	global_load_b64 v[16:17], v[78:79], off
	global_load_b64 v[18:19], v[80:81], off
	v_lshlrev_b64 v[20:21], 3, v[20:21]
	v_add_co_u32 v84, vcc_lo, s2, v1
	v_add_co_ci_u32_e32 v85, vcc_lo, s3, v2, vcc_lo
	v_lshlrev_b64 v[1:2], 3, v[22:23]
	v_ashrrev_i32_e32 v25, 31, v24
	v_add_nc_u32_e32 v22, s1, v24
	v_add_co_u32 v82, vcc_lo, s2, v20
	v_add_co_ci_u32_e32 v83, vcc_lo, s3, v21, vcc_lo
	s_delay_alu instid0(VALU_DEP_4) | instskip(NEXT) | instid1(VALU_DEP_4)
	v_lshlrev_b64 v[20:21], 3, v[24:25]
	v_add_nc_u32_e32 v24, s1, v22
	v_ashrrev_i32_e32 v23, 31, v22
	v_add_co_u32 v86, vcc_lo, s2, v1
	v_add_co_ci_u32_e32 v87, vcc_lo, s3, v2, vcc_lo
	s_delay_alu instid0(VALU_DEP_4) | instskip(NEXT) | instid1(VALU_DEP_4)
	v_ashrrev_i32_e32 v25, 31, v24
	v_lshlrev_b64 v[1:2], 3, v[22:23]
	v_add_co_u32 v88, vcc_lo, s2, v20
	v_add_co_ci_u32_e32 v89, vcc_lo, s3, v21, vcc_lo
	s_delay_alu instid0(VALU_DEP_4) | instskip(NEXT) | instid1(VALU_DEP_4)
	v_lshlrev_b64 v[20:21], 3, v[24:25]
	v_add_co_u32 v92, vcc_lo, s2, v1
	v_mov_b32_e32 v1, 0
	v_add_co_ci_u32_e32 v93, vcc_lo, s3, v2, vcc_lo
	s_delay_alu instid0(VALU_DEP_4)
	v_add_co_u32 v90, vcc_lo, s2, v20
	v_add_co_ci_u32_e32 v91, vcc_lo, s3, v21, vcc_lo
	s_clause 0x6
	global_load_b64 v[20:21], v[84:85], off
	global_load_b64 v[22:23], v[82:83], off
	;; [unrolled: 1-line block ×5, first 2 shown]
	global_load_b64 v[2:3], v34, s[2:3]
	global_load_b64 v[30:31], v[90:91], off
	s_cbranch_scc1 .LBB78_14
; %bb.4:
	v_cmp_eq_u32_e64 s0, 0, v0
	s_delay_alu instid0(VALU_DEP_1)
	s_and_saveexec_b32 s1, s0
	s_cbranch_execz .LBB78_6
; %bb.5:
	v_mov_b32_e32 v32, 0
	ds_store_b32 v32, v32 offset:120
.LBB78_6:
	s_or_b32 exec_lo, exec_lo, s1
	v_cmp_eq_u32_e32 vcc_lo, 1, v0
	s_mov_b32 s2, exec_lo
	s_waitcnt vmcnt(0) lgkmcnt(0)
	s_barrier
	buffer_gl0_inv
	v_dual_cndmask_b32 v32, v3, v5 :: v_dual_cndmask_b32 v33, v2, v4
	v_cmp_eq_u32_e32 vcc_lo, 2, v0
	s_delay_alu instid0(VALU_DEP_2) | instskip(SKIP_1) | instid1(VALU_DEP_2)
	v_dual_cndmask_b32 v32, v32, v7 :: v_dual_cndmask_b32 v33, v33, v6
	v_cmp_eq_u32_e32 vcc_lo, 3, v0
	v_dual_cndmask_b32 v32, v32, v9 :: v_dual_cndmask_b32 v33, v33, v8
	v_cmp_eq_u32_e32 vcc_lo, 4, v0
	s_delay_alu instid0(VALU_DEP_2) | instskip(SKIP_1) | instid1(VALU_DEP_2)
	v_dual_cndmask_b32 v32, v32, v11 :: v_dual_cndmask_b32 v33, v33, v10
	v_cmp_eq_u32_e32 vcc_lo, 5, v0
	;; [unrolled: 5-line block ×6, first 2 shown]
	v_dual_cndmask_b32 v32, v32, v29 :: v_dual_cndmask_b32 v35, v33, v28
	v_cmp_eq_u32_e32 vcc_lo, 14, v0
	s_delay_alu instid0(VALU_DEP_2) | instskip(NEXT) | instid1(VALU_DEP_1)
	v_dual_cndmask_b32 v33, v32, v31 :: v_dual_cndmask_b32 v32, v35, v30
	v_cmpx_eq_f64_e32 0, v[32:33]
	s_cbranch_execz .LBB78_10
; %bb.7:
	v_mov_b32_e32 v35, 0
	s_mov_b32 s3, 0
	ds_load_b32 v36, v35 offset:120
	s_waitcnt lgkmcnt(0)
	v_readfirstlane_b32 s1, v36
	v_add_nc_u32_e32 v36, 1, v0
	s_delay_alu instid0(VALU_DEP_2) | instskip(NEXT) | instid1(VALU_DEP_1)
	s_cmp_eq_u32 s1, 0
	v_cmp_gt_i32_e32 vcc_lo, s1, v36
	s_cselect_b32 s4, -1, 0
	s_delay_alu instid0(SALU_CYCLE_1) | instskip(NEXT) | instid1(SALU_CYCLE_1)
	s_or_b32 s4, s4, vcc_lo
	s_and_b32 exec_lo, exec_lo, s4
	s_cbranch_execz .LBB78_10
; %bb.8:
	v_mov_b32_e32 v37, s1
.LBB78_9:                               ; =>This Inner Loop Header: Depth=1
	ds_cmpstore_rtn_b32 v37, v35, v36, v37 offset:120
	s_waitcnt lgkmcnt(0)
	v_cmp_ne_u32_e32 vcc_lo, 0, v37
	v_cmp_le_i32_e64 s1, v37, v36
	s_delay_alu instid0(VALU_DEP_1) | instskip(NEXT) | instid1(SALU_CYCLE_1)
	s_and_b32 s1, vcc_lo, s1
	s_and_b32 s1, exec_lo, s1
	s_delay_alu instid0(SALU_CYCLE_1) | instskip(NEXT) | instid1(SALU_CYCLE_1)
	s_or_b32 s3, s1, s3
	s_and_not1_b32 exec_lo, exec_lo, s3
	s_cbranch_execnz .LBB78_9
.LBB78_10:
	s_or_b32 exec_lo, exec_lo, s2
	v_mov_b32_e32 v35, 0
	s_barrier
	buffer_gl0_inv
	ds_load_b32 v36, v35 offset:120
	s_and_saveexec_b32 s1, s0
	s_cbranch_execz .LBB78_12
; %bb.11:
	s_lshl_b64 s[2:3], s[18:19], 2
	s_delay_alu instid0(SALU_CYCLE_1)
	s_add_u32 s2, s14, s2
	s_addc_u32 s3, s15, s3
	s_waitcnt lgkmcnt(0)
	global_store_b32 v35, v36, s[2:3]
.LBB78_12:
	s_or_b32 exec_lo, exec_lo, s1
	s_waitcnt lgkmcnt(0)
	v_cmp_ne_u32_e32 vcc_lo, 0, v36
	s_cbranch_vccz .LBB78_17
; %bb.13:
	s_mov_b32 s0, 0
                                        ; implicit-def: $vgpr2_vgpr3_vgpr4_vgpr5_vgpr6_vgpr7_vgpr8_vgpr9_vgpr10_vgpr11_vgpr12_vgpr13_vgpr14_vgpr15_vgpr16_vgpr17_vgpr18_vgpr19_vgpr20_vgpr21_vgpr22_vgpr23_vgpr24_vgpr25_vgpr26_vgpr27_vgpr28_vgpr29_vgpr30_vgpr31_vgpr32_vgpr33
.LBB78_14:
	s_delay_alu instid0(SALU_CYCLE_1)
	s_and_b32 vcc_lo, exec_lo, s0
	s_cbranch_vccz .LBB78_16
.LBB78_15:
	s_lshl_b64 s[0:1], s[18:19], 2
	v_mov_b32_e32 v1, 0
	s_add_u32 s0, s14, s0
	s_addc_u32 s1, s15, s1
	global_load_b32 v1, v1, s[0:1]
	s_waitcnt vmcnt(0)
	v_cmp_ne_u32_e32 vcc_lo, 0, v1
	s_cbranch_vccz .LBB78_84
.LBB78_16:
	s_nop 0
	s_sendmsg sendmsg(MSG_DEALLOC_VGPRS)
	s_endpgm
.LBB78_17:
	v_div_scale_f64 v[35:36], null, v[32:33], v[32:33], 1.0
	v_div_scale_f64 v[41:42], vcc_lo, 1.0, v[32:33], 1.0
	v_cmp_eq_u32_e64 s1, 12, v0
	v_cmp_eq_u32_e64 s2, 11, v0
	;; [unrolled: 1-line block ×13, first 2 shown]
	v_rcp_f64_e32 v[37:38], v[35:36]
	s_waitcnt_depctr 0xfff
	v_fma_f64 v[39:40], -v[35:36], v[37:38], 1.0
	s_delay_alu instid0(VALU_DEP_1) | instskip(NEXT) | instid1(VALU_DEP_1)
	v_fma_f64 v[37:38], v[37:38], v[39:40], v[37:38]
	v_fma_f64 v[39:40], -v[35:36], v[37:38], 1.0
	s_delay_alu instid0(VALU_DEP_1) | instskip(NEXT) | instid1(VALU_DEP_1)
	v_fma_f64 v[37:38], v[37:38], v[39:40], v[37:38]
	v_mul_f64 v[39:40], v[41:42], v[37:38]
	s_delay_alu instid0(VALU_DEP_1) | instskip(NEXT) | instid1(VALU_DEP_1)
	v_fma_f64 v[35:36], -v[35:36], v[39:40], v[41:42]
	v_div_fmas_f64 v[35:36], v[35:36], v[37:38], v[39:40]
	v_cmp_eq_u32_e32 vcc_lo, 13, v0
	s_delay_alu instid0(VALU_DEP_2) | instskip(NEXT) | instid1(VALU_DEP_1)
	v_div_fixup_f64 v[32:33], v[35:36], v[32:33], 1.0
	v_dual_cndmask_b32 v29, v29, v33 :: v_dual_add_nc_u32 v36, 0x80, v34
	s_delay_alu instid0(VALU_DEP_2)
	v_cndmask_b32_e32 v28, v28, v32, vcc_lo
	v_cmp_eq_u32_e32 vcc_lo, 2, v0
	v_cndmask_b32_e64 v31, v31, v33, s10
	v_cndmask_b32_e64 v30, v30, v32, s10
	;; [unrolled: 1-line block ×4, first 2 shown]
	v_cndmask_b32_e32 v7, v7, v33, vcc_lo
	v_cndmask_b32_e64 v25, v25, v33, s2
	v_cndmask_b32_e64 v24, v24, v32, s2
	v_cndmask_b32_e64 v23, v23, v33, s3
	v_cndmask_b32_e64 v22, v22, v32, s3
	v_cndmask_b32_e64 v21, v21, v33, s4
	v_cndmask_b32_e64 v20, v20, v32, s4
	v_cndmask_b32_e64 v19, v19, v33, s5
	v_cndmask_b32_e64 v18, v18, v32, s5
	v_cndmask_b32_e64 v17, v17, v33, s6
	v_cndmask_b32_e64 v16, v16, v32, s6
	v_cndmask_b32_e64 v15, v15, v33, s7
	v_cndmask_b32_e64 v14, v14, v32, s7
	v_cndmask_b32_e64 v13, v13, v33, s8
	v_cndmask_b32_e64 v12, v12, v32, s8
	v_cndmask_b32_e64 v11, v11, v33, s9
	v_cndmask_b32_e64 v10, v10, v32, s9
	v_cndmask_b32_e64 v9, v9, v33, s11
	v_cndmask_b32_e64 v8, v8, v32, s11
	v_cndmask_b32_e64 v5, v5, v33, s12
	v_cndmask_b32_e64 v4, v4, v32, s12
	v_xor_b32_e32 v38, 0x80000000, v33
	v_dual_mov_b32 v37, v32 :: v_dual_cndmask_b32 v6, v6, v32
	v_cndmask_b32_e64 v3, v3, v33, s13
	v_cndmask_b32_e64 v2, v2, v32, s13
	ds_store_2addr_b64 v34, v[37:38], v[4:5] offset1:16
	s_waitcnt lgkmcnt(0)
	s_waitcnt_vscnt null, 0x0
	s_barrier
	buffer_gl0_inv
	s_and_saveexec_b32 s1, s0
	s_cbranch_execz .LBB78_19
; %bb.18:
	ds_load_b64 v[4:5], v36
	v_mov_b32_e32 v34, 0
	ds_load_b64 v[34:35], v34 offset:8
	s_waitcnt lgkmcnt(1)
	v_fma_f64 v[4:5], v[32:33], v[4:5], 0
	s_waitcnt lgkmcnt(0)
	s_delay_alu instid0(VALU_DEP_1)
	v_mul_f64 v[4:5], v[4:5], v[34:35]
.LBB78_19:
	s_or_b32 exec_lo, exec_lo, s1
	v_cmp_gt_u32_e32 vcc_lo, 2, v0
	s_barrier
	buffer_gl0_inv
	ds_store_b64 v36, v[6:7]
	s_waitcnt lgkmcnt(0)
	s_barrier
	buffer_gl0_inv
	s_and_saveexec_b32 s2, vcc_lo
	s_cbranch_execz .LBB78_23
; %bb.20:
	v_cmp_eq_u32_e64 s1, 1, v0
	s_delay_alu instid0(VALU_DEP_1) | instskip(SKIP_2) | instid1(VALU_DEP_1)
	v_cndmask_b32_e64 v32, v3, v5, s1
	v_cndmask_b32_e64 v33, v2, v4, s1
	v_cmp_eq_u32_e64 s1, 2, v0
	v_cndmask_b32_e64 v7, v32, v7, s1
	s_delay_alu instid0(VALU_DEP_3) | instskip(SKIP_1) | instid1(VALU_DEP_1)
	v_cndmask_b32_e64 v6, v33, v6, s1
	v_cmp_eq_u32_e64 s1, 3, v0
	v_cndmask_b32_e64 v7, v7, v9, s1
	s_delay_alu instid0(VALU_DEP_3) | instskip(SKIP_1) | instid1(VALU_DEP_1)
	v_cndmask_b32_e64 v6, v6, v8, s1
	v_cmp_eq_u32_e64 s1, 4, v0
	v_cndmask_b32_e64 v7, v7, v11, s1
	s_delay_alu instid0(VALU_DEP_3) | instskip(SKIP_1) | instid1(VALU_DEP_1)
	v_cndmask_b32_e64 v6, v6, v10, s1
	v_cmp_eq_u32_e64 s1, 5, v0
	v_cndmask_b32_e64 v7, v7, v13, s1
	s_delay_alu instid0(VALU_DEP_3) | instskip(SKIP_1) | instid1(VALU_DEP_1)
	v_cndmask_b32_e64 v6, v6, v12, s1
	v_cmp_eq_u32_e64 s1, 6, v0
	v_cndmask_b32_e64 v7, v7, v15, s1
	s_delay_alu instid0(VALU_DEP_3) | instskip(SKIP_1) | instid1(VALU_DEP_1)
	v_cndmask_b32_e64 v6, v6, v14, s1
	v_cmp_eq_u32_e64 s1, 7, v0
	v_cndmask_b32_e64 v7, v7, v17, s1
	s_delay_alu instid0(VALU_DEP_3) | instskip(SKIP_1) | instid1(VALU_DEP_1)
	v_cndmask_b32_e64 v6, v6, v16, s1
	v_cmp_eq_u32_e64 s1, 8, v0
	v_cndmask_b32_e64 v7, v7, v19, s1
	s_delay_alu instid0(VALU_DEP_3) | instskip(SKIP_1) | instid1(VALU_DEP_1)
	v_cndmask_b32_e64 v6, v6, v18, s1
	v_cmp_eq_u32_e64 s1, 9, v0
	v_cndmask_b32_e64 v7, v7, v21, s1
	s_delay_alu instid0(VALU_DEP_3) | instskip(SKIP_1) | instid1(VALU_DEP_1)
	v_cndmask_b32_e64 v6, v6, v20, s1
	v_cmp_eq_u32_e64 s1, 10, v0
	v_cndmask_b32_e64 v7, v7, v23, s1
	s_delay_alu instid0(VALU_DEP_3) | instskip(SKIP_1) | instid1(VALU_DEP_1)
	v_cndmask_b32_e64 v6, v6, v22, s1
	v_cmp_eq_u32_e64 s1, 11, v0
	v_cndmask_b32_e64 v32, v7, v25, s1
	s_delay_alu instid0(VALU_DEP_3)
	v_cndmask_b32_e64 v33, v6, v24, s1
	v_cmp_eq_u32_e64 s1, 12, v0
	ds_load_b64 v[6:7], v36
	v_cndmask_b32_e64 v32, v32, v27, s1
	v_cndmask_b32_e64 v33, v33, v26, s1
	v_cmp_eq_u32_e64 s1, 13, v0
	s_delay_alu instid0(VALU_DEP_1) | instskip(NEXT) | instid1(VALU_DEP_3)
	v_cndmask_b32_e64 v32, v32, v29, s1
	v_cndmask_b32_e64 v34, v33, v28, s1
	v_cmp_eq_u32_e64 s1, 14, v0
	s_delay_alu instid0(VALU_DEP_1) | instskip(NEXT) | instid1(VALU_DEP_3)
	v_cndmask_b32_e64 v33, v32, v31, s1
	v_cndmask_b32_e64 v32, v34, v30, s1
	s_waitcnt lgkmcnt(0)
	s_delay_alu instid0(VALU_DEP_1)
	v_fma_f64 v[6:7], v[32:33], v[6:7], 0
	s_and_saveexec_b32 s1, s0
	s_cbranch_execz .LBB78_22
; %bb.21:
	v_mov_b32_e32 v32, 0
	ds_load_b64 v[32:33], v32 offset:136
	s_waitcnt lgkmcnt(0)
	v_fma_f64 v[6:7], v[4:5], v[32:33], v[6:7]
.LBB78_22:
	s_or_b32 exec_lo, exec_lo, s1
	v_mov_b32_e32 v32, 0
	ds_load_b64 v[32:33], v32 offset:16
	s_waitcnt lgkmcnt(0)
	v_mul_f64 v[6:7], v[6:7], v[32:33]
.LBB78_23:
	s_or_b32 exec_lo, exec_lo, s2
	s_delay_alu instid0(SALU_CYCLE_1)
	s_mov_b32 s3, exec_lo
	s_barrier
	buffer_gl0_inv
	ds_store_b64 v36, v[8:9]
	s_waitcnt lgkmcnt(0)
	s_barrier
	buffer_gl0_inv
	v_cmpx_gt_u32_e32 3, v0
	s_cbranch_execz .LBB78_27
; %bb.24:
	v_dual_mov_b32 v32, 0 :: v_dual_mov_b32 v35, v1
	v_lshl_add_u32 v37, v0, 3, 0x80
	v_dual_mov_b32 v33, 0 :: v_dual_mov_b32 v34, v0
	s_mov_b32 s4, 0
.LBB78_25:                              ; =>This Inner Loop Header: Depth=1
	s_delay_alu instid0(VALU_DEP_1) | instskip(SKIP_1) | instid1(VALU_DEP_2)
	v_cmp_eq_u32_e64 s1, 1, v34
	v_cmp_eq_u32_e64 s2, 2, v34
	v_cndmask_b32_e64 v38, v3, v5, s1
	v_cndmask_b32_e64 v39, v2, v4, s1
	v_cmp_eq_u32_e64 s1, 3, v34
	s_delay_alu instid0(VALU_DEP_3) | instskip(NEXT) | instid1(VALU_DEP_3)
	v_cndmask_b32_e64 v38, v38, v7, s2
	v_cndmask_b32_e64 v39, v39, v6, s2
	v_cmp_eq_u32_e64 s2, 4, v34
	s_delay_alu instid0(VALU_DEP_3) | instskip(NEXT) | instid1(VALU_DEP_3)
	;; [unrolled: 4-line block ×9, first 2 shown]
	v_cndmask_b32_e64 v40, v38, v23, s2
	v_cndmask_b32_e64 v41, v39, v22, s2
	ds_load_b64 v[38:39], v37
	v_cmp_eq_u32_e64 s2, 12, v34
	v_add_nc_u32_e32 v37, 8, v37
	v_cndmask_b32_e64 v40, v40, v25, s1
	v_cndmask_b32_e64 v41, v41, v24, s1
	v_cmp_eq_u32_e64 s1, 13, v34
	s_delay_alu instid0(VALU_DEP_3) | instskip(NEXT) | instid1(VALU_DEP_3)
	v_cndmask_b32_e64 v40, v40, v27, s2
	v_cndmask_b32_e64 v41, v41, v26, s2
	v_cmp_eq_u32_e64 s2, 14, v34
	s_delay_alu instid0(VALU_DEP_3) | instskip(NEXT) | instid1(VALU_DEP_3)
	v_cndmask_b32_e64 v40, v40, v29, s1
	v_cndmask_b32_e64 v42, v41, v28, s1
	v_add_co_u32 v34, s1, v34, 1
	s_delay_alu instid0(VALU_DEP_1) | instskip(NEXT) | instid1(VALU_DEP_4)
	v_add_co_ci_u32_e64 v35, s1, 0, v35, s1
	v_cndmask_b32_e64 v41, v40, v31, s2
	s_delay_alu instid0(VALU_DEP_4) | instskip(SKIP_1) | instid1(VALU_DEP_1)
	v_cndmask_b32_e64 v40, v42, v30, s2
	s_waitcnt lgkmcnt(0)
	v_fma_f64 v[32:33], v[40:41], v[38:39], v[32:33]
	v_add_nc_u32_e32 v38, -1, v34
	s_delay_alu instid0(VALU_DEP_1) | instskip(NEXT) | instid1(VALU_DEP_1)
	v_cmp_lt_u32_e64 s1, 1, v38
	s_or_b32 s4, s1, s4
	s_delay_alu instid0(SALU_CYCLE_1)
	s_and_not1_b32 exec_lo, exec_lo, s4
	s_cbranch_execnz .LBB78_25
; %bb.26:
	s_or_b32 exec_lo, exec_lo, s4
	v_mov_b32_e32 v8, 0
	ds_load_b64 v[8:9], v8 offset:24
	s_waitcnt lgkmcnt(0)
	v_mul_f64 v[8:9], v[32:33], v[8:9]
.LBB78_27:
	s_or_b32 exec_lo, exec_lo, s3
	v_cmp_gt_u32_e64 s1, 4, v0
	s_barrier
	buffer_gl0_inv
	ds_store_b64 v36, v[10:11]
	s_waitcnt lgkmcnt(0)
	s_barrier
	buffer_gl0_inv
	s_and_saveexec_b32 s4, s1
	s_cbranch_execz .LBB78_31
; %bb.28:
	v_dual_mov_b32 v32, 0 :: v_dual_mov_b32 v35, v1
	v_lshl_add_u32 v37, v0, 3, 0x80
	v_dual_mov_b32 v33, 0 :: v_dual_mov_b32 v34, v0
	s_mov_b32 s5, 0
.LBB78_29:                              ; =>This Inner Loop Header: Depth=1
	s_delay_alu instid0(VALU_DEP_1) | instskip(SKIP_1) | instid1(VALU_DEP_2)
	v_cmp_eq_u32_e64 s2, 1, v34
	v_cmp_eq_u32_e64 s3, 2, v34
	v_cndmask_b32_e64 v38, v3, v5, s2
	v_cndmask_b32_e64 v39, v2, v4, s2
	v_cmp_eq_u32_e64 s2, 3, v34
	s_delay_alu instid0(VALU_DEP_3) | instskip(NEXT) | instid1(VALU_DEP_3)
	v_cndmask_b32_e64 v38, v38, v7, s3
	v_cndmask_b32_e64 v39, v39, v6, s3
	v_cmp_eq_u32_e64 s3, 4, v34
	s_delay_alu instid0(VALU_DEP_3) | instskip(NEXT) | instid1(VALU_DEP_3)
	;; [unrolled: 4-line block ×9, first 2 shown]
	v_cndmask_b32_e64 v40, v38, v23, s3
	v_cndmask_b32_e64 v41, v39, v22, s3
	ds_load_b64 v[38:39], v37
	v_cmp_eq_u32_e64 s3, 12, v34
	v_add_nc_u32_e32 v37, 8, v37
	v_cndmask_b32_e64 v40, v40, v25, s2
	v_cndmask_b32_e64 v41, v41, v24, s2
	v_cmp_eq_u32_e64 s2, 13, v34
	s_delay_alu instid0(VALU_DEP_3) | instskip(NEXT) | instid1(VALU_DEP_3)
	v_cndmask_b32_e64 v40, v40, v27, s3
	v_cndmask_b32_e64 v41, v41, v26, s3
	v_cmp_eq_u32_e64 s3, 14, v34
	s_delay_alu instid0(VALU_DEP_3) | instskip(NEXT) | instid1(VALU_DEP_3)
	v_cndmask_b32_e64 v40, v40, v29, s2
	v_cndmask_b32_e64 v42, v41, v28, s2
	v_add_co_u32 v34, s2, v34, 1
	s_delay_alu instid0(VALU_DEP_1) | instskip(NEXT) | instid1(VALU_DEP_4)
	v_add_co_ci_u32_e64 v35, s2, 0, v35, s2
	v_cndmask_b32_e64 v41, v40, v31, s3
	s_delay_alu instid0(VALU_DEP_4) | instskip(SKIP_1) | instid1(VALU_DEP_1)
	v_cndmask_b32_e64 v40, v42, v30, s3
	s_waitcnt lgkmcnt(0)
	v_fma_f64 v[32:33], v[40:41], v[38:39], v[32:33]
	v_add_nc_u32_e32 v38, -1, v34
	s_delay_alu instid0(VALU_DEP_1) | instskip(NEXT) | instid1(VALU_DEP_1)
	v_cmp_lt_u32_e64 s2, 2, v38
	s_or_b32 s5, s2, s5
	s_delay_alu instid0(SALU_CYCLE_1)
	s_and_not1_b32 exec_lo, exec_lo, s5
	s_cbranch_execnz .LBB78_29
; %bb.30:
	s_or_b32 exec_lo, exec_lo, s5
	v_mov_b32_e32 v10, 0
	ds_load_b64 v[10:11], v10 offset:32
	s_waitcnt lgkmcnt(0)
	v_mul_f64 v[10:11], v[32:33], v[10:11]
.LBB78_31:
	s_or_b32 exec_lo, exec_lo, s4
	s_delay_alu instid0(SALU_CYCLE_1)
	s_mov_b32 s4, exec_lo
	s_barrier
	buffer_gl0_inv
	ds_store_b64 v36, v[12:13]
	s_waitcnt lgkmcnt(0)
	s_barrier
	buffer_gl0_inv
	v_cmpx_gt_u32_e32 5, v0
	s_cbranch_execz .LBB78_35
; %bb.32:
	v_dual_mov_b32 v32, 0 :: v_dual_mov_b32 v35, v1
	v_lshl_add_u32 v37, v0, 3, 0x80
	v_dual_mov_b32 v33, 0 :: v_dual_mov_b32 v34, v0
	s_mov_b32 s5, 0
.LBB78_33:                              ; =>This Inner Loop Header: Depth=1
	s_delay_alu instid0(VALU_DEP_1) | instskip(SKIP_1) | instid1(VALU_DEP_2)
	v_cmp_eq_u32_e64 s2, 1, v34
	v_cmp_eq_u32_e64 s3, 2, v34
	v_cndmask_b32_e64 v38, v3, v5, s2
	v_cndmask_b32_e64 v39, v2, v4, s2
	v_cmp_eq_u32_e64 s2, 3, v34
	s_delay_alu instid0(VALU_DEP_3) | instskip(NEXT) | instid1(VALU_DEP_3)
	v_cndmask_b32_e64 v38, v38, v7, s3
	v_cndmask_b32_e64 v39, v39, v6, s3
	v_cmp_eq_u32_e64 s3, 4, v34
	s_delay_alu instid0(VALU_DEP_3) | instskip(NEXT) | instid1(VALU_DEP_3)
	;; [unrolled: 4-line block ×9, first 2 shown]
	v_cndmask_b32_e64 v40, v38, v23, s3
	v_cndmask_b32_e64 v41, v39, v22, s3
	ds_load_b64 v[38:39], v37
	v_cmp_eq_u32_e64 s3, 12, v34
	v_add_nc_u32_e32 v37, 8, v37
	v_cndmask_b32_e64 v40, v40, v25, s2
	v_cndmask_b32_e64 v41, v41, v24, s2
	v_cmp_eq_u32_e64 s2, 13, v34
	s_delay_alu instid0(VALU_DEP_3) | instskip(NEXT) | instid1(VALU_DEP_3)
	v_cndmask_b32_e64 v40, v40, v27, s3
	v_cndmask_b32_e64 v41, v41, v26, s3
	v_cmp_eq_u32_e64 s3, 14, v34
	s_delay_alu instid0(VALU_DEP_3) | instskip(NEXT) | instid1(VALU_DEP_3)
	v_cndmask_b32_e64 v40, v40, v29, s2
	v_cndmask_b32_e64 v42, v41, v28, s2
	v_add_co_u32 v34, s2, v34, 1
	s_delay_alu instid0(VALU_DEP_1) | instskip(NEXT) | instid1(VALU_DEP_4)
	v_add_co_ci_u32_e64 v35, s2, 0, v35, s2
	v_cndmask_b32_e64 v41, v40, v31, s3
	s_delay_alu instid0(VALU_DEP_4) | instskip(SKIP_1) | instid1(VALU_DEP_1)
	v_cndmask_b32_e64 v40, v42, v30, s3
	s_waitcnt lgkmcnt(0)
	v_fma_f64 v[32:33], v[40:41], v[38:39], v[32:33]
	v_add_nc_u32_e32 v38, -1, v34
	s_delay_alu instid0(VALU_DEP_1) | instskip(NEXT) | instid1(VALU_DEP_1)
	v_cmp_lt_u32_e64 s2, 3, v38
	s_or_b32 s5, s2, s5
	s_delay_alu instid0(SALU_CYCLE_1)
	s_and_not1_b32 exec_lo, exec_lo, s5
	s_cbranch_execnz .LBB78_33
; %bb.34:
	s_or_b32 exec_lo, exec_lo, s5
	v_mov_b32_e32 v12, 0
	ds_load_b64 v[12:13], v12 offset:40
	s_waitcnt lgkmcnt(0)
	v_mul_f64 v[12:13], v[32:33], v[12:13]
.LBB78_35:
	s_or_b32 exec_lo, exec_lo, s4
	v_cmp_gt_u32_e64 s2, 6, v0
	s_barrier
	buffer_gl0_inv
	ds_store_b64 v36, v[14:15]
	s_waitcnt lgkmcnt(0)
	s_barrier
	buffer_gl0_inv
	s_and_saveexec_b32 s5, s2
	s_cbranch_execz .LBB78_39
; %bb.36:
	v_dual_mov_b32 v32, 0 :: v_dual_mov_b32 v35, v1
	v_lshl_add_u32 v37, v0, 3, 0x80
	v_dual_mov_b32 v33, 0 :: v_dual_mov_b32 v34, v0
	s_mov_b32 s6, 0
.LBB78_37:                              ; =>This Inner Loop Header: Depth=1
	s_delay_alu instid0(VALU_DEP_1) | instskip(SKIP_1) | instid1(VALU_DEP_2)
	v_cmp_eq_u32_e64 s3, 1, v34
	v_cmp_eq_u32_e64 s4, 2, v34
	v_cndmask_b32_e64 v38, v3, v5, s3
	v_cndmask_b32_e64 v39, v2, v4, s3
	v_cmp_eq_u32_e64 s3, 3, v34
	s_delay_alu instid0(VALU_DEP_3) | instskip(NEXT) | instid1(VALU_DEP_3)
	v_cndmask_b32_e64 v38, v38, v7, s4
	v_cndmask_b32_e64 v39, v39, v6, s4
	v_cmp_eq_u32_e64 s4, 4, v34
	s_delay_alu instid0(VALU_DEP_3) | instskip(NEXT) | instid1(VALU_DEP_3)
	;; [unrolled: 4-line block ×9, first 2 shown]
	v_cndmask_b32_e64 v40, v38, v23, s4
	v_cndmask_b32_e64 v41, v39, v22, s4
	ds_load_b64 v[38:39], v37
	v_cmp_eq_u32_e64 s4, 12, v34
	v_add_nc_u32_e32 v37, 8, v37
	v_cndmask_b32_e64 v40, v40, v25, s3
	v_cndmask_b32_e64 v41, v41, v24, s3
	v_cmp_eq_u32_e64 s3, 13, v34
	s_delay_alu instid0(VALU_DEP_3) | instskip(NEXT) | instid1(VALU_DEP_3)
	v_cndmask_b32_e64 v40, v40, v27, s4
	v_cndmask_b32_e64 v41, v41, v26, s4
	v_cmp_eq_u32_e64 s4, 14, v34
	s_delay_alu instid0(VALU_DEP_3) | instskip(NEXT) | instid1(VALU_DEP_3)
	v_cndmask_b32_e64 v40, v40, v29, s3
	v_cndmask_b32_e64 v42, v41, v28, s3
	v_add_co_u32 v34, s3, v34, 1
	s_delay_alu instid0(VALU_DEP_1) | instskip(NEXT) | instid1(VALU_DEP_4)
	v_add_co_ci_u32_e64 v35, s3, 0, v35, s3
	v_cndmask_b32_e64 v41, v40, v31, s4
	s_delay_alu instid0(VALU_DEP_4) | instskip(SKIP_1) | instid1(VALU_DEP_1)
	v_cndmask_b32_e64 v40, v42, v30, s4
	s_waitcnt lgkmcnt(0)
	v_fma_f64 v[32:33], v[40:41], v[38:39], v[32:33]
	v_add_nc_u32_e32 v38, -1, v34
	s_delay_alu instid0(VALU_DEP_1) | instskip(NEXT) | instid1(VALU_DEP_1)
	v_cmp_lt_u32_e64 s3, 4, v38
	s_or_b32 s6, s3, s6
	s_delay_alu instid0(SALU_CYCLE_1)
	s_and_not1_b32 exec_lo, exec_lo, s6
	s_cbranch_execnz .LBB78_37
; %bb.38:
	s_or_b32 exec_lo, exec_lo, s6
	v_mov_b32_e32 v14, 0
	ds_load_b64 v[14:15], v14 offset:48
	s_waitcnt lgkmcnt(0)
	v_mul_f64 v[14:15], v[32:33], v[14:15]
.LBB78_39:
	s_or_b32 exec_lo, exec_lo, s5
	s_delay_alu instid0(SALU_CYCLE_1)
	s_mov_b32 s5, exec_lo
	s_barrier
	buffer_gl0_inv
	ds_store_b64 v36, v[16:17]
	s_waitcnt lgkmcnt(0)
	s_barrier
	buffer_gl0_inv
	v_cmpx_gt_u32_e32 7, v0
	s_cbranch_execz .LBB78_43
; %bb.40:
	v_dual_mov_b32 v32, 0 :: v_dual_mov_b32 v35, v1
	v_lshl_add_u32 v37, v0, 3, 0x80
	v_dual_mov_b32 v33, 0 :: v_dual_mov_b32 v34, v0
	s_mov_b32 s6, 0
.LBB78_41:                              ; =>This Inner Loop Header: Depth=1
	s_delay_alu instid0(VALU_DEP_1) | instskip(SKIP_1) | instid1(VALU_DEP_2)
	v_cmp_eq_u32_e64 s3, 1, v34
	v_cmp_eq_u32_e64 s4, 2, v34
	v_cndmask_b32_e64 v38, v3, v5, s3
	v_cndmask_b32_e64 v39, v2, v4, s3
	v_cmp_eq_u32_e64 s3, 3, v34
	s_delay_alu instid0(VALU_DEP_3) | instskip(NEXT) | instid1(VALU_DEP_3)
	v_cndmask_b32_e64 v38, v38, v7, s4
	v_cndmask_b32_e64 v39, v39, v6, s4
	v_cmp_eq_u32_e64 s4, 4, v34
	s_delay_alu instid0(VALU_DEP_3) | instskip(NEXT) | instid1(VALU_DEP_3)
	;; [unrolled: 4-line block ×9, first 2 shown]
	v_cndmask_b32_e64 v40, v38, v23, s4
	v_cndmask_b32_e64 v41, v39, v22, s4
	ds_load_b64 v[38:39], v37
	v_cmp_eq_u32_e64 s4, 12, v34
	v_add_nc_u32_e32 v37, 8, v37
	v_cndmask_b32_e64 v40, v40, v25, s3
	v_cndmask_b32_e64 v41, v41, v24, s3
	v_cmp_eq_u32_e64 s3, 13, v34
	s_delay_alu instid0(VALU_DEP_3) | instskip(NEXT) | instid1(VALU_DEP_3)
	v_cndmask_b32_e64 v40, v40, v27, s4
	v_cndmask_b32_e64 v41, v41, v26, s4
	v_cmp_eq_u32_e64 s4, 14, v34
	s_delay_alu instid0(VALU_DEP_3) | instskip(NEXT) | instid1(VALU_DEP_3)
	v_cndmask_b32_e64 v40, v40, v29, s3
	v_cndmask_b32_e64 v42, v41, v28, s3
	v_add_co_u32 v34, s3, v34, 1
	s_delay_alu instid0(VALU_DEP_1) | instskip(NEXT) | instid1(VALU_DEP_4)
	v_add_co_ci_u32_e64 v35, s3, 0, v35, s3
	v_cndmask_b32_e64 v41, v40, v31, s4
	s_delay_alu instid0(VALU_DEP_4) | instskip(SKIP_1) | instid1(VALU_DEP_1)
	v_cndmask_b32_e64 v40, v42, v30, s4
	s_waitcnt lgkmcnt(0)
	v_fma_f64 v[32:33], v[40:41], v[38:39], v[32:33]
	v_add_nc_u32_e32 v38, -1, v34
	s_delay_alu instid0(VALU_DEP_1) | instskip(NEXT) | instid1(VALU_DEP_1)
	v_cmp_lt_u32_e64 s3, 5, v38
	s_or_b32 s6, s3, s6
	s_delay_alu instid0(SALU_CYCLE_1)
	s_and_not1_b32 exec_lo, exec_lo, s6
	s_cbranch_execnz .LBB78_41
; %bb.42:
	s_or_b32 exec_lo, exec_lo, s6
	v_mov_b32_e32 v16, 0
	ds_load_b64 v[16:17], v16 offset:56
	s_waitcnt lgkmcnt(0)
	v_mul_f64 v[16:17], v[32:33], v[16:17]
.LBB78_43:
	s_or_b32 exec_lo, exec_lo, s5
	s_delay_alu instid0(SALU_CYCLE_1)
	s_mov_b32 s4, exec_lo
	s_barrier
	buffer_gl0_inv
	ds_store_b64 v36, v[18:19]
	s_waitcnt lgkmcnt(0)
	s_barrier
	buffer_gl0_inv
	v_cmpx_gt_u32_e32 8, v0
	s_cbranch_execz .LBB78_59
; %bb.44:
	v_cmp_eq_u32_e64 s3, 1, v0
	s_mov_b32 s5, exec_lo
	s_delay_alu instid0(VALU_DEP_1) | instskip(SKIP_2) | instid1(VALU_DEP_1)
	v_cndmask_b32_e64 v32, v3, v5, s3
	v_cndmask_b32_e64 v33, v2, v4, s3
	v_cmp_eq_u32_e64 s3, 2, v0
	v_cndmask_b32_e64 v32, v32, v7, s3
	s_delay_alu instid0(VALU_DEP_3) | instskip(SKIP_1) | instid1(VALU_DEP_1)
	v_cndmask_b32_e64 v33, v33, v6, s3
	v_cmp_eq_u32_e64 s3, 3, v0
	v_cndmask_b32_e64 v32, v32, v9, s3
	s_delay_alu instid0(VALU_DEP_3) | instskip(SKIP_1) | instid1(VALU_DEP_1)
	;; [unrolled: 4-line block ×9, first 2 shown]
	v_cndmask_b32_e64 v33, v33, v22, s3
	v_cmp_eq_u32_e64 s3, 11, v0
	v_cndmask_b32_e64 v34, v32, v25, s3
	s_delay_alu instid0(VALU_DEP_3)
	v_cndmask_b32_e64 v35, v33, v24, s3
	v_cmp_eq_u32_e64 s3, 12, v0
	ds_load_b64 v[32:33], v36
	v_cndmask_b32_e64 v34, v34, v27, s3
	v_cndmask_b32_e64 v35, v35, v26, s3
	v_cmp_eq_u32_e64 s3, 13, v0
	s_delay_alu instid0(VALU_DEP_1) | instskip(NEXT) | instid1(VALU_DEP_3)
	v_cndmask_b32_e64 v34, v34, v29, s3
	v_cndmask_b32_e64 v37, v35, v28, s3
	v_cmp_eq_u32_e64 s3, 14, v0
	s_delay_alu instid0(VALU_DEP_1) | instskip(NEXT) | instid1(VALU_DEP_3)
	v_cndmask_b32_e64 v35, v34, v31, s3
	v_cndmask_b32_e64 v34, v37, v30, s3
	s_waitcnt lgkmcnt(0)
	s_delay_alu instid0(VALU_DEP_1)
	v_fma_f64 v[32:33], v[34:35], v[32:33], 0
	v_cmpx_ne_u32_e32 7, v0
	s_cbranch_execz .LBB78_58
; %bb.45:
	v_add_nc_u32_e32 v37, 1, v0
	s_delay_alu instid0(VALU_DEP_1) | instskip(NEXT) | instid1(VALU_DEP_1)
	v_cmp_eq_u32_e64 s3, 1, v37
	v_cndmask_b32_e64 v34, v3, v5, s3
	v_cndmask_b32_e64 v35, v2, v4, s3
	v_cmp_eq_u32_e64 s3, 2, v37
	s_delay_alu instid0(VALU_DEP_1) | instskip(NEXT) | instid1(VALU_DEP_3)
	v_cndmask_b32_e64 v34, v34, v7, s3
	v_cndmask_b32_e64 v35, v35, v6, s3
	v_cmp_eq_u32_e64 s3, 3, v37
	s_delay_alu instid0(VALU_DEP_1) | instskip(NEXT) | instid1(VALU_DEP_3)
	;; [unrolled: 4-line block ×10, first 2 shown]
	v_cndmask_b32_e64 v38, v34, v25, s3
	v_cndmask_b32_e64 v39, v35, v24, s3
	v_cmp_eq_u32_e64 s3, 12, v37
	ds_load_b64 v[34:35], v36 offset:8
	v_cndmask_b32_e64 v38, v38, v27, s3
	v_cndmask_b32_e64 v39, v39, v26, s3
	v_cmp_eq_u32_e64 s3, 13, v37
	s_delay_alu instid0(VALU_DEP_1) | instskip(NEXT) | instid1(VALU_DEP_3)
	v_cndmask_b32_e64 v38, v38, v29, s3
	v_cndmask_b32_e64 v39, v39, v28, s3
	v_cmp_eq_u32_e64 s3, 14, v37
	s_delay_alu instid0(VALU_DEP_1) | instskip(NEXT) | instid1(VALU_DEP_3)
	v_cndmask_b32_e64 v38, v38, v31, s3
	v_cndmask_b32_e64 v37, v39, v30, s3
	s_waitcnt lgkmcnt(0)
	s_delay_alu instid0(VALU_DEP_1)
	v_fma_f64 v[32:33], v[37:38], v[34:35], v[32:33]
	s_and_saveexec_b32 s3, s2
	s_cbranch_execz .LBB78_57
; %bb.46:
	v_add_nc_u32_e32 v37, 2, v0
	s_mov_b32 s6, exec_lo
	s_delay_alu instid0(VALU_DEP_1) | instskip(NEXT) | instid1(VALU_DEP_1)
	v_cmp_eq_u32_e64 s2, 1, v37
	v_cndmask_b32_e64 v34, v3, v5, s2
	v_cndmask_b32_e64 v35, v2, v4, s2
	v_cmp_eq_u32_e64 s2, 2, v37
	s_delay_alu instid0(VALU_DEP_1) | instskip(NEXT) | instid1(VALU_DEP_3)
	v_cndmask_b32_e64 v34, v34, v7, s2
	v_cndmask_b32_e64 v35, v35, v6, s2
	v_cmp_eq_u32_e64 s2, 3, v37
	s_delay_alu instid0(VALU_DEP_1) | instskip(NEXT) | instid1(VALU_DEP_3)
	;; [unrolled: 4-line block ×10, first 2 shown]
	v_cndmask_b32_e64 v38, v34, v25, s2
	v_cndmask_b32_e64 v39, v35, v24, s2
	v_cmp_eq_u32_e64 s2, 12, v37
	ds_load_b64 v[34:35], v36 offset:16
	v_cndmask_b32_e64 v38, v38, v27, s2
	v_cndmask_b32_e64 v39, v39, v26, s2
	v_cmp_eq_u32_e64 s2, 13, v37
	s_delay_alu instid0(VALU_DEP_1) | instskip(NEXT) | instid1(VALU_DEP_3)
	v_cndmask_b32_e64 v38, v38, v29, s2
	v_cndmask_b32_e64 v39, v39, v28, s2
	v_cmp_eq_u32_e64 s2, 14, v37
	s_delay_alu instid0(VALU_DEP_1) | instskip(NEXT) | instid1(VALU_DEP_3)
	v_cndmask_b32_e64 v38, v38, v31, s2
	v_cndmask_b32_e64 v37, v39, v30, s2
	s_waitcnt lgkmcnt(0)
	s_delay_alu instid0(VALU_DEP_1)
	v_fma_f64 v[32:33], v[37:38], v[34:35], v[32:33]
	v_cmpx_ne_u32_e32 5, v0
	s_cbranch_execz .LBB78_56
; %bb.47:
	v_add_nc_u32_e32 v37, 3, v0
	s_delay_alu instid0(VALU_DEP_1) | instskip(NEXT) | instid1(VALU_DEP_1)
	v_cmp_eq_u32_e64 s2, 1, v37
	v_cndmask_b32_e64 v34, v3, v5, s2
	v_cndmask_b32_e64 v35, v2, v4, s2
	v_cmp_eq_u32_e64 s2, 2, v37
	s_delay_alu instid0(VALU_DEP_1) | instskip(NEXT) | instid1(VALU_DEP_3)
	v_cndmask_b32_e64 v34, v34, v7, s2
	v_cndmask_b32_e64 v35, v35, v6, s2
	v_cmp_eq_u32_e64 s2, 3, v37
	s_delay_alu instid0(VALU_DEP_1) | instskip(NEXT) | instid1(VALU_DEP_3)
	;; [unrolled: 4-line block ×10, first 2 shown]
	v_cndmask_b32_e64 v38, v34, v25, s2
	v_cndmask_b32_e64 v39, v35, v24, s2
	v_cmp_eq_u32_e64 s2, 12, v37
	ds_load_b64 v[34:35], v36 offset:24
	v_cndmask_b32_e64 v38, v38, v27, s2
	v_cndmask_b32_e64 v39, v39, v26, s2
	v_cmp_eq_u32_e64 s2, 13, v37
	s_delay_alu instid0(VALU_DEP_1) | instskip(NEXT) | instid1(VALU_DEP_3)
	v_cndmask_b32_e64 v38, v38, v29, s2
	v_cndmask_b32_e64 v39, v39, v28, s2
	v_cmp_eq_u32_e64 s2, 14, v37
	s_delay_alu instid0(VALU_DEP_1) | instskip(NEXT) | instid1(VALU_DEP_3)
	v_cndmask_b32_e64 v38, v38, v31, s2
	v_cndmask_b32_e64 v37, v39, v30, s2
	s_waitcnt lgkmcnt(0)
	s_delay_alu instid0(VALU_DEP_1)
	v_fma_f64 v[32:33], v[37:38], v[34:35], v[32:33]
	s_and_saveexec_b32 s2, s1
	s_cbranch_execz .LBB78_55
; %bb.48:
	v_or_b32_e32 v37, 4, v0
	s_mov_b32 s7, exec_lo
	s_delay_alu instid0(VALU_DEP_1) | instskip(NEXT) | instid1(VALU_DEP_1)
	v_cmp_eq_u32_e64 s1, 1, v37
	v_cndmask_b32_e64 v34, v3, v5, s1
	v_cndmask_b32_e64 v35, v2, v4, s1
	v_cmp_eq_u32_e64 s1, 2, v37
	s_delay_alu instid0(VALU_DEP_1) | instskip(NEXT) | instid1(VALU_DEP_3)
	v_cndmask_b32_e64 v34, v34, v7, s1
	v_cndmask_b32_e64 v35, v35, v6, s1
	v_cmp_eq_u32_e64 s1, 3, v37
	s_delay_alu instid0(VALU_DEP_1) | instskip(NEXT) | instid1(VALU_DEP_3)
	;; [unrolled: 4-line block ×10, first 2 shown]
	v_cndmask_b32_e64 v38, v34, v25, s1
	v_cndmask_b32_e64 v39, v35, v24, s1
	v_cmp_eq_u32_e64 s1, 12, v37
	ds_load_b64 v[34:35], v36 offset:32
	v_cndmask_b32_e64 v38, v38, v27, s1
	v_cndmask_b32_e64 v39, v39, v26, s1
	v_cmp_eq_u32_e64 s1, 13, v37
	s_delay_alu instid0(VALU_DEP_1) | instskip(NEXT) | instid1(VALU_DEP_3)
	v_cndmask_b32_e64 v38, v38, v29, s1
	v_cndmask_b32_e64 v39, v39, v28, s1
	v_cmp_eq_u32_e64 s1, 14, v37
	s_delay_alu instid0(VALU_DEP_1) | instskip(NEXT) | instid1(VALU_DEP_3)
	v_cndmask_b32_e64 v38, v38, v31, s1
	v_cndmask_b32_e64 v37, v39, v30, s1
	s_waitcnt lgkmcnt(0)
	s_delay_alu instid0(VALU_DEP_1)
	v_fma_f64 v[32:33], v[37:38], v[34:35], v[32:33]
	v_cmpx_ne_u32_e32 3, v0
	s_cbranch_execz .LBB78_54
; %bb.49:
	v_add_nc_u32_e32 v37, 5, v0
	s_delay_alu instid0(VALU_DEP_1) | instskip(NEXT) | instid1(VALU_DEP_1)
	v_cmp_eq_u32_e64 s1, 1, v37
	v_cndmask_b32_e64 v34, v3, v5, s1
	v_cndmask_b32_e64 v35, v2, v4, s1
	v_cmp_eq_u32_e64 s1, 2, v37
	s_delay_alu instid0(VALU_DEP_1) | instskip(NEXT) | instid1(VALU_DEP_3)
	v_cndmask_b32_e64 v34, v34, v7, s1
	v_cndmask_b32_e64 v35, v35, v6, s1
	v_cmp_eq_u32_e64 s1, 3, v37
	s_delay_alu instid0(VALU_DEP_1) | instskip(NEXT) | instid1(VALU_DEP_3)
	;; [unrolled: 4-line block ×10, first 2 shown]
	v_cndmask_b32_e64 v38, v34, v25, s1
	v_cndmask_b32_e64 v39, v35, v24, s1
	v_cmp_eq_u32_e64 s1, 12, v37
	ds_load_b64 v[34:35], v36 offset:40
	v_cndmask_b32_e64 v38, v38, v27, s1
	v_cndmask_b32_e64 v39, v39, v26, s1
	v_cmp_eq_u32_e64 s1, 13, v37
	s_delay_alu instid0(VALU_DEP_1) | instskip(NEXT) | instid1(VALU_DEP_3)
	v_cndmask_b32_e64 v38, v38, v29, s1
	v_cndmask_b32_e64 v39, v39, v28, s1
	v_cmp_eq_u32_e64 s1, 14, v37
	s_delay_alu instid0(VALU_DEP_1) | instskip(NEXT) | instid1(VALU_DEP_3)
	v_cndmask_b32_e64 v38, v38, v31, s1
	v_cndmask_b32_e64 v37, v39, v30, s1
	s_waitcnt lgkmcnt(0)
	s_delay_alu instid0(VALU_DEP_1)
	v_fma_f64 v[32:33], v[37:38], v[34:35], v[32:33]
	s_and_saveexec_b32 s1, vcc_lo
	s_cbranch_execz .LBB78_53
; %bb.50:
	v_or_b32_e32 v34, 6, v0
	s_delay_alu instid0(VALU_DEP_1) | instskip(SKIP_3) | instid1(VALU_DEP_3)
	v_cmp_eq_u32_e32 vcc_lo, 1, v34
	v_cndmask_b32_e32 v35, v3, v5, vcc_lo
	v_cndmask_b32_e32 v37, v2, v4, vcc_lo
	v_cmp_eq_u32_e32 vcc_lo, 2, v34
	v_cndmask_b32_e32 v35, v35, v7, vcc_lo
	s_delay_alu instid0(VALU_DEP_3) | instskip(SKIP_1) | instid1(VALU_DEP_3)
	v_cndmask_b32_e32 v37, v37, v6, vcc_lo
	v_cmp_eq_u32_e32 vcc_lo, 3, v34
	v_cndmask_b32_e32 v35, v35, v9, vcc_lo
	s_delay_alu instid0(VALU_DEP_3) | instskip(SKIP_1) | instid1(VALU_DEP_3)
	;; [unrolled: 4-line block ×5, first 2 shown]
	v_cndmask_b32_e32 v37, v37, v14, vcc_lo
	v_cmp_eq_u32_e32 vcc_lo, 7, v34
	v_cndmask_b32_e32 v35, v35, v17, vcc_lo
	s_delay_alu instid0(VALU_DEP_3) | instskip(SKIP_1) | instid1(VALU_DEP_2)
	v_cndmask_b32_e32 v37, v37, v16, vcc_lo
	v_cmp_eq_u32_e32 vcc_lo, 8, v34
	v_dual_cndmask_b32 v19, v35, v19 :: v_dual_cndmask_b32 v18, v37, v18
	v_cmp_eq_u32_e32 vcc_lo, 9, v34
	s_delay_alu instid0(VALU_DEP_2) | instskip(SKIP_1) | instid1(VALU_DEP_2)
	v_dual_cndmask_b32 v19, v19, v21 :: v_dual_cndmask_b32 v18, v18, v20
	v_cmp_eq_u32_e32 vcc_lo, 10, v34
	v_dual_cndmask_b32 v19, v19, v23 :: v_dual_cndmask_b32 v18, v18, v22
	v_cmp_eq_u32_e32 vcc_lo, 11, v34
	s_delay_alu instid0(VALU_DEP_2) | instskip(NEXT) | instid1(VALU_DEP_3)
	v_cndmask_b32_e32 v35, v19, v25, vcc_lo
	v_cndmask_b32_e32 v37, v18, v24, vcc_lo
	v_cmp_eq_u32_e32 vcc_lo, 12, v34
	ds_load_b64 v[18:19], v36 offset:48
	v_cndmask_b32_e32 v35, v35, v27, vcc_lo
	v_cndmask_b32_e32 v37, v37, v26, vcc_lo
	v_cmp_eq_u32_e32 vcc_lo, 13, v34
	s_delay_alu instid0(VALU_DEP_3) | instskip(NEXT) | instid1(VALU_DEP_3)
	v_cndmask_b32_e32 v35, v35, v29, vcc_lo
	v_cndmask_b32_e32 v37, v37, v28, vcc_lo
	v_cmp_eq_u32_e32 vcc_lo, 14, v34
	s_delay_alu instid0(VALU_DEP_2) | instskip(SKIP_1) | instid1(VALU_DEP_1)
	v_dual_cndmask_b32 v34, v37, v30 :: v_dual_cndmask_b32 v35, v35, v31
	s_waitcnt lgkmcnt(0)
	v_fma_f64 v[32:33], v[34:35], v[18:19], v[32:33]
	s_and_saveexec_b32 s8, s0
	s_cbranch_execz .LBB78_52
; %bb.51:
	ds_load_b64 v[18:19], v36 offset:56
	s_waitcnt lgkmcnt(0)
	v_fma_f64 v[32:33], v[16:17], v[18:19], v[32:33]
.LBB78_52:
	s_or_b32 exec_lo, exec_lo, s8
.LBB78_53:
	s_delay_alu instid0(SALU_CYCLE_1)
	s_or_b32 exec_lo, exec_lo, s1
.LBB78_54:
	s_delay_alu instid0(SALU_CYCLE_1)
	s_or_b32 exec_lo, exec_lo, s7
.LBB78_55:
	s_delay_alu instid0(SALU_CYCLE_1)
	s_or_b32 exec_lo, exec_lo, s2
.LBB78_56:
	s_delay_alu instid0(SALU_CYCLE_1)
	s_or_b32 exec_lo, exec_lo, s6
.LBB78_57:
	s_delay_alu instid0(SALU_CYCLE_1)
	s_or_b32 exec_lo, exec_lo, s3
.LBB78_58:
	s_delay_alu instid0(SALU_CYCLE_1)
	s_or_b32 exec_lo, exec_lo, s5
	v_mov_b32_e32 v18, 0
	ds_load_b64 v[18:19], v18 offset:64
	s_waitcnt lgkmcnt(0)
	v_mul_f64 v[18:19], v[32:33], v[18:19]
.LBB78_59:
	s_or_b32 exec_lo, exec_lo, s4
	s_delay_alu instid0(SALU_CYCLE_1)
	s_mov_b32 s1, exec_lo
	s_barrier
	buffer_gl0_inv
	ds_store_b64 v36, v[20:21]
	s_waitcnt lgkmcnt(0)
	s_barrier
	buffer_gl0_inv
	v_cmpx_gt_u32_e32 9, v0
	s_cbranch_execz .LBB78_63
; %bb.60:
	v_dual_mov_b32 v32, 0 :: v_dual_mov_b32 v35, v1
	v_lshl_add_u32 v37, v0, 3, 0x80
	v_dual_mov_b32 v33, 0 :: v_dual_mov_b32 v34, v0
	s_mov_b32 s2, 0
.LBB78_61:                              ; =>This Inner Loop Header: Depth=1
	s_delay_alu instid0(VALU_DEP_1) | instskip(SKIP_3) | instid1(VALU_DEP_2)
	v_cmp_eq_u32_e32 vcc_lo, 1, v34
	v_cmp_eq_u32_e64 s0, 2, v34
	v_dual_cndmask_b32 v38, v3, v5 :: v_dual_cndmask_b32 v39, v2, v4
	v_cmp_eq_u32_e32 vcc_lo, 3, v34
	v_cndmask_b32_e64 v38, v38, v7, s0
	s_delay_alu instid0(VALU_DEP_3) | instskip(SKIP_1) | instid1(VALU_DEP_2)
	v_cndmask_b32_e64 v39, v39, v6, s0
	v_cmp_eq_u32_e64 s0, 4, v34
	v_dual_cndmask_b32 v38, v38, v9 :: v_dual_cndmask_b32 v39, v39, v8
	v_cmp_eq_u32_e32 vcc_lo, 5, v34
	s_delay_alu instid0(VALU_DEP_2) | instskip(NEXT) | instid1(VALU_DEP_3)
	v_cndmask_b32_e64 v38, v38, v11, s0
	v_cndmask_b32_e64 v39, v39, v10, s0
	v_cmp_eq_u32_e64 s0, 6, v34
	s_delay_alu instid0(VALU_DEP_2) | instskip(SKIP_1) | instid1(VALU_DEP_2)
	v_dual_cndmask_b32 v38, v38, v13 :: v_dual_cndmask_b32 v39, v39, v12
	v_cmp_eq_u32_e32 vcc_lo, 7, v34
	v_cndmask_b32_e64 v38, v38, v15, s0
	s_delay_alu instid0(VALU_DEP_3) | instskip(SKIP_1) | instid1(VALU_DEP_2)
	v_cndmask_b32_e64 v39, v39, v14, s0
	v_cmp_eq_u32_e64 s0, 8, v34
	v_dual_cndmask_b32 v38, v38, v17 :: v_dual_cndmask_b32 v39, v39, v16
	v_cmp_eq_u32_e32 vcc_lo, 9, v34
	s_delay_alu instid0(VALU_DEP_2) | instskip(NEXT) | instid1(VALU_DEP_3)
	v_cndmask_b32_e64 v38, v38, v19, s0
	v_cndmask_b32_e64 v39, v39, v18, s0
	v_cmp_eq_u32_e64 s0, 10, v34
	s_delay_alu instid0(VALU_DEP_2) | instskip(SKIP_1) | instid1(VALU_DEP_2)
	v_dual_cndmask_b32 v38, v38, v21 :: v_dual_cndmask_b32 v39, v39, v20
	v_cmp_eq_u32_e32 vcc_lo, 11, v34
	v_cndmask_b32_e64 v40, v38, v23, s0
	s_delay_alu instid0(VALU_DEP_3)
	v_cndmask_b32_e64 v41, v39, v22, s0
	ds_load_b64 v[38:39], v37
	v_cmp_eq_u32_e64 s0, 12, v34
	v_add_nc_u32_e32 v37, 8, v37
	v_dual_cndmask_b32 v40, v40, v25 :: v_dual_cndmask_b32 v41, v41, v24
	v_cmp_eq_u32_e32 vcc_lo, 13, v34
	s_delay_alu instid0(VALU_DEP_2) | instskip(NEXT) | instid1(VALU_DEP_3)
	v_cndmask_b32_e64 v40, v40, v27, s0
	v_cndmask_b32_e64 v41, v41, v26, s0
	v_cmp_eq_u32_e64 s0, 14, v34
	s_delay_alu instid0(VALU_DEP_3) | instskip(NEXT) | instid1(VALU_DEP_3)
	v_cndmask_b32_e32 v40, v40, v29, vcc_lo
	v_cndmask_b32_e32 v42, v41, v28, vcc_lo
	v_add_co_u32 v34, vcc_lo, v34, 1
	v_add_co_ci_u32_e32 v35, vcc_lo, 0, v35, vcc_lo
	s_delay_alu instid0(VALU_DEP_4) | instskip(NEXT) | instid1(VALU_DEP_4)
	v_cndmask_b32_e64 v41, v40, v31, s0
	v_cndmask_b32_e64 v40, v42, v30, s0
	s_waitcnt lgkmcnt(0)
	s_delay_alu instid0(VALU_DEP_1) | instskip(SKIP_1) | instid1(VALU_DEP_1)
	v_fma_f64 v[32:33], v[40:41], v[38:39], v[32:33]
	v_add_nc_u32_e32 v38, -1, v34
	v_cmp_lt_u32_e32 vcc_lo, 7, v38
	s_or_b32 s2, vcc_lo, s2
	s_delay_alu instid0(SALU_CYCLE_1)
	s_and_not1_b32 exec_lo, exec_lo, s2
	s_cbranch_execnz .LBB78_61
; %bb.62:
	s_or_b32 exec_lo, exec_lo, s2
	v_mov_b32_e32 v20, 0
	ds_load_b64 v[20:21], v20 offset:72
	s_waitcnt lgkmcnt(0)
	v_mul_f64 v[20:21], v[32:33], v[20:21]
.LBB78_63:
	s_or_b32 exec_lo, exec_lo, s1
	s_delay_alu instid0(SALU_CYCLE_1)
	s_mov_b32 s1, exec_lo
	s_barrier
	buffer_gl0_inv
	ds_store_b64 v36, v[22:23]
	s_waitcnt lgkmcnt(0)
	s_barrier
	buffer_gl0_inv
	v_cmpx_gt_u32_e32 10, v0
	s_cbranch_execz .LBB78_67
; %bb.64:
	v_dual_mov_b32 v32, 0 :: v_dual_mov_b32 v35, v1
	v_lshl_add_u32 v37, v0, 3, 0x80
	v_dual_mov_b32 v33, 0 :: v_dual_mov_b32 v34, v0
	s_mov_b32 s2, 0
.LBB78_65:                              ; =>This Inner Loop Header: Depth=1
	s_delay_alu instid0(VALU_DEP_1) | instskip(SKIP_3) | instid1(VALU_DEP_2)
	v_cmp_eq_u32_e32 vcc_lo, 1, v34
	v_cmp_eq_u32_e64 s0, 2, v34
	v_dual_cndmask_b32 v38, v3, v5 :: v_dual_cndmask_b32 v39, v2, v4
	v_cmp_eq_u32_e32 vcc_lo, 3, v34
	v_cndmask_b32_e64 v38, v38, v7, s0
	s_delay_alu instid0(VALU_DEP_3) | instskip(SKIP_1) | instid1(VALU_DEP_2)
	v_cndmask_b32_e64 v39, v39, v6, s0
	v_cmp_eq_u32_e64 s0, 4, v34
	v_dual_cndmask_b32 v38, v38, v9 :: v_dual_cndmask_b32 v39, v39, v8
	v_cmp_eq_u32_e32 vcc_lo, 5, v34
	s_delay_alu instid0(VALU_DEP_2) | instskip(NEXT) | instid1(VALU_DEP_3)
	v_cndmask_b32_e64 v38, v38, v11, s0
	v_cndmask_b32_e64 v39, v39, v10, s0
	v_cmp_eq_u32_e64 s0, 6, v34
	s_delay_alu instid0(VALU_DEP_2) | instskip(SKIP_1) | instid1(VALU_DEP_2)
	v_dual_cndmask_b32 v38, v38, v13 :: v_dual_cndmask_b32 v39, v39, v12
	v_cmp_eq_u32_e32 vcc_lo, 7, v34
	v_cndmask_b32_e64 v38, v38, v15, s0
	s_delay_alu instid0(VALU_DEP_3) | instskip(SKIP_1) | instid1(VALU_DEP_2)
	v_cndmask_b32_e64 v39, v39, v14, s0
	v_cmp_eq_u32_e64 s0, 8, v34
	v_dual_cndmask_b32 v38, v38, v17 :: v_dual_cndmask_b32 v39, v39, v16
	v_cmp_eq_u32_e32 vcc_lo, 9, v34
	s_delay_alu instid0(VALU_DEP_2) | instskip(NEXT) | instid1(VALU_DEP_3)
	v_cndmask_b32_e64 v38, v38, v19, s0
	v_cndmask_b32_e64 v39, v39, v18, s0
	v_cmp_eq_u32_e64 s0, 10, v34
	s_delay_alu instid0(VALU_DEP_2) | instskip(SKIP_1) | instid1(VALU_DEP_2)
	v_dual_cndmask_b32 v38, v38, v21 :: v_dual_cndmask_b32 v39, v39, v20
	v_cmp_eq_u32_e32 vcc_lo, 11, v34
	v_cndmask_b32_e64 v40, v38, v23, s0
	s_delay_alu instid0(VALU_DEP_3)
	v_cndmask_b32_e64 v41, v39, v22, s0
	ds_load_b64 v[38:39], v37
	v_cmp_eq_u32_e64 s0, 12, v34
	v_add_nc_u32_e32 v37, 8, v37
	v_dual_cndmask_b32 v40, v40, v25 :: v_dual_cndmask_b32 v41, v41, v24
	v_cmp_eq_u32_e32 vcc_lo, 13, v34
	s_delay_alu instid0(VALU_DEP_2) | instskip(NEXT) | instid1(VALU_DEP_3)
	v_cndmask_b32_e64 v40, v40, v27, s0
	v_cndmask_b32_e64 v41, v41, v26, s0
	v_cmp_eq_u32_e64 s0, 14, v34
	s_delay_alu instid0(VALU_DEP_3) | instskip(NEXT) | instid1(VALU_DEP_3)
	v_cndmask_b32_e32 v40, v40, v29, vcc_lo
	v_cndmask_b32_e32 v42, v41, v28, vcc_lo
	v_add_co_u32 v34, vcc_lo, v34, 1
	v_add_co_ci_u32_e32 v35, vcc_lo, 0, v35, vcc_lo
	s_delay_alu instid0(VALU_DEP_4) | instskip(NEXT) | instid1(VALU_DEP_4)
	v_cndmask_b32_e64 v41, v40, v31, s0
	v_cndmask_b32_e64 v40, v42, v30, s0
	s_waitcnt lgkmcnt(0)
	s_delay_alu instid0(VALU_DEP_1) | instskip(SKIP_1) | instid1(VALU_DEP_1)
	v_fma_f64 v[32:33], v[40:41], v[38:39], v[32:33]
	v_add_nc_u32_e32 v38, -1, v34
	v_cmp_lt_u32_e32 vcc_lo, 8, v38
	s_or_b32 s2, vcc_lo, s2
	s_delay_alu instid0(SALU_CYCLE_1)
	s_and_not1_b32 exec_lo, exec_lo, s2
	s_cbranch_execnz .LBB78_65
; %bb.66:
	s_or_b32 exec_lo, exec_lo, s2
	v_mov_b32_e32 v22, 0
	ds_load_b64 v[22:23], v22 offset:80
	s_waitcnt lgkmcnt(0)
	v_mul_f64 v[22:23], v[32:33], v[22:23]
.LBB78_67:
	s_or_b32 exec_lo, exec_lo, s1
	s_delay_alu instid0(SALU_CYCLE_1)
	s_mov_b32 s1, exec_lo
	s_barrier
	buffer_gl0_inv
	ds_store_b64 v36, v[24:25]
	s_waitcnt lgkmcnt(0)
	s_barrier
	buffer_gl0_inv
	v_cmpx_gt_u32_e32 11, v0
	s_cbranch_execz .LBB78_71
; %bb.68:
	v_dual_mov_b32 v32, 0 :: v_dual_mov_b32 v35, v1
	v_lshl_add_u32 v37, v0, 3, 0x80
	v_dual_mov_b32 v33, 0 :: v_dual_mov_b32 v34, v0
	s_mov_b32 s2, 0
.LBB78_69:                              ; =>This Inner Loop Header: Depth=1
	s_delay_alu instid0(VALU_DEP_1) | instskip(SKIP_3) | instid1(VALU_DEP_2)
	v_cmp_eq_u32_e32 vcc_lo, 1, v34
	v_cmp_eq_u32_e64 s0, 2, v34
	v_dual_cndmask_b32 v38, v3, v5 :: v_dual_cndmask_b32 v39, v2, v4
	v_cmp_eq_u32_e32 vcc_lo, 3, v34
	v_cndmask_b32_e64 v38, v38, v7, s0
	s_delay_alu instid0(VALU_DEP_3) | instskip(SKIP_1) | instid1(VALU_DEP_2)
	v_cndmask_b32_e64 v39, v39, v6, s0
	v_cmp_eq_u32_e64 s0, 4, v34
	v_dual_cndmask_b32 v38, v38, v9 :: v_dual_cndmask_b32 v39, v39, v8
	v_cmp_eq_u32_e32 vcc_lo, 5, v34
	s_delay_alu instid0(VALU_DEP_2) | instskip(NEXT) | instid1(VALU_DEP_3)
	v_cndmask_b32_e64 v38, v38, v11, s0
	v_cndmask_b32_e64 v39, v39, v10, s0
	v_cmp_eq_u32_e64 s0, 6, v34
	s_delay_alu instid0(VALU_DEP_2) | instskip(SKIP_1) | instid1(VALU_DEP_2)
	v_dual_cndmask_b32 v38, v38, v13 :: v_dual_cndmask_b32 v39, v39, v12
	v_cmp_eq_u32_e32 vcc_lo, 7, v34
	v_cndmask_b32_e64 v38, v38, v15, s0
	s_delay_alu instid0(VALU_DEP_3) | instskip(SKIP_1) | instid1(VALU_DEP_2)
	v_cndmask_b32_e64 v39, v39, v14, s0
	v_cmp_eq_u32_e64 s0, 8, v34
	v_dual_cndmask_b32 v38, v38, v17 :: v_dual_cndmask_b32 v39, v39, v16
	v_cmp_eq_u32_e32 vcc_lo, 9, v34
	s_delay_alu instid0(VALU_DEP_2) | instskip(NEXT) | instid1(VALU_DEP_3)
	v_cndmask_b32_e64 v38, v38, v19, s0
	v_cndmask_b32_e64 v39, v39, v18, s0
	v_cmp_eq_u32_e64 s0, 10, v34
	s_delay_alu instid0(VALU_DEP_2) | instskip(SKIP_1) | instid1(VALU_DEP_2)
	v_dual_cndmask_b32 v38, v38, v21 :: v_dual_cndmask_b32 v39, v39, v20
	v_cmp_eq_u32_e32 vcc_lo, 11, v34
	v_cndmask_b32_e64 v40, v38, v23, s0
	s_delay_alu instid0(VALU_DEP_3)
	v_cndmask_b32_e64 v41, v39, v22, s0
	ds_load_b64 v[38:39], v37
	v_cmp_eq_u32_e64 s0, 12, v34
	v_add_nc_u32_e32 v37, 8, v37
	v_dual_cndmask_b32 v40, v40, v25 :: v_dual_cndmask_b32 v41, v41, v24
	v_cmp_eq_u32_e32 vcc_lo, 13, v34
	s_delay_alu instid0(VALU_DEP_2) | instskip(NEXT) | instid1(VALU_DEP_3)
	v_cndmask_b32_e64 v40, v40, v27, s0
	v_cndmask_b32_e64 v41, v41, v26, s0
	v_cmp_eq_u32_e64 s0, 14, v34
	s_delay_alu instid0(VALU_DEP_3) | instskip(NEXT) | instid1(VALU_DEP_3)
	v_cndmask_b32_e32 v40, v40, v29, vcc_lo
	v_cndmask_b32_e32 v42, v41, v28, vcc_lo
	v_add_co_u32 v34, vcc_lo, v34, 1
	v_add_co_ci_u32_e32 v35, vcc_lo, 0, v35, vcc_lo
	s_delay_alu instid0(VALU_DEP_4) | instskip(NEXT) | instid1(VALU_DEP_4)
	v_cndmask_b32_e64 v41, v40, v31, s0
	v_cndmask_b32_e64 v40, v42, v30, s0
	s_waitcnt lgkmcnt(0)
	s_delay_alu instid0(VALU_DEP_1) | instskip(SKIP_1) | instid1(VALU_DEP_1)
	v_fma_f64 v[32:33], v[40:41], v[38:39], v[32:33]
	v_add_nc_u32_e32 v38, -1, v34
	v_cmp_lt_u32_e32 vcc_lo, 9, v38
	s_or_b32 s2, vcc_lo, s2
	s_delay_alu instid0(SALU_CYCLE_1)
	s_and_not1_b32 exec_lo, exec_lo, s2
	s_cbranch_execnz .LBB78_69
; %bb.70:
	s_or_b32 exec_lo, exec_lo, s2
	v_mov_b32_e32 v24, 0
	ds_load_b64 v[24:25], v24 offset:88
	s_waitcnt lgkmcnt(0)
	v_mul_f64 v[24:25], v[32:33], v[24:25]
.LBB78_71:
	s_or_b32 exec_lo, exec_lo, s1
	s_delay_alu instid0(SALU_CYCLE_1)
	s_mov_b32 s1, exec_lo
	s_barrier
	buffer_gl0_inv
	ds_store_b64 v36, v[26:27]
	s_waitcnt lgkmcnt(0)
	s_barrier
	buffer_gl0_inv
	v_cmpx_gt_u32_e32 12, v0
	s_cbranch_execz .LBB78_75
; %bb.72:
	v_dual_mov_b32 v32, 0 :: v_dual_mov_b32 v35, v1
	v_lshl_add_u32 v37, v0, 3, 0x80
	v_dual_mov_b32 v33, 0 :: v_dual_mov_b32 v34, v0
	s_mov_b32 s2, 0
.LBB78_73:                              ; =>This Inner Loop Header: Depth=1
	s_delay_alu instid0(VALU_DEP_1) | instskip(SKIP_3) | instid1(VALU_DEP_2)
	v_cmp_eq_u32_e32 vcc_lo, 1, v34
	v_cmp_eq_u32_e64 s0, 2, v34
	v_dual_cndmask_b32 v38, v3, v5 :: v_dual_cndmask_b32 v39, v2, v4
	v_cmp_eq_u32_e32 vcc_lo, 3, v34
	v_cndmask_b32_e64 v38, v38, v7, s0
	s_delay_alu instid0(VALU_DEP_3) | instskip(SKIP_1) | instid1(VALU_DEP_2)
	v_cndmask_b32_e64 v39, v39, v6, s0
	v_cmp_eq_u32_e64 s0, 4, v34
	v_dual_cndmask_b32 v38, v38, v9 :: v_dual_cndmask_b32 v39, v39, v8
	v_cmp_eq_u32_e32 vcc_lo, 5, v34
	s_delay_alu instid0(VALU_DEP_2) | instskip(NEXT) | instid1(VALU_DEP_3)
	v_cndmask_b32_e64 v38, v38, v11, s0
	v_cndmask_b32_e64 v39, v39, v10, s0
	v_cmp_eq_u32_e64 s0, 6, v34
	s_delay_alu instid0(VALU_DEP_2) | instskip(SKIP_1) | instid1(VALU_DEP_2)
	v_dual_cndmask_b32 v38, v38, v13 :: v_dual_cndmask_b32 v39, v39, v12
	v_cmp_eq_u32_e32 vcc_lo, 7, v34
	v_cndmask_b32_e64 v38, v38, v15, s0
	s_delay_alu instid0(VALU_DEP_3) | instskip(SKIP_1) | instid1(VALU_DEP_2)
	v_cndmask_b32_e64 v39, v39, v14, s0
	v_cmp_eq_u32_e64 s0, 8, v34
	v_dual_cndmask_b32 v38, v38, v17 :: v_dual_cndmask_b32 v39, v39, v16
	v_cmp_eq_u32_e32 vcc_lo, 9, v34
	s_delay_alu instid0(VALU_DEP_2) | instskip(NEXT) | instid1(VALU_DEP_3)
	v_cndmask_b32_e64 v38, v38, v19, s0
	v_cndmask_b32_e64 v39, v39, v18, s0
	v_cmp_eq_u32_e64 s0, 10, v34
	s_delay_alu instid0(VALU_DEP_2) | instskip(SKIP_1) | instid1(VALU_DEP_2)
	v_dual_cndmask_b32 v38, v38, v21 :: v_dual_cndmask_b32 v39, v39, v20
	v_cmp_eq_u32_e32 vcc_lo, 11, v34
	v_cndmask_b32_e64 v40, v38, v23, s0
	s_delay_alu instid0(VALU_DEP_3)
	v_cndmask_b32_e64 v41, v39, v22, s0
	ds_load_b64 v[38:39], v37
	v_cmp_eq_u32_e64 s0, 12, v34
	v_add_nc_u32_e32 v37, 8, v37
	v_dual_cndmask_b32 v40, v40, v25 :: v_dual_cndmask_b32 v41, v41, v24
	v_cmp_eq_u32_e32 vcc_lo, 13, v34
	s_delay_alu instid0(VALU_DEP_2) | instskip(NEXT) | instid1(VALU_DEP_3)
	v_cndmask_b32_e64 v40, v40, v27, s0
	v_cndmask_b32_e64 v41, v41, v26, s0
	v_cmp_eq_u32_e64 s0, 14, v34
	s_delay_alu instid0(VALU_DEP_3) | instskip(NEXT) | instid1(VALU_DEP_3)
	v_cndmask_b32_e32 v40, v40, v29, vcc_lo
	v_cndmask_b32_e32 v42, v41, v28, vcc_lo
	v_add_co_u32 v34, vcc_lo, v34, 1
	v_add_co_ci_u32_e32 v35, vcc_lo, 0, v35, vcc_lo
	s_delay_alu instid0(VALU_DEP_4) | instskip(NEXT) | instid1(VALU_DEP_4)
	v_cndmask_b32_e64 v41, v40, v31, s0
	v_cndmask_b32_e64 v40, v42, v30, s0
	s_waitcnt lgkmcnt(0)
	s_delay_alu instid0(VALU_DEP_1) | instskip(SKIP_1) | instid1(VALU_DEP_1)
	v_fma_f64 v[32:33], v[40:41], v[38:39], v[32:33]
	v_add_nc_u32_e32 v38, -1, v34
	v_cmp_lt_u32_e32 vcc_lo, 10, v38
	s_or_b32 s2, vcc_lo, s2
	s_delay_alu instid0(SALU_CYCLE_1)
	s_and_not1_b32 exec_lo, exec_lo, s2
	s_cbranch_execnz .LBB78_73
; %bb.74:
	s_or_b32 exec_lo, exec_lo, s2
	v_mov_b32_e32 v26, 0
	ds_load_b64 v[26:27], v26 offset:96
	s_waitcnt lgkmcnt(0)
	v_mul_f64 v[26:27], v[32:33], v[26:27]
.LBB78_75:
	s_or_b32 exec_lo, exec_lo, s1
	s_delay_alu instid0(SALU_CYCLE_1)
	s_mov_b32 s1, exec_lo
	s_barrier
	buffer_gl0_inv
	ds_store_b64 v36, v[28:29]
	s_waitcnt lgkmcnt(0)
	s_barrier
	buffer_gl0_inv
	v_cmpx_gt_u32_e32 13, v0
	s_cbranch_execz .LBB78_79
; %bb.76:
	v_dual_mov_b32 v32, 0 :: v_dual_mov_b32 v35, v1
	v_lshl_add_u32 v37, v0, 3, 0x80
	v_dual_mov_b32 v33, 0 :: v_dual_mov_b32 v34, v0
	s_mov_b32 s2, 0
.LBB78_77:                              ; =>This Inner Loop Header: Depth=1
	s_delay_alu instid0(VALU_DEP_1) | instskip(SKIP_3) | instid1(VALU_DEP_2)
	v_cmp_eq_u32_e32 vcc_lo, 1, v34
	v_cmp_eq_u32_e64 s0, 2, v34
	v_dual_cndmask_b32 v38, v3, v5 :: v_dual_cndmask_b32 v39, v2, v4
	v_cmp_eq_u32_e32 vcc_lo, 3, v34
	v_cndmask_b32_e64 v38, v38, v7, s0
	s_delay_alu instid0(VALU_DEP_3) | instskip(SKIP_1) | instid1(VALU_DEP_2)
	v_cndmask_b32_e64 v39, v39, v6, s0
	v_cmp_eq_u32_e64 s0, 4, v34
	v_dual_cndmask_b32 v38, v38, v9 :: v_dual_cndmask_b32 v39, v39, v8
	v_cmp_eq_u32_e32 vcc_lo, 5, v34
	s_delay_alu instid0(VALU_DEP_2) | instskip(NEXT) | instid1(VALU_DEP_3)
	v_cndmask_b32_e64 v38, v38, v11, s0
	v_cndmask_b32_e64 v39, v39, v10, s0
	v_cmp_eq_u32_e64 s0, 6, v34
	s_delay_alu instid0(VALU_DEP_2) | instskip(SKIP_1) | instid1(VALU_DEP_2)
	v_dual_cndmask_b32 v38, v38, v13 :: v_dual_cndmask_b32 v39, v39, v12
	v_cmp_eq_u32_e32 vcc_lo, 7, v34
	v_cndmask_b32_e64 v38, v38, v15, s0
	s_delay_alu instid0(VALU_DEP_3) | instskip(SKIP_1) | instid1(VALU_DEP_2)
	v_cndmask_b32_e64 v39, v39, v14, s0
	v_cmp_eq_u32_e64 s0, 8, v34
	v_dual_cndmask_b32 v38, v38, v17 :: v_dual_cndmask_b32 v39, v39, v16
	v_cmp_eq_u32_e32 vcc_lo, 9, v34
	s_delay_alu instid0(VALU_DEP_2) | instskip(NEXT) | instid1(VALU_DEP_3)
	v_cndmask_b32_e64 v38, v38, v19, s0
	v_cndmask_b32_e64 v39, v39, v18, s0
	v_cmp_eq_u32_e64 s0, 10, v34
	s_delay_alu instid0(VALU_DEP_2) | instskip(SKIP_1) | instid1(VALU_DEP_2)
	v_dual_cndmask_b32 v38, v38, v21 :: v_dual_cndmask_b32 v39, v39, v20
	v_cmp_eq_u32_e32 vcc_lo, 11, v34
	v_cndmask_b32_e64 v40, v38, v23, s0
	s_delay_alu instid0(VALU_DEP_3)
	v_cndmask_b32_e64 v41, v39, v22, s0
	ds_load_b64 v[38:39], v37
	v_cmp_eq_u32_e64 s0, 12, v34
	v_add_nc_u32_e32 v37, 8, v37
	v_dual_cndmask_b32 v40, v40, v25 :: v_dual_cndmask_b32 v41, v41, v24
	v_cmp_eq_u32_e32 vcc_lo, 13, v34
	s_delay_alu instid0(VALU_DEP_2) | instskip(NEXT) | instid1(VALU_DEP_3)
	v_cndmask_b32_e64 v40, v40, v27, s0
	v_cndmask_b32_e64 v41, v41, v26, s0
	v_cmp_eq_u32_e64 s0, 14, v34
	s_delay_alu instid0(VALU_DEP_3) | instskip(NEXT) | instid1(VALU_DEP_3)
	v_cndmask_b32_e32 v40, v40, v29, vcc_lo
	v_cndmask_b32_e32 v42, v41, v28, vcc_lo
	v_add_co_u32 v34, vcc_lo, v34, 1
	v_add_co_ci_u32_e32 v35, vcc_lo, 0, v35, vcc_lo
	s_delay_alu instid0(VALU_DEP_4) | instskip(NEXT) | instid1(VALU_DEP_4)
	v_cndmask_b32_e64 v41, v40, v31, s0
	v_cndmask_b32_e64 v40, v42, v30, s0
	s_waitcnt lgkmcnt(0)
	s_delay_alu instid0(VALU_DEP_1) | instskip(SKIP_1) | instid1(VALU_DEP_1)
	v_fma_f64 v[32:33], v[40:41], v[38:39], v[32:33]
	v_add_nc_u32_e32 v38, -1, v34
	v_cmp_lt_u32_e32 vcc_lo, 11, v38
	s_or_b32 s2, vcc_lo, s2
	s_delay_alu instid0(SALU_CYCLE_1)
	s_and_not1_b32 exec_lo, exec_lo, s2
	s_cbranch_execnz .LBB78_77
; %bb.78:
	s_or_b32 exec_lo, exec_lo, s2
	v_mov_b32_e32 v28, 0
	ds_load_b64 v[28:29], v28 offset:104
	s_waitcnt lgkmcnt(0)
	v_mul_f64 v[28:29], v[32:33], v[28:29]
.LBB78_79:
	s_or_b32 exec_lo, exec_lo, s1
	s_delay_alu instid0(SALU_CYCLE_1)
	s_mov_b32 s1, exec_lo
	s_barrier
	buffer_gl0_inv
	ds_store_b64 v36, v[30:31]
	s_waitcnt lgkmcnt(0)
	s_barrier
	buffer_gl0_inv
	v_cmpx_ne_u32_e32 14, v0
	s_cbranch_execz .LBB78_83
; %bb.80:
	v_dual_mov_b32 v32, 0 :: v_dual_mov_b32 v35, v1
	v_lshl_add_u32 v36, v0, 3, 0x80
	v_dual_mov_b32 v33, 0 :: v_dual_mov_b32 v34, v0
	s_mov_b32 s2, 0
.LBB78_81:                              ; =>This Inner Loop Header: Depth=1
	s_delay_alu instid0(VALU_DEP_1) | instskip(SKIP_4) | instid1(VALU_DEP_3)
	v_cmp_eq_u32_e32 vcc_lo, 1, v34
	v_cmp_eq_u32_e64 s0, 2, v34
	v_cndmask_b32_e32 v1, v3, v5, vcc_lo
	v_cndmask_b32_e32 v37, v2, v4, vcc_lo
	v_cmp_eq_u32_e32 vcc_lo, 3, v34
	v_cndmask_b32_e64 v1, v1, v7, s0
	s_delay_alu instid0(VALU_DEP_3) | instskip(SKIP_1) | instid1(VALU_DEP_3)
	v_cndmask_b32_e64 v37, v37, v6, s0
	v_cmp_eq_u32_e64 s0, 4, v34
	v_cndmask_b32_e32 v1, v1, v9, vcc_lo
	s_delay_alu instid0(VALU_DEP_3) | instskip(SKIP_1) | instid1(VALU_DEP_3)
	v_cndmask_b32_e32 v37, v37, v8, vcc_lo
	v_cmp_eq_u32_e32 vcc_lo, 5, v34
	v_cndmask_b32_e64 v1, v1, v11, s0
	s_delay_alu instid0(VALU_DEP_3) | instskip(SKIP_1) | instid1(VALU_DEP_3)
	v_cndmask_b32_e64 v37, v37, v10, s0
	v_cmp_eq_u32_e64 s0, 6, v34
	v_cndmask_b32_e32 v1, v1, v13, vcc_lo
	s_delay_alu instid0(VALU_DEP_3) | instskip(SKIP_1) | instid1(VALU_DEP_3)
	;; [unrolled: 8-line block ×4, first 2 shown]
	v_cndmask_b32_e32 v37, v37, v20, vcc_lo
	v_cmp_eq_u32_e32 vcc_lo, 11, v34
	v_cndmask_b32_e64 v1, v1, v23, s0
	s_delay_alu instid0(VALU_DEP_3)
	v_cndmask_b32_e64 v39, v37, v22, s0
	ds_load_b64 v[37:38], v36
	v_add_nc_u32_e32 v36, 8, v36
	v_cmp_eq_u32_e64 s0, 12, v34
	v_cndmask_b32_e32 v1, v1, v25, vcc_lo
	v_cndmask_b32_e32 v39, v39, v24, vcc_lo
	v_cmp_eq_u32_e32 vcc_lo, 13, v34
	s_delay_alu instid0(VALU_DEP_3) | instskip(NEXT) | instid1(VALU_DEP_3)
	v_cndmask_b32_e64 v1, v1, v27, s0
	v_cndmask_b32_e64 v39, v39, v26, s0
	v_cmp_eq_u32_e64 s0, 14, v34
	s_delay_alu instid0(VALU_DEP_3) | instskip(NEXT) | instid1(VALU_DEP_3)
	v_cndmask_b32_e32 v1, v1, v29, vcc_lo
	v_cndmask_b32_e32 v39, v39, v28, vcc_lo
	v_add_co_u32 v34, vcc_lo, v34, 1
	v_add_co_ci_u32_e32 v35, vcc_lo, 0, v35, vcc_lo
	s_delay_alu instid0(VALU_DEP_4) | instskip(NEXT) | instid1(VALU_DEP_4)
	v_cndmask_b32_e64 v40, v1, v31, s0
	v_cndmask_b32_e64 v39, v39, v30, s0
	s_delay_alu instid0(VALU_DEP_4) | instskip(SKIP_1) | instid1(VALU_DEP_2)
	v_add_nc_u32_e32 v1, -1, v34
	s_waitcnt lgkmcnt(0)
	v_fma_f64 v[32:33], v[39:40], v[37:38], v[32:33]
	s_delay_alu instid0(VALU_DEP_2) | instskip(SKIP_1) | instid1(SALU_CYCLE_1)
	v_cmp_lt_u32_e32 vcc_lo, 12, v1
	s_or_b32 s2, vcc_lo, s2
	s_and_not1_b32 exec_lo, exec_lo, s2
	s_cbranch_execnz .LBB78_81
; %bb.82:
	s_or_b32 exec_lo, exec_lo, s2
	v_mov_b32_e32 v1, 0
	ds_load_b64 v[30:31], v1 offset:112
	s_waitcnt lgkmcnt(0)
	v_mul_f64 v[30:31], v[32:33], v[30:31]
.LBB78_83:
	s_or_b32 exec_lo, exec_lo, s1
	s_barrier
	buffer_gl0_inv
	s_cbranch_execnz .LBB78_15
	s_branch .LBB78_16
.LBB78_84:
	v_lshl_add_u32 v1, v0, 3, 0x80
	s_mov_b32 s0, exec_lo
	v_cmpx_eq_u32_e32 14, v0
	s_cbranch_execz .LBB78_86
; %bb.85:
	v_dual_mov_b32 v58, 0 :: v_dual_mov_b32 v33, v3
	v_dual_mov_b32 v32, v2 :: v_dual_mov_b32 v35, v5
	;; [unrolled: 1-line block ×14, first 2 shown]
	v_mov_b32_e32 v59, v58
	v_mov_b32_e32 v60, v30
	ds_store_b64 v1, v[28:29]
	v_mov_b32_e32 v2, v32
	v_dual_mov_b32 v3, v33 :: v_dual_mov_b32 v4, v34
	v_dual_mov_b32 v5, v35 :: v_dual_mov_b32 v6, v36
	;; [unrolled: 1-line block ×15, first 2 shown]
	v_mov_b32_e32 v33, v63
.LBB78_86:
	s_or_b32 exec_lo, exec_lo, s0
	v_mov_b32_e32 v56, 0
	s_waitcnt lgkmcnt(0)
	s_waitcnt_vscnt null, 0x0
	s_barrier
	buffer_gl0_inv
	s_mov_b32 s0, exec_lo
	ds_load_b64 v[32:33], v56 offset:240
	s_waitcnt lgkmcnt(0)
	v_fma_f64 v[32:33], v[30:31], v[32:33], 0
	s_delay_alu instid0(VALU_DEP_1)
	v_add_f64 v[28:29], v[28:29], -v[32:33]
	v_cmpx_lt_u32_e32 12, v0
	s_cbranch_execz .LBB78_88
; %bb.87:
	v_dual_mov_b32 v32, v2 :: v_dual_mov_b32 v33, v3
	v_dual_mov_b32 v34, v4 :: v_dual_mov_b32 v35, v5
	;; [unrolled: 1-line block ×14, first 2 shown]
	v_mov_b32_e32 v61, v31
	ds_store_b64 v1, v[26:27]
	v_mov_b32_e32 v2, v32
	v_dual_mov_b32 v3, v33 :: v_dual_mov_b32 v4, v34
	v_dual_mov_b32 v5, v35 :: v_dual_mov_b32 v6, v36
	;; [unrolled: 1-line block ×15, first 2 shown]
	v_mov_b32_e32 v33, v63
.LBB78_88:
	s_or_b32 exec_lo, exec_lo, s0
	s_waitcnt lgkmcnt(0)
	s_barrier
	buffer_gl0_inv
	ds_load_2addr_b64 v[32:35], v56 offset0:29 offset1:30
	s_mov_b32 s0, exec_lo
	s_waitcnt lgkmcnt(0)
	v_fma_f64 v[32:33], v[28:29], v[32:33], 0
	s_delay_alu instid0(VALU_DEP_1) | instskip(NEXT) | instid1(VALU_DEP_1)
	v_fma_f64 v[32:33], v[30:31], v[34:35], v[32:33]
	v_add_f64 v[26:27], v[26:27], -v[32:33]
	v_cmpx_lt_u32_e32 11, v0
	s_cbranch_execz .LBB78_90
; %bb.89:
	v_dual_mov_b32 v54, 0 :: v_dual_mov_b32 v33, v3
	v_dual_mov_b32 v32, v2 :: v_dual_mov_b32 v35, v5
	;; [unrolled: 1-line block ×15, first 2 shown]
	ds_store_b64 v1, v[24:25]
	v_mov_b32_e32 v2, v32
	v_dual_mov_b32 v3, v33 :: v_dual_mov_b32 v4, v34
	v_dual_mov_b32 v5, v35 :: v_dual_mov_b32 v6, v36
	;; [unrolled: 1-line block ×15, first 2 shown]
	v_mov_b32_e32 v33, v63
.LBB78_90:
	s_or_b32 exec_lo, exec_lo, s0
	v_mov_b32_e32 v52, 0
	s_waitcnt lgkmcnt(0)
	s_barrier
	buffer_gl0_inv
	s_mov_b32 s0, exec_lo
	ds_load_b128 v[32:35], v52 offset:224
	ds_load_b64 v[36:37], v52 offset:240
	s_waitcnt lgkmcnt(1)
	v_fma_f64 v[32:33], v[26:27], v[32:33], 0
	s_delay_alu instid0(VALU_DEP_1) | instskip(SKIP_1) | instid1(VALU_DEP_1)
	v_fma_f64 v[32:33], v[28:29], v[34:35], v[32:33]
	s_waitcnt lgkmcnt(0)
	v_fma_f64 v[32:33], v[30:31], v[36:37], v[32:33]
	s_delay_alu instid0(VALU_DEP_1)
	v_add_f64 v[24:25], v[24:25], -v[32:33]
	v_cmpx_lt_u32_e32 10, v0
	s_cbranch_execz .LBB78_92
; %bb.91:
	v_dual_mov_b32 v32, v2 :: v_dual_mov_b32 v33, v3
	v_dual_mov_b32 v34, v4 :: v_dual_mov_b32 v35, v5
	;; [unrolled: 1-line block ×14, first 2 shown]
	v_mov_b32_e32 v61, v31
	ds_store_b64 v1, v[22:23]
	v_mov_b32_e32 v2, v32
	v_dual_mov_b32 v3, v33 :: v_dual_mov_b32 v4, v34
	v_dual_mov_b32 v5, v35 :: v_dual_mov_b32 v6, v36
	;; [unrolled: 1-line block ×15, first 2 shown]
	v_mov_b32_e32 v33, v63
.LBB78_92:
	s_or_b32 exec_lo, exec_lo, s0
	s_waitcnt lgkmcnt(0)
	s_barrier
	buffer_gl0_inv
	ds_load_2addr_b64 v[32:35], v52 offset0:27 offset1:28
	ds_load_2addr_b64 v[36:39], v52 offset0:29 offset1:30
	s_mov_b32 s0, exec_lo
	s_waitcnt lgkmcnt(1)
	v_fma_f64 v[32:33], v[24:25], v[32:33], 0
	s_delay_alu instid0(VALU_DEP_1) | instskip(SKIP_1) | instid1(VALU_DEP_1)
	v_fma_f64 v[32:33], v[26:27], v[34:35], v[32:33]
	s_waitcnt lgkmcnt(0)
	v_fma_f64 v[32:33], v[28:29], v[36:37], v[32:33]
	s_delay_alu instid0(VALU_DEP_1) | instskip(NEXT) | instid1(VALU_DEP_1)
	v_fma_f64 v[32:33], v[30:31], v[38:39], v[32:33]
	v_add_f64 v[22:23], v[22:23], -v[32:33]
	v_cmpx_lt_u32_e32 9, v0
	s_cbranch_execz .LBB78_94
; %bb.93:
	v_dual_mov_b32 v50, 0 :: v_dual_mov_b32 v33, v3
	v_dual_mov_b32 v32, v2 :: v_dual_mov_b32 v35, v5
	;; [unrolled: 1-line block ×15, first 2 shown]
	ds_store_b64 v1, v[20:21]
	v_mov_b32_e32 v2, v32
	v_dual_mov_b32 v3, v33 :: v_dual_mov_b32 v4, v34
	v_dual_mov_b32 v5, v35 :: v_dual_mov_b32 v6, v36
	;; [unrolled: 1-line block ×15, first 2 shown]
	v_mov_b32_e32 v33, v63
.LBB78_94:
	s_or_b32 exec_lo, exec_lo, s0
	v_mov_b32_e32 v48, 0
	s_waitcnt lgkmcnt(0)
	s_barrier
	buffer_gl0_inv
	s_mov_b32 s0, exec_lo
	ds_load_b128 v[32:35], v48 offset:208
	ds_load_b128 v[36:39], v48 offset:224
	s_waitcnt lgkmcnt(1)
	v_fma_f64 v[32:33], v[22:23], v[32:33], 0
	s_delay_alu instid0(VALU_DEP_1) | instskip(SKIP_3) | instid1(VALU_DEP_1)
	v_fma_f64 v[32:33], v[24:25], v[34:35], v[32:33]
	ds_load_b64 v[34:35], v48 offset:240
	s_waitcnt lgkmcnt(1)
	v_fma_f64 v[32:33], v[26:27], v[36:37], v[32:33]
	v_fma_f64 v[32:33], v[28:29], v[38:39], v[32:33]
	s_waitcnt lgkmcnt(0)
	s_delay_alu instid0(VALU_DEP_1) | instskip(NEXT) | instid1(VALU_DEP_1)
	v_fma_f64 v[32:33], v[30:31], v[34:35], v[32:33]
	v_add_f64 v[20:21], v[20:21], -v[32:33]
	v_cmpx_lt_u32_e32 8, v0
	s_cbranch_execz .LBB78_96
; %bb.95:
	v_dual_mov_b32 v32, v2 :: v_dual_mov_b32 v33, v3
	v_dual_mov_b32 v34, v4 :: v_dual_mov_b32 v35, v5
	;; [unrolled: 1-line block ×14, first 2 shown]
	v_mov_b32_e32 v61, v31
	ds_store_b64 v1, v[18:19]
	v_mov_b32_e32 v2, v32
	v_dual_mov_b32 v3, v33 :: v_dual_mov_b32 v4, v34
	v_dual_mov_b32 v5, v35 :: v_dual_mov_b32 v6, v36
	;; [unrolled: 1-line block ×15, first 2 shown]
	v_mov_b32_e32 v33, v63
.LBB78_96:
	s_or_b32 exec_lo, exec_lo, s0
	s_waitcnt lgkmcnt(0)
	s_barrier
	buffer_gl0_inv
	ds_load_2addr_b64 v[32:35], v48 offset0:25 offset1:26
	ds_load_2addr_b64 v[36:39], v48 offset0:27 offset1:28
	s_mov_b32 s0, exec_lo
	s_waitcnt lgkmcnt(1)
	v_fma_f64 v[32:33], v[20:21], v[32:33], 0
	s_delay_alu instid0(VALU_DEP_1) | instskip(SKIP_1) | instid1(VALU_DEP_1)
	v_fma_f64 v[32:33], v[22:23], v[34:35], v[32:33]
	s_waitcnt lgkmcnt(0)
	v_fma_f64 v[32:33], v[24:25], v[36:37], v[32:33]
	s_delay_alu instid0(VALU_DEP_1) | instskip(SKIP_3) | instid1(VALU_DEP_1)
	v_fma_f64 v[36:37], v[26:27], v[38:39], v[32:33]
	ds_load_2addr_b64 v[32:35], v48 offset0:29 offset1:30
	s_waitcnt lgkmcnt(0)
	v_fma_f64 v[32:33], v[28:29], v[32:33], v[36:37]
	v_fma_f64 v[32:33], v[30:31], v[34:35], v[32:33]
	s_delay_alu instid0(VALU_DEP_1)
	v_add_f64 v[18:19], v[18:19], -v[32:33]
	v_cmpx_lt_u32_e32 7, v0
	s_cbranch_execz .LBB78_98
; %bb.97:
	v_dual_mov_b32 v46, 0 :: v_dual_mov_b32 v33, v3
	v_dual_mov_b32 v32, v2 :: v_dual_mov_b32 v35, v5
	;; [unrolled: 1-line block ×15, first 2 shown]
	ds_store_b64 v1, v[16:17]
	v_mov_b32_e32 v2, v32
	v_dual_mov_b32 v3, v33 :: v_dual_mov_b32 v4, v34
	v_dual_mov_b32 v5, v35 :: v_dual_mov_b32 v6, v36
	;; [unrolled: 1-line block ×15, first 2 shown]
	v_mov_b32_e32 v33, v63
.LBB78_98:
	s_or_b32 exec_lo, exec_lo, s0
	v_mov_b32_e32 v44, 0
	s_waitcnt lgkmcnt(0)
	s_barrier
	buffer_gl0_inv
	s_mov_b32 s0, exec_lo
	ds_load_b128 v[32:35], v44 offset:192
	ds_load_b128 v[36:39], v44 offset:208
	s_waitcnt lgkmcnt(1)
	v_fma_f64 v[32:33], v[18:19], v[32:33], 0
	s_delay_alu instid0(VALU_DEP_1) | instskip(SKIP_1) | instid1(VALU_DEP_1)
	v_fma_f64 v[32:33], v[20:21], v[34:35], v[32:33]
	s_waitcnt lgkmcnt(0)
	v_fma_f64 v[32:33], v[22:23], v[36:37], v[32:33]
	s_delay_alu instid0(VALU_DEP_1) | instskip(SKIP_4) | instid1(VALU_DEP_1)
	v_fma_f64 v[36:37], v[24:25], v[38:39], v[32:33]
	ds_load_b128 v[32:35], v44 offset:224
	ds_load_b64 v[38:39], v44 offset:240
	s_waitcnt lgkmcnt(1)
	v_fma_f64 v[32:33], v[26:27], v[32:33], v[36:37]
	v_fma_f64 v[32:33], v[28:29], v[34:35], v[32:33]
	s_waitcnt lgkmcnt(0)
	s_delay_alu instid0(VALU_DEP_1) | instskip(NEXT) | instid1(VALU_DEP_1)
	v_fma_f64 v[32:33], v[30:31], v[38:39], v[32:33]
	v_add_f64 v[16:17], v[16:17], -v[32:33]
	v_cmpx_lt_u32_e32 6, v0
	s_cbranch_execz .LBB78_100
; %bb.99:
	v_dual_mov_b32 v32, v2 :: v_dual_mov_b32 v33, v3
	v_dual_mov_b32 v34, v4 :: v_dual_mov_b32 v35, v5
	v_dual_mov_b32 v36, v6 :: v_dual_mov_b32 v37, v7
	v_dual_mov_b32 v38, v8 :: v_dual_mov_b32 v39, v9
	v_dual_mov_b32 v40, v10 :: v_dual_mov_b32 v41, v11
	v_dual_mov_b32 v42, v12 :: v_dual_mov_b32 v43, v13
	v_dual_mov_b32 v45, v44 :: v_dual_mov_b32 v48, v18
	v_dual_mov_b32 v46, v16 :: v_dual_mov_b32 v47, v17
	v_dual_mov_b32 v49, v19 :: v_dual_mov_b32 v50, v20
	v_dual_mov_b32 v51, v21 :: v_dual_mov_b32 v52, v22
	v_dual_mov_b32 v53, v23 :: v_dual_mov_b32 v54, v24
	v_dual_mov_b32 v55, v25 :: v_dual_mov_b32 v56, v26
	v_dual_mov_b32 v57, v27 :: v_dual_mov_b32 v58, v28
	v_dual_mov_b32 v59, v29 :: v_dual_mov_b32 v60, v30
	v_dual_mov_b32 v61, v31 :: v_dual_mov_b32 v62, v14
	v_mov_b32_e32 v63, v15
	v_mov_b32_e32 v2, v32
	v_dual_mov_b32 v3, v33 :: v_dual_mov_b32 v4, v34
	v_dual_mov_b32 v5, v35 :: v_dual_mov_b32 v6, v36
	;; [unrolled: 1-line block ×15, first 2 shown]
	v_mov_b32_e32 v33, v63
	ds_store_b64 v1, v[62:63]
.LBB78_100:
	s_or_b32 exec_lo, exec_lo, s0
	s_waitcnt lgkmcnt(0)
	s_barrier
	buffer_gl0_inv
	ds_load_2addr_b64 v[32:35], v44 offset0:23 offset1:24
	ds_load_2addr_b64 v[36:39], v44 offset0:25 offset1:26
	s_mov_b32 s0, exec_lo
	s_waitcnt lgkmcnt(1)
	v_fma_f64 v[32:33], v[16:17], v[32:33], 0
	s_delay_alu instid0(VALU_DEP_1) | instskip(SKIP_1) | instid1(VALU_DEP_1)
	v_fma_f64 v[32:33], v[18:19], v[34:35], v[32:33]
	s_waitcnt lgkmcnt(0)
	v_fma_f64 v[32:33], v[20:21], v[36:37], v[32:33]
	s_delay_alu instid0(VALU_DEP_1) | instskip(SKIP_4) | instid1(VALU_DEP_1)
	v_fma_f64 v[40:41], v[22:23], v[38:39], v[32:33]
	ds_load_2addr_b64 v[32:35], v44 offset0:27 offset1:28
	ds_load_2addr_b64 v[36:39], v44 offset0:29 offset1:30
	s_waitcnt lgkmcnt(1)
	v_fma_f64 v[32:33], v[24:25], v[32:33], v[40:41]
	v_fma_f64 v[32:33], v[26:27], v[34:35], v[32:33]
	s_waitcnt lgkmcnt(0)
	s_delay_alu instid0(VALU_DEP_1) | instskip(NEXT) | instid1(VALU_DEP_1)
	v_fma_f64 v[32:33], v[28:29], v[36:37], v[32:33]
	v_fma_f64 v[32:33], v[30:31], v[38:39], v[32:33]
	s_delay_alu instid0(VALU_DEP_1)
	v_add_f64 v[14:15], v[14:15], -v[32:33]
	v_cmpx_lt_u32_e32 5, v0
	s_cbranch_execz .LBB78_102
; %bb.101:
	v_dual_mov_b32 v42, 0 :: v_dual_mov_b32 v33, v3
	v_dual_mov_b32 v32, v2 :: v_dual_mov_b32 v35, v5
	s_delay_alu instid0(VALU_DEP_4)
	v_dual_mov_b32 v45, v15 :: v_dual_mov_b32 v44, v14
	v_dual_mov_b32 v34, v4 :: v_dual_mov_b32 v37, v7
	;; [unrolled: 1-line block ×14, first 2 shown]
	v_mov_b32_e32 v2, v32
	v_dual_mov_b32 v3, v33 :: v_dual_mov_b32 v4, v34
	v_dual_mov_b32 v5, v35 :: v_dual_mov_b32 v6, v36
	;; [unrolled: 1-line block ×15, first 2 shown]
	v_mov_b32_e32 v33, v63
	ds_store_b64 v1, v[62:63]
.LBB78_102:
	s_or_b32 exec_lo, exec_lo, s0
	v_mov_b32_e32 v40, 0
	s_waitcnt lgkmcnt(0)
	s_barrier
	buffer_gl0_inv
	s_mov_b32 s0, exec_lo
	ds_load_b128 v[32:35], v40 offset:176
	ds_load_b128 v[36:39], v40 offset:192
	s_waitcnt lgkmcnt(1)
	v_fma_f64 v[32:33], v[14:15], v[32:33], 0
	s_delay_alu instid0(VALU_DEP_1) | instskip(SKIP_1) | instid1(VALU_DEP_1)
	v_fma_f64 v[32:33], v[16:17], v[34:35], v[32:33]
	s_waitcnt lgkmcnt(0)
	v_fma_f64 v[32:33], v[18:19], v[36:37], v[32:33]
	s_delay_alu instid0(VALU_DEP_1) | instskip(SKIP_4) | instid1(VALU_DEP_1)
	v_fma_f64 v[41:42], v[20:21], v[38:39], v[32:33]
	ds_load_b128 v[32:35], v40 offset:208
	ds_load_b128 v[36:39], v40 offset:224
	s_waitcnt lgkmcnt(1)
	v_fma_f64 v[32:33], v[22:23], v[32:33], v[41:42]
	v_fma_f64 v[32:33], v[24:25], v[34:35], v[32:33]
	ds_load_b64 v[34:35], v40 offset:240
	s_waitcnt lgkmcnt(1)
	v_fma_f64 v[32:33], v[26:27], v[36:37], v[32:33]
	s_delay_alu instid0(VALU_DEP_1) | instskip(SKIP_1) | instid1(VALU_DEP_1)
	v_fma_f64 v[32:33], v[28:29], v[38:39], v[32:33]
	s_waitcnt lgkmcnt(0)
	v_fma_f64 v[32:33], v[30:31], v[34:35], v[32:33]
	s_delay_alu instid0(VALU_DEP_1)
	v_add_f64 v[12:13], v[12:13], -v[32:33]
	v_cmpx_lt_u32_e32 4, v0
	s_cbranch_execz .LBB78_104
; %bb.103:
	v_dual_mov_b32 v32, v2 :: v_dual_mov_b32 v33, v3
	s_delay_alu instid0(VALU_DEP_3)
	v_dual_mov_b32 v43, v13 :: v_dual_mov_b32 v42, v12
	v_dual_mov_b32 v34, v4 :: v_dual_mov_b32 v35, v5
	;; [unrolled: 1-line block ×14, first 2 shown]
	v_mov_b32_e32 v63, v11
	v_mov_b32_e32 v2, v32
	v_dual_mov_b32 v3, v33 :: v_dual_mov_b32 v4, v34
	v_dual_mov_b32 v5, v35 :: v_dual_mov_b32 v6, v36
	;; [unrolled: 1-line block ×15, first 2 shown]
	v_mov_b32_e32 v33, v63
	ds_store_b64 v1, v[62:63]
.LBB78_104:
	s_or_b32 exec_lo, exec_lo, s0
	s_waitcnt lgkmcnt(0)
	s_barrier
	buffer_gl0_inv
	ds_load_2addr_b64 v[32:35], v40 offset0:21 offset1:22
	ds_load_2addr_b64 v[36:39], v40 offset0:23 offset1:24
	s_mov_b32 s0, exec_lo
	s_waitcnt lgkmcnt(1)
	v_fma_f64 v[32:33], v[12:13], v[32:33], 0
	s_delay_alu instid0(VALU_DEP_1) | instskip(SKIP_1) | instid1(VALU_DEP_1)
	v_fma_f64 v[32:33], v[14:15], v[34:35], v[32:33]
	s_waitcnt lgkmcnt(0)
	v_fma_f64 v[32:33], v[16:17], v[36:37], v[32:33]
	s_delay_alu instid0(VALU_DEP_1) | instskip(SKIP_4) | instid1(VALU_DEP_1)
	v_fma_f64 v[41:42], v[18:19], v[38:39], v[32:33]
	ds_load_2addr_b64 v[32:35], v40 offset0:25 offset1:26
	ds_load_2addr_b64 v[36:39], v40 offset0:27 offset1:28
	s_waitcnt lgkmcnt(1)
	v_fma_f64 v[32:33], v[20:21], v[32:33], v[41:42]
	v_fma_f64 v[32:33], v[22:23], v[34:35], v[32:33]
	s_waitcnt lgkmcnt(0)
	s_delay_alu instid0(VALU_DEP_1) | instskip(NEXT) | instid1(VALU_DEP_1)
	v_fma_f64 v[32:33], v[24:25], v[36:37], v[32:33]
	v_fma_f64 v[36:37], v[26:27], v[38:39], v[32:33]
	ds_load_2addr_b64 v[32:35], v40 offset0:29 offset1:30
	s_waitcnt lgkmcnt(0)
	v_fma_f64 v[32:33], v[28:29], v[32:33], v[36:37]
	s_delay_alu instid0(VALU_DEP_1) | instskip(NEXT) | instid1(VALU_DEP_1)
	v_fma_f64 v[32:33], v[30:31], v[34:35], v[32:33]
	v_add_f64 v[10:11], v[10:11], -v[32:33]
	v_cmpx_lt_u32_e32 3, v0
	s_cbranch_execz .LBB78_106
; %bb.105:
	v_dual_mov_b32 v38, 0 :: v_dual_mov_b32 v33, v3
	v_dual_mov_b32 v32, v2 :: v_dual_mov_b32 v35, v5
	s_delay_alu instid0(VALU_DEP_4)
	v_dual_mov_b32 v41, v11 :: v_dual_mov_b32 v40, v10
	v_dual_mov_b32 v34, v4 :: v_dual_mov_b32 v37, v7
	;; [unrolled: 1-line block ×14, first 2 shown]
	v_mov_b32_e32 v2, v32
	v_dual_mov_b32 v3, v33 :: v_dual_mov_b32 v4, v34
	v_dual_mov_b32 v5, v35 :: v_dual_mov_b32 v6, v36
	;; [unrolled: 1-line block ×15, first 2 shown]
	v_mov_b32_e32 v33, v63
	ds_store_b64 v1, v[62:63]
.LBB78_106:
	s_or_b32 exec_lo, exec_lo, s0
	v_mov_b32_e32 v36, 0
	s_waitcnt lgkmcnt(0)
	s_barrier
	buffer_gl0_inv
	s_mov_b32 s0, exec_lo
	ds_load_b128 v[32:35], v36 offset:160
	ds_load_b128 v[37:40], v36 offset:176
	s_waitcnt lgkmcnt(1)
	v_fma_f64 v[32:33], v[10:11], v[32:33], 0
	s_delay_alu instid0(VALU_DEP_1) | instskip(SKIP_1) | instid1(VALU_DEP_1)
	v_fma_f64 v[32:33], v[12:13], v[34:35], v[32:33]
	s_waitcnt lgkmcnt(0)
	v_fma_f64 v[32:33], v[14:15], v[37:38], v[32:33]
	s_delay_alu instid0(VALU_DEP_1) | instskip(SKIP_4) | instid1(VALU_DEP_1)
	v_fma_f64 v[41:42], v[16:17], v[39:40], v[32:33]
	ds_load_b128 v[32:35], v36 offset:192
	ds_load_b128 v[37:40], v36 offset:208
	s_waitcnt lgkmcnt(1)
	v_fma_f64 v[32:33], v[18:19], v[32:33], v[41:42]
	v_fma_f64 v[32:33], v[20:21], v[34:35], v[32:33]
	s_waitcnt lgkmcnt(0)
	s_delay_alu instid0(VALU_DEP_1) | instskip(NEXT) | instid1(VALU_DEP_1)
	v_fma_f64 v[32:33], v[22:23], v[37:38], v[32:33]
	v_fma_f64 v[37:38], v[24:25], v[39:40], v[32:33]
	ds_load_b128 v[32:35], v36 offset:224
	ds_load_b64 v[39:40], v36 offset:240
	s_waitcnt lgkmcnt(1)
	v_fma_f64 v[32:33], v[26:27], v[32:33], v[37:38]
	s_delay_alu instid0(VALU_DEP_1) | instskip(SKIP_1) | instid1(VALU_DEP_1)
	v_fma_f64 v[32:33], v[28:29], v[34:35], v[32:33]
	s_waitcnt lgkmcnt(0)
	v_fma_f64 v[32:33], v[30:31], v[39:40], v[32:33]
	s_delay_alu instid0(VALU_DEP_1)
	v_add_f64 v[8:9], v[8:9], -v[32:33]
	v_cmpx_lt_u32_e32 2, v0
	s_cbranch_execz .LBB78_108
; %bb.107:
	v_dual_mov_b32 v32, v2 :: v_dual_mov_b32 v33, v3
	s_delay_alu instid0(VALU_DEP_3)
	v_dual_mov_b32 v39, v9 :: v_dual_mov_b32 v38, v8
	v_dual_mov_b32 v34, v4 :: v_dual_mov_b32 v35, v5
	v_dual_mov_b32 v37, v36 :: v_dual_mov_b32 v40, v10
	v_dual_mov_b32 v41, v11 :: v_dual_mov_b32 v42, v12
	v_dual_mov_b32 v43, v13 :: v_dual_mov_b32 v44, v14
	v_dual_mov_b32 v45, v15 :: v_dual_mov_b32 v46, v16
	v_dual_mov_b32 v47, v17 :: v_dual_mov_b32 v48, v18
	v_dual_mov_b32 v49, v19 :: v_dual_mov_b32 v50, v20
	v_dual_mov_b32 v51, v21 :: v_dual_mov_b32 v52, v22
	v_dual_mov_b32 v53, v23 :: v_dual_mov_b32 v54, v24
	v_dual_mov_b32 v55, v25 :: v_dual_mov_b32 v56, v26
	v_dual_mov_b32 v57, v27 :: v_dual_mov_b32 v58, v28
	v_dual_mov_b32 v59, v29 :: v_dual_mov_b32 v60, v30
	v_dual_mov_b32 v61, v31 :: v_dual_mov_b32 v62, v6
	v_mov_b32_e32 v63, v7
	v_mov_b32_e32 v2, v32
	v_dual_mov_b32 v3, v33 :: v_dual_mov_b32 v4, v34
	v_dual_mov_b32 v5, v35 :: v_dual_mov_b32 v6, v36
	;; [unrolled: 1-line block ×15, first 2 shown]
	v_mov_b32_e32 v33, v63
	ds_store_b64 v1, v[62:63]
.LBB78_108:
	s_or_b32 exec_lo, exec_lo, s0
	s_waitcnt lgkmcnt(0)
	s_barrier
	buffer_gl0_inv
	ds_load_2addr_b64 v[32:35], v36 offset0:19 offset1:20
	ds_load_2addr_b64 v[37:40], v36 offset0:21 offset1:22
	s_mov_b32 s0, exec_lo
	s_waitcnt lgkmcnt(1)
	v_fma_f64 v[32:33], v[8:9], v[32:33], 0
	s_delay_alu instid0(VALU_DEP_1) | instskip(SKIP_1) | instid1(VALU_DEP_1)
	v_fma_f64 v[32:33], v[10:11], v[34:35], v[32:33]
	s_waitcnt lgkmcnt(0)
	v_fma_f64 v[32:33], v[12:13], v[37:38], v[32:33]
	s_delay_alu instid0(VALU_DEP_1) | instskip(SKIP_4) | instid1(VALU_DEP_1)
	v_fma_f64 v[41:42], v[14:15], v[39:40], v[32:33]
	ds_load_2addr_b64 v[32:35], v36 offset0:23 offset1:24
	ds_load_2addr_b64 v[37:40], v36 offset0:25 offset1:26
	s_waitcnt lgkmcnt(1)
	v_fma_f64 v[32:33], v[16:17], v[32:33], v[41:42]
	v_fma_f64 v[32:33], v[18:19], v[34:35], v[32:33]
	s_waitcnt lgkmcnt(0)
	s_delay_alu instid0(VALU_DEP_1) | instskip(NEXT) | instid1(VALU_DEP_1)
	v_fma_f64 v[32:33], v[20:21], v[37:38], v[32:33]
	v_fma_f64 v[40:41], v[22:23], v[39:40], v[32:33]
	ds_load_2addr_b64 v[32:35], v36 offset0:27 offset1:28
	ds_load_2addr_b64 v[36:39], v36 offset0:29 offset1:30
	s_waitcnt lgkmcnt(1)
	v_fma_f64 v[32:33], v[24:25], v[32:33], v[40:41]
	s_delay_alu instid0(VALU_DEP_1) | instskip(SKIP_1) | instid1(VALU_DEP_1)
	v_fma_f64 v[32:33], v[26:27], v[34:35], v[32:33]
	s_waitcnt lgkmcnt(0)
	v_fma_f64 v[32:33], v[28:29], v[36:37], v[32:33]
	s_delay_alu instid0(VALU_DEP_1) | instskip(NEXT) | instid1(VALU_DEP_1)
	v_fma_f64 v[32:33], v[30:31], v[38:39], v[32:33]
	v_add_f64 v[6:7], v[6:7], -v[32:33]
	v_cmpx_lt_u32_e32 1, v0
	s_cbranch_execz .LBB78_110
; %bb.109:
	s_delay_alu instid0(VALU_DEP_2) | instskip(SKIP_1) | instid1(VALU_DEP_4)
	v_dual_mov_b32 v34, 0 :: v_dual_mov_b32 v37, v7
	v_dual_mov_b32 v32, v2 :: v_dual_mov_b32 v39, v9
	;; [unrolled: 1-line block ×3, first 2 shown]
	s_delay_alu instid0(VALU_DEP_3)
	v_dual_mov_b32 v35, v34 :: v_dual_mov_b32 v38, v8
	v_dual_mov_b32 v40, v10 :: v_dual_mov_b32 v41, v11
	v_dual_mov_b32 v42, v12 :: v_dual_mov_b32 v43, v13
	v_dual_mov_b32 v44, v14 :: v_dual_mov_b32 v45, v15
	v_dual_mov_b32 v46, v16 :: v_dual_mov_b32 v47, v17
	v_dual_mov_b32 v48, v18 :: v_dual_mov_b32 v49, v19
	v_dual_mov_b32 v50, v20 :: v_dual_mov_b32 v51, v21
	v_dual_mov_b32 v52, v22 :: v_dual_mov_b32 v53, v23
	v_dual_mov_b32 v54, v24 :: v_dual_mov_b32 v55, v25
	v_dual_mov_b32 v56, v26 :: v_dual_mov_b32 v57, v27
	v_dual_mov_b32 v58, v28 :: v_dual_mov_b32 v59, v29
	v_dual_mov_b32 v60, v30 :: v_dual_mov_b32 v61, v31
	v_dual_mov_b32 v63, v5 :: v_dual_mov_b32 v62, v4
	v_mov_b32_e32 v2, v32
	v_dual_mov_b32 v3, v33 :: v_dual_mov_b32 v4, v34
	v_dual_mov_b32 v5, v35 :: v_dual_mov_b32 v6, v36
	;; [unrolled: 1-line block ×15, first 2 shown]
	v_mov_b32_e32 v33, v63
	ds_store_b64 v1, v[62:63]
.LBB78_110:
	s_or_b32 exec_lo, exec_lo, s0
	v_mov_b32_e32 v34, 0
	s_waitcnt lgkmcnt(0)
	s_barrier
	buffer_gl0_inv
	s_mov_b32 s0, exec_lo
	ds_load_b128 v[35:38], v34 offset:144
	ds_load_b128 v[39:42], v34 offset:160
	s_waitcnt lgkmcnt(1)
	v_fma_f64 v[32:33], v[6:7], v[35:36], 0
	s_delay_alu instid0(VALU_DEP_1) | instskip(SKIP_1) | instid1(VALU_DEP_1)
	v_fma_f64 v[32:33], v[8:9], v[37:38], v[32:33]
	s_waitcnt lgkmcnt(0)
	v_fma_f64 v[32:33], v[10:11], v[39:40], v[32:33]
	s_delay_alu instid0(VALU_DEP_1) | instskip(SKIP_4) | instid1(VALU_DEP_1)
	v_fma_f64 v[32:33], v[12:13], v[41:42], v[32:33]
	ds_load_b128 v[35:38], v34 offset:176
	ds_load_b128 v[39:42], v34 offset:192
	s_waitcnt lgkmcnt(1)
	v_fma_f64 v[32:33], v[14:15], v[35:36], v[32:33]
	v_fma_f64 v[32:33], v[16:17], v[37:38], v[32:33]
	s_waitcnt lgkmcnt(0)
	s_delay_alu instid0(VALU_DEP_1) | instskip(NEXT) | instid1(VALU_DEP_1)
	v_fma_f64 v[32:33], v[18:19], v[39:40], v[32:33]
	v_fma_f64 v[32:33], v[20:21], v[41:42], v[32:33]
	ds_load_b128 v[35:38], v34 offset:208
	ds_load_b128 v[39:42], v34 offset:224
	s_waitcnt lgkmcnt(1)
	v_fma_f64 v[32:33], v[22:23], v[35:36], v[32:33]
	ds_load_b64 v[35:36], v34 offset:240
	v_fma_f64 v[32:33], v[24:25], v[37:38], v[32:33]
	s_waitcnt lgkmcnt(1)
	s_delay_alu instid0(VALU_DEP_1) | instskip(NEXT) | instid1(VALU_DEP_1)
	v_fma_f64 v[32:33], v[26:27], v[39:40], v[32:33]
	v_fma_f64 v[32:33], v[28:29], v[41:42], v[32:33]
	s_waitcnt lgkmcnt(0)
	s_delay_alu instid0(VALU_DEP_1) | instskip(NEXT) | instid1(VALU_DEP_1)
	v_fma_f64 v[32:33], v[30:31], v[35:36], v[32:33]
	v_add_f64 v[4:5], v[4:5], -v[32:33]
	v_cmpx_ne_u32_e32 0, v0
	s_cbranch_execz .LBB78_112
; %bb.111:
	s_delay_alu instid0(VALU_DEP_2)
	v_dual_mov_b32 v37, v5 :: v_dual_mov_b32 v36, v4
	v_dual_mov_b32 v35, v34 :: v_dual_mov_b32 v40, v8
	;; [unrolled: 1-line block ×31, first 2 shown]
	v_mov_b32_e32 v33, v65
	ds_store_b64 v1, v[94:95]
.LBB78_112:
	s_or_b32 exec_lo, exec_lo, s0
	s_waitcnt lgkmcnt(0)
	s_barrier
	buffer_gl0_inv
	ds_load_2addr_b64 v[35:38], v34 offset0:17 offset1:18
	ds_load_2addr_b64 v[39:42], v34 offset0:19 offset1:20
	s_and_b32 vcc_lo, exec_lo, s20
	s_waitcnt lgkmcnt(1)
	v_fma_f64 v[0:1], v[4:5], v[35:36], 0
	s_delay_alu instid0(VALU_DEP_1) | instskip(SKIP_1) | instid1(VALU_DEP_1)
	v_fma_f64 v[0:1], v[6:7], v[37:38], v[0:1]
	s_waitcnt lgkmcnt(0)
	v_fma_f64 v[0:1], v[8:9], v[39:40], v[0:1]
	s_delay_alu instid0(VALU_DEP_1) | instskip(SKIP_4) | instid1(VALU_DEP_1)
	v_fma_f64 v[0:1], v[10:11], v[41:42], v[0:1]
	ds_load_2addr_b64 v[35:38], v34 offset0:21 offset1:22
	ds_load_2addr_b64 v[39:42], v34 offset0:23 offset1:24
	s_waitcnt lgkmcnt(1)
	v_fma_f64 v[0:1], v[12:13], v[35:36], v[0:1]
	v_fma_f64 v[0:1], v[14:15], v[37:38], v[0:1]
	s_waitcnt lgkmcnt(0)
	s_delay_alu instid0(VALU_DEP_1) | instskip(NEXT) | instid1(VALU_DEP_1)
	v_fma_f64 v[0:1], v[16:17], v[39:40], v[0:1]
	v_fma_f64 v[0:1], v[18:19], v[41:42], v[0:1]
	ds_load_2addr_b64 v[35:38], v34 offset0:25 offset1:26
	ds_load_2addr_b64 v[39:42], v34 offset0:27 offset1:28
	s_waitcnt lgkmcnt(1)
	v_fma_f64 v[0:1], v[20:21], v[35:36], v[0:1]
	ds_load_2addr_b64 v[32:35], v34 offset0:29 offset1:30
	v_fma_f64 v[0:1], v[22:23], v[37:38], v[0:1]
	s_waitcnt lgkmcnt(1)
	s_delay_alu instid0(VALU_DEP_1) | instskip(NEXT) | instid1(VALU_DEP_1)
	v_fma_f64 v[0:1], v[24:25], v[39:40], v[0:1]
	v_fma_f64 v[0:1], v[26:27], v[41:42], v[0:1]
	s_waitcnt lgkmcnt(0)
	s_delay_alu instid0(VALU_DEP_1) | instskip(NEXT) | instid1(VALU_DEP_1)
	v_fma_f64 v[0:1], v[28:29], v[32:33], v[0:1]
	v_fma_f64 v[0:1], v[30:31], v[34:35], v[0:1]
	s_delay_alu instid0(VALU_DEP_1)
	v_add_f64 v[2:3], v[2:3], -v[0:1]
	s_cbranch_vccz .LBB78_142
; %bb.113:
	v_dual_mov_b32 v0, s16 :: v_dual_mov_b32 v1, s17
	s_mov_b32 s7, exec_lo
	flat_load_b32 v0, v[0:1] offset:52
	s_waitcnt vmcnt(0) lgkmcnt(0)
	v_add_nc_u32_e32 v0, -1, v0
	s_delay_alu instid0(VALU_DEP_1)
	v_cmpx_ne_u32_e32 13, v0
	s_cbranch_execz .LBB78_115
; %bb.114:
	v_cmp_eq_u32_e32 vcc_lo, 1, v0
	v_cmp_eq_u32_e64 s0, 2, v0
	v_cmp_eq_u32_e64 s1, 3, v0
	;; [unrolled: 1-line block ×4, first 2 shown]
	v_dual_cndmask_b32 v1, v2, v4 :: v_dual_cndmask_b32 v32, v3, v5
	v_cmp_eq_u32_e64 s4, 6, v0
	v_cmp_eq_u32_e64 s5, 7, v0
	;; [unrolled: 1-line block ×3, first 2 shown]
	s_delay_alu instid0(VALU_DEP_4)
	v_cndmask_b32_e64 v1, v1, v6, s0
	v_cndmask_b32_e64 v32, v32, v7, s0
	;; [unrolled: 1-line block ×4, first 2 shown]
	v_cmp_eq_u32_e64 s0, 8, v0
	v_cndmask_b32_e64 v1, v1, v8, s1
	v_cndmask_b32_e64 v32, v32, v9, s1
	v_cndmask_b32_e32 v34, v5, v29, vcc_lo
	v_cndmask_b32_e64 v38, v9, v29, s1
	v_cndmask_b32_e64 v37, v8, v28, s1
	;; [unrolled: 1-line block ×4, first 2 shown]
	v_cmp_eq_u32_e64 s1, 10, v0
	v_cndmask_b32_e64 v40, v11, v29, s2
	v_cndmask_b32_e64 v39, v10, v28, s2
	v_cndmask_b32_e64 v1, v1, v12, s3
	v_cndmask_b32_e64 v32, v32, v13, s3
	v_cmp_eq_u32_e64 s2, 11, v0
	v_cndmask_b32_e64 v42, v13, v29, s3
	v_cndmask_b32_e64 v41, v12, v28, s3
	;; [unrolled: 1-line block ×5, first 2 shown]
	v_cmp_eq_u32_e64 s3, 12, v0
	v_cndmask_b32_e64 v48, v19, v29, s0
	v_cndmask_b32_e64 v1, v1, v16, s5
	;; [unrolled: 1-line block ×3, first 2 shown]
	v_cndmask_b32_e32 v33, v4, v28, vcc_lo
	v_cmp_eq_u32_e32 vcc_lo, 9, v0
	v_cndmask_b32_e64 v47, v18, v28, s0
	v_cndmask_b32_e64 v1, v1, v18, s0
	;; [unrolled: 1-line block ×3, first 2 shown]
	v_cmp_eq_u32_e64 s0, 13, v0
	v_dual_cndmask_b32 v50, v21, v29 :: v_dual_cndmask_b32 v49, v20, v28
	s_delay_alu instid0(VALU_DEP_4) | instskip(NEXT) | instid1(VALU_DEP_4)
	v_cndmask_b32_e32 v1, v1, v20, vcc_lo
	v_cndmask_b32_e32 v3, v3, v21, vcc_lo
	v_cmp_eq_u32_e32 vcc_lo, 14, v0
	v_cndmask_b32_e64 v44, v15, v29, s4
	v_cndmask_b32_e64 v43, v14, v28, s4
	;; [unrolled: 1-line block ×4, first 2 shown]
	v_cndmask_b32_e32 v60, v31, v29, vcc_lo
	v_cndmask_b32_e64 v1, v1, v22, s1
	v_cndmask_b32_e64 v52, v23, v29, s1
	;; [unrolled: 1-line block ×8, first 2 shown]
	v_cndmask_b32_e32 v59, v30, v28, vcc_lo
	s_delay_alu instid0(VALU_DEP_4) | instskip(NEXT) | instid1(VALU_DEP_1)
	v_cndmask_b32_e64 v1, v1, v26, s3
	v_cndmask_b32_e64 v1, v1, v28, s0
	s_delay_alu instid0(VALU_DEP_1) | instskip(SKIP_1) | instid1(VALU_DEP_2)
	v_cndmask_b32_e32 v0, v1, v30, vcc_lo
	v_cndmask_b32_e64 v3, v3, v23, s1
	v_cndmask_b32_e64 v57, v0, v28, s0
	s_delay_alu instid0(VALU_DEP_2) | instskip(NEXT) | instid1(VALU_DEP_1)
	v_cndmask_b32_e64 v3, v3, v25, s2
	v_cndmask_b32_e64 v3, v3, v27, s3
	s_delay_alu instid0(VALU_DEP_1) | instskip(NEXT) | instid1(VALU_DEP_1)
	v_cndmask_b32_e64 v3, v3, v29, s0
	v_cndmask_b32_e32 v1, v3, v31, vcc_lo
	v_cndmask_b32_e64 v31, v2, v28, s6
	s_delay_alu instid0(VALU_DEP_2) | instskip(NEXT) | instid1(VALU_DEP_2)
	v_cndmask_b32_e64 v58, v1, v29, s0
	v_mov_b32_e32 v2, v31
	v_dual_mov_b32 v4, v33 :: v_dual_mov_b32 v3, v32
	v_dual_mov_b32 v6, v35 :: v_dual_mov_b32 v5, v34
	;; [unrolled: 1-line block ×14, first 2 shown]
	v_mov_b32_e32 v31, v60
	v_mov_b32_e32 v32, v61
	;; [unrolled: 1-line block ×3, first 2 shown]
.LBB78_115:
	s_or_b32 exec_lo, exec_lo, s7
	v_dual_mov_b32 v0, s16 :: v_dual_mov_b32 v1, s17
	s_mov_b32 s7, exec_lo
	flat_load_b32 v0, v[0:1] offset:48
	s_waitcnt vmcnt(0) lgkmcnt(0)
	v_add_nc_u32_e32 v0, -1, v0
	s_delay_alu instid0(VALU_DEP_1)
	v_cmpx_ne_u32_e32 12, v0
	s_cbranch_execz .LBB78_117
; %bb.116:
	v_cmp_eq_u32_e32 vcc_lo, 1, v0
	v_cmp_eq_u32_e64 s0, 2, v0
	v_cmp_eq_u32_e64 s1, 3, v0
	;; [unrolled: 1-line block ×4, first 2 shown]
	v_dual_cndmask_b32 v1, v2, v4 :: v_dual_cndmask_b32 v32, v3, v5
	v_cmp_eq_u32_e64 s4, 6, v0
	v_cmp_eq_u32_e64 s5, 7, v0
	;; [unrolled: 1-line block ×3, first 2 shown]
	s_delay_alu instid0(VALU_DEP_4)
	v_cndmask_b32_e64 v1, v1, v6, s0
	v_cndmask_b32_e64 v32, v32, v7, s0
	;; [unrolled: 1-line block ×4, first 2 shown]
	v_cmp_eq_u32_e64 s0, 8, v0
	v_cndmask_b32_e64 v1, v1, v8, s1
	v_cndmask_b32_e64 v32, v32, v9, s1
	v_cndmask_b32_e32 v34, v5, v27, vcc_lo
	v_cndmask_b32_e64 v38, v9, v27, s1
	v_cndmask_b32_e64 v37, v8, v26, s1
	;; [unrolled: 1-line block ×4, first 2 shown]
	v_cmp_eq_u32_e64 s1, 10, v0
	v_cndmask_b32_e64 v40, v11, v27, s2
	v_cndmask_b32_e64 v39, v10, v26, s2
	;; [unrolled: 1-line block ×4, first 2 shown]
	v_cmp_eq_u32_e64 s2, 11, v0
	v_cndmask_b32_e64 v42, v13, v27, s3
	v_cndmask_b32_e64 v41, v12, v26, s3
	;; [unrolled: 1-line block ×5, first 2 shown]
	v_cmp_eq_u32_e64 s3, 12, v0
	v_cndmask_b32_e64 v48, v19, v27, s0
	v_cndmask_b32_e64 v1, v1, v16, s5
	v_cndmask_b32_e64 v3, v33, v17, s5
	v_cndmask_b32_e32 v33, v4, v26, vcc_lo
	v_cmp_eq_u32_e32 vcc_lo, 9, v0
	v_cndmask_b32_e64 v47, v18, v26, s0
	v_cndmask_b32_e64 v1, v1, v18, s0
	;; [unrolled: 1-line block ×3, first 2 shown]
	v_cmp_eq_u32_e64 s0, 13, v0
	v_cndmask_b32_e32 v49, v20, v26, vcc_lo
	v_cndmask_b32_e64 v44, v15, v27, s4
	v_cndmask_b32_e32 v1, v1, v20, vcc_lo
	v_dual_cndmask_b32 v3, v3, v21 :: v_dual_cndmask_b32 v50, v21, v27
	v_cmp_eq_u32_e32 vcc_lo, 14, v0
	v_cndmask_b32_e64 v43, v14, v26, s4
	v_cndmask_b32_e64 v46, v17, v27, s5
	s_delay_alu instid0(VALU_DEP_4)
	v_cndmask_b32_e64 v3, v3, v23, s1
	v_cndmask_b32_e64 v45, v16, v26, s5
	v_cndmask_b32_e32 v60, v31, v27, vcc_lo
	v_cndmask_b32_e64 v1, v1, v22, s1
	v_cndmask_b32_e64 v52, v23, v27, s1
	v_cndmask_b32_e64 v3, v3, v25, s2
	v_cndmask_b32_e64 v51, v22, v26, s1
	v_cndmask_b32_e64 v54, v25, v27, s2
	v_cndmask_b32_e64 v1, v1, v24, s2
	v_cndmask_b32_e64 v53, v24, v26, s2
	v_cndmask_b32_e64 v3, v3, v27, s3
	v_cndmask_b32_e64 v58, v29, v27, s0
	v_cndmask_b32_e64 v57, v28, v26, s0
	v_cndmask_b32_e64 v1, v1, v26, s3
	v_cndmask_b32_e32 v59, v30, v26, vcc_lo
	v_cndmask_b32_e64 v3, v3, v29, s0
	s_delay_alu instid0(VALU_DEP_3) | instskip(NEXT) | instid1(VALU_DEP_1)
	v_cndmask_b32_e64 v1, v1, v28, s0
	v_dual_cndmask_b32 v0, v1, v30 :: v_dual_cndmask_b32 v1, v3, v31
	v_cndmask_b32_e64 v31, v2, v26, s6
	s_delay_alu instid0(VALU_DEP_2) | instskip(NEXT) | instid1(VALU_DEP_3)
	v_cndmask_b32_e64 v55, v0, v26, s3
	v_cndmask_b32_e64 v56, v1, v27, s3
	s_delay_alu instid0(VALU_DEP_3)
	v_mov_b32_e32 v2, v31
	v_dual_mov_b32 v3, v32 :: v_dual_mov_b32 v4, v33
	v_dual_mov_b32 v5, v34 :: v_dual_mov_b32 v6, v35
	;; [unrolled: 1-line block ×14, first 2 shown]
	v_mov_b32_e32 v31, v60
	v_mov_b32_e32 v32, v61
	;; [unrolled: 1-line block ×3, first 2 shown]
.LBB78_117:
	s_or_b32 exec_lo, exec_lo, s7
	v_dual_mov_b32 v0, s16 :: v_dual_mov_b32 v1, s17
	s_mov_b32 s7, exec_lo
	flat_load_b32 v0, v[0:1] offset:44
	s_waitcnt vmcnt(0) lgkmcnt(0)
	v_add_nc_u32_e32 v0, -1, v0
	s_delay_alu instid0(VALU_DEP_1)
	v_cmpx_ne_u32_e32 11, v0
	s_cbranch_execz .LBB78_119
; %bb.118:
	v_cmp_eq_u32_e32 vcc_lo, 1, v0
	v_cmp_eq_u32_e64 s0, 2, v0
	v_cmp_eq_u32_e64 s1, 3, v0
	;; [unrolled: 1-line block ×4, first 2 shown]
	v_dual_cndmask_b32 v1, v2, v4 :: v_dual_cndmask_b32 v32, v3, v5
	v_cmp_eq_u32_e64 s4, 6, v0
	v_cmp_eq_u32_e64 s5, 7, v0
	;; [unrolled: 1-line block ×3, first 2 shown]
	s_delay_alu instid0(VALU_DEP_4)
	v_cndmask_b32_e64 v1, v1, v6, s0
	v_cndmask_b32_e64 v32, v32, v7, s0
	v_cndmask_b32_e64 v36, v7, v25, s0
	v_cndmask_b32_e64 v35, v6, v24, s0
	v_cmp_eq_u32_e64 s0, 8, v0
	v_cndmask_b32_e64 v1, v1, v8, s1
	v_cndmask_b32_e64 v32, v32, v9, s1
	v_cndmask_b32_e32 v34, v5, v25, vcc_lo
	v_cndmask_b32_e64 v38, v9, v25, s1
	v_cndmask_b32_e64 v37, v8, v24, s1
	;; [unrolled: 1-line block ×4, first 2 shown]
	v_cmp_eq_u32_e64 s1, 10, v0
	v_cndmask_b32_e64 v40, v11, v25, s2
	v_cndmask_b32_e64 v39, v10, v24, s2
	;; [unrolled: 1-line block ×4, first 2 shown]
	v_cmp_eq_u32_e64 s2, 11, v0
	v_cndmask_b32_e64 v42, v13, v25, s3
	v_cndmask_b32_e64 v41, v12, v24, s3
	;; [unrolled: 1-line block ×5, first 2 shown]
	v_cmp_eq_u32_e64 s3, 12, v0
	v_cndmask_b32_e64 v48, v19, v25, s0
	v_cndmask_b32_e64 v1, v1, v16, s5
	v_cndmask_b32_e64 v3, v33, v17, s5
	v_cndmask_b32_e32 v33, v4, v24, vcc_lo
	v_cmp_eq_u32_e32 vcc_lo, 9, v0
	v_cndmask_b32_e64 v47, v18, v24, s0
	v_cndmask_b32_e64 v1, v1, v18, s0
	v_cndmask_b32_e64 v3, v3, v19, s0
	v_cmp_eq_u32_e64 s0, 13, v0
	v_dual_cndmask_b32 v50, v21, v25 :: v_dual_cndmask_b32 v49, v20, v24
	s_delay_alu instid0(VALU_DEP_4) | instskip(NEXT) | instid1(VALU_DEP_4)
	v_cndmask_b32_e32 v1, v1, v20, vcc_lo
	v_cndmask_b32_e32 v3, v3, v21, vcc_lo
	v_cmp_eq_u32_e32 vcc_lo, 14, v0
	v_cndmask_b32_e64 v44, v15, v25, s4
	v_cndmask_b32_e64 v43, v14, v24, s4
	;; [unrolled: 1-line block ×4, first 2 shown]
	v_cndmask_b32_e32 v60, v31, v25, vcc_lo
	v_cndmask_b32_e64 v1, v1, v22, s1
	v_cndmask_b32_e64 v52, v23, v25, s1
	;; [unrolled: 1-line block ×8, first 2 shown]
	v_cndmask_b32_e32 v59, v30, v24, vcc_lo
	s_delay_alu instid0(VALU_DEP_4) | instskip(NEXT) | instid1(VALU_DEP_1)
	v_cndmask_b32_e64 v1, v1, v26, s3
	v_cndmask_b32_e64 v1, v1, v28, s0
	s_delay_alu instid0(VALU_DEP_1) | instskip(SKIP_1) | instid1(VALU_DEP_2)
	v_cndmask_b32_e32 v0, v1, v30, vcc_lo
	v_cndmask_b32_e64 v3, v3, v23, s1
	v_cndmask_b32_e64 v53, v0, v24, s2
	s_delay_alu instid0(VALU_DEP_2) | instskip(NEXT) | instid1(VALU_DEP_1)
	v_cndmask_b32_e64 v3, v3, v25, s2
	v_cndmask_b32_e64 v3, v3, v27, s3
	s_delay_alu instid0(VALU_DEP_1) | instskip(NEXT) | instid1(VALU_DEP_1)
	v_cndmask_b32_e64 v3, v3, v29, s0
	v_cndmask_b32_e32 v1, v3, v31, vcc_lo
	v_cndmask_b32_e64 v31, v2, v24, s6
	s_delay_alu instid0(VALU_DEP_2) | instskip(NEXT) | instid1(VALU_DEP_2)
	v_cndmask_b32_e64 v54, v1, v25, s2
	v_mov_b32_e32 v2, v31
	v_dual_mov_b32 v4, v33 :: v_dual_mov_b32 v3, v32
	v_dual_mov_b32 v6, v35 :: v_dual_mov_b32 v5, v34
	;; [unrolled: 1-line block ×14, first 2 shown]
	v_mov_b32_e32 v31, v60
	v_mov_b32_e32 v32, v61
	;; [unrolled: 1-line block ×3, first 2 shown]
.LBB78_119:
	s_or_b32 exec_lo, exec_lo, s7
	v_dual_mov_b32 v0, s16 :: v_dual_mov_b32 v1, s17
	s_mov_b32 s7, exec_lo
	flat_load_b32 v0, v[0:1] offset:40
	s_waitcnt vmcnt(0) lgkmcnt(0)
	v_add_nc_u32_e32 v0, -1, v0
	s_delay_alu instid0(VALU_DEP_1)
	v_cmpx_ne_u32_e32 10, v0
	s_cbranch_execz .LBB78_121
; %bb.120:
	v_cmp_eq_u32_e32 vcc_lo, 1, v0
	v_cmp_eq_u32_e64 s0, 2, v0
	v_cmp_eq_u32_e64 s1, 3, v0
	;; [unrolled: 1-line block ×4, first 2 shown]
	v_dual_cndmask_b32 v1, v2, v4 :: v_dual_cndmask_b32 v32, v3, v5
	v_cmp_eq_u32_e64 s4, 6, v0
	v_cmp_eq_u32_e64 s5, 7, v0
	;; [unrolled: 1-line block ×3, first 2 shown]
	s_delay_alu instid0(VALU_DEP_4)
	v_cndmask_b32_e64 v1, v1, v6, s0
	v_cndmask_b32_e64 v32, v32, v7, s0
	;; [unrolled: 1-line block ×4, first 2 shown]
	v_cmp_eq_u32_e64 s0, 8, v0
	v_cndmask_b32_e64 v1, v1, v8, s1
	v_cndmask_b32_e64 v32, v32, v9, s1
	v_cndmask_b32_e32 v34, v5, v23, vcc_lo
	v_cndmask_b32_e64 v38, v9, v23, s1
	v_cndmask_b32_e64 v37, v8, v22, s1
	;; [unrolled: 1-line block ×4, first 2 shown]
	v_cmp_eq_u32_e64 s1, 10, v0
	v_cndmask_b32_e64 v40, v11, v23, s2
	v_cndmask_b32_e64 v39, v10, v22, s2
	;; [unrolled: 1-line block ×4, first 2 shown]
	v_cmp_eq_u32_e64 s2, 11, v0
	v_cndmask_b32_e64 v42, v13, v23, s3
	v_cndmask_b32_e64 v41, v12, v22, s3
	;; [unrolled: 1-line block ×5, first 2 shown]
	v_cmp_eq_u32_e64 s3, 12, v0
	v_cndmask_b32_e64 v48, v19, v23, s0
	v_cndmask_b32_e64 v1, v1, v16, s5
	;; [unrolled: 1-line block ×3, first 2 shown]
	v_cndmask_b32_e32 v33, v4, v22, vcc_lo
	v_cmp_eq_u32_e32 vcc_lo, 9, v0
	v_cndmask_b32_e64 v47, v18, v22, s0
	v_cndmask_b32_e64 v1, v1, v18, s0
	;; [unrolled: 1-line block ×3, first 2 shown]
	v_cmp_eq_u32_e64 s0, 13, v0
	v_cndmask_b32_e32 v49, v20, v22, vcc_lo
	v_cndmask_b32_e64 v44, v15, v23, s4
	v_cndmask_b32_e32 v1, v1, v20, vcc_lo
	v_dual_cndmask_b32 v3, v3, v21 :: v_dual_cndmask_b32 v50, v21, v23
	v_cmp_eq_u32_e32 vcc_lo, 14, v0
	v_cndmask_b32_e64 v43, v14, v22, s4
	v_cndmask_b32_e64 v46, v17, v23, s5
	s_delay_alu instid0(VALU_DEP_4)
	v_cndmask_b32_e64 v3, v3, v23, s1
	v_cndmask_b32_e64 v45, v16, v22, s5
	v_cndmask_b32_e32 v60, v31, v23, vcc_lo
	v_cndmask_b32_e64 v1, v1, v22, s1
	v_cndmask_b32_e64 v54, v25, v23, s2
	v_cndmask_b32_e64 v3, v3, v25, s2
	v_cndmask_b32_e64 v53, v24, v22, s2
	v_cndmask_b32_e64 v56, v27, v23, s3
	v_cndmask_b32_e64 v1, v1, v24, s2
	v_cndmask_b32_e64 v55, v26, v22, s3
	v_cndmask_b32_e64 v3, v3, v27, s3
	v_cndmask_b32_e64 v58, v29, v23, s0
	v_cndmask_b32_e64 v57, v28, v22, s0
	v_cndmask_b32_e64 v1, v1, v26, s3
	v_cndmask_b32_e32 v59, v30, v22, vcc_lo
	v_cndmask_b32_e64 v3, v3, v29, s0
	s_delay_alu instid0(VALU_DEP_3) | instskip(NEXT) | instid1(VALU_DEP_1)
	v_cndmask_b32_e64 v1, v1, v28, s0
	v_dual_cndmask_b32 v0, v1, v30 :: v_dual_cndmask_b32 v1, v3, v31
	v_cndmask_b32_e64 v31, v2, v22, s6
	s_delay_alu instid0(VALU_DEP_2) | instskip(NEXT) | instid1(VALU_DEP_3)
	v_cndmask_b32_e64 v51, v0, v22, s1
	v_cndmask_b32_e64 v52, v1, v23, s1
	s_delay_alu instid0(VALU_DEP_3)
	v_mov_b32_e32 v2, v31
	v_dual_mov_b32 v3, v32 :: v_dual_mov_b32 v4, v33
	v_dual_mov_b32 v5, v34 :: v_dual_mov_b32 v6, v35
	;; [unrolled: 1-line block ×14, first 2 shown]
	v_mov_b32_e32 v31, v60
	v_mov_b32_e32 v32, v61
	;; [unrolled: 1-line block ×3, first 2 shown]
.LBB78_121:
	s_or_b32 exec_lo, exec_lo, s7
	v_dual_mov_b32 v0, s16 :: v_dual_mov_b32 v1, s17
	s_mov_b32 s7, exec_lo
	flat_load_b32 v0, v[0:1] offset:36
	s_waitcnt vmcnt(0) lgkmcnt(0)
	v_add_nc_u32_e32 v0, -1, v0
	s_delay_alu instid0(VALU_DEP_1)
	v_cmpx_ne_u32_e32 9, v0
	s_cbranch_execz .LBB78_123
; %bb.122:
	v_cmp_eq_u32_e32 vcc_lo, 1, v0
	v_cmp_eq_u32_e64 s0, 2, v0
	v_cmp_eq_u32_e64 s1, 3, v0
	;; [unrolled: 1-line block ×4, first 2 shown]
	v_dual_cndmask_b32 v1, v2, v4 :: v_dual_cndmask_b32 v32, v3, v5
	v_cmp_eq_u32_e64 s4, 6, v0
	v_cmp_eq_u32_e64 s5, 7, v0
	;; [unrolled: 1-line block ×3, first 2 shown]
	s_delay_alu instid0(VALU_DEP_4)
	v_cndmask_b32_e64 v1, v1, v6, s0
	v_cndmask_b32_e64 v32, v32, v7, s0
	;; [unrolled: 1-line block ×4, first 2 shown]
	v_cmp_eq_u32_e64 s0, 8, v0
	v_cndmask_b32_e64 v1, v1, v8, s1
	v_cndmask_b32_e64 v32, v32, v9, s1
	v_cndmask_b32_e32 v34, v5, v21, vcc_lo
	v_cndmask_b32_e64 v38, v9, v21, s1
	v_cndmask_b32_e64 v37, v8, v20, s1
	;; [unrolled: 1-line block ×6, first 2 shown]
	v_cmp_eq_u32_e64 s1, 10, v0
	v_cndmask_b32_e64 v1, v1, v12, s3
	v_cndmask_b32_e64 v32, v32, v13, s3
	;; [unrolled: 1-line block ×4, first 2 shown]
	v_cmp_eq_u32_e64 s2, 11, v0
	v_cndmask_b32_e64 v1, v1, v14, s4
	v_cndmask_b32_e64 v33, v32, v15, s4
	;; [unrolled: 1-line block ×3, first 2 shown]
	v_cmp_eq_u32_e64 s3, 12, v0
	v_cndmask_b32_e64 v48, v19, v21, s0
	v_cndmask_b32_e64 v1, v1, v16, s5
	;; [unrolled: 1-line block ×3, first 2 shown]
	v_cndmask_b32_e32 v33, v4, v20, vcc_lo
	v_cmp_eq_u32_e32 vcc_lo, 9, v0
	v_cndmask_b32_e64 v47, v18, v20, s0
	v_cndmask_b32_e64 v1, v1, v18, s0
	;; [unrolled: 1-line block ×3, first 2 shown]
	v_cmp_eq_u32_e64 s0, 13, v0
	v_cndmask_b32_e64 v44, v15, v21, s4
	v_cndmask_b32_e64 v43, v14, v20, s4
	;; [unrolled: 1-line block ×12, first 2 shown]
	v_cndmask_b32_e32 v1, v1, v20, vcc_lo
	v_cndmask_b32_e32 v3, v3, v21, vcc_lo
	s_delay_alu instid0(VALU_DEP_2) | instskip(NEXT) | instid1(VALU_DEP_2)
	v_cndmask_b32_e64 v1, v1, v22, s1
	v_cndmask_b32_e64 v3, v3, v23, s1
	v_cmp_eq_u32_e64 s1, 14, v0
	s_delay_alu instid0(VALU_DEP_3) | instskip(NEXT) | instid1(VALU_DEP_3)
	v_cndmask_b32_e64 v1, v1, v24, s2
	v_cndmask_b32_e64 v3, v3, v25, s2
	s_delay_alu instid0(VALU_DEP_3) | instskip(SKIP_1) | instid1(VALU_DEP_4)
	v_cndmask_b32_e64 v60, v31, v21, s1
	v_cndmask_b32_e64 v59, v30, v20, s1
	v_cndmask_b32_e64 v1, v1, v26, s3
	s_delay_alu instid0(VALU_DEP_4) | instskip(NEXT) | instid1(VALU_DEP_2)
	v_cndmask_b32_e64 v3, v3, v27, s3
	v_cndmask_b32_e64 v1, v1, v28, s0
	s_delay_alu instid0(VALU_DEP_2) | instskip(NEXT) | instid1(VALU_DEP_2)
	v_cndmask_b32_e64 v3, v3, v29, s0
	v_cndmask_b32_e64 v0, v1, v30, s1
	s_delay_alu instid0(VALU_DEP_2) | instskip(SKIP_1) | instid1(VALU_DEP_2)
	v_cndmask_b32_e64 v1, v3, v31, s1
	v_cndmask_b32_e64 v31, v2, v20, s6
	v_dual_cndmask_b32 v49, v0, v20 :: v_dual_cndmask_b32 v50, v1, v21
	s_delay_alu instid0(VALU_DEP_2)
	v_mov_b32_e32 v2, v31
	v_dual_mov_b32 v3, v32 :: v_dual_mov_b32 v6, v35
	v_dual_mov_b32 v4, v33 :: v_dual_mov_b32 v5, v34
	;; [unrolled: 1-line block ×14, first 2 shown]
	v_mov_b32_e32 v31, v60
	v_mov_b32_e32 v32, v61
	;; [unrolled: 1-line block ×3, first 2 shown]
.LBB78_123:
	s_or_b32 exec_lo, exec_lo, s7
	v_dual_mov_b32 v0, s16 :: v_dual_mov_b32 v1, s17
	s_mov_b32 s7, exec_lo
	flat_load_b32 v0, v[0:1] offset:32
	s_waitcnt vmcnt(0) lgkmcnt(0)
	v_add_nc_u32_e32 v0, -1, v0
	s_delay_alu instid0(VALU_DEP_1)
	v_cmpx_ne_u32_e32 8, v0
	s_cbranch_execz .LBB78_125
; %bb.124:
	v_cmp_eq_u32_e32 vcc_lo, 1, v0
	v_cmp_eq_u32_e64 s0, 2, v0
	v_cmp_eq_u32_e64 s1, 3, v0
	;; [unrolled: 1-line block ×4, first 2 shown]
	v_dual_cndmask_b32 v1, v2, v4 :: v_dual_cndmask_b32 v32, v3, v5
	v_cmp_eq_u32_e64 s4, 6, v0
	v_cmp_eq_u32_e64 s5, 7, v0
	;; [unrolled: 1-line block ×3, first 2 shown]
	s_delay_alu instid0(VALU_DEP_4)
	v_cndmask_b32_e64 v1, v1, v6, s0
	v_cndmask_b32_e64 v32, v32, v7, s0
	;; [unrolled: 1-line block ×4, first 2 shown]
	v_cmp_eq_u32_e64 s0, 8, v0
	v_cndmask_b32_e64 v1, v1, v8, s1
	v_cndmask_b32_e64 v32, v32, v9, s1
	v_cndmask_b32_e32 v34, v5, v19, vcc_lo
	v_cndmask_b32_e64 v38, v9, v19, s1
	v_cndmask_b32_e64 v37, v8, v18, s1
	;; [unrolled: 1-line block ×6, first 2 shown]
	v_cmp_eq_u32_e64 s1, 10, v0
	v_cndmask_b32_e64 v1, v1, v12, s3
	v_cndmask_b32_e64 v32, v32, v13, s3
	;; [unrolled: 1-line block ×4, first 2 shown]
	v_cmp_eq_u32_e64 s2, 11, v0
	v_cndmask_b32_e64 v1, v1, v14, s4
	v_cndmask_b32_e64 v33, v32, v15, s4
	;; [unrolled: 1-line block ×3, first 2 shown]
	v_cmp_eq_u32_e64 s3, 12, v0
	v_cndmask_b32_e64 v44, v15, v19, s4
	v_cndmask_b32_e64 v1, v1, v16, s5
	;; [unrolled: 1-line block ×3, first 2 shown]
	v_cndmask_b32_e32 v33, v4, v18, vcc_lo
	v_cmp_eq_u32_e32 vcc_lo, 9, v0
	v_cndmask_b32_e64 v43, v14, v18, s4
	v_cndmask_b32_e64 v1, v1, v18, s0
	;; [unrolled: 1-line block ×5, first 2 shown]
	v_dual_cndmask_b32 v49, v20, v18 :: v_dual_cndmask_b32 v50, v21, v19
	s_delay_alu instid0(VALU_DEP_4)
	v_cndmask_b32_e32 v3, v3, v21, vcc_lo
	v_cndmask_b32_e64 v52, v23, v19, s1
	v_cndmask_b32_e64 v51, v22, v18, s1
	;; [unrolled: 1-line block ×6, first 2 shown]
	v_cndmask_b32_e32 v1, v1, v20, vcc_lo
	v_cndmask_b32_e64 v3, v3, v23, s1
	v_cmp_eq_u32_e32 vcc_lo, 13, v0
	s_delay_alu instid0(VALU_DEP_3) | instskip(SKIP_1) | instid1(VALU_DEP_4)
	v_cndmask_b32_e64 v1, v1, v22, s1
	v_cmp_eq_u32_e64 s1, 14, v0
	v_cndmask_b32_e64 v3, v3, v25, s2
	v_dual_cndmask_b32 v58, v29, v19 :: v_dual_cndmask_b32 v57, v28, v18
	s_delay_alu instid0(VALU_DEP_4) | instskip(NEXT) | instid1(VALU_DEP_4)
	v_cndmask_b32_e64 v1, v1, v24, s2
	v_cndmask_b32_e64 v60, v31, v19, s1
	;; [unrolled: 1-line block ×4, first 2 shown]
	s_delay_alu instid0(VALU_DEP_4) | instskip(NEXT) | instid1(VALU_DEP_1)
	v_cndmask_b32_e64 v1, v1, v26, s3
	v_cndmask_b32_e32 v1, v1, v28, vcc_lo
	s_delay_alu instid0(VALU_DEP_1) | instskip(NEXT) | instid1(VALU_DEP_1)
	v_cndmask_b32_e64 v0, v1, v30, s1
	v_cndmask_b32_e64 v47, v0, v18, s0
	v_cndmask_b32_e32 v3, v3, v29, vcc_lo
	s_delay_alu instid0(VALU_DEP_1) | instskip(SKIP_1) | instid1(VALU_DEP_2)
	v_cndmask_b32_e64 v1, v3, v31, s1
	v_cndmask_b32_e64 v31, v2, v18, s6
	;; [unrolled: 1-line block ×3, first 2 shown]
	s_delay_alu instid0(VALU_DEP_2)
	v_mov_b32_e32 v2, v31
	v_dual_mov_b32 v4, v33 :: v_dual_mov_b32 v3, v32
	v_dual_mov_b32 v8, v37 :: v_dual_mov_b32 v5, v34
	v_mov_b32_e32 v10, v39
	v_dual_mov_b32 v6, v35 :: v_dual_mov_b32 v7, v36
	v_dual_mov_b32 v12, v41 :: v_dual_mov_b32 v9, v38
	;; [unrolled: 1-line block ×11, first 2 shown]
	v_mov_b32_e32 v29, v58
	v_mov_b32_e32 v31, v60
	;; [unrolled: 1-line block ×4, first 2 shown]
.LBB78_125:
	s_or_b32 exec_lo, exec_lo, s7
	v_dual_mov_b32 v0, s16 :: v_dual_mov_b32 v1, s17
	s_mov_b32 s7, exec_lo
	flat_load_b32 v0, v[0:1] offset:28
	s_waitcnt vmcnt(0) lgkmcnt(0)
	v_add_nc_u32_e32 v0, -1, v0
	s_delay_alu instid0(VALU_DEP_1)
	v_cmpx_ne_u32_e32 7, v0
	s_cbranch_execz .LBB78_127
; %bb.126:
	v_cmp_eq_u32_e32 vcc_lo, 1, v0
	v_cmp_eq_u32_e64 s0, 2, v0
	v_cmp_eq_u32_e64 s1, 3, v0
	;; [unrolled: 1-line block ×4, first 2 shown]
	v_dual_cndmask_b32 v1, v2, v4 :: v_dual_cndmask_b32 v32, v3, v5
	v_cmp_eq_u32_e64 s4, 6, v0
	v_cmp_eq_u32_e64 s5, 7, v0
	;; [unrolled: 1-line block ×3, first 2 shown]
	s_delay_alu instid0(VALU_DEP_4)
	v_cndmask_b32_e64 v1, v1, v6, s0
	v_cndmask_b32_e64 v32, v32, v7, s0
	;; [unrolled: 1-line block ×4, first 2 shown]
	v_cmp_eq_u32_e64 s0, 8, v0
	v_cndmask_b32_e64 v1, v1, v8, s1
	v_cndmask_b32_e64 v32, v32, v9, s1
	v_cndmask_b32_e32 v34, v5, v17, vcc_lo
	v_cndmask_b32_e64 v38, v9, v17, s1
	v_cndmask_b32_e64 v37, v8, v16, s1
	;; [unrolled: 1-line block ×6, first 2 shown]
	v_cmp_eq_u32_e64 s1, 10, v0
	v_cndmask_b32_e64 v1, v1, v12, s3
	v_cndmask_b32_e64 v32, v32, v13, s3
	v_cmp_eq_u32_e64 s2, 11, v0
	v_cndmask_b32_e64 v48, v19, v17, s0
	v_cndmask_b32_e64 v47, v18, v16, s0
	;; [unrolled: 1-line block ×9, first 2 shown]
	v_cndmask_b32_e32 v33, v4, v16, vcc_lo
	v_cmp_eq_u32_e32 vcc_lo, 9, v0
	v_cndmask_b32_e64 v44, v15, v17, s4
	v_cndmask_b32_e64 v1, v1, v18, s0
	;; [unrolled: 1-line block ×3, first 2 shown]
	v_cmp_eq_u32_e64 s0, 12, v0
	v_cndmask_b32_e64 v43, v14, v16, s4
	v_dual_cndmask_b32 v50, v21, v17 :: v_dual_cndmask_b32 v49, v20, v16
	v_cndmask_b32_e64 v52, v23, v17, s1
	v_cndmask_b32_e64 v51, v22, v16, s1
	;; [unrolled: 1-line block ×6, first 2 shown]
	v_cndmask_b32_e32 v1, v1, v20, vcc_lo
	v_cndmask_b32_e32 v3, v3, v21, vcc_lo
	v_cmp_eq_u32_e32 vcc_lo, 13, v0
	s_delay_alu instid0(VALU_DEP_3) | instskip(NEXT) | instid1(VALU_DEP_3)
	v_cndmask_b32_e64 v1, v1, v22, s1
	v_cndmask_b32_e64 v3, v3, v23, s1
	v_cmp_eq_u32_e64 s1, 14, v0
	v_dual_cndmask_b32 v58, v29, v17 :: v_dual_cndmask_b32 v57, v28, v16
	s_delay_alu instid0(VALU_DEP_4) | instskip(NEXT) | instid1(VALU_DEP_4)
	v_cndmask_b32_e64 v1, v1, v24, s2
	v_cndmask_b32_e64 v3, v3, v25, s2
	s_delay_alu instid0(VALU_DEP_4) | instskip(SKIP_1) | instid1(VALU_DEP_4)
	v_cndmask_b32_e64 v60, v31, v17, s1
	v_cndmask_b32_e64 v59, v30, v16, s1
	;; [unrolled: 1-line block ×3, first 2 shown]
	s_delay_alu instid0(VALU_DEP_4) | instskip(NEXT) | instid1(VALU_DEP_2)
	v_cndmask_b32_e64 v3, v3, v27, s0
	v_cndmask_b32_e32 v1, v1, v28, vcc_lo
	s_delay_alu instid0(VALU_DEP_1) | instskip(NEXT) | instid1(VALU_DEP_1)
	v_cndmask_b32_e64 v0, v1, v30, s1
	v_cndmask_b32_e64 v45, v0, v16, s5
	s_delay_alu instid0(VALU_DEP_4) | instskip(NEXT) | instid1(VALU_DEP_1)
	v_cndmask_b32_e32 v3, v3, v29, vcc_lo
	v_cndmask_b32_e64 v1, v3, v31, s1
	v_cndmask_b32_e64 v31, v2, v16, s6
	s_delay_alu instid0(VALU_DEP_2) | instskip(NEXT) | instid1(VALU_DEP_2)
	v_cndmask_b32_e64 v46, v1, v17, s5
	v_mov_b32_e32 v2, v31
	v_dual_mov_b32 v8, v37 :: v_dual_mov_b32 v3, v32
	v_mov_b32_e32 v10, v39
	v_dual_mov_b32 v4, v33 :: v_dual_mov_b32 v5, v34
	;; [unrolled: 2-line block ×3, first 2 shown]
	v_dual_mov_b32 v14, v43 :: v_dual_mov_b32 v9, v38
	v_dual_mov_b32 v16, v45 :: v_dual_mov_b32 v11, v40
	;; [unrolled: 1-line block ×9, first 2 shown]
	v_mov_b32_e32 v27, v56
	v_mov_b32_e32 v29, v58
	;; [unrolled: 1-line block ×5, first 2 shown]
.LBB78_127:
	s_or_b32 exec_lo, exec_lo, s7
	v_dual_mov_b32 v0, s16 :: v_dual_mov_b32 v1, s17
	s_mov_b32 s7, exec_lo
	flat_load_b32 v0, v[0:1] offset:24
	s_waitcnt vmcnt(0) lgkmcnt(0)
	v_add_nc_u32_e32 v0, -1, v0
	s_delay_alu instid0(VALU_DEP_1)
	v_cmpx_ne_u32_e32 6, v0
	s_cbranch_execz .LBB78_129
; %bb.128:
	v_cmp_eq_u32_e32 vcc_lo, 1, v0
	v_cmp_eq_u32_e64 s0, 2, v0
	v_cmp_eq_u32_e64 s1, 3, v0
	;; [unrolled: 1-line block ×4, first 2 shown]
	v_dual_cndmask_b32 v1, v2, v4 :: v_dual_cndmask_b32 v32, v3, v5
	v_cmp_eq_u32_e64 s4, 6, v0
	v_cmp_eq_u32_e64 s5, 7, v0
	;; [unrolled: 1-line block ×3, first 2 shown]
	s_delay_alu instid0(VALU_DEP_4)
	v_cndmask_b32_e64 v1, v1, v6, s0
	v_cndmask_b32_e64 v32, v32, v7, s0
	;; [unrolled: 1-line block ×4, first 2 shown]
	v_cmp_eq_u32_e64 s0, 8, v0
	v_cndmask_b32_e64 v1, v1, v8, s1
	v_cndmask_b32_e64 v32, v32, v9, s1
	v_cndmask_b32_e32 v34, v5, v15, vcc_lo
	v_cndmask_b32_e64 v38, v9, v15, s1
	v_cndmask_b32_e64 v37, v8, v14, s1
	;; [unrolled: 1-line block ×6, first 2 shown]
	v_cmp_eq_u32_e64 s1, 10, v0
	v_cndmask_b32_e64 v1, v1, v12, s3
	v_cndmask_b32_e64 v32, v32, v13, s3
	v_cmp_eq_u32_e64 s2, 11, v0
	v_cndmask_b32_e64 v48, v19, v15, s0
	v_cndmask_b32_e64 v47, v18, v14, s0
	;; [unrolled: 1-line block ×9, first 2 shown]
	v_cndmask_b32_e32 v33, v4, v14, vcc_lo
	v_cmp_eq_u32_e32 vcc_lo, 9, v0
	v_cndmask_b32_e64 v46, v17, v15, s5
	v_cndmask_b32_e64 v1, v1, v18, s0
	v_cndmask_b32_e64 v3, v3, v19, s0
	v_cmp_eq_u32_e64 s0, 12, v0
	v_cndmask_b32_e64 v45, v16, v14, s5
	v_dual_cndmask_b32 v49, v20, v14 :: v_dual_cndmask_b32 v50, v21, v15
	s_delay_alu instid0(VALU_DEP_4)
	v_cndmask_b32_e32 v3, v3, v21, vcc_lo
	v_cndmask_b32_e64 v52, v23, v15, s1
	v_cndmask_b32_e64 v51, v22, v14, s1
	;; [unrolled: 1-line block ×6, first 2 shown]
	v_cndmask_b32_e32 v1, v1, v20, vcc_lo
	v_cndmask_b32_e64 v3, v3, v23, s1
	v_cmp_eq_u32_e32 vcc_lo, 13, v0
	s_delay_alu instid0(VALU_DEP_3) | instskip(SKIP_1) | instid1(VALU_DEP_4)
	v_cndmask_b32_e64 v1, v1, v22, s1
	v_cmp_eq_u32_e64 s1, 14, v0
	v_cndmask_b32_e64 v3, v3, v25, s2
	v_dual_cndmask_b32 v58, v29, v15 :: v_dual_cndmask_b32 v57, v28, v14
	s_delay_alu instid0(VALU_DEP_4) | instskip(NEXT) | instid1(VALU_DEP_4)
	v_cndmask_b32_e64 v1, v1, v24, s2
	v_cndmask_b32_e64 v60, v31, v15, s1
	;; [unrolled: 1-line block ×4, first 2 shown]
	s_delay_alu instid0(VALU_DEP_4) | instskip(NEXT) | instid1(VALU_DEP_1)
	v_cndmask_b32_e64 v1, v1, v26, s0
	v_cndmask_b32_e32 v1, v1, v28, vcc_lo
	s_delay_alu instid0(VALU_DEP_1) | instskip(NEXT) | instid1(VALU_DEP_1)
	v_cndmask_b32_e64 v0, v1, v30, s1
	v_cndmask_b32_e64 v43, v0, v14, s4
	v_cndmask_b32_e32 v3, v3, v29, vcc_lo
	s_delay_alu instid0(VALU_DEP_1) | instskip(SKIP_1) | instid1(VALU_DEP_2)
	v_cndmask_b32_e64 v1, v3, v31, s1
	v_cndmask_b32_e64 v31, v2, v14, s6
	;; [unrolled: 1-line block ×3, first 2 shown]
	s_delay_alu instid0(VALU_DEP_2)
	v_mov_b32_e32 v2, v31
	v_dual_mov_b32 v4, v33 :: v_dual_mov_b32 v3, v32
	v_dual_mov_b32 v8, v37 :: v_dual_mov_b32 v5, v34
	v_mov_b32_e32 v10, v39
	v_dual_mov_b32 v6, v35 :: v_dual_mov_b32 v7, v36
	v_dual_mov_b32 v12, v41 :: v_dual_mov_b32 v9, v38
	;; [unrolled: 1-line block ×11, first 2 shown]
	v_mov_b32_e32 v29, v58
	v_mov_b32_e32 v31, v60
	;; [unrolled: 1-line block ×4, first 2 shown]
.LBB78_129:
	s_or_b32 exec_lo, exec_lo, s7
	v_dual_mov_b32 v0, s16 :: v_dual_mov_b32 v1, s17
	s_mov_b32 s7, exec_lo
	flat_load_b32 v0, v[0:1] offset:20
	s_waitcnt vmcnt(0) lgkmcnt(0)
	v_add_nc_u32_e32 v0, -1, v0
	s_delay_alu instid0(VALU_DEP_1)
	v_cmpx_ne_u32_e32 5, v0
	s_cbranch_execz .LBB78_131
; %bb.130:
	v_cmp_eq_u32_e32 vcc_lo, 1, v0
	v_cmp_eq_u32_e64 s0, 2, v0
	v_cmp_eq_u32_e64 s1, 3, v0
	v_cmp_eq_u32_e64 s2, 4, v0
	v_cmp_eq_u32_e64 s3, 5, v0
	v_dual_cndmask_b32 v1, v2, v4 :: v_dual_cndmask_b32 v32, v3, v5
	v_cmp_eq_u32_e64 s4, 6, v0
	v_cmp_eq_u32_e64 s5, 7, v0
	;; [unrolled: 1-line block ×3, first 2 shown]
	s_delay_alu instid0(VALU_DEP_4)
	v_cndmask_b32_e64 v1, v1, v6, s0
	v_cndmask_b32_e64 v32, v32, v7, s0
	;; [unrolled: 1-line block ×4, first 2 shown]
	v_cmp_eq_u32_e64 s0, 8, v0
	v_cndmask_b32_e64 v1, v1, v8, s1
	v_cndmask_b32_e64 v32, v32, v9, s1
	v_cndmask_b32_e32 v34, v5, v13, vcc_lo
	v_cndmask_b32_e64 v38, v9, v13, s1
	v_cndmask_b32_e64 v37, v8, v12, s1
	;; [unrolled: 1-line block ×6, first 2 shown]
	v_cmp_eq_u32_e64 s1, 10, v0
	v_cndmask_b32_e64 v1, v1, v12, s3
	v_cndmask_b32_e64 v32, v32, v13, s3
	v_cmp_eq_u32_e64 s2, 11, v0
	v_cndmask_b32_e64 v48, v19, v13, s0
	v_cndmask_b32_e64 v47, v18, v12, s0
	;; [unrolled: 1-line block ×9, first 2 shown]
	v_cndmask_b32_e32 v33, v4, v12, vcc_lo
	v_cmp_eq_u32_e32 vcc_lo, 9, v0
	v_cndmask_b32_e64 v46, v17, v13, s5
	v_cndmask_b32_e64 v1, v1, v18, s0
	;; [unrolled: 1-line block ×3, first 2 shown]
	v_cmp_eq_u32_e64 s0, 12, v0
	v_cndmask_b32_e64 v45, v16, v12, s5
	v_dual_cndmask_b32 v50, v21, v13 :: v_dual_cndmask_b32 v49, v20, v12
	v_cndmask_b32_e64 v52, v23, v13, s1
	v_cndmask_b32_e64 v51, v22, v12, s1
	;; [unrolled: 1-line block ×6, first 2 shown]
	v_cndmask_b32_e32 v1, v1, v20, vcc_lo
	v_cndmask_b32_e32 v3, v3, v21, vcc_lo
	v_cmp_eq_u32_e32 vcc_lo, 13, v0
	s_delay_alu instid0(VALU_DEP_3) | instskip(NEXT) | instid1(VALU_DEP_3)
	v_cndmask_b32_e64 v1, v1, v22, s1
	v_cndmask_b32_e64 v3, v3, v23, s1
	v_cmp_eq_u32_e64 s1, 14, v0
	v_dual_cndmask_b32 v58, v29, v13 :: v_dual_cndmask_b32 v57, v28, v12
	s_delay_alu instid0(VALU_DEP_4) | instskip(NEXT) | instid1(VALU_DEP_4)
	v_cndmask_b32_e64 v1, v1, v24, s2
	v_cndmask_b32_e64 v3, v3, v25, s2
	s_delay_alu instid0(VALU_DEP_4) | instskip(SKIP_1) | instid1(VALU_DEP_4)
	v_cndmask_b32_e64 v60, v31, v13, s1
	v_cndmask_b32_e64 v59, v30, v12, s1
	;; [unrolled: 1-line block ×3, first 2 shown]
	s_delay_alu instid0(VALU_DEP_4) | instskip(NEXT) | instid1(VALU_DEP_2)
	v_cndmask_b32_e64 v3, v3, v27, s0
	v_cndmask_b32_e32 v1, v1, v28, vcc_lo
	s_delay_alu instid0(VALU_DEP_1) | instskip(NEXT) | instid1(VALU_DEP_1)
	v_cndmask_b32_e64 v0, v1, v30, s1
	v_cndmask_b32_e64 v41, v0, v12, s3
	s_delay_alu instid0(VALU_DEP_4) | instskip(NEXT) | instid1(VALU_DEP_1)
	v_cndmask_b32_e32 v3, v3, v29, vcc_lo
	v_cndmask_b32_e64 v1, v3, v31, s1
	v_cndmask_b32_e64 v31, v2, v12, s6
	s_delay_alu instid0(VALU_DEP_2) | instskip(NEXT) | instid1(VALU_DEP_2)
	v_cndmask_b32_e64 v42, v1, v13, s3
	v_mov_b32_e32 v2, v31
	v_dual_mov_b32 v8, v37 :: v_dual_mov_b32 v3, v32
	v_mov_b32_e32 v10, v39
	v_dual_mov_b32 v4, v33 :: v_dual_mov_b32 v5, v34
	v_mov_b32_e32 v12, v41
	v_dual_mov_b32 v6, v35 :: v_dual_mov_b32 v7, v36
	v_dual_mov_b32 v14, v43 :: v_dual_mov_b32 v9, v38
	v_dual_mov_b32 v16, v45 :: v_dual_mov_b32 v11, v40
	;; [unrolled: 1-line block ×9, first 2 shown]
	v_mov_b32_e32 v27, v56
	v_mov_b32_e32 v29, v58
	v_mov_b32_e32 v31, v60
	v_mov_b32_e32 v32, v61
	v_mov_b32_e32 v33, v62
.LBB78_131:
	s_or_b32 exec_lo, exec_lo, s7
	v_dual_mov_b32 v0, s16 :: v_dual_mov_b32 v1, s17
	s_mov_b32 s7, exec_lo
	flat_load_b32 v0, v[0:1] offset:16
	s_waitcnt vmcnt(0) lgkmcnt(0)
	v_add_nc_u32_e32 v0, -1, v0
	s_delay_alu instid0(VALU_DEP_1)
	v_cmpx_ne_u32_e32 4, v0
	s_cbranch_execz .LBB78_133
; %bb.132:
	v_cmp_eq_u32_e32 vcc_lo, 1, v0
	v_cmp_eq_u32_e64 s0, 2, v0
	v_cmp_eq_u32_e64 s1, 3, v0
	;; [unrolled: 1-line block ×4, first 2 shown]
	v_dual_cndmask_b32 v1, v2, v4 :: v_dual_cndmask_b32 v32, v3, v5
	v_cmp_eq_u32_e64 s4, 6, v0
	v_cmp_eq_u32_e64 s5, 7, v0
	v_cmp_eq_u32_e64 s6, 0, v0
	s_delay_alu instid0(VALU_DEP_4)
	v_cndmask_b32_e64 v1, v1, v6, s0
	v_cndmask_b32_e64 v32, v32, v7, s0
	;; [unrolled: 1-line block ×4, first 2 shown]
	v_cmp_eq_u32_e64 s0, 8, v0
	v_cndmask_b32_e64 v1, v1, v8, s1
	v_cndmask_b32_e64 v32, v32, v9, s1
	v_cndmask_b32_e32 v34, v5, v11, vcc_lo
	v_cndmask_b32_e64 v38, v9, v11, s1
	v_cndmask_b32_e64 v37, v8, v10, s1
	;; [unrolled: 1-line block ×6, first 2 shown]
	v_cmp_eq_u32_e64 s1, 10, v0
	v_cndmask_b32_e64 v1, v1, v12, s3
	v_cndmask_b32_e64 v32, v32, v13, s3
	v_cmp_eq_u32_e64 s3, 11, v0
	v_cndmask_b32_e64 v48, v19, v11, s0
	v_cndmask_b32_e64 v47, v18, v10, s0
	;; [unrolled: 1-line block ×9, first 2 shown]
	v_cndmask_b32_e32 v33, v4, v10, vcc_lo
	v_cmp_eq_u32_e32 vcc_lo, 9, v0
	v_cndmask_b32_e64 v46, v17, v11, s5
	v_cndmask_b32_e64 v1, v1, v18, s0
	;; [unrolled: 1-line block ×3, first 2 shown]
	v_cmp_eq_u32_e64 s0, 12, v0
	v_cndmask_b32_e64 v45, v16, v10, s5
	v_dual_cndmask_b32 v49, v20, v10 :: v_dual_cndmask_b32 v50, v21, v11
	s_delay_alu instid0(VALU_DEP_4)
	v_cndmask_b32_e32 v3, v3, v21, vcc_lo
	v_cndmask_b32_e64 v52, v23, v11, s1
	v_cndmask_b32_e64 v51, v22, v10, s1
	;; [unrolled: 1-line block ×6, first 2 shown]
	v_cndmask_b32_e32 v1, v1, v20, vcc_lo
	v_cndmask_b32_e64 v3, v3, v23, s1
	v_cmp_eq_u32_e32 vcc_lo, 13, v0
	s_delay_alu instid0(VALU_DEP_3) | instskip(SKIP_1) | instid1(VALU_DEP_4)
	v_cndmask_b32_e64 v1, v1, v22, s1
	v_cmp_eq_u32_e64 s1, 14, v0
	v_cndmask_b32_e64 v3, v3, v25, s3
	v_dual_cndmask_b32 v58, v29, v11 :: v_dual_cndmask_b32 v57, v28, v10
	s_delay_alu instid0(VALU_DEP_4) | instskip(NEXT) | instid1(VALU_DEP_4)
	v_cndmask_b32_e64 v1, v1, v24, s3
	v_cndmask_b32_e64 v60, v31, v11, s1
	;; [unrolled: 1-line block ×4, first 2 shown]
	s_delay_alu instid0(VALU_DEP_4) | instskip(NEXT) | instid1(VALU_DEP_1)
	v_cndmask_b32_e64 v1, v1, v26, s0
	v_cndmask_b32_e32 v1, v1, v28, vcc_lo
	s_delay_alu instid0(VALU_DEP_1) | instskip(NEXT) | instid1(VALU_DEP_1)
	v_cndmask_b32_e64 v0, v1, v30, s1
	v_cndmask_b32_e64 v39, v0, v10, s2
	v_cndmask_b32_e32 v3, v3, v29, vcc_lo
	s_delay_alu instid0(VALU_DEP_1) | instskip(SKIP_1) | instid1(VALU_DEP_2)
	v_cndmask_b32_e64 v1, v3, v31, s1
	v_cndmask_b32_e64 v31, v2, v10, s6
	;; [unrolled: 1-line block ×3, first 2 shown]
	s_delay_alu instid0(VALU_DEP_2)
	v_mov_b32_e32 v2, v31
	v_dual_mov_b32 v4, v33 :: v_dual_mov_b32 v3, v32
	v_dual_mov_b32 v8, v37 :: v_dual_mov_b32 v5, v34
	v_mov_b32_e32 v10, v39
	v_dual_mov_b32 v6, v35 :: v_dual_mov_b32 v7, v36
	v_dual_mov_b32 v12, v41 :: v_dual_mov_b32 v9, v38
	;; [unrolled: 1-line block ×11, first 2 shown]
	v_mov_b32_e32 v29, v58
	v_mov_b32_e32 v31, v60
	;; [unrolled: 1-line block ×4, first 2 shown]
.LBB78_133:
	s_or_b32 exec_lo, exec_lo, s7
	v_dual_mov_b32 v0, s16 :: v_dual_mov_b32 v1, s17
	s_mov_b32 s7, exec_lo
	flat_load_b32 v0, v[0:1] offset:12
	s_waitcnt vmcnt(0) lgkmcnt(0)
	v_add_nc_u32_e32 v0, -1, v0
	s_delay_alu instid0(VALU_DEP_1)
	v_cmpx_ne_u32_e32 3, v0
	s_cbranch_execz .LBB78_135
; %bb.134:
	v_cmp_eq_u32_e32 vcc_lo, 1, v0
	v_cmp_eq_u32_e64 s0, 2, v0
	v_cmp_eq_u32_e64 s1, 3, v0
	;; [unrolled: 1-line block ×4, first 2 shown]
	v_dual_cndmask_b32 v1, v2, v4 :: v_dual_cndmask_b32 v32, v3, v5
	v_cmp_eq_u32_e64 s4, 6, v0
	v_cmp_eq_u32_e64 s5, 7, v0
	;; [unrolled: 1-line block ×3, first 2 shown]
	s_delay_alu instid0(VALU_DEP_4)
	v_cndmask_b32_e64 v1, v1, v6, s0
	v_cndmask_b32_e64 v32, v32, v7, s0
	;; [unrolled: 1-line block ×4, first 2 shown]
	v_cmp_eq_u32_e64 s0, 8, v0
	v_cndmask_b32_e64 v1, v1, v8, s1
	v_cndmask_b32_e64 v32, v32, v9, s1
	v_cndmask_b32_e32 v34, v5, v9, vcc_lo
	v_cndmask_b32_e64 v40, v11, v9, s2
	v_cndmask_b32_e64 v39, v10, v8, s2
	;; [unrolled: 1-line block ×6, first 2 shown]
	v_cmp_eq_u32_e64 s2, 10, v0
	v_cndmask_b32_e64 v1, v1, v12, s3
	v_cndmask_b32_e64 v32, v32, v13, s3
	v_cmp_eq_u32_e64 s3, 11, v0
	v_cndmask_b32_e64 v48, v19, v9, s0
	v_cndmask_b32_e64 v47, v18, v8, s0
	v_cndmask_b32_e64 v1, v1, v14, s4
	v_cndmask_b32_e64 v33, v32, v15, s4
	v_cndmask_b32_e64 v32, v3, v9, s6
	v_cndmask_b32_e64 v44, v15, v9, s4
	v_cndmask_b32_e64 v43, v14, v8, s4
	v_cndmask_b32_e64 v1, v1, v16, s5
	v_cndmask_b32_e64 v3, v33, v17, s5
	v_cndmask_b32_e32 v33, v4, v8, vcc_lo
	v_cmp_eq_u32_e32 vcc_lo, 9, v0
	v_cndmask_b32_e64 v46, v17, v9, s5
	v_cndmask_b32_e64 v1, v1, v18, s0
	;; [unrolled: 1-line block ×3, first 2 shown]
	v_cmp_eq_u32_e64 s0, 12, v0
	v_cndmask_b32_e64 v45, v16, v8, s5
	v_dual_cndmask_b32 v50, v21, v9 :: v_dual_cndmask_b32 v49, v20, v8
	v_cndmask_b32_e64 v52, v23, v9, s2
	v_cndmask_b32_e64 v51, v22, v8, s2
	;; [unrolled: 1-line block ×6, first 2 shown]
	v_cndmask_b32_e32 v1, v1, v20, vcc_lo
	v_cndmask_b32_e32 v3, v3, v21, vcc_lo
	v_cmp_eq_u32_e32 vcc_lo, 13, v0
	s_delay_alu instid0(VALU_DEP_3) | instskip(NEXT) | instid1(VALU_DEP_3)
	v_cndmask_b32_e64 v1, v1, v22, s2
	v_cndmask_b32_e64 v3, v3, v23, s2
	v_cmp_eq_u32_e64 s2, 14, v0
	v_dual_cndmask_b32 v58, v29, v9 :: v_dual_cndmask_b32 v57, v28, v8
	s_delay_alu instid0(VALU_DEP_4) | instskip(NEXT) | instid1(VALU_DEP_4)
	v_cndmask_b32_e64 v1, v1, v24, s3
	v_cndmask_b32_e64 v3, v3, v25, s3
	s_delay_alu instid0(VALU_DEP_4) | instskip(SKIP_1) | instid1(VALU_DEP_4)
	v_cndmask_b32_e64 v60, v31, v9, s2
	v_cndmask_b32_e64 v59, v30, v8, s2
	v_cndmask_b32_e64 v1, v1, v26, s0
	s_delay_alu instid0(VALU_DEP_4) | instskip(NEXT) | instid1(VALU_DEP_2)
	v_cndmask_b32_e64 v3, v3, v27, s0
	v_cndmask_b32_e32 v1, v1, v28, vcc_lo
	s_delay_alu instid0(VALU_DEP_1) | instskip(NEXT) | instid1(VALU_DEP_1)
	v_cndmask_b32_e64 v0, v1, v30, s2
	v_cndmask_b32_e64 v37, v0, v8, s1
	s_delay_alu instid0(VALU_DEP_4) | instskip(NEXT) | instid1(VALU_DEP_1)
	v_cndmask_b32_e32 v3, v3, v29, vcc_lo
	v_cndmask_b32_e64 v1, v3, v31, s2
	v_cndmask_b32_e64 v31, v2, v8, s6
	s_delay_alu instid0(VALU_DEP_2) | instskip(NEXT) | instid1(VALU_DEP_2)
	v_cndmask_b32_e64 v38, v1, v9, s1
	v_mov_b32_e32 v2, v31
	v_dual_mov_b32 v8, v37 :: v_dual_mov_b32 v3, v32
	v_mov_b32_e32 v10, v39
	v_dual_mov_b32 v4, v33 :: v_dual_mov_b32 v5, v34
	;; [unrolled: 2-line block ×3, first 2 shown]
	v_dual_mov_b32 v14, v43 :: v_dual_mov_b32 v9, v38
	v_dual_mov_b32 v16, v45 :: v_dual_mov_b32 v11, v40
	;; [unrolled: 1-line block ×9, first 2 shown]
	v_mov_b32_e32 v27, v56
	v_mov_b32_e32 v29, v58
	;; [unrolled: 1-line block ×5, first 2 shown]
.LBB78_135:
	s_or_b32 exec_lo, exec_lo, s7
	v_dual_mov_b32 v0, s16 :: v_dual_mov_b32 v1, s17
	s_mov_b32 s7, exec_lo
	flat_load_b32 v0, v[0:1] offset:8
	s_waitcnt vmcnt(0) lgkmcnt(0)
	v_add_nc_u32_e32 v0, -1, v0
	s_delay_alu instid0(VALU_DEP_1)
	v_cmpx_ne_u32_e32 2, v0
	s_cbranch_execz .LBB78_137
; %bb.136:
	v_cmp_eq_u32_e32 vcc_lo, 1, v0
	v_cmp_eq_u32_e64 s0, 2, v0
	v_cmp_eq_u32_e64 s1, 3, v0
	;; [unrolled: 1-line block ×4, first 2 shown]
	v_dual_cndmask_b32 v1, v2, v4 :: v_dual_cndmask_b32 v32, v3, v5
	v_cmp_eq_u32_e64 s4, 6, v0
	v_cmp_eq_u32_e64 s5, 7, v0
	;; [unrolled: 1-line block ×3, first 2 shown]
	s_delay_alu instid0(VALU_DEP_4) | instskip(SKIP_3) | instid1(VALU_DEP_4)
	v_cndmask_b32_e64 v1, v1, v6, s0
	v_cndmask_b32_e64 v32, v32, v7, s0
	v_dual_cndmask_b32 v34, v5, v7 :: v_dual_cndmask_b32 v33, v4, v6
	v_cmp_eq_u32_e32 vcc_lo, 8, v0
	v_cndmask_b32_e64 v1, v1, v8, s1
	s_delay_alu instid0(VALU_DEP_4)
	v_cndmask_b32_e64 v32, v32, v9, s1
	v_cndmask_b32_e64 v38, v9, v7, s1
	;; [unrolled: 1-line block ×6, first 2 shown]
	v_cmp_eq_u32_e64 s1, 9, v0
	v_cndmask_b32_e64 v39, v10, v6, s2
	v_cndmask_b32_e64 v42, v13, v7, s3
	;; [unrolled: 1-line block ×5, first 2 shown]
	v_cmp_eq_u32_e64 s2, 10, v0
	v_cmp_eq_u32_e64 s3, 11, v0
	v_cndmask_b32_e64 v1, v1, v14, s4
	v_cndmask_b32_e64 v35, v32, v15, s4
	;; [unrolled: 1-line block ×9, first 2 shown]
	v_cndmask_b32_e32 v47, v18, v6, vcc_lo
	v_dual_cndmask_b32 v1, v1, v18 :: v_dual_cndmask_b32 v48, v19, v7
	v_cndmask_b32_e64 v50, v21, v7, s1
	v_cndmask_b32_e64 v49, v20, v6, s1
	;; [unrolled: 1-line block ×3, first 2 shown]
	s_delay_alu instid0(VALU_DEP_4)
	v_cndmask_b32_e64 v1, v1, v20, s1
	v_cndmask_b32_e64 v51, v22, v6, s2
	v_cndmask_b32_e64 v54, v25, v7, s3
	v_cndmask_b32_e64 v53, v24, v6, s3
	v_cndmask_b32_e32 v3, v3, v19, vcc_lo
	v_cndmask_b32_e64 v1, v1, v22, s2
	v_cmp_eq_u32_e32 vcc_lo, 12, v0
	s_delay_alu instid0(VALU_DEP_3) | instskip(NEXT) | instid1(VALU_DEP_3)
	v_cndmask_b32_e64 v3, v3, v21, s1
	v_cndmask_b32_e64 v1, v1, v24, s3
	v_cmp_eq_u32_e64 s1, 13, v0
	v_dual_cndmask_b32 v56, v27, v7 :: v_dual_cndmask_b32 v55, v26, v6
	s_delay_alu instid0(VALU_DEP_4) | instskip(SKIP_1) | instid1(VALU_DEP_4)
	v_cndmask_b32_e64 v3, v3, v23, s2
	v_cmp_eq_u32_e64 s2, 14, v0
	v_cndmask_b32_e64 v58, v29, v7, s1
	v_cndmask_b32_e64 v57, v28, v6, s1
	s_delay_alu instid0(VALU_DEP_4) | instskip(NEXT) | instid1(VALU_DEP_4)
	v_cndmask_b32_e64 v3, v3, v25, s3
	v_cndmask_b32_e64 v60, v31, v7, s2
	v_cndmask_b32_e64 v59, v30, v6, s2
	v_cndmask_b32_e32 v1, v1, v26, vcc_lo
	s_delay_alu instid0(VALU_DEP_1) | instskip(NEXT) | instid1(VALU_DEP_1)
	v_cndmask_b32_e64 v1, v1, v28, s1
	v_cndmask_b32_e64 v0, v1, v30, s2
	s_delay_alu instid0(VALU_DEP_1) | instskip(SKIP_1) | instid1(VALU_DEP_1)
	v_cndmask_b32_e64 v35, v0, v6, s0
	v_cndmask_b32_e32 v3, v3, v27, vcc_lo
	v_cndmask_b32_e64 v3, v3, v29, s1
	s_delay_alu instid0(VALU_DEP_1) | instskip(SKIP_1) | instid1(VALU_DEP_2)
	v_cndmask_b32_e64 v1, v3, v31, s2
	v_cndmask_b32_e64 v31, v2, v6, s6
	;; [unrolled: 1-line block ×3, first 2 shown]
	s_delay_alu instid0(VALU_DEP_2)
	v_mov_b32_e32 v2, v31
	v_dual_mov_b32 v8, v37 :: v_dual_mov_b32 v3, v32
	v_mov_b32_e32 v6, v35
	v_dual_mov_b32 v4, v33 :: v_dual_mov_b32 v5, v34
	v_dual_mov_b32 v10, v39 :: v_dual_mov_b32 v7, v36
	;; [unrolled: 1-line block ×12, first 2 shown]
	v_mov_b32_e32 v29, v58
	v_mov_b32_e32 v31, v60
	;; [unrolled: 1-line block ×4, first 2 shown]
.LBB78_137:
	s_or_b32 exec_lo, exec_lo, s7
	v_dual_mov_b32 v0, s16 :: v_dual_mov_b32 v1, s17
	s_mov_b32 s7, exec_lo
	flat_load_b32 v0, v[0:1] offset:4
	s_waitcnt vmcnt(0) lgkmcnt(0)
	v_add_nc_u32_e32 v0, -1, v0
	s_delay_alu instid0(VALU_DEP_1)
	v_cmpx_ne_u32_e32 1, v0
	s_cbranch_execz .LBB78_139
; %bb.138:
	v_cmp_eq_u32_e32 vcc_lo, 1, v0
	v_cmp_eq_u32_e64 s0, 2, v0
	v_cmp_eq_u32_e64 s1, 3, v0
	v_cmp_eq_u32_e64 s2, 4, v0
	v_cmp_eq_u32_e64 s3, 5, v0
	v_dual_cndmask_b32 v1, v2, v4 :: v_dual_cndmask_b32 v32, v3, v5
	v_cmp_eq_u32_e64 s4, 6, v0
	v_cmp_eq_u32_e64 s5, 7, v0
	;; [unrolled: 1-line block ×3, first 2 shown]
	s_delay_alu instid0(VALU_DEP_4)
	v_cndmask_b32_e64 v1, v1, v6, s0
	v_cndmask_b32_e64 v32, v32, v7, s0
	v_cndmask_b32_e64 v36, v7, v5, s0
	v_cndmask_b32_e64 v35, v6, v4, s0
	v_cmp_eq_u32_e64 s0, 8, v0
	v_cndmask_b32_e64 v1, v1, v8, s1
	v_cndmask_b32_e64 v32, v32, v9, s1
	v_cndmask_b32_e64 v38, v9, v5, s1
	v_cndmask_b32_e64 v37, v8, v4, s1
	v_cmp_eq_u32_e64 s1, 9, v0
	;; [unrolled: 5-line block ×4, first 2 shown]
	v_cndmask_b32_e64 v1, v1, v14, s4
	v_cndmask_b32_e64 v33, v32, v15, s4
	;; [unrolled: 1-line block ×12, first 2 shown]
	v_cmp_eq_u32_e64 s0, 12, v0
	v_cndmask_b32_e64 v51, v22, v4, s2
	v_cndmask_b32_e64 v44, v15, v5, s4
	v_cndmask_b32_e64 v1, v1, v20, s1
	v_cndmask_b32_e64 v3, v3, v21, s1
	v_cmp_eq_u32_e64 s1, 13, v0
	v_cndmask_b32_e64 v43, v14, v4, s4
	v_cndmask_b32_e64 v46, v17, v5, s5
	v_cndmask_b32_e64 v1, v1, v22, s2
	v_cndmask_b32_e64 v3, v3, v23, s2
	;; [unrolled: 5-line block ×3, first 2 shown]
	v_cndmask_b32_e64 v60, v31, v5, s2
	v_cndmask_b32_e64 v53, v24, v4, s3
	;; [unrolled: 1-line block ×11, first 2 shown]
	s_delay_alu instid0(VALU_DEP_3) | instskip(NEXT) | instid1(VALU_DEP_3)
	v_cndmask_b32_e64 v0, v1, v30, s2
	v_cndmask_b32_e64 v1, v3, v31, s2
	;; [unrolled: 1-line block ×3, first 2 shown]
	s_delay_alu instid0(VALU_DEP_2) | instskip(NEXT) | instid1(VALU_DEP_2)
	v_dual_cndmask_b32 v33, v0, v4 :: v_dual_cndmask_b32 v34, v1, v5
	v_mov_b32_e32 v2, v31
	s_delay_alu instid0(VALU_DEP_2) | instskip(NEXT) | instid1(VALU_DEP_3)
	v_dual_mov_b32 v3, v32 :: v_dual_mov_b32 v4, v33
	v_dual_mov_b32 v6, v35 :: v_dual_mov_b32 v5, v34
	;; [unrolled: 1-line block ×14, first 2 shown]
	v_mov_b32_e32 v31, v60
	v_mov_b32_e32 v32, v61
	v_mov_b32_e32 v33, v62
.LBB78_139:
	s_or_b32 exec_lo, exec_lo, s7
	v_dual_mov_b32 v0, s16 :: v_dual_mov_b32 v1, s17
	s_mov_b32 s6, exec_lo
	flat_load_b32 v0, v[0:1]
	s_waitcnt vmcnt(0) lgkmcnt(0)
	v_add_nc_u32_e32 v0, -1, v0
	s_delay_alu instid0(VALU_DEP_1)
	v_cmpx_ne_u32_e32 0, v0
	s_cbranch_execz .LBB78_141
; %bb.140:
	v_cmp_eq_u32_e32 vcc_lo, 1, v0
	v_cmp_eq_u32_e64 s0, 2, v0
	v_cmp_eq_u32_e64 s1, 3, v0
	;; [unrolled: 1-line block ×4, first 2 shown]
	v_dual_cndmask_b32 v1, v2, v4 :: v_dual_cndmask_b32 v32, v3, v5
	v_cmp_eq_u32_e64 s4, 6, v0
	v_cmp_eq_u32_e64 s5, 7, v0
	v_cndmask_b32_e64 v34, v7, v3, s0
	s_delay_alu instid0(VALU_DEP_4)
	v_cndmask_b32_e64 v1, v1, v6, s0
	v_cndmask_b32_e64 v32, v32, v7, s0
	;; [unrolled: 1-line block ×3, first 2 shown]
	v_cmp_eq_u32_e64 s0, 8, v0
	v_cndmask_b32_e64 v36, v9, v3, s1
	v_cndmask_b32_e64 v1, v1, v8, s1
	;; [unrolled: 1-line block ×8, first 2 shown]
	v_cmp_eq_u32_e64 s2, 10, v0
	v_cndmask_b32_e64 v39, v12, v2, s3
	v_cndmask_b32_e64 v46, v19, v3, s0
	;; [unrolled: 1-line block ×4, first 2 shown]
	v_cmp_eq_u32_e64 s3, 11, v0
	v_cndmask_b32_e64 v45, v18, v2, s0
	v_cndmask_b32_e64 v50, v23, v3, s2
	;; [unrolled: 1-line block ×4, first 2 shown]
	v_cndmask_b32_e32 v32, v5, v3, vcc_lo
	v_cndmask_b32_e64 v49, v22, v2, s2
	v_cndmask_b32_e64 v42, v15, v3, s4
	;; [unrolled: 1-line block ×5, first 2 shown]
	v_cmp_eq_u32_e64 s1, 9, v0
	v_cndmask_b32_e64 v41, v14, v2, s4
	v_cndmask_b32_e64 v1, v1, v18, s0
	v_cndmask_b32_e64 v5, v5, v19, s0
	v_cmp_eq_u32_e64 s0, 12, v0
	v_cndmask_b32_e64 v48, v21, v3, s1
	v_cndmask_b32_e64 v47, v20, v2, s1
	v_cndmask_b32_e64 v1, v1, v20, s1
	v_cndmask_b32_e64 v5, v5, v21, s1
	v_cmp_eq_u32_e64 s1, 13, v0
	v_cndmask_b32_e64 v54, v27, v3, s0
	;; [unrolled: 5-line block ×3, first 2 shown]
	v_cndmask_b32_e64 v44, v17, v3, s5
	v_cndmask_b32_e64 v1, v1, v24, s3
	;; [unrolled: 1-line block ×8, first 2 shown]
	v_cmp_eq_u32_e64 s0, 0, v0
	v_cndmask_b32_e64 v55, v28, v2, s1
	v_cndmask_b32_e64 v58, v31, v3, s2
	;; [unrolled: 1-line block ×5, first 2 shown]
	s_delay_alu instid0(VALU_DEP_3) | instskip(NEXT) | instid1(VALU_DEP_3)
	v_cndmask_b32_e64 v1, v1, v30, s2
	v_cndmask_b32_e64 v5, v5, v31, s2
	v_cndmask_b32_e32 v31, v4, v2, vcc_lo
	s_delay_alu instid0(VALU_DEP_3) | instskip(NEXT) | instid1(VALU_DEP_3)
	v_cndmask_b32_e64 v29, v1, v2, s0
	v_cndmask_b32_e64 v30, v5, v3, s0
	s_delay_alu instid0(VALU_DEP_2) | instskip(NEXT) | instid1(VALU_DEP_2)
	v_mov_b32_e32 v2, v29
	v_dual_mov_b32 v3, v30 :: v_dual_mov_b32 v4, v31
	v_dual_mov_b32 v5, v32 :: v_dual_mov_b32 v6, v33
	;; [unrolled: 1-line block ×13, first 2 shown]
	v_mov_b32_e32 v29, v56
	v_mov_b32_e32 v30, v57
	v_mov_b32_e32 v31, v58
	v_mov_b32_e32 v32, v59
	v_mov_b32_e32 v33, v60
.LBB78_141:
	s_or_b32 exec_lo, exec_lo, s6
.LBB78_142:
	s_delay_alu instid0(VALU_DEP_1)
	v_dual_mov_b32 v1, v3 :: v_dual_mov_b32 v0, v2
	v_dual_mov_b32 v3, v5 :: v_dual_mov_b32 v2, v4
	v_dual_mov_b32 v5, v7 :: v_dual_mov_b32 v4, v6
	v_dual_mov_b32 v7, v9 :: v_dual_mov_b32 v6, v8
	v_dual_mov_b32 v9, v11 :: v_dual_mov_b32 v8, v10
	s_clause 0x4
	global_store_b64 v[64:65], v[0:1], off
	global_store_b64 v[66:67], v[2:3], off
	global_store_b64 v[68:69], v[4:5], off
	global_store_b64 v[70:71], v[6:7], off
	global_store_b64 v[76:77], v[8:9], off
	v_dual_mov_b32 v1, v13 :: v_dual_mov_b32 v0, v12
	v_dual_mov_b32 v3, v15 :: v_dual_mov_b32 v2, v14
	v_dual_mov_b32 v5, v17 :: v_dual_mov_b32 v4, v16
	v_dual_mov_b32 v7, v19 :: v_dual_mov_b32 v6, v18
	v_dual_mov_b32 v9, v21 :: v_dual_mov_b32 v8, v20
	s_clause 0x4
	global_store_b64 v[72:73], v[0:1], off
	global_store_b64 v[74:75], v[2:3], off
	global_store_b64 v[78:79], v[4:5], off
	global_store_b64 v[80:81], v[6:7], off
	global_store_b64 v[84:85], v[8:9], off
	;; [unrolled: 11-line block ×3, first 2 shown]
	s_nop 0
	s_sendmsg sendmsg(MSG_DEALLOC_VGPRS)
	s_endpgm
	.section	.rodata,"a",@progbits
	.p2align	6, 0x0
	.amdhsa_kernel _ZN9rocsolver6v33100L18getri_kernel_smallILi15EdPKPdEEvT1_iilPiilS6_bb
		.amdhsa_group_segment_fixed_size 248
		.amdhsa_private_segment_fixed_size 0
		.amdhsa_kernarg_size 60
		.amdhsa_user_sgpr_count 15
		.amdhsa_user_sgpr_dispatch_ptr 0
		.amdhsa_user_sgpr_queue_ptr 0
		.amdhsa_user_sgpr_kernarg_segment_ptr 1
		.amdhsa_user_sgpr_dispatch_id 0
		.amdhsa_user_sgpr_private_segment_size 0
		.amdhsa_wavefront_size32 1
		.amdhsa_uses_dynamic_stack 0
		.amdhsa_enable_private_segment 0
		.amdhsa_system_sgpr_workgroup_id_x 1
		.amdhsa_system_sgpr_workgroup_id_y 0
		.amdhsa_system_sgpr_workgroup_id_z 0
		.amdhsa_system_sgpr_workgroup_info 0
		.amdhsa_system_vgpr_workitem_id 0
		.amdhsa_next_free_vgpr 96
		.amdhsa_next_free_sgpr 21
		.amdhsa_reserve_vcc 1
		.amdhsa_float_round_mode_32 0
		.amdhsa_float_round_mode_16_64 0
		.amdhsa_float_denorm_mode_32 3
		.amdhsa_float_denorm_mode_16_64 3
		.amdhsa_dx10_clamp 1
		.amdhsa_ieee_mode 1
		.amdhsa_fp16_overflow 0
		.amdhsa_workgroup_processor_mode 1
		.amdhsa_memory_ordered 1
		.amdhsa_forward_progress 0
		.amdhsa_shared_vgpr_count 0
		.amdhsa_exception_fp_ieee_invalid_op 0
		.amdhsa_exception_fp_denorm_src 0
		.amdhsa_exception_fp_ieee_div_zero 0
		.amdhsa_exception_fp_ieee_overflow 0
		.amdhsa_exception_fp_ieee_underflow 0
		.amdhsa_exception_fp_ieee_inexact 0
		.amdhsa_exception_int_div_zero 0
	.end_amdhsa_kernel
	.section	.text._ZN9rocsolver6v33100L18getri_kernel_smallILi15EdPKPdEEvT1_iilPiilS6_bb,"axG",@progbits,_ZN9rocsolver6v33100L18getri_kernel_smallILi15EdPKPdEEvT1_iilPiilS6_bb,comdat
.Lfunc_end78:
	.size	_ZN9rocsolver6v33100L18getri_kernel_smallILi15EdPKPdEEvT1_iilPiilS6_bb, .Lfunc_end78-_ZN9rocsolver6v33100L18getri_kernel_smallILi15EdPKPdEEvT1_iilPiilS6_bb
                                        ; -- End function
	.section	.AMDGPU.csdata,"",@progbits
; Kernel info:
; codeLenInByte = 27576
; NumSgprs: 23
; NumVgprs: 96
; ScratchSize: 0
; MemoryBound: 0
; FloatMode: 240
; IeeeMode: 1
; LDSByteSize: 248 bytes/workgroup (compile time only)
; SGPRBlocks: 2
; VGPRBlocks: 11
; NumSGPRsForWavesPerEU: 23
; NumVGPRsForWavesPerEU: 96
; Occupancy: 16
; WaveLimiterHint : 1
; COMPUTE_PGM_RSRC2:SCRATCH_EN: 0
; COMPUTE_PGM_RSRC2:USER_SGPR: 15
; COMPUTE_PGM_RSRC2:TRAP_HANDLER: 0
; COMPUTE_PGM_RSRC2:TGID_X_EN: 1
; COMPUTE_PGM_RSRC2:TGID_Y_EN: 0
; COMPUTE_PGM_RSRC2:TGID_Z_EN: 0
; COMPUTE_PGM_RSRC2:TIDIG_COMP_CNT: 0
	.section	.text._ZN9rocsolver6v33100L18getri_kernel_smallILi16EdPKPdEEvT1_iilPiilS6_bb,"axG",@progbits,_ZN9rocsolver6v33100L18getri_kernel_smallILi16EdPKPdEEvT1_iilPiilS6_bb,comdat
	.globl	_ZN9rocsolver6v33100L18getri_kernel_smallILi16EdPKPdEEvT1_iilPiilS6_bb ; -- Begin function _ZN9rocsolver6v33100L18getri_kernel_smallILi16EdPKPdEEvT1_iilPiilS6_bb
	.p2align	8
	.type	_ZN9rocsolver6v33100L18getri_kernel_smallILi16EdPKPdEEvT1_iilPiilS6_bb,@function
_ZN9rocsolver6v33100L18getri_kernel_smallILi16EdPKPdEEvT1_iilPiilS6_bb: ; @_ZN9rocsolver6v33100L18getri_kernel_smallILi16EdPKPdEEvT1_iilPiilS6_bb
; %bb.0:
	s_mov_b32 s2, exec_lo
	v_cmpx_gt_u32_e32 16, v0
	s_cbranch_execz .LBB79_16
; %bb.1:
	s_clause 0x1
	s_load_b32 s4, s[0:1], 0x38
	s_load_b64 s[2:3], s[0:1], 0x0
	s_mov_b32 s22, s15
	s_load_b128 s[16:19], s[0:1], 0x28
                                        ; implicit-def: $sgpr20_sgpr21
	s_waitcnt lgkmcnt(0)
	s_bitcmp1_b32 s4, 8
	s_cselect_b32 s15, -1, 0
	s_ashr_i32 s23, s22, 31
	s_delay_alu instid0(SALU_CYCLE_1) | instskip(NEXT) | instid1(SALU_CYCLE_1)
	s_lshl_b64 s[6:7], s[22:23], 3
	s_add_u32 s2, s2, s6
	s_addc_u32 s3, s3, s7
	s_bfe_u32 s5, s4, 0x10008
	s_load_b64 s[2:3], s[2:3], 0x0
	s_cmp_eq_u32 s5, 0
	s_cbranch_scc1 .LBB79_3
; %bb.2:
	s_clause 0x1
	s_load_b32 s6, s[0:1], 0x20
	s_load_b64 s[8:9], s[0:1], 0x18
	s_mul_i32 s5, s22, s17
	s_mul_hi_u32 s7, s22, s16
	s_mul_i32 s11, s23, s16
	s_add_i32 s5, s7, s5
	s_mul_i32 s10, s22, s16
	s_add_i32 s11, s5, s11
	s_delay_alu instid0(SALU_CYCLE_1)
	s_lshl_b64 s[10:11], s[10:11], 2
	s_waitcnt lgkmcnt(0)
	s_ashr_i32 s7, s6, 31
	s_add_u32 s5, s8, s10
	s_addc_u32 s8, s9, s11
	s_lshl_b64 s[6:7], s[6:7], 2
	s_delay_alu instid0(SALU_CYCLE_1)
	s_add_u32 s20, s5, s6
	s_addc_u32 s21, s8, s7
.LBB79_3:
	s_load_b64 s[0:1], s[0:1], 0x8
	v_lshlrev_b32_e32 v36, 3, v0
	s_waitcnt lgkmcnt(0)
	v_add3_u32 v1, s1, s1, v0
	s_ashr_i32 s7, s0, 31
	s_mov_b32 s6, s0
	s_mov_b32 s8, s1
	s_lshl_b64 s[6:7], s[6:7], 3
	v_add_nc_u32_e32 v3, s1, v1
	v_ashrrev_i32_e32 v2, 31, v1
	s_add_u32 s2, s2, s6
	s_addc_u32 s3, s3, s7
	v_add_co_u32 v65, s0, s2, v36
	v_add_nc_u32_e32 v5, s1, v3
	s_ashr_i32 s9, s1, 31
	v_add_co_ci_u32_e64 v66, null, s3, 0, s0
	v_lshlrev_b64 v[1:2], 3, v[1:2]
	s_lshl_b64 s[6:7], s[8:9], 3
	v_ashrrev_i32_e32 v6, 31, v5
	v_add_co_u32 v67, vcc_lo, v65, s6
	v_add_nc_u32_e32 v7, s1, v5
	v_ashrrev_i32_e32 v4, 31, v3
	v_add_co_ci_u32_e32 v68, vcc_lo, s7, v66, vcc_lo
	v_add_co_u32 v69, vcc_lo, s2, v1
	v_add_co_ci_u32_e32 v70, vcc_lo, s3, v2, vcc_lo
	v_lshlrev_b64 v[1:2], 3, v[5:6]
	v_add_nc_u32_e32 v5, s1, v7
	v_lshlrev_b64 v[3:4], 3, v[3:4]
	v_ashrrev_i32_e32 v8, 31, v7
	s_bitcmp0_b32 s4, 0
	s_mov_b32 s0, -1
	v_add_nc_u32_e32 v14, s1, v5
	v_ashrrev_i32_e32 v6, 31, v5
	v_add_co_u32 v71, vcc_lo, s2, v3
	v_lshlrev_b64 v[12:13], 3, v[7:8]
	v_add_co_ci_u32_e32 v72, vcc_lo, s3, v4, vcc_lo
	v_add_co_u32 v73, vcc_lo, s2, v1
	v_add_nc_u32_e32 v16, s1, v14
	v_ashrrev_i32_e32 v15, 31, v14
	v_add_co_ci_u32_e32 v74, vcc_lo, s3, v2, vcc_lo
	v_lshlrev_b64 v[1:2], 3, v[5:6]
	v_add_co_u32 v77, vcc_lo, s2, v12
	v_ashrrev_i32_e32 v17, 31, v16
	v_add_co_ci_u32_e32 v78, vcc_lo, s3, v13, vcc_lo
	v_lshlrev_b64 v[12:13], 3, v[14:15]
	v_add_nc_u32_e32 v14, s1, v16
	v_add_co_u32 v75, vcc_lo, s2, v1
	v_add_co_ci_u32_e32 v76, vcc_lo, s3, v2, vcc_lo
	v_lshlrev_b64 v[1:2], 3, v[16:17]
	s_delay_alu instid0(VALU_DEP_4)
	v_add_nc_u32_e32 v20, s1, v14
	v_add_co_u32 v79, vcc_lo, s2, v12
	v_ashrrev_i32_e32 v15, 31, v14
	v_add_co_ci_u32_e32 v80, vcc_lo, s3, v13, vcc_lo
	v_add_co_u32 v81, vcc_lo, s2, v1
	v_add_nc_u32_e32 v22, s1, v20
	v_add_co_ci_u32_e32 v82, vcc_lo, s3, v2, vcc_lo
	v_lshlrev_b64 v[1:2], 3, v[14:15]
	v_ashrrev_i32_e32 v21, 31, v20
	s_delay_alu instid0(VALU_DEP_4)
	v_ashrrev_i32_e32 v23, 31, v22
	v_add_nc_u32_e32 v24, s1, v22
	s_clause 0x7
	global_load_b64 v[4:5], v[67:68], off
	global_load_b64 v[6:7], v[69:70], off
	;; [unrolled: 1-line block ×8, first 2 shown]
	v_lshlrev_b64 v[20:21], 3, v[20:21]
	v_add_co_u32 v83, vcc_lo, s2, v1
	v_add_co_ci_u32_e32 v84, vcc_lo, s3, v2, vcc_lo
	v_lshlrev_b64 v[1:2], 3, v[22:23]
	v_ashrrev_i32_e32 v25, 31, v24
	v_add_nc_u32_e32 v22, s1, v24
	v_add_co_u32 v85, vcc_lo, s2, v20
	v_add_co_ci_u32_e32 v86, vcc_lo, s3, v21, vcc_lo
	s_delay_alu instid0(VALU_DEP_4) | instskip(NEXT) | instid1(VALU_DEP_4)
	v_lshlrev_b64 v[20:21], 3, v[24:25]
	v_ashrrev_i32_e32 v23, 31, v22
	v_add_nc_u32_e32 v24, s1, v22
	v_add_co_u32 v87, vcc_lo, s2, v1
	v_add_co_ci_u32_e32 v88, vcc_lo, s3, v2, vcc_lo
	s_delay_alu instid0(VALU_DEP_4) | instskip(NEXT) | instid1(VALU_DEP_4)
	v_lshlrev_b64 v[1:2], 3, v[22:23]
	v_add_nc_u32_e32 v22, s1, v24
	v_ashrrev_i32_e32 v25, 31, v24
	v_add_co_u32 v95, vcc_lo, s2, v20
	v_add_co_ci_u32_e32 v96, vcc_lo, s3, v21, vcc_lo
	s_delay_alu instid0(VALU_DEP_4) | instskip(NEXT) | instid1(VALU_DEP_4)
	v_ashrrev_i32_e32 v23, 31, v22
	v_lshlrev_b64 v[20:21], 3, v[24:25]
	v_add_co_u32 v91, vcc_lo, s2, v1
	v_add_co_ci_u32_e32 v92, vcc_lo, s3, v2, vcc_lo
	s_delay_alu instid0(VALU_DEP_4) | instskip(NEXT) | instid1(VALU_DEP_4)
	v_lshlrev_b64 v[1:2], 3, v[22:23]
	v_add_co_u32 v93, vcc_lo, s2, v20
	v_add_co_ci_u32_e32 v94, vcc_lo, s3, v21, vcc_lo
	s_delay_alu instid0(VALU_DEP_3)
	v_add_co_u32 v89, vcc_lo, s2, v1
	v_mov_b32_e32 v1, 0
	v_add_co_ci_u32_e32 v90, vcc_lo, s3, v2, vcc_lo
	s_clause 0x7
	global_load_b64 v[20:21], v[83:84], off
	global_load_b64 v[22:23], v[85:86], off
	;; [unrolled: 1-line block ×6, first 2 shown]
	global_load_b64 v[2:3], v36, s[2:3]
	global_load_b64 v[32:33], v[89:90], off
	s_cbranch_scc1 .LBB79_14
; %bb.4:
	v_cmp_eq_u32_e64 s0, 0, v0
	s_delay_alu instid0(VALU_DEP_1)
	s_and_saveexec_b32 s1, s0
	s_cbranch_execz .LBB79_6
; %bb.5:
	v_mov_b32_e32 v34, 0
	ds_store_b32 v34, v34 offset:256
.LBB79_6:
	s_or_b32 exec_lo, exec_lo, s1
	v_cmp_eq_u32_e32 vcc_lo, 1, v0
	s_mov_b32 s2, exec_lo
	s_waitcnt vmcnt(0) lgkmcnt(0)
	s_barrier
	buffer_gl0_inv
	v_dual_cndmask_b32 v34, v3, v5 :: v_dual_cndmask_b32 v35, v2, v4
	v_cmp_eq_u32_e32 vcc_lo, 2, v0
	s_delay_alu instid0(VALU_DEP_2) | instskip(SKIP_1) | instid1(VALU_DEP_2)
	v_dual_cndmask_b32 v34, v34, v7 :: v_dual_cndmask_b32 v35, v35, v6
	v_cmp_eq_u32_e32 vcc_lo, 3, v0
	v_dual_cndmask_b32 v34, v34, v9 :: v_dual_cndmask_b32 v35, v35, v8
	v_cmp_eq_u32_e32 vcc_lo, 4, v0
	s_delay_alu instid0(VALU_DEP_2) | instskip(SKIP_1) | instid1(VALU_DEP_2)
	v_dual_cndmask_b32 v34, v34, v11 :: v_dual_cndmask_b32 v35, v35, v10
	v_cmp_eq_u32_e32 vcc_lo, 5, v0
	;; [unrolled: 5-line block ×7, first 2 shown]
	v_dual_cndmask_b32 v35, v34, v33 :: v_dual_cndmask_b32 v34, v37, v32
	s_delay_alu instid0(VALU_DEP_1)
	v_cmpx_eq_f64_e32 0, v[34:35]
	s_cbranch_execz .LBB79_10
; %bb.7:
	v_mov_b32_e32 v37, 0
	s_mov_b32 s3, 0
	ds_load_b32 v38, v37 offset:256
	s_waitcnt lgkmcnt(0)
	v_readfirstlane_b32 s1, v38
	v_add_nc_u32_e32 v38, 1, v0
	s_delay_alu instid0(VALU_DEP_2) | instskip(NEXT) | instid1(VALU_DEP_1)
	s_cmp_eq_u32 s1, 0
	v_cmp_gt_i32_e32 vcc_lo, s1, v38
	s_cselect_b32 s4, -1, 0
	s_delay_alu instid0(SALU_CYCLE_1) | instskip(NEXT) | instid1(SALU_CYCLE_1)
	s_or_b32 s4, s4, vcc_lo
	s_and_b32 exec_lo, exec_lo, s4
	s_cbranch_execz .LBB79_10
; %bb.8:
	v_mov_b32_e32 v39, s1
.LBB79_9:                               ; =>This Inner Loop Header: Depth=1
	ds_cmpstore_rtn_b32 v39, v37, v38, v39 offset:256
	s_waitcnt lgkmcnt(0)
	v_cmp_ne_u32_e32 vcc_lo, 0, v39
	v_cmp_le_i32_e64 s1, v39, v38
	s_delay_alu instid0(VALU_DEP_1) | instskip(NEXT) | instid1(SALU_CYCLE_1)
	s_and_b32 s1, vcc_lo, s1
	s_and_b32 s1, exec_lo, s1
	s_delay_alu instid0(SALU_CYCLE_1) | instskip(NEXT) | instid1(SALU_CYCLE_1)
	s_or_b32 s3, s1, s3
	s_and_not1_b32 exec_lo, exec_lo, s3
	s_cbranch_execnz .LBB79_9
.LBB79_10:
	s_or_b32 exec_lo, exec_lo, s2
	v_mov_b32_e32 v37, 0
	s_barrier
	buffer_gl0_inv
	ds_load_b32 v38, v37 offset:256
	s_and_saveexec_b32 s1, s0
	s_cbranch_execz .LBB79_12
; %bb.11:
	s_lshl_b64 s[2:3], s[22:23], 2
	s_delay_alu instid0(SALU_CYCLE_1)
	s_add_u32 s2, s18, s2
	s_addc_u32 s3, s19, s3
	s_waitcnt lgkmcnt(0)
	global_store_b32 v37, v38, s[2:3]
.LBB79_12:
	s_or_b32 exec_lo, exec_lo, s1
	s_waitcnt lgkmcnt(0)
	v_cmp_ne_u32_e32 vcc_lo, 0, v38
	s_cbranch_vccz .LBB79_17
; %bb.13:
	s_mov_b32 s0, 0
                                        ; implicit-def: $vgpr2_vgpr3_vgpr4_vgpr5_vgpr6_vgpr7_vgpr8_vgpr9_vgpr10_vgpr11_vgpr12_vgpr13_vgpr14_vgpr15_vgpr16_vgpr17_vgpr18_vgpr19_vgpr20_vgpr21_vgpr22_vgpr23_vgpr24_vgpr25_vgpr26_vgpr27_vgpr28_vgpr29_vgpr30_vgpr31_vgpr32_vgpr33
.LBB79_14:
	s_delay_alu instid0(SALU_CYCLE_1)
	s_and_b32 vcc_lo, exec_lo, s0
	s_cbranch_vccz .LBB79_16
.LBB79_15:
	s_lshl_b64 s[0:1], s[22:23], 2
	v_mov_b32_e32 v1, 0
	s_add_u32 s0, s18, s0
	s_addc_u32 s1, s19, s1
	global_load_b32 v1, v1, s[0:1]
	s_waitcnt vmcnt(0)
	v_cmp_ne_u32_e32 vcc_lo, 0, v1
	s_cbranch_vccz .LBB79_88
.LBB79_16:
	s_nop 0
	s_sendmsg sendmsg(MSG_DEALLOC_VGPRS)
	s_endpgm
.LBB79_17:
	v_div_scale_f64 v[37:38], null, v[34:35], v[34:35], 1.0
	v_div_scale_f64 v[43:44], vcc_lo, 1.0, v[34:35], 1.0
	v_cmp_eq_u32_e64 s1, 13, v0
	v_cmp_eq_u32_e64 s2, 12, v0
	;; [unrolled: 1-line block ×14, first 2 shown]
	v_rcp_f64_e32 v[39:40], v[37:38]
	s_waitcnt_depctr 0xfff
	v_fma_f64 v[41:42], -v[37:38], v[39:40], 1.0
	s_delay_alu instid0(VALU_DEP_1) | instskip(NEXT) | instid1(VALU_DEP_1)
	v_fma_f64 v[39:40], v[39:40], v[41:42], v[39:40]
	v_fma_f64 v[41:42], -v[37:38], v[39:40], 1.0
	s_delay_alu instid0(VALU_DEP_1) | instskip(NEXT) | instid1(VALU_DEP_1)
	v_fma_f64 v[39:40], v[39:40], v[41:42], v[39:40]
	v_mul_f64 v[41:42], v[43:44], v[39:40]
	s_delay_alu instid0(VALU_DEP_1) | instskip(NEXT) | instid1(VALU_DEP_1)
	v_fma_f64 v[37:38], -v[37:38], v[41:42], v[43:44]
	v_div_fmas_f64 v[37:38], v[37:38], v[39:40], v[41:42]
	v_cmp_eq_u32_e32 vcc_lo, 14, v0
	s_delay_alu instid0(VALU_DEP_2) | instskip(NEXT) | instid1(VALU_DEP_1)
	v_div_fixup_f64 v[34:35], v[37:38], v[34:35], 1.0
	v_dual_cndmask_b32 v31, v31, v35 :: v_dual_add_nc_u32 v38, 0x80, v36
	s_delay_alu instid0(VALU_DEP_2)
	v_cndmask_b32_e32 v30, v30, v34, vcc_lo
	v_cmp_eq_u32_e32 vcc_lo, 2, v0
	v_cndmask_b32_e64 v33, v33, v35, s11
	v_cndmask_b32_e64 v32, v32, v34, s11
	;; [unrolled: 1-line block ×4, first 2 shown]
	v_cndmask_b32_e32 v7, v7, v35, vcc_lo
	v_cndmask_b32_e64 v27, v27, v35, s2
	v_cndmask_b32_e64 v26, v26, v34, s2
	;; [unrolled: 1-line block ×22, first 2 shown]
	v_xor_b32_e32 v40, 0x80000000, v35
	v_mov_b32_e32 v39, v34
	v_cndmask_b32_e32 v6, v6, v34, vcc_lo
	v_cndmask_b32_e64 v3, v3, v35, s14
	v_cndmask_b32_e64 v2, v2, v34, s14
	ds_store_2addr_b64 v36, v[39:40], v[4:5] offset1:16
	s_waitcnt lgkmcnt(0)
	s_waitcnt_vscnt null, 0x0
	s_barrier
	buffer_gl0_inv
	s_and_saveexec_b32 s1, s0
	s_cbranch_execz .LBB79_19
; %bb.18:
	ds_load_b64 v[4:5], v38
	v_mov_b32_e32 v36, 0
	ds_load_b64 v[36:37], v36 offset:8
	s_waitcnt lgkmcnt(1)
	v_fma_f64 v[4:5], v[34:35], v[4:5], 0
	s_waitcnt lgkmcnt(0)
	s_delay_alu instid0(VALU_DEP_1)
	v_mul_f64 v[4:5], v[4:5], v[36:37]
.LBB79_19:
	s_or_b32 exec_lo, exec_lo, s1
	v_cmp_gt_u32_e32 vcc_lo, 2, v0
	s_barrier
	buffer_gl0_inv
	ds_store_b64 v38, v[6:7]
	s_waitcnt lgkmcnt(0)
	s_barrier
	buffer_gl0_inv
	s_and_saveexec_b32 s2, vcc_lo
	s_cbranch_execz .LBB79_23
; %bb.20:
	v_cmp_eq_u32_e64 s1, 1, v0
	s_delay_alu instid0(VALU_DEP_1) | instskip(SKIP_2) | instid1(VALU_DEP_1)
	v_cndmask_b32_e64 v34, v3, v5, s1
	v_cndmask_b32_e64 v35, v2, v4, s1
	v_cmp_eq_u32_e64 s1, 2, v0
	v_cndmask_b32_e64 v7, v34, v7, s1
	s_delay_alu instid0(VALU_DEP_3) | instskip(SKIP_1) | instid1(VALU_DEP_1)
	v_cndmask_b32_e64 v6, v35, v6, s1
	v_cmp_eq_u32_e64 s1, 3, v0
	v_cndmask_b32_e64 v7, v7, v9, s1
	s_delay_alu instid0(VALU_DEP_3) | instskip(SKIP_1) | instid1(VALU_DEP_1)
	;; [unrolled: 4-line block ×10, first 2 shown]
	v_cndmask_b32_e64 v6, v6, v24, s1
	v_cmp_eq_u32_e64 s1, 12, v0
	v_cndmask_b32_e64 v34, v7, v27, s1
	s_delay_alu instid0(VALU_DEP_3)
	v_cndmask_b32_e64 v35, v6, v26, s1
	v_cmp_eq_u32_e64 s1, 13, v0
	ds_load_b64 v[6:7], v38
	v_cndmask_b32_e64 v34, v34, v29, s1
	v_cndmask_b32_e64 v35, v35, v28, s1
	v_cmp_eq_u32_e64 s1, 14, v0
	s_delay_alu instid0(VALU_DEP_1) | instskip(NEXT) | instid1(VALU_DEP_3)
	v_cndmask_b32_e64 v34, v34, v31, s1
	v_cndmask_b32_e64 v36, v35, v30, s1
	v_cmp_eq_u32_e64 s1, 15, v0
	s_delay_alu instid0(VALU_DEP_1) | instskip(NEXT) | instid1(VALU_DEP_3)
	v_cndmask_b32_e64 v35, v34, v33, s1
	v_cndmask_b32_e64 v34, v36, v32, s1
	s_waitcnt lgkmcnt(0)
	s_delay_alu instid0(VALU_DEP_1)
	v_fma_f64 v[6:7], v[34:35], v[6:7], 0
	s_and_saveexec_b32 s1, s0
	s_cbranch_execz .LBB79_22
; %bb.21:
	v_mov_b32_e32 v34, 0
	ds_load_b64 v[34:35], v34 offset:136
	s_waitcnt lgkmcnt(0)
	v_fma_f64 v[6:7], v[4:5], v[34:35], v[6:7]
.LBB79_22:
	s_or_b32 exec_lo, exec_lo, s1
	v_mov_b32_e32 v34, 0
	ds_load_b64 v[34:35], v34 offset:16
	s_waitcnt lgkmcnt(0)
	v_mul_f64 v[6:7], v[6:7], v[34:35]
.LBB79_23:
	s_or_b32 exec_lo, exec_lo, s2
	s_delay_alu instid0(SALU_CYCLE_1)
	s_mov_b32 s3, exec_lo
	s_barrier
	buffer_gl0_inv
	ds_store_b64 v38, v[8:9]
	s_waitcnt lgkmcnt(0)
	s_barrier
	buffer_gl0_inv
	v_cmpx_gt_u32_e32 3, v0
	s_cbranch_execz .LBB79_27
; %bb.24:
	v_dual_mov_b32 v34, 0 :: v_dual_mov_b32 v37, v1
	v_lshl_add_u32 v39, v0, 3, 0x80
	v_dual_mov_b32 v35, 0 :: v_dual_mov_b32 v36, v0
	s_mov_b32 s4, 0
.LBB79_25:                              ; =>This Inner Loop Header: Depth=1
	s_delay_alu instid0(VALU_DEP_1) | instskip(SKIP_1) | instid1(VALU_DEP_2)
	v_cmp_eq_u32_e64 s1, 1, v36
	v_cmp_eq_u32_e64 s2, 2, v36
	v_cndmask_b32_e64 v40, v3, v5, s1
	v_cndmask_b32_e64 v41, v2, v4, s1
	v_cmp_eq_u32_e64 s1, 3, v36
	s_delay_alu instid0(VALU_DEP_3) | instskip(NEXT) | instid1(VALU_DEP_3)
	v_cndmask_b32_e64 v40, v40, v7, s2
	v_cndmask_b32_e64 v41, v41, v6, s2
	v_cmp_eq_u32_e64 s2, 4, v36
	s_delay_alu instid0(VALU_DEP_3) | instskip(NEXT) | instid1(VALU_DEP_3)
	;; [unrolled: 4-line block ×10, first 2 shown]
	v_cndmask_b32_e64 v42, v40, v25, s1
	v_cndmask_b32_e64 v43, v41, v24, s1
	ds_load_b64 v[40:41], v39
	v_cmp_eq_u32_e64 s1, 13, v36
	v_add_nc_u32_e32 v39, 8, v39
	v_cndmask_b32_e64 v42, v42, v27, s2
	v_cndmask_b32_e64 v43, v43, v26, s2
	v_cmp_eq_u32_e64 s2, 14, v36
	s_delay_alu instid0(VALU_DEP_3) | instskip(NEXT) | instid1(VALU_DEP_3)
	v_cndmask_b32_e64 v42, v42, v29, s1
	v_cndmask_b32_e64 v43, v43, v28, s1
	v_cmp_eq_u32_e64 s1, 15, v36
	s_delay_alu instid0(VALU_DEP_3) | instskip(NEXT) | instid1(VALU_DEP_3)
	v_cndmask_b32_e64 v42, v42, v31, s2
	v_cndmask_b32_e64 v44, v43, v30, s2
	s_delay_alu instid0(VALU_DEP_2) | instskip(NEXT) | instid1(VALU_DEP_2)
	v_cndmask_b32_e64 v43, v42, v33, s1
	v_cndmask_b32_e64 v42, v44, v32, s1
	v_add_co_u32 v36, s1, v36, 1
	s_delay_alu instid0(VALU_DEP_1) | instskip(SKIP_1) | instid1(VALU_DEP_3)
	v_add_co_ci_u32_e64 v37, s1, 0, v37, s1
	s_waitcnt lgkmcnt(0)
	v_fma_f64 v[34:35], v[42:43], v[40:41], v[34:35]
	s_delay_alu instid0(VALU_DEP_3) | instskip(NEXT) | instid1(VALU_DEP_1)
	v_add_nc_u32_e32 v40, -1, v36
	v_cmp_lt_u32_e64 s1, 1, v40
	s_delay_alu instid0(VALU_DEP_1) | instskip(NEXT) | instid1(SALU_CYCLE_1)
	s_or_b32 s4, s1, s4
	s_and_not1_b32 exec_lo, exec_lo, s4
	s_cbranch_execnz .LBB79_25
; %bb.26:
	s_or_b32 exec_lo, exec_lo, s4
	v_mov_b32_e32 v8, 0
	ds_load_b64 v[8:9], v8 offset:24
	s_waitcnt lgkmcnt(0)
	v_mul_f64 v[8:9], v[34:35], v[8:9]
.LBB79_27:
	s_or_b32 exec_lo, exec_lo, s3
	v_cmp_gt_u32_e64 s1, 4, v0
	s_barrier
	buffer_gl0_inv
	ds_store_b64 v38, v[10:11]
	s_waitcnt lgkmcnt(0)
	s_barrier
	buffer_gl0_inv
	s_and_saveexec_b32 s4, s1
	s_cbranch_execz .LBB79_31
; %bb.28:
	v_dual_mov_b32 v34, 0 :: v_dual_mov_b32 v37, v1
	v_lshl_add_u32 v39, v0, 3, 0x80
	v_dual_mov_b32 v35, 0 :: v_dual_mov_b32 v36, v0
	s_mov_b32 s5, 0
.LBB79_29:                              ; =>This Inner Loop Header: Depth=1
	s_delay_alu instid0(VALU_DEP_1) | instskip(SKIP_1) | instid1(VALU_DEP_2)
	v_cmp_eq_u32_e64 s2, 1, v36
	v_cmp_eq_u32_e64 s3, 2, v36
	v_cndmask_b32_e64 v40, v3, v5, s2
	v_cndmask_b32_e64 v41, v2, v4, s2
	v_cmp_eq_u32_e64 s2, 3, v36
	s_delay_alu instid0(VALU_DEP_3) | instskip(NEXT) | instid1(VALU_DEP_3)
	v_cndmask_b32_e64 v40, v40, v7, s3
	v_cndmask_b32_e64 v41, v41, v6, s3
	v_cmp_eq_u32_e64 s3, 4, v36
	s_delay_alu instid0(VALU_DEP_3) | instskip(NEXT) | instid1(VALU_DEP_3)
	;; [unrolled: 4-line block ×10, first 2 shown]
	v_cndmask_b32_e64 v42, v40, v25, s2
	v_cndmask_b32_e64 v43, v41, v24, s2
	ds_load_b64 v[40:41], v39
	v_cmp_eq_u32_e64 s2, 13, v36
	v_add_nc_u32_e32 v39, 8, v39
	v_cndmask_b32_e64 v42, v42, v27, s3
	v_cndmask_b32_e64 v43, v43, v26, s3
	v_cmp_eq_u32_e64 s3, 14, v36
	s_delay_alu instid0(VALU_DEP_3) | instskip(NEXT) | instid1(VALU_DEP_3)
	v_cndmask_b32_e64 v42, v42, v29, s2
	v_cndmask_b32_e64 v43, v43, v28, s2
	v_cmp_eq_u32_e64 s2, 15, v36
	s_delay_alu instid0(VALU_DEP_3) | instskip(NEXT) | instid1(VALU_DEP_3)
	v_cndmask_b32_e64 v42, v42, v31, s3
	v_cndmask_b32_e64 v44, v43, v30, s3
	s_delay_alu instid0(VALU_DEP_2) | instskip(NEXT) | instid1(VALU_DEP_2)
	v_cndmask_b32_e64 v43, v42, v33, s2
	v_cndmask_b32_e64 v42, v44, v32, s2
	v_add_co_u32 v36, s2, v36, 1
	s_delay_alu instid0(VALU_DEP_1) | instskip(SKIP_1) | instid1(VALU_DEP_3)
	v_add_co_ci_u32_e64 v37, s2, 0, v37, s2
	s_waitcnt lgkmcnt(0)
	v_fma_f64 v[34:35], v[42:43], v[40:41], v[34:35]
	s_delay_alu instid0(VALU_DEP_3) | instskip(NEXT) | instid1(VALU_DEP_1)
	v_add_nc_u32_e32 v40, -1, v36
	v_cmp_lt_u32_e64 s2, 2, v40
	s_delay_alu instid0(VALU_DEP_1) | instskip(NEXT) | instid1(SALU_CYCLE_1)
	s_or_b32 s5, s2, s5
	s_and_not1_b32 exec_lo, exec_lo, s5
	s_cbranch_execnz .LBB79_29
; %bb.30:
	s_or_b32 exec_lo, exec_lo, s5
	v_mov_b32_e32 v10, 0
	ds_load_b64 v[10:11], v10 offset:32
	s_waitcnt lgkmcnt(0)
	v_mul_f64 v[10:11], v[34:35], v[10:11]
.LBB79_31:
	s_or_b32 exec_lo, exec_lo, s4
	s_delay_alu instid0(SALU_CYCLE_1)
	s_mov_b32 s4, exec_lo
	s_barrier
	buffer_gl0_inv
	ds_store_b64 v38, v[12:13]
	s_waitcnt lgkmcnt(0)
	s_barrier
	buffer_gl0_inv
	v_cmpx_gt_u32_e32 5, v0
	s_cbranch_execz .LBB79_35
; %bb.32:
	v_dual_mov_b32 v34, 0 :: v_dual_mov_b32 v37, v1
	v_lshl_add_u32 v39, v0, 3, 0x80
	v_dual_mov_b32 v35, 0 :: v_dual_mov_b32 v36, v0
	s_mov_b32 s5, 0
.LBB79_33:                              ; =>This Inner Loop Header: Depth=1
	s_delay_alu instid0(VALU_DEP_1) | instskip(SKIP_1) | instid1(VALU_DEP_2)
	v_cmp_eq_u32_e64 s2, 1, v36
	v_cmp_eq_u32_e64 s3, 2, v36
	v_cndmask_b32_e64 v40, v3, v5, s2
	v_cndmask_b32_e64 v41, v2, v4, s2
	v_cmp_eq_u32_e64 s2, 3, v36
	s_delay_alu instid0(VALU_DEP_3) | instskip(NEXT) | instid1(VALU_DEP_3)
	v_cndmask_b32_e64 v40, v40, v7, s3
	v_cndmask_b32_e64 v41, v41, v6, s3
	v_cmp_eq_u32_e64 s3, 4, v36
	s_delay_alu instid0(VALU_DEP_3) | instskip(NEXT) | instid1(VALU_DEP_3)
	;; [unrolled: 4-line block ×10, first 2 shown]
	v_cndmask_b32_e64 v42, v40, v25, s2
	v_cndmask_b32_e64 v43, v41, v24, s2
	ds_load_b64 v[40:41], v39
	v_cmp_eq_u32_e64 s2, 13, v36
	v_add_nc_u32_e32 v39, 8, v39
	v_cndmask_b32_e64 v42, v42, v27, s3
	v_cndmask_b32_e64 v43, v43, v26, s3
	v_cmp_eq_u32_e64 s3, 14, v36
	s_delay_alu instid0(VALU_DEP_3) | instskip(NEXT) | instid1(VALU_DEP_3)
	v_cndmask_b32_e64 v42, v42, v29, s2
	v_cndmask_b32_e64 v43, v43, v28, s2
	v_cmp_eq_u32_e64 s2, 15, v36
	s_delay_alu instid0(VALU_DEP_3) | instskip(NEXT) | instid1(VALU_DEP_3)
	v_cndmask_b32_e64 v42, v42, v31, s3
	v_cndmask_b32_e64 v44, v43, v30, s3
	s_delay_alu instid0(VALU_DEP_2) | instskip(NEXT) | instid1(VALU_DEP_2)
	v_cndmask_b32_e64 v43, v42, v33, s2
	v_cndmask_b32_e64 v42, v44, v32, s2
	v_add_co_u32 v36, s2, v36, 1
	s_delay_alu instid0(VALU_DEP_1) | instskip(SKIP_1) | instid1(VALU_DEP_3)
	v_add_co_ci_u32_e64 v37, s2, 0, v37, s2
	s_waitcnt lgkmcnt(0)
	v_fma_f64 v[34:35], v[42:43], v[40:41], v[34:35]
	s_delay_alu instid0(VALU_DEP_3) | instskip(NEXT) | instid1(VALU_DEP_1)
	v_add_nc_u32_e32 v40, -1, v36
	v_cmp_lt_u32_e64 s2, 3, v40
	s_delay_alu instid0(VALU_DEP_1) | instskip(NEXT) | instid1(SALU_CYCLE_1)
	s_or_b32 s5, s2, s5
	s_and_not1_b32 exec_lo, exec_lo, s5
	s_cbranch_execnz .LBB79_33
; %bb.34:
	s_or_b32 exec_lo, exec_lo, s5
	v_mov_b32_e32 v12, 0
	ds_load_b64 v[12:13], v12 offset:40
	s_waitcnt lgkmcnt(0)
	v_mul_f64 v[12:13], v[34:35], v[12:13]
.LBB79_35:
	s_or_b32 exec_lo, exec_lo, s4
	v_cmp_gt_u32_e64 s2, 6, v0
	s_barrier
	buffer_gl0_inv
	ds_store_b64 v38, v[14:15]
	s_waitcnt lgkmcnt(0)
	s_barrier
	buffer_gl0_inv
	s_and_saveexec_b32 s5, s2
	s_cbranch_execz .LBB79_39
; %bb.36:
	v_dual_mov_b32 v34, 0 :: v_dual_mov_b32 v37, v1
	v_lshl_add_u32 v39, v0, 3, 0x80
	v_dual_mov_b32 v35, 0 :: v_dual_mov_b32 v36, v0
	s_mov_b32 s6, 0
.LBB79_37:                              ; =>This Inner Loop Header: Depth=1
	s_delay_alu instid0(VALU_DEP_1) | instskip(SKIP_1) | instid1(VALU_DEP_2)
	v_cmp_eq_u32_e64 s3, 1, v36
	v_cmp_eq_u32_e64 s4, 2, v36
	v_cndmask_b32_e64 v40, v3, v5, s3
	v_cndmask_b32_e64 v41, v2, v4, s3
	v_cmp_eq_u32_e64 s3, 3, v36
	s_delay_alu instid0(VALU_DEP_3) | instskip(NEXT) | instid1(VALU_DEP_3)
	v_cndmask_b32_e64 v40, v40, v7, s4
	v_cndmask_b32_e64 v41, v41, v6, s4
	v_cmp_eq_u32_e64 s4, 4, v36
	s_delay_alu instid0(VALU_DEP_3) | instskip(NEXT) | instid1(VALU_DEP_3)
	;; [unrolled: 4-line block ×10, first 2 shown]
	v_cndmask_b32_e64 v42, v40, v25, s3
	v_cndmask_b32_e64 v43, v41, v24, s3
	ds_load_b64 v[40:41], v39
	v_cmp_eq_u32_e64 s3, 13, v36
	v_add_nc_u32_e32 v39, 8, v39
	v_cndmask_b32_e64 v42, v42, v27, s4
	v_cndmask_b32_e64 v43, v43, v26, s4
	v_cmp_eq_u32_e64 s4, 14, v36
	s_delay_alu instid0(VALU_DEP_3) | instskip(NEXT) | instid1(VALU_DEP_3)
	v_cndmask_b32_e64 v42, v42, v29, s3
	v_cndmask_b32_e64 v43, v43, v28, s3
	v_cmp_eq_u32_e64 s3, 15, v36
	s_delay_alu instid0(VALU_DEP_3) | instskip(NEXT) | instid1(VALU_DEP_3)
	v_cndmask_b32_e64 v42, v42, v31, s4
	v_cndmask_b32_e64 v44, v43, v30, s4
	s_delay_alu instid0(VALU_DEP_2) | instskip(NEXT) | instid1(VALU_DEP_2)
	v_cndmask_b32_e64 v43, v42, v33, s3
	v_cndmask_b32_e64 v42, v44, v32, s3
	v_add_co_u32 v36, s3, v36, 1
	s_delay_alu instid0(VALU_DEP_1) | instskip(SKIP_1) | instid1(VALU_DEP_3)
	v_add_co_ci_u32_e64 v37, s3, 0, v37, s3
	s_waitcnt lgkmcnt(0)
	v_fma_f64 v[34:35], v[42:43], v[40:41], v[34:35]
	s_delay_alu instid0(VALU_DEP_3) | instskip(NEXT) | instid1(VALU_DEP_1)
	v_add_nc_u32_e32 v40, -1, v36
	v_cmp_lt_u32_e64 s3, 4, v40
	s_delay_alu instid0(VALU_DEP_1) | instskip(NEXT) | instid1(SALU_CYCLE_1)
	s_or_b32 s6, s3, s6
	s_and_not1_b32 exec_lo, exec_lo, s6
	s_cbranch_execnz .LBB79_37
; %bb.38:
	s_or_b32 exec_lo, exec_lo, s6
	v_mov_b32_e32 v14, 0
	ds_load_b64 v[14:15], v14 offset:48
	s_waitcnt lgkmcnt(0)
	v_mul_f64 v[14:15], v[34:35], v[14:15]
.LBB79_39:
	s_or_b32 exec_lo, exec_lo, s5
	s_delay_alu instid0(SALU_CYCLE_1)
	s_mov_b32 s5, exec_lo
	s_barrier
	buffer_gl0_inv
	ds_store_b64 v38, v[16:17]
	s_waitcnt lgkmcnt(0)
	s_barrier
	buffer_gl0_inv
	v_cmpx_gt_u32_e32 7, v0
	s_cbranch_execz .LBB79_43
; %bb.40:
	v_dual_mov_b32 v34, 0 :: v_dual_mov_b32 v37, v1
	v_lshl_add_u32 v39, v0, 3, 0x80
	v_dual_mov_b32 v35, 0 :: v_dual_mov_b32 v36, v0
	s_mov_b32 s6, 0
.LBB79_41:                              ; =>This Inner Loop Header: Depth=1
	s_delay_alu instid0(VALU_DEP_1) | instskip(SKIP_1) | instid1(VALU_DEP_2)
	v_cmp_eq_u32_e64 s3, 1, v36
	v_cmp_eq_u32_e64 s4, 2, v36
	v_cndmask_b32_e64 v40, v3, v5, s3
	v_cndmask_b32_e64 v41, v2, v4, s3
	v_cmp_eq_u32_e64 s3, 3, v36
	s_delay_alu instid0(VALU_DEP_3) | instskip(NEXT) | instid1(VALU_DEP_3)
	v_cndmask_b32_e64 v40, v40, v7, s4
	v_cndmask_b32_e64 v41, v41, v6, s4
	v_cmp_eq_u32_e64 s4, 4, v36
	s_delay_alu instid0(VALU_DEP_3) | instskip(NEXT) | instid1(VALU_DEP_3)
	;; [unrolled: 4-line block ×10, first 2 shown]
	v_cndmask_b32_e64 v42, v40, v25, s3
	v_cndmask_b32_e64 v43, v41, v24, s3
	ds_load_b64 v[40:41], v39
	v_cmp_eq_u32_e64 s3, 13, v36
	v_add_nc_u32_e32 v39, 8, v39
	v_cndmask_b32_e64 v42, v42, v27, s4
	v_cndmask_b32_e64 v43, v43, v26, s4
	v_cmp_eq_u32_e64 s4, 14, v36
	s_delay_alu instid0(VALU_DEP_3) | instskip(NEXT) | instid1(VALU_DEP_3)
	v_cndmask_b32_e64 v42, v42, v29, s3
	v_cndmask_b32_e64 v43, v43, v28, s3
	v_cmp_eq_u32_e64 s3, 15, v36
	s_delay_alu instid0(VALU_DEP_3) | instskip(NEXT) | instid1(VALU_DEP_3)
	v_cndmask_b32_e64 v42, v42, v31, s4
	v_cndmask_b32_e64 v44, v43, v30, s4
	s_delay_alu instid0(VALU_DEP_2) | instskip(NEXT) | instid1(VALU_DEP_2)
	v_cndmask_b32_e64 v43, v42, v33, s3
	v_cndmask_b32_e64 v42, v44, v32, s3
	v_add_co_u32 v36, s3, v36, 1
	s_delay_alu instid0(VALU_DEP_1) | instskip(SKIP_1) | instid1(VALU_DEP_3)
	v_add_co_ci_u32_e64 v37, s3, 0, v37, s3
	s_waitcnt lgkmcnt(0)
	v_fma_f64 v[34:35], v[42:43], v[40:41], v[34:35]
	s_delay_alu instid0(VALU_DEP_3) | instskip(NEXT) | instid1(VALU_DEP_1)
	v_add_nc_u32_e32 v40, -1, v36
	v_cmp_lt_u32_e64 s3, 5, v40
	s_delay_alu instid0(VALU_DEP_1) | instskip(NEXT) | instid1(SALU_CYCLE_1)
	s_or_b32 s6, s3, s6
	s_and_not1_b32 exec_lo, exec_lo, s6
	s_cbranch_execnz .LBB79_41
; %bb.42:
	s_or_b32 exec_lo, exec_lo, s6
	v_mov_b32_e32 v16, 0
	ds_load_b64 v[16:17], v16 offset:56
	s_waitcnt lgkmcnt(0)
	v_mul_f64 v[16:17], v[34:35], v[16:17]
.LBB79_43:
	s_or_b32 exec_lo, exec_lo, s5
	s_delay_alu instid0(SALU_CYCLE_1)
	s_mov_b32 s4, exec_lo
	s_barrier
	buffer_gl0_inv
	ds_store_b64 v38, v[18:19]
	s_waitcnt lgkmcnt(0)
	s_barrier
	buffer_gl0_inv
	v_cmpx_gt_u32_e32 8, v0
	s_cbranch_execz .LBB79_59
; %bb.44:
	v_cmp_eq_u32_e64 s3, 1, v0
	s_mov_b32 s5, exec_lo
	s_delay_alu instid0(VALU_DEP_1) | instskip(SKIP_2) | instid1(VALU_DEP_1)
	v_cndmask_b32_e64 v34, v3, v5, s3
	v_cndmask_b32_e64 v35, v2, v4, s3
	v_cmp_eq_u32_e64 s3, 2, v0
	v_cndmask_b32_e64 v34, v34, v7, s3
	s_delay_alu instid0(VALU_DEP_3) | instskip(SKIP_1) | instid1(VALU_DEP_1)
	v_cndmask_b32_e64 v35, v35, v6, s3
	v_cmp_eq_u32_e64 s3, 3, v0
	v_cndmask_b32_e64 v34, v34, v9, s3
	s_delay_alu instid0(VALU_DEP_3) | instskip(SKIP_1) | instid1(VALU_DEP_1)
	;; [unrolled: 4-line block ×10, first 2 shown]
	v_cndmask_b32_e64 v35, v35, v24, s3
	v_cmp_eq_u32_e64 s3, 12, v0
	v_cndmask_b32_e64 v36, v34, v27, s3
	s_delay_alu instid0(VALU_DEP_3)
	v_cndmask_b32_e64 v37, v35, v26, s3
	v_cmp_eq_u32_e64 s3, 13, v0
	ds_load_b64 v[34:35], v38
	v_cndmask_b32_e64 v36, v36, v29, s3
	v_cndmask_b32_e64 v37, v37, v28, s3
	v_cmp_eq_u32_e64 s3, 14, v0
	s_delay_alu instid0(VALU_DEP_1) | instskip(NEXT) | instid1(VALU_DEP_3)
	v_cndmask_b32_e64 v36, v36, v31, s3
	v_cndmask_b32_e64 v39, v37, v30, s3
	v_cmp_eq_u32_e64 s3, 15, v0
	s_delay_alu instid0(VALU_DEP_1) | instskip(NEXT) | instid1(VALU_DEP_3)
	v_cndmask_b32_e64 v37, v36, v33, s3
	v_cndmask_b32_e64 v36, v39, v32, s3
	s_waitcnt lgkmcnt(0)
	s_delay_alu instid0(VALU_DEP_1)
	v_fma_f64 v[34:35], v[36:37], v[34:35], 0
	v_cmpx_ne_u32_e32 7, v0
	s_cbranch_execz .LBB79_58
; %bb.45:
	v_add_nc_u32_e32 v39, 1, v0
	s_delay_alu instid0(VALU_DEP_1) | instskip(NEXT) | instid1(VALU_DEP_1)
	v_cmp_eq_u32_e64 s3, 1, v39
	v_cndmask_b32_e64 v36, v3, v5, s3
	v_cndmask_b32_e64 v37, v2, v4, s3
	v_cmp_eq_u32_e64 s3, 2, v39
	s_delay_alu instid0(VALU_DEP_1) | instskip(NEXT) | instid1(VALU_DEP_3)
	v_cndmask_b32_e64 v36, v36, v7, s3
	v_cndmask_b32_e64 v37, v37, v6, s3
	v_cmp_eq_u32_e64 s3, 3, v39
	s_delay_alu instid0(VALU_DEP_1) | instskip(NEXT) | instid1(VALU_DEP_3)
	v_cndmask_b32_e64 v36, v36, v9, s3
	v_cndmask_b32_e64 v37, v37, v8, s3
	v_cmp_eq_u32_e64 s3, 4, v39
	s_delay_alu instid0(VALU_DEP_1) | instskip(NEXT) | instid1(VALU_DEP_3)
	v_cndmask_b32_e64 v36, v36, v11, s3
	v_cndmask_b32_e64 v37, v37, v10, s3
	v_cmp_eq_u32_e64 s3, 5, v39
	s_delay_alu instid0(VALU_DEP_1) | instskip(NEXT) | instid1(VALU_DEP_3)
	v_cndmask_b32_e64 v36, v36, v13, s3
	v_cndmask_b32_e64 v37, v37, v12, s3
	v_cmp_eq_u32_e64 s3, 6, v39
	s_delay_alu instid0(VALU_DEP_1) | instskip(NEXT) | instid1(VALU_DEP_3)
	v_cndmask_b32_e64 v36, v36, v15, s3
	v_cndmask_b32_e64 v37, v37, v14, s3
	v_cmp_eq_u32_e64 s3, 7, v39
	s_delay_alu instid0(VALU_DEP_1) | instskip(NEXT) | instid1(VALU_DEP_3)
	v_cndmask_b32_e64 v36, v36, v17, s3
	v_cndmask_b32_e64 v37, v37, v16, s3
	v_cmp_eq_u32_e64 s3, 8, v39
	s_delay_alu instid0(VALU_DEP_1) | instskip(NEXT) | instid1(VALU_DEP_3)
	v_cndmask_b32_e64 v36, v36, v19, s3
	v_cndmask_b32_e64 v37, v37, v18, s3
	v_cmp_eq_u32_e64 s3, 9, v39
	s_delay_alu instid0(VALU_DEP_1) | instskip(NEXT) | instid1(VALU_DEP_3)
	v_cndmask_b32_e64 v36, v36, v21, s3
	v_cndmask_b32_e64 v37, v37, v20, s3
	v_cmp_eq_u32_e64 s3, 10, v39
	s_delay_alu instid0(VALU_DEP_1) | instskip(NEXT) | instid1(VALU_DEP_3)
	v_cndmask_b32_e64 v36, v36, v23, s3
	v_cndmask_b32_e64 v37, v37, v22, s3
	v_cmp_eq_u32_e64 s3, 11, v39
	s_delay_alu instid0(VALU_DEP_1) | instskip(NEXT) | instid1(VALU_DEP_3)
	v_cndmask_b32_e64 v36, v36, v25, s3
	v_cndmask_b32_e64 v37, v37, v24, s3
	v_cmp_eq_u32_e64 s3, 12, v39
	s_delay_alu instid0(VALU_DEP_1) | instskip(NEXT) | instid1(VALU_DEP_3)
	v_cndmask_b32_e64 v40, v36, v27, s3
	v_cndmask_b32_e64 v41, v37, v26, s3
	v_cmp_eq_u32_e64 s3, 13, v39
	ds_load_b64 v[36:37], v38 offset:8
	v_cndmask_b32_e64 v40, v40, v29, s3
	v_cndmask_b32_e64 v41, v41, v28, s3
	v_cmp_eq_u32_e64 s3, 14, v39
	s_delay_alu instid0(VALU_DEP_1) | instskip(NEXT) | instid1(VALU_DEP_3)
	v_cndmask_b32_e64 v40, v40, v31, s3
	v_cndmask_b32_e64 v41, v41, v30, s3
	v_cmp_eq_u32_e64 s3, 15, v39
	s_delay_alu instid0(VALU_DEP_1) | instskip(NEXT) | instid1(VALU_DEP_3)
	v_cndmask_b32_e64 v40, v40, v33, s3
	v_cndmask_b32_e64 v39, v41, v32, s3
	s_waitcnt lgkmcnt(0)
	s_delay_alu instid0(VALU_DEP_1)
	v_fma_f64 v[34:35], v[39:40], v[36:37], v[34:35]
	s_and_saveexec_b32 s3, s2
	s_cbranch_execz .LBB79_57
; %bb.46:
	v_add_nc_u32_e32 v39, 2, v0
	s_mov_b32 s6, exec_lo
	s_delay_alu instid0(VALU_DEP_1) | instskip(NEXT) | instid1(VALU_DEP_1)
	v_cmp_eq_u32_e64 s2, 1, v39
	v_cndmask_b32_e64 v36, v3, v5, s2
	v_cndmask_b32_e64 v37, v2, v4, s2
	v_cmp_eq_u32_e64 s2, 2, v39
	s_delay_alu instid0(VALU_DEP_1) | instskip(NEXT) | instid1(VALU_DEP_3)
	v_cndmask_b32_e64 v36, v36, v7, s2
	v_cndmask_b32_e64 v37, v37, v6, s2
	v_cmp_eq_u32_e64 s2, 3, v39
	s_delay_alu instid0(VALU_DEP_1) | instskip(NEXT) | instid1(VALU_DEP_3)
	;; [unrolled: 4-line block ×11, first 2 shown]
	v_cndmask_b32_e64 v40, v36, v27, s2
	v_cndmask_b32_e64 v41, v37, v26, s2
	v_cmp_eq_u32_e64 s2, 13, v39
	ds_load_b64 v[36:37], v38 offset:16
	v_cndmask_b32_e64 v40, v40, v29, s2
	v_cndmask_b32_e64 v41, v41, v28, s2
	v_cmp_eq_u32_e64 s2, 14, v39
	s_delay_alu instid0(VALU_DEP_1) | instskip(NEXT) | instid1(VALU_DEP_3)
	v_cndmask_b32_e64 v40, v40, v31, s2
	v_cndmask_b32_e64 v41, v41, v30, s2
	v_cmp_eq_u32_e64 s2, 15, v39
	s_delay_alu instid0(VALU_DEP_1) | instskip(NEXT) | instid1(VALU_DEP_3)
	v_cndmask_b32_e64 v40, v40, v33, s2
	v_cndmask_b32_e64 v39, v41, v32, s2
	s_waitcnt lgkmcnt(0)
	s_delay_alu instid0(VALU_DEP_1)
	v_fma_f64 v[34:35], v[39:40], v[36:37], v[34:35]
	v_cmpx_ne_u32_e32 5, v0
	s_cbranch_execz .LBB79_56
; %bb.47:
	v_add_nc_u32_e32 v39, 3, v0
	s_delay_alu instid0(VALU_DEP_1) | instskip(NEXT) | instid1(VALU_DEP_1)
	v_cmp_eq_u32_e64 s2, 1, v39
	v_cndmask_b32_e64 v36, v3, v5, s2
	v_cndmask_b32_e64 v37, v2, v4, s2
	v_cmp_eq_u32_e64 s2, 2, v39
	s_delay_alu instid0(VALU_DEP_1) | instskip(NEXT) | instid1(VALU_DEP_3)
	v_cndmask_b32_e64 v36, v36, v7, s2
	v_cndmask_b32_e64 v37, v37, v6, s2
	v_cmp_eq_u32_e64 s2, 3, v39
	s_delay_alu instid0(VALU_DEP_1) | instskip(NEXT) | instid1(VALU_DEP_3)
	;; [unrolled: 4-line block ×11, first 2 shown]
	v_cndmask_b32_e64 v40, v36, v27, s2
	v_cndmask_b32_e64 v41, v37, v26, s2
	v_cmp_eq_u32_e64 s2, 13, v39
	ds_load_b64 v[36:37], v38 offset:24
	v_cndmask_b32_e64 v40, v40, v29, s2
	v_cndmask_b32_e64 v41, v41, v28, s2
	v_cmp_eq_u32_e64 s2, 14, v39
	s_delay_alu instid0(VALU_DEP_1) | instskip(NEXT) | instid1(VALU_DEP_3)
	v_cndmask_b32_e64 v40, v40, v31, s2
	v_cndmask_b32_e64 v41, v41, v30, s2
	v_cmp_eq_u32_e64 s2, 15, v39
	s_delay_alu instid0(VALU_DEP_1) | instskip(NEXT) | instid1(VALU_DEP_3)
	v_cndmask_b32_e64 v40, v40, v33, s2
	v_cndmask_b32_e64 v39, v41, v32, s2
	s_waitcnt lgkmcnt(0)
	s_delay_alu instid0(VALU_DEP_1)
	v_fma_f64 v[34:35], v[39:40], v[36:37], v[34:35]
	s_and_saveexec_b32 s2, s1
	s_cbranch_execz .LBB79_55
; %bb.48:
	v_or_b32_e32 v39, 4, v0
	s_mov_b32 s7, exec_lo
	s_delay_alu instid0(VALU_DEP_1) | instskip(NEXT) | instid1(VALU_DEP_1)
	v_cmp_eq_u32_e64 s1, 1, v39
	v_cndmask_b32_e64 v36, v3, v5, s1
	v_cndmask_b32_e64 v37, v2, v4, s1
	v_cmp_eq_u32_e64 s1, 2, v39
	s_delay_alu instid0(VALU_DEP_1) | instskip(NEXT) | instid1(VALU_DEP_3)
	v_cndmask_b32_e64 v36, v36, v7, s1
	v_cndmask_b32_e64 v37, v37, v6, s1
	v_cmp_eq_u32_e64 s1, 3, v39
	s_delay_alu instid0(VALU_DEP_1) | instskip(NEXT) | instid1(VALU_DEP_3)
	;; [unrolled: 4-line block ×11, first 2 shown]
	v_cndmask_b32_e64 v40, v36, v27, s1
	v_cndmask_b32_e64 v41, v37, v26, s1
	v_cmp_eq_u32_e64 s1, 13, v39
	ds_load_b64 v[36:37], v38 offset:32
	v_cndmask_b32_e64 v40, v40, v29, s1
	v_cndmask_b32_e64 v41, v41, v28, s1
	v_cmp_eq_u32_e64 s1, 14, v39
	s_delay_alu instid0(VALU_DEP_1) | instskip(NEXT) | instid1(VALU_DEP_3)
	v_cndmask_b32_e64 v40, v40, v31, s1
	v_cndmask_b32_e64 v41, v41, v30, s1
	v_cmp_eq_u32_e64 s1, 15, v39
	s_delay_alu instid0(VALU_DEP_1) | instskip(NEXT) | instid1(VALU_DEP_3)
	v_cndmask_b32_e64 v40, v40, v33, s1
	v_cndmask_b32_e64 v39, v41, v32, s1
	s_waitcnt lgkmcnt(0)
	s_delay_alu instid0(VALU_DEP_1)
	v_fma_f64 v[34:35], v[39:40], v[36:37], v[34:35]
	v_cmpx_ne_u32_e32 3, v0
	s_cbranch_execz .LBB79_54
; %bb.49:
	v_add_nc_u32_e32 v39, 5, v0
	s_delay_alu instid0(VALU_DEP_1) | instskip(NEXT) | instid1(VALU_DEP_1)
	v_cmp_eq_u32_e64 s1, 1, v39
	v_cndmask_b32_e64 v36, v3, v5, s1
	v_cndmask_b32_e64 v37, v2, v4, s1
	v_cmp_eq_u32_e64 s1, 2, v39
	s_delay_alu instid0(VALU_DEP_1) | instskip(NEXT) | instid1(VALU_DEP_3)
	v_cndmask_b32_e64 v36, v36, v7, s1
	v_cndmask_b32_e64 v37, v37, v6, s1
	v_cmp_eq_u32_e64 s1, 3, v39
	s_delay_alu instid0(VALU_DEP_1) | instskip(NEXT) | instid1(VALU_DEP_3)
	;; [unrolled: 4-line block ×11, first 2 shown]
	v_cndmask_b32_e64 v40, v36, v27, s1
	v_cndmask_b32_e64 v41, v37, v26, s1
	v_cmp_eq_u32_e64 s1, 13, v39
	ds_load_b64 v[36:37], v38 offset:40
	v_cndmask_b32_e64 v40, v40, v29, s1
	v_cndmask_b32_e64 v41, v41, v28, s1
	v_cmp_eq_u32_e64 s1, 14, v39
	s_delay_alu instid0(VALU_DEP_1) | instskip(NEXT) | instid1(VALU_DEP_3)
	v_cndmask_b32_e64 v40, v40, v31, s1
	v_cndmask_b32_e64 v41, v41, v30, s1
	v_cmp_eq_u32_e64 s1, 15, v39
	s_delay_alu instid0(VALU_DEP_1) | instskip(NEXT) | instid1(VALU_DEP_3)
	v_cndmask_b32_e64 v40, v40, v33, s1
	v_cndmask_b32_e64 v39, v41, v32, s1
	s_waitcnt lgkmcnt(0)
	s_delay_alu instid0(VALU_DEP_1)
	v_fma_f64 v[34:35], v[39:40], v[36:37], v[34:35]
	s_and_saveexec_b32 s1, vcc_lo
	s_cbranch_execz .LBB79_53
; %bb.50:
	v_or_b32_e32 v36, 6, v0
	s_delay_alu instid0(VALU_DEP_1) | instskip(SKIP_3) | instid1(VALU_DEP_3)
	v_cmp_eq_u32_e32 vcc_lo, 1, v36
	v_cndmask_b32_e32 v37, v3, v5, vcc_lo
	v_cndmask_b32_e32 v39, v2, v4, vcc_lo
	v_cmp_eq_u32_e32 vcc_lo, 2, v36
	v_cndmask_b32_e32 v37, v37, v7, vcc_lo
	s_delay_alu instid0(VALU_DEP_3) | instskip(SKIP_1) | instid1(VALU_DEP_3)
	v_cndmask_b32_e32 v39, v39, v6, vcc_lo
	v_cmp_eq_u32_e32 vcc_lo, 3, v36
	v_cndmask_b32_e32 v37, v37, v9, vcc_lo
	s_delay_alu instid0(VALU_DEP_3) | instskip(SKIP_1) | instid1(VALU_DEP_3)
	v_cndmask_b32_e32 v39, v39, v8, vcc_lo
	v_cmp_eq_u32_e32 vcc_lo, 4, v36
	v_cndmask_b32_e32 v37, v37, v11, vcc_lo
	s_delay_alu instid0(VALU_DEP_3) | instskip(SKIP_1) | instid1(VALU_DEP_3)
	v_cndmask_b32_e32 v39, v39, v10, vcc_lo
	v_cmp_eq_u32_e32 vcc_lo, 5, v36
	v_cndmask_b32_e32 v37, v37, v13, vcc_lo
	s_delay_alu instid0(VALU_DEP_3) | instskip(SKIP_1) | instid1(VALU_DEP_3)
	v_cndmask_b32_e32 v39, v39, v12, vcc_lo
	v_cmp_eq_u32_e32 vcc_lo, 6, v36
	v_cndmask_b32_e32 v37, v37, v15, vcc_lo
	s_delay_alu instid0(VALU_DEP_3) | instskip(SKIP_1) | instid1(VALU_DEP_3)
	v_cndmask_b32_e32 v39, v39, v14, vcc_lo
	v_cmp_eq_u32_e32 vcc_lo, 7, v36
	v_cndmask_b32_e32 v37, v37, v17, vcc_lo
	s_delay_alu instid0(VALU_DEP_3) | instskip(SKIP_1) | instid1(VALU_DEP_2)
	v_cndmask_b32_e32 v39, v39, v16, vcc_lo
	v_cmp_eq_u32_e32 vcc_lo, 8, v36
	v_dual_cndmask_b32 v19, v37, v19 :: v_dual_cndmask_b32 v18, v39, v18
	v_cmp_eq_u32_e32 vcc_lo, 9, v36
	s_delay_alu instid0(VALU_DEP_2) | instskip(SKIP_1) | instid1(VALU_DEP_2)
	v_dual_cndmask_b32 v19, v19, v21 :: v_dual_cndmask_b32 v18, v18, v20
	v_cmp_eq_u32_e32 vcc_lo, 10, v36
	v_dual_cndmask_b32 v19, v19, v23 :: v_dual_cndmask_b32 v18, v18, v22
	v_cmp_eq_u32_e32 vcc_lo, 11, v36
	s_delay_alu instid0(VALU_DEP_2) | instskip(SKIP_1) | instid1(VALU_DEP_2)
	v_dual_cndmask_b32 v19, v19, v25 :: v_dual_cndmask_b32 v18, v18, v24
	v_cmp_eq_u32_e32 vcc_lo, 12, v36
	v_cndmask_b32_e32 v37, v19, v27, vcc_lo
	s_delay_alu instid0(VALU_DEP_3)
	v_cndmask_b32_e32 v39, v18, v26, vcc_lo
	v_cmp_eq_u32_e32 vcc_lo, 13, v36
	ds_load_b64 v[18:19], v38 offset:48
	v_cndmask_b32_e32 v37, v37, v29, vcc_lo
	v_cndmask_b32_e32 v39, v39, v28, vcc_lo
	v_cmp_eq_u32_e32 vcc_lo, 14, v36
	s_delay_alu instid0(VALU_DEP_3) | instskip(NEXT) | instid1(VALU_DEP_3)
	v_cndmask_b32_e32 v37, v37, v31, vcc_lo
	v_cndmask_b32_e32 v39, v39, v30, vcc_lo
	v_cmp_eq_u32_e32 vcc_lo, 15, v36
	s_delay_alu instid0(VALU_DEP_2) | instskip(SKIP_1) | instid1(VALU_DEP_1)
	v_dual_cndmask_b32 v36, v39, v32 :: v_dual_cndmask_b32 v37, v37, v33
	s_waitcnt lgkmcnt(0)
	v_fma_f64 v[34:35], v[36:37], v[18:19], v[34:35]
	s_and_saveexec_b32 s8, s0
	s_cbranch_execz .LBB79_52
; %bb.51:
	ds_load_b64 v[18:19], v38 offset:56
	s_waitcnt lgkmcnt(0)
	v_fma_f64 v[34:35], v[16:17], v[18:19], v[34:35]
.LBB79_52:
	s_or_b32 exec_lo, exec_lo, s8
.LBB79_53:
	s_delay_alu instid0(SALU_CYCLE_1)
	s_or_b32 exec_lo, exec_lo, s1
.LBB79_54:
	s_delay_alu instid0(SALU_CYCLE_1)
	s_or_b32 exec_lo, exec_lo, s7
.LBB79_55:
	s_delay_alu instid0(SALU_CYCLE_1)
	s_or_b32 exec_lo, exec_lo, s2
.LBB79_56:
	s_delay_alu instid0(SALU_CYCLE_1)
	s_or_b32 exec_lo, exec_lo, s6
.LBB79_57:
	s_delay_alu instid0(SALU_CYCLE_1)
	s_or_b32 exec_lo, exec_lo, s3
.LBB79_58:
	s_delay_alu instid0(SALU_CYCLE_1)
	s_or_b32 exec_lo, exec_lo, s5
	v_mov_b32_e32 v18, 0
	ds_load_b64 v[18:19], v18 offset:64
	s_waitcnt lgkmcnt(0)
	v_mul_f64 v[18:19], v[34:35], v[18:19]
.LBB79_59:
	s_or_b32 exec_lo, exec_lo, s4
	s_delay_alu instid0(SALU_CYCLE_1)
	s_mov_b32 s1, exec_lo
	s_barrier
	buffer_gl0_inv
	ds_store_b64 v38, v[20:21]
	s_waitcnt lgkmcnt(0)
	s_barrier
	buffer_gl0_inv
	v_cmpx_gt_u32_e32 9, v0
	s_cbranch_execz .LBB79_63
; %bb.60:
	v_dual_mov_b32 v34, 0 :: v_dual_mov_b32 v37, v1
	v_lshl_add_u32 v39, v0, 3, 0x80
	v_dual_mov_b32 v35, 0 :: v_dual_mov_b32 v36, v0
	s_mov_b32 s2, 0
.LBB79_61:                              ; =>This Inner Loop Header: Depth=1
	s_delay_alu instid0(VALU_DEP_1) | instskip(SKIP_3) | instid1(VALU_DEP_2)
	v_cmp_eq_u32_e32 vcc_lo, 1, v36
	v_cmp_eq_u32_e64 s0, 2, v36
	v_dual_cndmask_b32 v40, v3, v5 :: v_dual_cndmask_b32 v41, v2, v4
	v_cmp_eq_u32_e32 vcc_lo, 3, v36
	v_cndmask_b32_e64 v40, v40, v7, s0
	s_delay_alu instid0(VALU_DEP_3) | instskip(SKIP_1) | instid1(VALU_DEP_2)
	v_cndmask_b32_e64 v41, v41, v6, s0
	v_cmp_eq_u32_e64 s0, 4, v36
	v_dual_cndmask_b32 v40, v40, v9 :: v_dual_cndmask_b32 v41, v41, v8
	v_cmp_eq_u32_e32 vcc_lo, 5, v36
	s_delay_alu instid0(VALU_DEP_2) | instskip(NEXT) | instid1(VALU_DEP_3)
	v_cndmask_b32_e64 v40, v40, v11, s0
	v_cndmask_b32_e64 v41, v41, v10, s0
	v_cmp_eq_u32_e64 s0, 6, v36
	s_delay_alu instid0(VALU_DEP_2) | instskip(SKIP_1) | instid1(VALU_DEP_2)
	v_dual_cndmask_b32 v40, v40, v13 :: v_dual_cndmask_b32 v41, v41, v12
	v_cmp_eq_u32_e32 vcc_lo, 7, v36
	v_cndmask_b32_e64 v40, v40, v15, s0
	s_delay_alu instid0(VALU_DEP_3) | instskip(SKIP_1) | instid1(VALU_DEP_2)
	v_cndmask_b32_e64 v41, v41, v14, s0
	v_cmp_eq_u32_e64 s0, 8, v36
	v_dual_cndmask_b32 v40, v40, v17 :: v_dual_cndmask_b32 v41, v41, v16
	v_cmp_eq_u32_e32 vcc_lo, 9, v36
	s_delay_alu instid0(VALU_DEP_2) | instskip(NEXT) | instid1(VALU_DEP_3)
	v_cndmask_b32_e64 v40, v40, v19, s0
	v_cndmask_b32_e64 v41, v41, v18, s0
	v_cmp_eq_u32_e64 s0, 10, v36
	s_delay_alu instid0(VALU_DEP_2) | instskip(SKIP_1) | instid1(VALU_DEP_2)
	v_dual_cndmask_b32 v40, v40, v21 :: v_dual_cndmask_b32 v41, v41, v20
	v_cmp_eq_u32_e32 vcc_lo, 11, v36
	v_cndmask_b32_e64 v40, v40, v23, s0
	s_delay_alu instid0(VALU_DEP_3) | instskip(SKIP_1) | instid1(VALU_DEP_2)
	v_cndmask_b32_e64 v41, v41, v22, s0
	v_cmp_eq_u32_e64 s0, 12, v36
	v_dual_cndmask_b32 v42, v40, v25 :: v_dual_cndmask_b32 v43, v41, v24
	ds_load_b64 v[40:41], v39
	v_cmp_eq_u32_e32 vcc_lo, 13, v36
	v_add_nc_u32_e32 v39, 8, v39
	v_cndmask_b32_e64 v42, v42, v27, s0
	v_cndmask_b32_e64 v43, v43, v26, s0
	v_cmp_eq_u32_e64 s0, 14, v36
	s_delay_alu instid0(VALU_DEP_2) | instskip(SKIP_1) | instid1(VALU_DEP_2)
	v_dual_cndmask_b32 v42, v42, v29 :: v_dual_cndmask_b32 v43, v43, v28
	v_cmp_eq_u32_e32 vcc_lo, 15, v36
	v_cndmask_b32_e64 v42, v42, v31, s0
	s_delay_alu instid0(VALU_DEP_3) | instskip(NEXT) | instid1(VALU_DEP_1)
	v_cndmask_b32_e64 v44, v43, v30, s0
	v_dual_cndmask_b32 v43, v42, v33 :: v_dual_cndmask_b32 v42, v44, v32
	v_add_co_u32 v36, vcc_lo, v36, 1
	v_add_co_ci_u32_e32 v37, vcc_lo, 0, v37, vcc_lo
	s_waitcnt lgkmcnt(0)
	s_delay_alu instid0(VALU_DEP_3) | instskip(NEXT) | instid1(VALU_DEP_3)
	v_fma_f64 v[34:35], v[42:43], v[40:41], v[34:35]
	v_add_nc_u32_e32 v40, -1, v36
	s_delay_alu instid0(VALU_DEP_1) | instskip(SKIP_1) | instid1(SALU_CYCLE_1)
	v_cmp_lt_u32_e32 vcc_lo, 7, v40
	s_or_b32 s2, vcc_lo, s2
	s_and_not1_b32 exec_lo, exec_lo, s2
	s_cbranch_execnz .LBB79_61
; %bb.62:
	s_or_b32 exec_lo, exec_lo, s2
	v_mov_b32_e32 v20, 0
	ds_load_b64 v[20:21], v20 offset:72
	s_waitcnt lgkmcnt(0)
	v_mul_f64 v[20:21], v[34:35], v[20:21]
.LBB79_63:
	s_or_b32 exec_lo, exec_lo, s1
	s_delay_alu instid0(SALU_CYCLE_1)
	s_mov_b32 s1, exec_lo
	s_barrier
	buffer_gl0_inv
	ds_store_b64 v38, v[22:23]
	s_waitcnt lgkmcnt(0)
	s_barrier
	buffer_gl0_inv
	v_cmpx_gt_u32_e32 10, v0
	s_cbranch_execz .LBB79_67
; %bb.64:
	v_dual_mov_b32 v34, 0 :: v_dual_mov_b32 v37, v1
	v_lshl_add_u32 v39, v0, 3, 0x80
	v_dual_mov_b32 v35, 0 :: v_dual_mov_b32 v36, v0
	s_mov_b32 s2, 0
.LBB79_65:                              ; =>This Inner Loop Header: Depth=1
	s_delay_alu instid0(VALU_DEP_1) | instskip(SKIP_3) | instid1(VALU_DEP_2)
	v_cmp_eq_u32_e32 vcc_lo, 1, v36
	v_cmp_eq_u32_e64 s0, 2, v36
	v_dual_cndmask_b32 v40, v3, v5 :: v_dual_cndmask_b32 v41, v2, v4
	v_cmp_eq_u32_e32 vcc_lo, 3, v36
	v_cndmask_b32_e64 v40, v40, v7, s0
	s_delay_alu instid0(VALU_DEP_3) | instskip(SKIP_1) | instid1(VALU_DEP_2)
	v_cndmask_b32_e64 v41, v41, v6, s0
	v_cmp_eq_u32_e64 s0, 4, v36
	v_dual_cndmask_b32 v40, v40, v9 :: v_dual_cndmask_b32 v41, v41, v8
	v_cmp_eq_u32_e32 vcc_lo, 5, v36
	s_delay_alu instid0(VALU_DEP_2) | instskip(NEXT) | instid1(VALU_DEP_3)
	v_cndmask_b32_e64 v40, v40, v11, s0
	v_cndmask_b32_e64 v41, v41, v10, s0
	v_cmp_eq_u32_e64 s0, 6, v36
	s_delay_alu instid0(VALU_DEP_2) | instskip(SKIP_1) | instid1(VALU_DEP_2)
	v_dual_cndmask_b32 v40, v40, v13 :: v_dual_cndmask_b32 v41, v41, v12
	v_cmp_eq_u32_e32 vcc_lo, 7, v36
	v_cndmask_b32_e64 v40, v40, v15, s0
	s_delay_alu instid0(VALU_DEP_3) | instskip(SKIP_1) | instid1(VALU_DEP_2)
	v_cndmask_b32_e64 v41, v41, v14, s0
	v_cmp_eq_u32_e64 s0, 8, v36
	v_dual_cndmask_b32 v40, v40, v17 :: v_dual_cndmask_b32 v41, v41, v16
	v_cmp_eq_u32_e32 vcc_lo, 9, v36
	s_delay_alu instid0(VALU_DEP_2) | instskip(NEXT) | instid1(VALU_DEP_3)
	v_cndmask_b32_e64 v40, v40, v19, s0
	v_cndmask_b32_e64 v41, v41, v18, s0
	v_cmp_eq_u32_e64 s0, 10, v36
	s_delay_alu instid0(VALU_DEP_2) | instskip(SKIP_1) | instid1(VALU_DEP_2)
	v_dual_cndmask_b32 v40, v40, v21 :: v_dual_cndmask_b32 v41, v41, v20
	v_cmp_eq_u32_e32 vcc_lo, 11, v36
	v_cndmask_b32_e64 v40, v40, v23, s0
	s_delay_alu instid0(VALU_DEP_3) | instskip(SKIP_1) | instid1(VALU_DEP_2)
	v_cndmask_b32_e64 v41, v41, v22, s0
	v_cmp_eq_u32_e64 s0, 12, v36
	v_dual_cndmask_b32 v42, v40, v25 :: v_dual_cndmask_b32 v43, v41, v24
	ds_load_b64 v[40:41], v39
	v_cmp_eq_u32_e32 vcc_lo, 13, v36
	v_add_nc_u32_e32 v39, 8, v39
	v_cndmask_b32_e64 v42, v42, v27, s0
	v_cndmask_b32_e64 v43, v43, v26, s0
	v_cmp_eq_u32_e64 s0, 14, v36
	s_delay_alu instid0(VALU_DEP_2) | instskip(SKIP_1) | instid1(VALU_DEP_2)
	v_dual_cndmask_b32 v42, v42, v29 :: v_dual_cndmask_b32 v43, v43, v28
	v_cmp_eq_u32_e32 vcc_lo, 15, v36
	v_cndmask_b32_e64 v42, v42, v31, s0
	s_delay_alu instid0(VALU_DEP_3) | instskip(NEXT) | instid1(VALU_DEP_1)
	v_cndmask_b32_e64 v44, v43, v30, s0
	v_dual_cndmask_b32 v43, v42, v33 :: v_dual_cndmask_b32 v42, v44, v32
	v_add_co_u32 v36, vcc_lo, v36, 1
	v_add_co_ci_u32_e32 v37, vcc_lo, 0, v37, vcc_lo
	s_waitcnt lgkmcnt(0)
	s_delay_alu instid0(VALU_DEP_3) | instskip(NEXT) | instid1(VALU_DEP_3)
	v_fma_f64 v[34:35], v[42:43], v[40:41], v[34:35]
	v_add_nc_u32_e32 v40, -1, v36
	s_delay_alu instid0(VALU_DEP_1) | instskip(SKIP_1) | instid1(SALU_CYCLE_1)
	v_cmp_lt_u32_e32 vcc_lo, 8, v40
	s_or_b32 s2, vcc_lo, s2
	s_and_not1_b32 exec_lo, exec_lo, s2
	s_cbranch_execnz .LBB79_65
; %bb.66:
	s_or_b32 exec_lo, exec_lo, s2
	v_mov_b32_e32 v22, 0
	ds_load_b64 v[22:23], v22 offset:80
	s_waitcnt lgkmcnt(0)
	v_mul_f64 v[22:23], v[34:35], v[22:23]
.LBB79_67:
	s_or_b32 exec_lo, exec_lo, s1
	s_delay_alu instid0(SALU_CYCLE_1)
	s_mov_b32 s1, exec_lo
	s_barrier
	buffer_gl0_inv
	ds_store_b64 v38, v[24:25]
	s_waitcnt lgkmcnt(0)
	s_barrier
	buffer_gl0_inv
	v_cmpx_gt_u32_e32 11, v0
	s_cbranch_execz .LBB79_71
; %bb.68:
	v_dual_mov_b32 v34, 0 :: v_dual_mov_b32 v37, v1
	v_lshl_add_u32 v39, v0, 3, 0x80
	v_dual_mov_b32 v35, 0 :: v_dual_mov_b32 v36, v0
	s_mov_b32 s2, 0
.LBB79_69:                              ; =>This Inner Loop Header: Depth=1
	s_delay_alu instid0(VALU_DEP_1) | instskip(SKIP_3) | instid1(VALU_DEP_2)
	v_cmp_eq_u32_e32 vcc_lo, 1, v36
	v_cmp_eq_u32_e64 s0, 2, v36
	v_dual_cndmask_b32 v40, v3, v5 :: v_dual_cndmask_b32 v41, v2, v4
	v_cmp_eq_u32_e32 vcc_lo, 3, v36
	v_cndmask_b32_e64 v40, v40, v7, s0
	s_delay_alu instid0(VALU_DEP_3) | instskip(SKIP_1) | instid1(VALU_DEP_2)
	v_cndmask_b32_e64 v41, v41, v6, s0
	v_cmp_eq_u32_e64 s0, 4, v36
	v_dual_cndmask_b32 v40, v40, v9 :: v_dual_cndmask_b32 v41, v41, v8
	v_cmp_eq_u32_e32 vcc_lo, 5, v36
	s_delay_alu instid0(VALU_DEP_2) | instskip(NEXT) | instid1(VALU_DEP_3)
	v_cndmask_b32_e64 v40, v40, v11, s0
	v_cndmask_b32_e64 v41, v41, v10, s0
	v_cmp_eq_u32_e64 s0, 6, v36
	s_delay_alu instid0(VALU_DEP_2) | instskip(SKIP_1) | instid1(VALU_DEP_2)
	v_dual_cndmask_b32 v40, v40, v13 :: v_dual_cndmask_b32 v41, v41, v12
	v_cmp_eq_u32_e32 vcc_lo, 7, v36
	v_cndmask_b32_e64 v40, v40, v15, s0
	s_delay_alu instid0(VALU_DEP_3) | instskip(SKIP_1) | instid1(VALU_DEP_2)
	v_cndmask_b32_e64 v41, v41, v14, s0
	v_cmp_eq_u32_e64 s0, 8, v36
	v_dual_cndmask_b32 v40, v40, v17 :: v_dual_cndmask_b32 v41, v41, v16
	v_cmp_eq_u32_e32 vcc_lo, 9, v36
	s_delay_alu instid0(VALU_DEP_2) | instskip(NEXT) | instid1(VALU_DEP_3)
	v_cndmask_b32_e64 v40, v40, v19, s0
	v_cndmask_b32_e64 v41, v41, v18, s0
	v_cmp_eq_u32_e64 s0, 10, v36
	s_delay_alu instid0(VALU_DEP_2) | instskip(SKIP_1) | instid1(VALU_DEP_2)
	v_dual_cndmask_b32 v40, v40, v21 :: v_dual_cndmask_b32 v41, v41, v20
	v_cmp_eq_u32_e32 vcc_lo, 11, v36
	v_cndmask_b32_e64 v40, v40, v23, s0
	s_delay_alu instid0(VALU_DEP_3) | instskip(SKIP_1) | instid1(VALU_DEP_2)
	v_cndmask_b32_e64 v41, v41, v22, s0
	v_cmp_eq_u32_e64 s0, 12, v36
	v_dual_cndmask_b32 v42, v40, v25 :: v_dual_cndmask_b32 v43, v41, v24
	ds_load_b64 v[40:41], v39
	v_cmp_eq_u32_e32 vcc_lo, 13, v36
	v_add_nc_u32_e32 v39, 8, v39
	v_cndmask_b32_e64 v42, v42, v27, s0
	v_cndmask_b32_e64 v43, v43, v26, s0
	v_cmp_eq_u32_e64 s0, 14, v36
	s_delay_alu instid0(VALU_DEP_2) | instskip(SKIP_1) | instid1(VALU_DEP_2)
	v_dual_cndmask_b32 v42, v42, v29 :: v_dual_cndmask_b32 v43, v43, v28
	v_cmp_eq_u32_e32 vcc_lo, 15, v36
	v_cndmask_b32_e64 v42, v42, v31, s0
	s_delay_alu instid0(VALU_DEP_3) | instskip(NEXT) | instid1(VALU_DEP_1)
	v_cndmask_b32_e64 v44, v43, v30, s0
	v_dual_cndmask_b32 v43, v42, v33 :: v_dual_cndmask_b32 v42, v44, v32
	v_add_co_u32 v36, vcc_lo, v36, 1
	v_add_co_ci_u32_e32 v37, vcc_lo, 0, v37, vcc_lo
	s_waitcnt lgkmcnt(0)
	s_delay_alu instid0(VALU_DEP_3) | instskip(NEXT) | instid1(VALU_DEP_3)
	v_fma_f64 v[34:35], v[42:43], v[40:41], v[34:35]
	v_add_nc_u32_e32 v40, -1, v36
	s_delay_alu instid0(VALU_DEP_1) | instskip(SKIP_1) | instid1(SALU_CYCLE_1)
	v_cmp_lt_u32_e32 vcc_lo, 9, v40
	s_or_b32 s2, vcc_lo, s2
	s_and_not1_b32 exec_lo, exec_lo, s2
	s_cbranch_execnz .LBB79_69
; %bb.70:
	s_or_b32 exec_lo, exec_lo, s2
	v_mov_b32_e32 v24, 0
	ds_load_b64 v[24:25], v24 offset:88
	s_waitcnt lgkmcnt(0)
	v_mul_f64 v[24:25], v[34:35], v[24:25]
.LBB79_71:
	s_or_b32 exec_lo, exec_lo, s1
	s_delay_alu instid0(SALU_CYCLE_1)
	s_mov_b32 s1, exec_lo
	s_barrier
	buffer_gl0_inv
	ds_store_b64 v38, v[26:27]
	s_waitcnt lgkmcnt(0)
	s_barrier
	buffer_gl0_inv
	v_cmpx_gt_u32_e32 12, v0
	s_cbranch_execz .LBB79_75
; %bb.72:
	v_dual_mov_b32 v34, 0 :: v_dual_mov_b32 v37, v1
	v_lshl_add_u32 v39, v0, 3, 0x80
	v_dual_mov_b32 v35, 0 :: v_dual_mov_b32 v36, v0
	s_mov_b32 s2, 0
.LBB79_73:                              ; =>This Inner Loop Header: Depth=1
	s_delay_alu instid0(VALU_DEP_1) | instskip(SKIP_3) | instid1(VALU_DEP_2)
	v_cmp_eq_u32_e32 vcc_lo, 1, v36
	v_cmp_eq_u32_e64 s0, 2, v36
	v_dual_cndmask_b32 v40, v3, v5 :: v_dual_cndmask_b32 v41, v2, v4
	v_cmp_eq_u32_e32 vcc_lo, 3, v36
	v_cndmask_b32_e64 v40, v40, v7, s0
	s_delay_alu instid0(VALU_DEP_3) | instskip(SKIP_1) | instid1(VALU_DEP_2)
	v_cndmask_b32_e64 v41, v41, v6, s0
	v_cmp_eq_u32_e64 s0, 4, v36
	v_dual_cndmask_b32 v40, v40, v9 :: v_dual_cndmask_b32 v41, v41, v8
	v_cmp_eq_u32_e32 vcc_lo, 5, v36
	s_delay_alu instid0(VALU_DEP_2) | instskip(NEXT) | instid1(VALU_DEP_3)
	v_cndmask_b32_e64 v40, v40, v11, s0
	v_cndmask_b32_e64 v41, v41, v10, s0
	v_cmp_eq_u32_e64 s0, 6, v36
	s_delay_alu instid0(VALU_DEP_2) | instskip(SKIP_1) | instid1(VALU_DEP_2)
	v_dual_cndmask_b32 v40, v40, v13 :: v_dual_cndmask_b32 v41, v41, v12
	v_cmp_eq_u32_e32 vcc_lo, 7, v36
	v_cndmask_b32_e64 v40, v40, v15, s0
	s_delay_alu instid0(VALU_DEP_3) | instskip(SKIP_1) | instid1(VALU_DEP_2)
	v_cndmask_b32_e64 v41, v41, v14, s0
	v_cmp_eq_u32_e64 s0, 8, v36
	v_dual_cndmask_b32 v40, v40, v17 :: v_dual_cndmask_b32 v41, v41, v16
	v_cmp_eq_u32_e32 vcc_lo, 9, v36
	s_delay_alu instid0(VALU_DEP_2) | instskip(NEXT) | instid1(VALU_DEP_3)
	v_cndmask_b32_e64 v40, v40, v19, s0
	v_cndmask_b32_e64 v41, v41, v18, s0
	v_cmp_eq_u32_e64 s0, 10, v36
	s_delay_alu instid0(VALU_DEP_2) | instskip(SKIP_1) | instid1(VALU_DEP_2)
	v_dual_cndmask_b32 v40, v40, v21 :: v_dual_cndmask_b32 v41, v41, v20
	v_cmp_eq_u32_e32 vcc_lo, 11, v36
	v_cndmask_b32_e64 v40, v40, v23, s0
	s_delay_alu instid0(VALU_DEP_3) | instskip(SKIP_1) | instid1(VALU_DEP_2)
	v_cndmask_b32_e64 v41, v41, v22, s0
	v_cmp_eq_u32_e64 s0, 12, v36
	v_dual_cndmask_b32 v42, v40, v25 :: v_dual_cndmask_b32 v43, v41, v24
	ds_load_b64 v[40:41], v39
	v_cmp_eq_u32_e32 vcc_lo, 13, v36
	v_add_nc_u32_e32 v39, 8, v39
	v_cndmask_b32_e64 v42, v42, v27, s0
	v_cndmask_b32_e64 v43, v43, v26, s0
	v_cmp_eq_u32_e64 s0, 14, v36
	s_delay_alu instid0(VALU_DEP_2) | instskip(SKIP_1) | instid1(VALU_DEP_2)
	v_dual_cndmask_b32 v42, v42, v29 :: v_dual_cndmask_b32 v43, v43, v28
	v_cmp_eq_u32_e32 vcc_lo, 15, v36
	v_cndmask_b32_e64 v42, v42, v31, s0
	s_delay_alu instid0(VALU_DEP_3) | instskip(NEXT) | instid1(VALU_DEP_1)
	v_cndmask_b32_e64 v44, v43, v30, s0
	v_dual_cndmask_b32 v43, v42, v33 :: v_dual_cndmask_b32 v42, v44, v32
	v_add_co_u32 v36, vcc_lo, v36, 1
	v_add_co_ci_u32_e32 v37, vcc_lo, 0, v37, vcc_lo
	s_waitcnt lgkmcnt(0)
	s_delay_alu instid0(VALU_DEP_3) | instskip(NEXT) | instid1(VALU_DEP_3)
	v_fma_f64 v[34:35], v[42:43], v[40:41], v[34:35]
	v_add_nc_u32_e32 v40, -1, v36
	s_delay_alu instid0(VALU_DEP_1) | instskip(SKIP_1) | instid1(SALU_CYCLE_1)
	v_cmp_lt_u32_e32 vcc_lo, 10, v40
	s_or_b32 s2, vcc_lo, s2
	s_and_not1_b32 exec_lo, exec_lo, s2
	s_cbranch_execnz .LBB79_73
; %bb.74:
	s_or_b32 exec_lo, exec_lo, s2
	v_mov_b32_e32 v26, 0
	ds_load_b64 v[26:27], v26 offset:96
	s_waitcnt lgkmcnt(0)
	v_mul_f64 v[26:27], v[34:35], v[26:27]
.LBB79_75:
	s_or_b32 exec_lo, exec_lo, s1
	s_delay_alu instid0(SALU_CYCLE_1)
	s_mov_b32 s1, exec_lo
	s_barrier
	buffer_gl0_inv
	ds_store_b64 v38, v[28:29]
	s_waitcnt lgkmcnt(0)
	s_barrier
	buffer_gl0_inv
	v_cmpx_gt_u32_e32 13, v0
	s_cbranch_execz .LBB79_79
; %bb.76:
	v_dual_mov_b32 v34, 0 :: v_dual_mov_b32 v37, v1
	v_lshl_add_u32 v39, v0, 3, 0x80
	v_dual_mov_b32 v35, 0 :: v_dual_mov_b32 v36, v0
	s_mov_b32 s2, 0
.LBB79_77:                              ; =>This Inner Loop Header: Depth=1
	s_delay_alu instid0(VALU_DEP_1) | instskip(SKIP_3) | instid1(VALU_DEP_2)
	v_cmp_eq_u32_e32 vcc_lo, 1, v36
	v_cmp_eq_u32_e64 s0, 2, v36
	v_dual_cndmask_b32 v40, v3, v5 :: v_dual_cndmask_b32 v41, v2, v4
	v_cmp_eq_u32_e32 vcc_lo, 3, v36
	v_cndmask_b32_e64 v40, v40, v7, s0
	s_delay_alu instid0(VALU_DEP_3) | instskip(SKIP_1) | instid1(VALU_DEP_2)
	v_cndmask_b32_e64 v41, v41, v6, s0
	v_cmp_eq_u32_e64 s0, 4, v36
	v_dual_cndmask_b32 v40, v40, v9 :: v_dual_cndmask_b32 v41, v41, v8
	v_cmp_eq_u32_e32 vcc_lo, 5, v36
	s_delay_alu instid0(VALU_DEP_2) | instskip(NEXT) | instid1(VALU_DEP_3)
	v_cndmask_b32_e64 v40, v40, v11, s0
	v_cndmask_b32_e64 v41, v41, v10, s0
	v_cmp_eq_u32_e64 s0, 6, v36
	s_delay_alu instid0(VALU_DEP_2) | instskip(SKIP_1) | instid1(VALU_DEP_2)
	v_dual_cndmask_b32 v40, v40, v13 :: v_dual_cndmask_b32 v41, v41, v12
	v_cmp_eq_u32_e32 vcc_lo, 7, v36
	v_cndmask_b32_e64 v40, v40, v15, s0
	s_delay_alu instid0(VALU_DEP_3) | instskip(SKIP_1) | instid1(VALU_DEP_2)
	v_cndmask_b32_e64 v41, v41, v14, s0
	v_cmp_eq_u32_e64 s0, 8, v36
	v_dual_cndmask_b32 v40, v40, v17 :: v_dual_cndmask_b32 v41, v41, v16
	v_cmp_eq_u32_e32 vcc_lo, 9, v36
	s_delay_alu instid0(VALU_DEP_2) | instskip(NEXT) | instid1(VALU_DEP_3)
	v_cndmask_b32_e64 v40, v40, v19, s0
	v_cndmask_b32_e64 v41, v41, v18, s0
	v_cmp_eq_u32_e64 s0, 10, v36
	s_delay_alu instid0(VALU_DEP_2) | instskip(SKIP_1) | instid1(VALU_DEP_2)
	v_dual_cndmask_b32 v40, v40, v21 :: v_dual_cndmask_b32 v41, v41, v20
	v_cmp_eq_u32_e32 vcc_lo, 11, v36
	v_cndmask_b32_e64 v40, v40, v23, s0
	s_delay_alu instid0(VALU_DEP_3) | instskip(SKIP_1) | instid1(VALU_DEP_2)
	v_cndmask_b32_e64 v41, v41, v22, s0
	v_cmp_eq_u32_e64 s0, 12, v36
	v_dual_cndmask_b32 v42, v40, v25 :: v_dual_cndmask_b32 v43, v41, v24
	ds_load_b64 v[40:41], v39
	v_cmp_eq_u32_e32 vcc_lo, 13, v36
	v_add_nc_u32_e32 v39, 8, v39
	v_cndmask_b32_e64 v42, v42, v27, s0
	v_cndmask_b32_e64 v43, v43, v26, s0
	v_cmp_eq_u32_e64 s0, 14, v36
	s_delay_alu instid0(VALU_DEP_2) | instskip(SKIP_1) | instid1(VALU_DEP_2)
	v_dual_cndmask_b32 v42, v42, v29 :: v_dual_cndmask_b32 v43, v43, v28
	v_cmp_eq_u32_e32 vcc_lo, 15, v36
	v_cndmask_b32_e64 v42, v42, v31, s0
	s_delay_alu instid0(VALU_DEP_3) | instskip(NEXT) | instid1(VALU_DEP_1)
	v_cndmask_b32_e64 v44, v43, v30, s0
	v_dual_cndmask_b32 v43, v42, v33 :: v_dual_cndmask_b32 v42, v44, v32
	v_add_co_u32 v36, vcc_lo, v36, 1
	v_add_co_ci_u32_e32 v37, vcc_lo, 0, v37, vcc_lo
	s_waitcnt lgkmcnt(0)
	s_delay_alu instid0(VALU_DEP_3) | instskip(NEXT) | instid1(VALU_DEP_3)
	v_fma_f64 v[34:35], v[42:43], v[40:41], v[34:35]
	v_add_nc_u32_e32 v40, -1, v36
	s_delay_alu instid0(VALU_DEP_1) | instskip(SKIP_1) | instid1(SALU_CYCLE_1)
	v_cmp_lt_u32_e32 vcc_lo, 11, v40
	s_or_b32 s2, vcc_lo, s2
	s_and_not1_b32 exec_lo, exec_lo, s2
	s_cbranch_execnz .LBB79_77
; %bb.78:
	s_or_b32 exec_lo, exec_lo, s2
	v_mov_b32_e32 v28, 0
	ds_load_b64 v[28:29], v28 offset:104
	s_waitcnt lgkmcnt(0)
	v_mul_f64 v[28:29], v[34:35], v[28:29]
.LBB79_79:
	s_or_b32 exec_lo, exec_lo, s1
	s_delay_alu instid0(SALU_CYCLE_1)
	s_mov_b32 s1, exec_lo
	s_barrier
	buffer_gl0_inv
	ds_store_b64 v38, v[30:31]
	s_waitcnt lgkmcnt(0)
	s_barrier
	buffer_gl0_inv
	v_cmpx_gt_u32_e32 14, v0
	s_cbranch_execz .LBB79_83
; %bb.80:
	v_dual_mov_b32 v34, 0 :: v_dual_mov_b32 v37, v1
	v_lshl_add_u32 v39, v0, 3, 0x80
	v_dual_mov_b32 v35, 0 :: v_dual_mov_b32 v36, v0
	s_mov_b32 s2, 0
.LBB79_81:                              ; =>This Inner Loop Header: Depth=1
	s_delay_alu instid0(VALU_DEP_1) | instskip(SKIP_3) | instid1(VALU_DEP_2)
	v_cmp_eq_u32_e32 vcc_lo, 1, v36
	v_cmp_eq_u32_e64 s0, 2, v36
	v_dual_cndmask_b32 v40, v3, v5 :: v_dual_cndmask_b32 v41, v2, v4
	v_cmp_eq_u32_e32 vcc_lo, 3, v36
	v_cndmask_b32_e64 v40, v40, v7, s0
	s_delay_alu instid0(VALU_DEP_3) | instskip(SKIP_1) | instid1(VALU_DEP_2)
	v_cndmask_b32_e64 v41, v41, v6, s0
	v_cmp_eq_u32_e64 s0, 4, v36
	v_dual_cndmask_b32 v40, v40, v9 :: v_dual_cndmask_b32 v41, v41, v8
	v_cmp_eq_u32_e32 vcc_lo, 5, v36
	s_delay_alu instid0(VALU_DEP_2) | instskip(NEXT) | instid1(VALU_DEP_3)
	v_cndmask_b32_e64 v40, v40, v11, s0
	v_cndmask_b32_e64 v41, v41, v10, s0
	v_cmp_eq_u32_e64 s0, 6, v36
	s_delay_alu instid0(VALU_DEP_2) | instskip(SKIP_1) | instid1(VALU_DEP_2)
	v_dual_cndmask_b32 v40, v40, v13 :: v_dual_cndmask_b32 v41, v41, v12
	v_cmp_eq_u32_e32 vcc_lo, 7, v36
	v_cndmask_b32_e64 v40, v40, v15, s0
	s_delay_alu instid0(VALU_DEP_3) | instskip(SKIP_1) | instid1(VALU_DEP_2)
	v_cndmask_b32_e64 v41, v41, v14, s0
	v_cmp_eq_u32_e64 s0, 8, v36
	v_dual_cndmask_b32 v40, v40, v17 :: v_dual_cndmask_b32 v41, v41, v16
	v_cmp_eq_u32_e32 vcc_lo, 9, v36
	s_delay_alu instid0(VALU_DEP_2) | instskip(NEXT) | instid1(VALU_DEP_3)
	v_cndmask_b32_e64 v40, v40, v19, s0
	v_cndmask_b32_e64 v41, v41, v18, s0
	v_cmp_eq_u32_e64 s0, 10, v36
	s_delay_alu instid0(VALU_DEP_2) | instskip(SKIP_1) | instid1(VALU_DEP_2)
	v_dual_cndmask_b32 v40, v40, v21 :: v_dual_cndmask_b32 v41, v41, v20
	v_cmp_eq_u32_e32 vcc_lo, 11, v36
	v_cndmask_b32_e64 v40, v40, v23, s0
	s_delay_alu instid0(VALU_DEP_3) | instskip(SKIP_1) | instid1(VALU_DEP_2)
	v_cndmask_b32_e64 v41, v41, v22, s0
	v_cmp_eq_u32_e64 s0, 12, v36
	v_dual_cndmask_b32 v42, v40, v25 :: v_dual_cndmask_b32 v43, v41, v24
	ds_load_b64 v[40:41], v39
	v_cmp_eq_u32_e32 vcc_lo, 13, v36
	v_add_nc_u32_e32 v39, 8, v39
	v_cndmask_b32_e64 v42, v42, v27, s0
	v_cndmask_b32_e64 v43, v43, v26, s0
	v_cmp_eq_u32_e64 s0, 14, v36
	s_delay_alu instid0(VALU_DEP_2) | instskip(SKIP_1) | instid1(VALU_DEP_2)
	v_dual_cndmask_b32 v42, v42, v29 :: v_dual_cndmask_b32 v43, v43, v28
	v_cmp_eq_u32_e32 vcc_lo, 15, v36
	v_cndmask_b32_e64 v42, v42, v31, s0
	s_delay_alu instid0(VALU_DEP_3) | instskip(NEXT) | instid1(VALU_DEP_1)
	v_cndmask_b32_e64 v44, v43, v30, s0
	v_dual_cndmask_b32 v43, v42, v33 :: v_dual_cndmask_b32 v42, v44, v32
	v_add_co_u32 v36, vcc_lo, v36, 1
	v_add_co_ci_u32_e32 v37, vcc_lo, 0, v37, vcc_lo
	s_waitcnt lgkmcnt(0)
	s_delay_alu instid0(VALU_DEP_3) | instskip(NEXT) | instid1(VALU_DEP_3)
	v_fma_f64 v[34:35], v[42:43], v[40:41], v[34:35]
	v_add_nc_u32_e32 v40, -1, v36
	s_delay_alu instid0(VALU_DEP_1) | instskip(SKIP_1) | instid1(SALU_CYCLE_1)
	v_cmp_lt_u32_e32 vcc_lo, 12, v40
	s_or_b32 s2, vcc_lo, s2
	s_and_not1_b32 exec_lo, exec_lo, s2
	s_cbranch_execnz .LBB79_81
; %bb.82:
	s_or_b32 exec_lo, exec_lo, s2
	v_mov_b32_e32 v30, 0
	ds_load_b64 v[30:31], v30 offset:112
	s_waitcnt lgkmcnt(0)
	v_mul_f64 v[30:31], v[34:35], v[30:31]
.LBB79_83:
	s_or_b32 exec_lo, exec_lo, s1
	s_delay_alu instid0(SALU_CYCLE_1)
	s_mov_b32 s1, exec_lo
	s_barrier
	buffer_gl0_inv
	ds_store_b64 v38, v[32:33]
	s_waitcnt lgkmcnt(0)
	s_barrier
	buffer_gl0_inv
	v_cmpx_ne_u32_e32 15, v0
	s_cbranch_execz .LBB79_87
; %bb.84:
	v_dual_mov_b32 v34, 0 :: v_dual_mov_b32 v37, v1
	v_lshl_add_u32 v38, v0, 3, 0x80
	v_dual_mov_b32 v35, 0 :: v_dual_mov_b32 v36, v0
	s_mov_b32 s2, 0
.LBB79_85:                              ; =>This Inner Loop Header: Depth=1
	s_delay_alu instid0(VALU_DEP_1) | instskip(SKIP_4) | instid1(VALU_DEP_3)
	v_cmp_eq_u32_e32 vcc_lo, 1, v36
	v_cmp_eq_u32_e64 s0, 2, v36
	v_cndmask_b32_e32 v1, v3, v5, vcc_lo
	v_cndmask_b32_e32 v39, v2, v4, vcc_lo
	v_cmp_eq_u32_e32 vcc_lo, 3, v36
	v_cndmask_b32_e64 v1, v1, v7, s0
	s_delay_alu instid0(VALU_DEP_3) | instskip(SKIP_1) | instid1(VALU_DEP_3)
	v_cndmask_b32_e64 v39, v39, v6, s0
	v_cmp_eq_u32_e64 s0, 4, v36
	v_cndmask_b32_e32 v1, v1, v9, vcc_lo
	s_delay_alu instid0(VALU_DEP_3) | instskip(SKIP_1) | instid1(VALU_DEP_3)
	v_cndmask_b32_e32 v39, v39, v8, vcc_lo
	v_cmp_eq_u32_e32 vcc_lo, 5, v36
	v_cndmask_b32_e64 v1, v1, v11, s0
	s_delay_alu instid0(VALU_DEP_3) | instskip(SKIP_1) | instid1(VALU_DEP_3)
	v_cndmask_b32_e64 v39, v39, v10, s0
	v_cmp_eq_u32_e64 s0, 6, v36
	v_cndmask_b32_e32 v1, v1, v13, vcc_lo
	s_delay_alu instid0(VALU_DEP_3) | instskip(SKIP_1) | instid1(VALU_DEP_3)
	;; [unrolled: 8-line block ×4, first 2 shown]
	v_cndmask_b32_e32 v39, v39, v20, vcc_lo
	v_cmp_eq_u32_e32 vcc_lo, 11, v36
	v_cndmask_b32_e64 v1, v1, v23, s0
	s_delay_alu instid0(VALU_DEP_3) | instskip(SKIP_1) | instid1(VALU_DEP_3)
	v_cndmask_b32_e64 v39, v39, v22, s0
	v_cmp_eq_u32_e64 s0, 12, v36
	v_cndmask_b32_e32 v1, v1, v25, vcc_lo
	s_delay_alu instid0(VALU_DEP_3)
	v_cndmask_b32_e32 v41, v39, v24, vcc_lo
	ds_load_b64 v[39:40], v38
	v_cmp_eq_u32_e32 vcc_lo, 13, v36
	v_add_nc_u32_e32 v38, 8, v38
	v_cndmask_b32_e64 v1, v1, v27, s0
	v_cndmask_b32_e64 v41, v41, v26, s0
	v_cmp_eq_u32_e64 s0, 14, v36
	s_delay_alu instid0(VALU_DEP_3) | instskip(NEXT) | instid1(VALU_DEP_3)
	v_cndmask_b32_e32 v1, v1, v29, vcc_lo
	v_cndmask_b32_e32 v41, v41, v28, vcc_lo
	v_cmp_eq_u32_e32 vcc_lo, 15, v36
	s_delay_alu instid0(VALU_DEP_3) | instskip(NEXT) | instid1(VALU_DEP_3)
	v_cndmask_b32_e64 v1, v1, v31, s0
	v_cndmask_b32_e64 v41, v41, v30, s0
	s_delay_alu instid0(VALU_DEP_2) | instskip(NEXT) | instid1(VALU_DEP_2)
	v_cndmask_b32_e32 v42, v1, v33, vcc_lo
	v_cndmask_b32_e32 v41, v41, v32, vcc_lo
	v_add_co_u32 v36, vcc_lo, v36, 1
	v_add_co_ci_u32_e32 v37, vcc_lo, 0, v37, vcc_lo
	s_waitcnt lgkmcnt(0)
	s_delay_alu instid0(VALU_DEP_3) | instskip(NEXT) | instid1(VALU_DEP_3)
	v_fma_f64 v[34:35], v[41:42], v[39:40], v[34:35]
	v_add_nc_u32_e32 v1, -1, v36
	s_delay_alu instid0(VALU_DEP_1) | instskip(SKIP_1) | instid1(SALU_CYCLE_1)
	v_cmp_lt_u32_e32 vcc_lo, 13, v1
	s_or_b32 s2, vcc_lo, s2
	s_and_not1_b32 exec_lo, exec_lo, s2
	s_cbranch_execnz .LBB79_85
; %bb.86:
	s_or_b32 exec_lo, exec_lo, s2
	v_mov_b32_e32 v1, 0
	ds_load_b64 v[32:33], v1 offset:120
	s_waitcnt lgkmcnt(0)
	v_mul_f64 v[32:33], v[34:35], v[32:33]
.LBB79_87:
	s_or_b32 exec_lo, exec_lo, s1
	s_barrier
	buffer_gl0_inv
	s_cbranch_execnz .LBB79_15
	s_branch .LBB79_16
.LBB79_88:
	v_lshl_add_u32 v1, v0, 3, 0x80
	s_mov_b32 s0, exec_lo
	v_cmpx_eq_u32_e32 15, v0
	s_cbranch_execz .LBB79_90
; %bb.89:
	s_mov_b32 s1, 0
	v_mov_b32_e32 v63, v33
	v_mov_b32_e32 v60, v30
	v_dual_mov_b32 v60, s1 :: v_dual_mov_b32 v59, v29
	v_dual_mov_b32 v62, v32 :: v_dual_mov_b32 v61, v31
	v_dual_mov_b32 v58, v28 :: v_dual_mov_b32 v57, v27
	v_dual_mov_b32 v56, v26 :: v_dual_mov_b32 v55, v25
	v_dual_mov_b32 v54, v24 :: v_dual_mov_b32 v53, v23
	v_dual_mov_b32 v52, v22 :: v_dual_mov_b32 v51, v21
	v_dual_mov_b32 v50, v20 :: v_dual_mov_b32 v49, v19
	v_dual_mov_b32 v48, v18 :: v_dual_mov_b32 v47, v17
	v_dual_mov_b32 v46, v16 :: v_dual_mov_b32 v45, v15
	v_dual_mov_b32 v44, v14 :: v_dual_mov_b32 v43, v13
	v_dual_mov_b32 v42, v12 :: v_dual_mov_b32 v41, v11
	v_dual_mov_b32 v40, v10 :: v_dual_mov_b32 v39, v9
	v_dual_mov_b32 v38, v8 :: v_dual_mov_b32 v37, v7
	v_dual_mov_b32 v36, v6 :: v_dual_mov_b32 v35, v5
	v_dual_mov_b32 v34, v4 :: v_dual_mov_b32 v33, v3
	v_dual_mov_b32 v32, v2 :: v_dual_mov_b32 v61, s1
	ds_store_b64 v1, v[30:31]
	v_mov_b32_e32 v2, v32
	v_dual_mov_b32 v3, v33 :: v_dual_mov_b32 v4, v34
	v_dual_mov_b32 v5, v35 :: v_dual_mov_b32 v6, v36
	v_dual_mov_b32 v7, v37 :: v_dual_mov_b32 v8, v38
	v_dual_mov_b32 v9, v39 :: v_dual_mov_b32 v10, v40
	v_dual_mov_b32 v11, v41 :: v_dual_mov_b32 v12, v42
	v_dual_mov_b32 v13, v43 :: v_dual_mov_b32 v14, v44
	v_dual_mov_b32 v15, v45 :: v_dual_mov_b32 v16, v46
	v_dual_mov_b32 v17, v47 :: v_dual_mov_b32 v18, v48
	v_dual_mov_b32 v19, v49 :: v_dual_mov_b32 v20, v50
	v_dual_mov_b32 v21, v51 :: v_dual_mov_b32 v22, v52
	v_dual_mov_b32 v23, v53 :: v_dual_mov_b32 v24, v54
	v_dual_mov_b32 v25, v55 :: v_dual_mov_b32 v26, v56
	v_dual_mov_b32 v27, v57 :: v_dual_mov_b32 v28, v58
	v_dual_mov_b32 v29, v59 :: v_dual_mov_b32 v30, v60
	v_dual_mov_b32 v31, v61 :: v_dual_mov_b32 v32, v62
	v_mov_b32_e32 v33, v63
.LBB79_90:
	s_or_b32 exec_lo, exec_lo, s0
	v_mov_b32_e32 v62, 0
	s_waitcnt lgkmcnt(0)
	s_waitcnt_vscnt null, 0x0
	s_barrier
	buffer_gl0_inv
	s_mov_b32 s0, exec_lo
	ds_load_b64 v[34:35], v62 offset:248
	s_waitcnt lgkmcnt(0)
	v_fma_f64 v[34:35], v[32:33], v[34:35], 0
	s_delay_alu instid0(VALU_DEP_1)
	v_add_f64 v[30:31], v[30:31], -v[34:35]
	v_cmpx_lt_u32_e32 13, v0
	s_cbranch_execz .LBB79_92
; %bb.91:
	s_mov_b32 s1, 0
	v_mov_b32_e32 v61, v33
	v_mov_b32_e32 v56, v28
	v_dual_mov_b32 v56, s1 :: v_dual_mov_b32 v55, v27
	v_dual_mov_b32 v58, v30 :: v_dual_mov_b32 v57, v29
	;; [unrolled: 1-line block ×15, first 2 shown]
	v_mov_b32_e32 v31, v3
	v_mov_b32_e32 v30, v2
	ds_store_b64 v1, v[28:29]
	v_mov_b32_e32 v2, v30
	v_dual_mov_b32 v3, v31 :: v_dual_mov_b32 v4, v32
	v_dual_mov_b32 v5, v33 :: v_dual_mov_b32 v6, v34
	;; [unrolled: 1-line block ×14, first 2 shown]
	v_mov_b32_e32 v31, v59
	v_mov_b32_e32 v32, v60
	;; [unrolled: 1-line block ×3, first 2 shown]
.LBB79_92:
	s_or_b32 exec_lo, exec_lo, s0
	s_waitcnt lgkmcnt(0)
	s_barrier
	buffer_gl0_inv
	ds_load_b128 v[34:37], v62 offset:240
	s_mov_b32 s0, exec_lo
	s_waitcnt lgkmcnt(0)
	v_fma_f64 v[34:35], v[30:31], v[34:35], 0
	s_delay_alu instid0(VALU_DEP_1) | instskip(NEXT) | instid1(VALU_DEP_1)
	v_fma_f64 v[34:35], v[32:33], v[36:37], v[34:35]
	v_add_f64 v[28:29], v[28:29], -v[34:35]
	v_cmpx_lt_u32_e32 12, v0
	s_cbranch_execz .LBB79_94
; %bb.93:
	s_mov_b32 s1, 0
	v_mov_b32_e32 v59, v33
	v_mov_b32_e32 v52, v26
	v_dual_mov_b32 v52, s1 :: v_dual_mov_b32 v51, v25
	v_dual_mov_b32 v54, v28 :: v_dual_mov_b32 v53, v27
	;; [unrolled: 1-line block ×14, first 2 shown]
	v_mov_b32_e32 v31, v5
	v_mov_b32_e32 v30, v4
	;; [unrolled: 1-line block ×4, first 2 shown]
	ds_store_b64 v1, v[26:27]
	v_mov_b32_e32 v2, v28
	v_dual_mov_b32 v3, v29 :: v_dual_mov_b32 v4, v30
	v_dual_mov_b32 v5, v31 :: v_dual_mov_b32 v6, v32
	v_dual_mov_b32 v7, v33 :: v_dual_mov_b32 v8, v34
	v_dual_mov_b32 v9, v35 :: v_dual_mov_b32 v10, v36
	v_dual_mov_b32 v11, v37 :: v_dual_mov_b32 v12, v38
	v_dual_mov_b32 v13, v39 :: v_dual_mov_b32 v14, v40
	v_dual_mov_b32 v15, v41 :: v_dual_mov_b32 v16, v42
	v_dual_mov_b32 v17, v43 :: v_dual_mov_b32 v18, v44
	v_dual_mov_b32 v19, v45 :: v_dual_mov_b32 v20, v46
	v_dual_mov_b32 v21, v47 :: v_dual_mov_b32 v22, v48
	v_dual_mov_b32 v23, v49 :: v_dual_mov_b32 v24, v50
	v_dual_mov_b32 v25, v51 :: v_dual_mov_b32 v26, v52
	v_dual_mov_b32 v27, v53 :: v_dual_mov_b32 v28, v54
	v_mov_b32_e32 v29, v55
	v_mov_b32_e32 v30, v56
	;; [unrolled: 1-line block ×5, first 2 shown]
.LBB79_94:
	s_or_b32 exec_lo, exec_lo, s0
	v_mov_b32_e32 v58, 0
	s_waitcnt lgkmcnt(0)
	s_barrier
	buffer_gl0_inv
	s_mov_b32 s0, exec_lo
	ds_load_2addr_b64 v[34:37], v58 offset0:29 offset1:30
	ds_load_b64 v[38:39], v58 offset:248
	s_waitcnt lgkmcnt(1)
	v_fma_f64 v[34:35], v[28:29], v[34:35], 0
	s_delay_alu instid0(VALU_DEP_1) | instskip(SKIP_1) | instid1(VALU_DEP_1)
	v_fma_f64 v[34:35], v[30:31], v[36:37], v[34:35]
	s_waitcnt lgkmcnt(0)
	v_fma_f64 v[34:35], v[32:33], v[38:39], v[34:35]
	s_delay_alu instid0(VALU_DEP_1)
	v_add_f64 v[26:27], v[26:27], -v[34:35]
	v_cmpx_lt_u32_e32 11, v0
	s_cbranch_execz .LBB79_96
; %bb.95:
	s_mov_b32 s1, 0
	v_mov_b32_e32 v57, v33
	v_mov_b32_e32 v48, v24
	v_dual_mov_b32 v48, s1 :: v_dual_mov_b32 v47, v23
	v_dual_mov_b32 v50, v26 :: v_dual_mov_b32 v49, v25
	;; [unrolled: 1-line block ×13, first 2 shown]
	v_mov_b32_e32 v31, v7
	v_mov_b32_e32 v30, v6
	;; [unrolled: 1-line block ×6, first 2 shown]
	ds_store_b64 v1, v[24:25]
	v_mov_b32_e32 v2, v26
	v_dual_mov_b32 v3, v27 :: v_dual_mov_b32 v4, v28
	v_dual_mov_b32 v5, v29 :: v_dual_mov_b32 v6, v30
	v_dual_mov_b32 v7, v31 :: v_dual_mov_b32 v8, v32
	v_dual_mov_b32 v9, v33 :: v_dual_mov_b32 v10, v34
	v_dual_mov_b32 v11, v35 :: v_dual_mov_b32 v12, v36
	v_dual_mov_b32 v13, v37 :: v_dual_mov_b32 v14, v38
	v_dual_mov_b32 v15, v39 :: v_dual_mov_b32 v16, v40
	v_dual_mov_b32 v17, v41 :: v_dual_mov_b32 v18, v42
	v_dual_mov_b32 v19, v43 :: v_dual_mov_b32 v20, v44
	v_dual_mov_b32 v21, v45 :: v_dual_mov_b32 v22, v46
	v_dual_mov_b32 v23, v47 :: v_dual_mov_b32 v24, v48
	v_dual_mov_b32 v25, v49 :: v_dual_mov_b32 v26, v50
	v_mov_b32_e32 v27, v51
	v_mov_b32_e32 v28, v52
	;; [unrolled: 1-line block ×7, first 2 shown]
.LBB79_96:
	s_or_b32 exec_lo, exec_lo, s0
	s_waitcnt lgkmcnt(0)
	s_barrier
	buffer_gl0_inv
	ds_load_b128 v[34:37], v58 offset:224
	ds_load_b128 v[38:41], v58 offset:240
	s_mov_b32 s0, exec_lo
	s_waitcnt lgkmcnt(1)
	v_fma_f64 v[34:35], v[26:27], v[34:35], 0
	s_delay_alu instid0(VALU_DEP_1) | instskip(SKIP_1) | instid1(VALU_DEP_1)
	v_fma_f64 v[34:35], v[28:29], v[36:37], v[34:35]
	s_waitcnt lgkmcnt(0)
	v_fma_f64 v[34:35], v[30:31], v[38:39], v[34:35]
	s_delay_alu instid0(VALU_DEP_1) | instskip(NEXT) | instid1(VALU_DEP_1)
	v_fma_f64 v[34:35], v[32:33], v[40:41], v[34:35]
	v_add_f64 v[24:25], v[24:25], -v[34:35]
	v_cmpx_lt_u32_e32 10, v0
	s_cbranch_execz .LBB79_98
; %bb.97:
	s_mov_b32 s1, 0
	v_mov_b32_e32 v55, v33
	v_mov_b32_e32 v44, v22
	v_dual_mov_b32 v44, s1 :: v_dual_mov_b32 v43, v21
	v_dual_mov_b32 v46, v24 :: v_dual_mov_b32 v45, v23
	;; [unrolled: 1-line block ×12, first 2 shown]
	v_mov_b32_e32 v31, v9
	v_mov_b32_e32 v30, v8
	;; [unrolled: 1-line block ×8, first 2 shown]
	ds_store_b64 v1, v[22:23]
	v_mov_b32_e32 v2, v24
	v_dual_mov_b32 v3, v25 :: v_dual_mov_b32 v4, v26
	v_dual_mov_b32 v5, v27 :: v_dual_mov_b32 v6, v28
	;; [unrolled: 1-line block ×11, first 2 shown]
	v_mov_b32_e32 v25, v47
	v_mov_b32_e32 v26, v48
	;; [unrolled: 1-line block ×9, first 2 shown]
.LBB79_98:
	s_or_b32 exec_lo, exec_lo, s0
	v_mov_b32_e32 v54, 0
	s_waitcnt lgkmcnt(0)
	s_barrier
	buffer_gl0_inv
	s_mov_b32 s0, exec_lo
	ds_load_2addr_b64 v[34:37], v54 offset0:27 offset1:28
	ds_load_2addr_b64 v[38:41], v54 offset0:29 offset1:30
	s_waitcnt lgkmcnt(1)
	v_fma_f64 v[34:35], v[24:25], v[34:35], 0
	s_delay_alu instid0(VALU_DEP_1) | instskip(SKIP_3) | instid1(VALU_DEP_1)
	v_fma_f64 v[34:35], v[26:27], v[36:37], v[34:35]
	ds_load_b64 v[36:37], v54 offset:248
	s_waitcnt lgkmcnt(1)
	v_fma_f64 v[34:35], v[28:29], v[38:39], v[34:35]
	v_fma_f64 v[34:35], v[30:31], v[40:41], v[34:35]
	s_waitcnt lgkmcnt(0)
	s_delay_alu instid0(VALU_DEP_1) | instskip(NEXT) | instid1(VALU_DEP_1)
	v_fma_f64 v[34:35], v[32:33], v[36:37], v[34:35]
	v_add_f64 v[22:23], v[22:23], -v[34:35]
	v_cmpx_lt_u32_e32 9, v0
	s_cbranch_execz .LBB79_100
; %bb.99:
	s_mov_b32 s1, 0
	v_mov_b32_e32 v53, v33
	v_mov_b32_e32 v40, v20
	v_dual_mov_b32 v40, s1 :: v_dual_mov_b32 v39, v19
	v_dual_mov_b32 v42, v22 :: v_dual_mov_b32 v41, v21
	;; [unrolled: 1-line block ×11, first 2 shown]
	v_mov_b32_e32 v31, v11
	v_mov_b32_e32 v30, v10
	v_mov_b32_e32 v29, v9
	v_mov_b32_e32 v28, v8
	v_mov_b32_e32 v27, v7
	v_mov_b32_e32 v26, v6
	v_mov_b32_e32 v25, v5
	v_mov_b32_e32 v24, v4
	v_mov_b32_e32 v23, v3
	v_mov_b32_e32 v22, v2
	ds_store_b64 v1, v[20:21]
	v_mov_b32_e32 v2, v22
	v_dual_mov_b32 v3, v23 :: v_dual_mov_b32 v4, v24
	v_dual_mov_b32 v5, v25 :: v_dual_mov_b32 v6, v26
	;; [unrolled: 1-line block ×10, first 2 shown]
	v_mov_b32_e32 v23, v43
	v_mov_b32_e32 v24, v44
	v_mov_b32_e32 v25, v45
	v_mov_b32_e32 v26, v46
	v_mov_b32_e32 v27, v47
	v_mov_b32_e32 v28, v48
	v_mov_b32_e32 v29, v49
	v_mov_b32_e32 v30, v50
	v_mov_b32_e32 v31, v51
	v_mov_b32_e32 v32, v52
	v_mov_b32_e32 v33, v53
.LBB79_100:
	s_or_b32 exec_lo, exec_lo, s0
	s_waitcnt lgkmcnt(0)
	s_barrier
	buffer_gl0_inv
	ds_load_b128 v[34:37], v54 offset:208
	ds_load_b128 v[38:41], v54 offset:224
	s_mov_b32 s0, exec_lo
	s_waitcnt lgkmcnt(1)
	v_fma_f64 v[34:35], v[22:23], v[34:35], 0
	s_delay_alu instid0(VALU_DEP_1) | instskip(SKIP_1) | instid1(VALU_DEP_1)
	v_fma_f64 v[34:35], v[24:25], v[36:37], v[34:35]
	s_waitcnt lgkmcnt(0)
	v_fma_f64 v[34:35], v[26:27], v[38:39], v[34:35]
	s_delay_alu instid0(VALU_DEP_1) | instskip(SKIP_3) | instid1(VALU_DEP_1)
	v_fma_f64 v[38:39], v[28:29], v[40:41], v[34:35]
	ds_load_b128 v[34:37], v54 offset:240
	s_waitcnt lgkmcnt(0)
	v_fma_f64 v[34:35], v[30:31], v[34:35], v[38:39]
	v_fma_f64 v[34:35], v[32:33], v[36:37], v[34:35]
	s_delay_alu instid0(VALU_DEP_1)
	v_add_f64 v[20:21], v[20:21], -v[34:35]
	v_cmpx_lt_u32_e32 8, v0
	s_cbranch_execz .LBB79_102
; %bb.101:
	s_mov_b32 s1, 0
	v_mov_b32_e32 v51, v33
	v_mov_b32_e32 v36, v18
	v_dual_mov_b32 v36, s1 :: v_dual_mov_b32 v35, v17
	v_dual_mov_b32 v38, v20 :: v_dual_mov_b32 v37, v19
	;; [unrolled: 1-line block ×10, first 2 shown]
	v_mov_b32_e32 v31, v13
	v_mov_b32_e32 v30, v12
	;; [unrolled: 1-line block ×12, first 2 shown]
	ds_store_b64 v1, v[18:19]
	v_mov_b32_e32 v2, v20
	v_dual_mov_b32 v3, v21 :: v_dual_mov_b32 v4, v22
	v_dual_mov_b32 v5, v23 :: v_dual_mov_b32 v6, v24
	v_dual_mov_b32 v7, v25 :: v_dual_mov_b32 v8, v26
	v_dual_mov_b32 v9, v27 :: v_dual_mov_b32 v10, v28
	v_dual_mov_b32 v11, v29 :: v_dual_mov_b32 v12, v30
	v_dual_mov_b32 v13, v31 :: v_dual_mov_b32 v14, v32
	v_dual_mov_b32 v15, v33 :: v_dual_mov_b32 v16, v34
	v_dual_mov_b32 v17, v35 :: v_dual_mov_b32 v18, v36
	v_dual_mov_b32 v19, v37 :: v_dual_mov_b32 v20, v38
	v_mov_b32_e32 v21, v39
	v_mov_b32_e32 v22, v40
	;; [unrolled: 1-line block ×13, first 2 shown]
.LBB79_102:
	s_or_b32 exec_lo, exec_lo, s0
	v_mov_b32_e32 v50, 0
	s_waitcnt lgkmcnt(0)
	s_barrier
	buffer_gl0_inv
	s_mov_b32 s0, exec_lo
	ds_load_2addr_b64 v[34:37], v50 offset0:25 offset1:26
	ds_load_2addr_b64 v[38:41], v50 offset0:27 offset1:28
	s_waitcnt lgkmcnt(1)
	v_fma_f64 v[34:35], v[20:21], v[34:35], 0
	s_delay_alu instid0(VALU_DEP_1) | instskip(SKIP_1) | instid1(VALU_DEP_1)
	v_fma_f64 v[34:35], v[22:23], v[36:37], v[34:35]
	s_waitcnt lgkmcnt(0)
	v_fma_f64 v[34:35], v[24:25], v[38:39], v[34:35]
	s_delay_alu instid0(VALU_DEP_1) | instskip(SKIP_4) | instid1(VALU_DEP_1)
	v_fma_f64 v[38:39], v[26:27], v[40:41], v[34:35]
	ds_load_2addr_b64 v[34:37], v50 offset0:29 offset1:30
	ds_load_b64 v[40:41], v50 offset:248
	s_waitcnt lgkmcnt(1)
	v_fma_f64 v[34:35], v[28:29], v[34:35], v[38:39]
	v_fma_f64 v[34:35], v[30:31], v[36:37], v[34:35]
	s_waitcnt lgkmcnt(0)
	s_delay_alu instid0(VALU_DEP_1) | instskip(NEXT) | instid1(VALU_DEP_1)
	v_fma_f64 v[34:35], v[32:33], v[40:41], v[34:35]
	v_add_f64 v[18:19], v[18:19], -v[34:35]
	v_cmpx_lt_u32_e32 7, v0
	s_cbranch_execz .LBB79_104
; %bb.103:
	s_mov_b32 s1, 0
	v_mov_b32_e32 v49, v33
	v_dual_mov_b32 v48, v32 :: v_dual_mov_b32 v47, v31
	v_dual_mov_b32 v46, v30 :: v_dual_mov_b32 v45, v29
	;; [unrolled: 1-line block ×8, first 2 shown]
	v_mov_b32_e32 v32, v16
	v_mov_b32_e32 v31, v15
	;; [unrolled: 1-line block ×14, first 2 shown]
	v_dual_mov_b32 v18, v2 :: v_dual_mov_b32 v33, s1
	v_mov_b32_e32 v32, s1
	ds_store_b64 v1, v[16:17]
	v_mov_b32_e32 v2, v18
	v_dual_mov_b32 v3, v19 :: v_dual_mov_b32 v4, v20
	v_dual_mov_b32 v5, v21 :: v_dual_mov_b32 v6, v22
	;; [unrolled: 1-line block ×8, first 2 shown]
	v_mov_b32_e32 v19, v35
	v_mov_b32_e32 v20, v36
	;; [unrolled: 1-line block ×15, first 2 shown]
.LBB79_104:
	s_or_b32 exec_lo, exec_lo, s0
	s_waitcnt lgkmcnt(0)
	s_barrier
	buffer_gl0_inv
	ds_load_b128 v[34:37], v50 offset:192
	ds_load_b128 v[38:41], v50 offset:208
	s_mov_b32 s0, exec_lo
	s_waitcnt lgkmcnt(1)
	v_fma_f64 v[34:35], v[18:19], v[34:35], 0
	s_delay_alu instid0(VALU_DEP_1) | instskip(SKIP_1) | instid1(VALU_DEP_1)
	v_fma_f64 v[34:35], v[20:21], v[36:37], v[34:35]
	s_waitcnt lgkmcnt(0)
	v_fma_f64 v[34:35], v[22:23], v[38:39], v[34:35]
	s_delay_alu instid0(VALU_DEP_1) | instskip(SKIP_4) | instid1(VALU_DEP_1)
	v_fma_f64 v[42:43], v[24:25], v[40:41], v[34:35]
	ds_load_b128 v[34:37], v50 offset:224
	ds_load_b128 v[38:41], v50 offset:240
	s_waitcnt lgkmcnt(1)
	v_fma_f64 v[34:35], v[26:27], v[34:35], v[42:43]
	v_fma_f64 v[34:35], v[28:29], v[36:37], v[34:35]
	s_waitcnt lgkmcnt(0)
	s_delay_alu instid0(VALU_DEP_1) | instskip(NEXT) | instid1(VALU_DEP_1)
	v_fma_f64 v[34:35], v[30:31], v[38:39], v[34:35]
	v_fma_f64 v[34:35], v[32:33], v[40:41], v[34:35]
	s_delay_alu instid0(VALU_DEP_1)
	v_add_f64 v[16:17], v[16:17], -v[34:35]
	v_cmpx_lt_u32_e32 6, v0
	s_cbranch_execz .LBB79_106
; %bb.105:
	s_mov_b32 s1, 0
	v_mov_b32_e32 v47, v33
	v_dual_mov_b32 v46, v32 :: v_dual_mov_b32 v45, v31
	v_dual_mov_b32 v44, v30 :: v_dual_mov_b32 v43, v29
	;; [unrolled: 1-line block ×7, first 2 shown]
	v_mov_b32_e32 v32, v18
	v_mov_b32_e32 v31, v17
	;; [unrolled: 1-line block ×16, first 2 shown]
	v_dual_mov_b32 v16, v2 :: v_dual_mov_b32 v29, s1
	v_mov_b32_e32 v28, s1
	ds_store_b64 v1, v[14:15]
	v_mov_b32_e32 v2, v16
	v_dual_mov_b32 v3, v17 :: v_dual_mov_b32 v4, v18
	v_dual_mov_b32 v5, v19 :: v_dual_mov_b32 v6, v20
	;; [unrolled: 1-line block ×7, first 2 shown]
	v_mov_b32_e32 v17, v31
	v_mov_b32_e32 v18, v32
	;; [unrolled: 1-line block ×17, first 2 shown]
.LBB79_106:
	s_or_b32 exec_lo, exec_lo, s0
	v_mov_b32_e32 v46, 0
	s_waitcnt lgkmcnt(0)
	s_barrier
	buffer_gl0_inv
	s_mov_b32 s0, exec_lo
	ds_load_2addr_b64 v[34:37], v46 offset0:23 offset1:24
	ds_load_2addr_b64 v[38:41], v46 offset0:25 offset1:26
	s_waitcnt lgkmcnt(1)
	v_fma_f64 v[34:35], v[16:17], v[34:35], 0
	s_delay_alu instid0(VALU_DEP_1) | instskip(SKIP_1) | instid1(VALU_DEP_1)
	v_fma_f64 v[34:35], v[18:19], v[36:37], v[34:35]
	s_waitcnt lgkmcnt(0)
	v_fma_f64 v[34:35], v[20:21], v[38:39], v[34:35]
	s_delay_alu instid0(VALU_DEP_1) | instskip(SKIP_4) | instid1(VALU_DEP_1)
	v_fma_f64 v[42:43], v[22:23], v[40:41], v[34:35]
	ds_load_2addr_b64 v[34:37], v46 offset0:27 offset1:28
	ds_load_2addr_b64 v[38:41], v46 offset0:29 offset1:30
	s_waitcnt lgkmcnt(1)
	v_fma_f64 v[34:35], v[24:25], v[34:35], v[42:43]
	v_fma_f64 v[34:35], v[26:27], v[36:37], v[34:35]
	ds_load_b64 v[36:37], v46 offset:248
	s_waitcnt lgkmcnt(1)
	v_fma_f64 v[34:35], v[28:29], v[38:39], v[34:35]
	s_delay_alu instid0(VALU_DEP_1) | instskip(SKIP_1) | instid1(VALU_DEP_1)
	v_fma_f64 v[34:35], v[30:31], v[40:41], v[34:35]
	s_waitcnt lgkmcnt(0)
	v_fma_f64 v[34:35], v[32:33], v[36:37], v[34:35]
	s_delay_alu instid0(VALU_DEP_1)
	v_add_f64 v[14:15], v[14:15], -v[34:35]
	v_cmpx_lt_u32_e32 5, v0
	s_cbranch_execz .LBB79_108
; %bb.107:
	s_mov_b32 s1, 0
	v_mov_b32_e32 v45, v33
	v_dual_mov_b32 v44, v32 :: v_dual_mov_b32 v43, v31
	v_dual_mov_b32 v42, v30 :: v_dual_mov_b32 v41, v29
	;; [unrolled: 1-line block ×6, first 2 shown]
	v_mov_b32_e32 v32, v20
	v_mov_b32_e32 v31, v19
	;; [unrolled: 1-line block ×18, first 2 shown]
	v_dual_mov_b32 v14, v2 :: v_dual_mov_b32 v25, s1
	v_mov_b32_e32 v24, s1
	ds_store_b64 v1, v[12:13]
	v_mov_b32_e32 v2, v14
	v_dual_mov_b32 v3, v15 :: v_dual_mov_b32 v4, v16
	v_dual_mov_b32 v5, v17 :: v_dual_mov_b32 v6, v18
	;; [unrolled: 1-line block ×6, first 2 shown]
	v_mov_b32_e32 v15, v27
	v_mov_b32_e32 v16, v28
	;; [unrolled: 1-line block ×19, first 2 shown]
.LBB79_108:
	s_or_b32 exec_lo, exec_lo, s0
	s_waitcnt lgkmcnt(0)
	s_barrier
	buffer_gl0_inv
	ds_load_b128 v[34:37], v46 offset:176
	ds_load_b128 v[38:41], v46 offset:192
	s_mov_b32 s0, exec_lo
	s_waitcnt lgkmcnt(1)
	v_fma_f64 v[34:35], v[14:15], v[34:35], 0
	s_delay_alu instid0(VALU_DEP_1) | instskip(SKIP_1) | instid1(VALU_DEP_1)
	v_fma_f64 v[34:35], v[16:17], v[36:37], v[34:35]
	s_waitcnt lgkmcnt(0)
	v_fma_f64 v[34:35], v[18:19], v[38:39], v[34:35]
	s_delay_alu instid0(VALU_DEP_1) | instskip(SKIP_4) | instid1(VALU_DEP_1)
	v_fma_f64 v[42:43], v[20:21], v[40:41], v[34:35]
	ds_load_b128 v[34:37], v46 offset:208
	ds_load_b128 v[38:41], v46 offset:224
	s_waitcnt lgkmcnt(1)
	v_fma_f64 v[34:35], v[22:23], v[34:35], v[42:43]
	v_fma_f64 v[34:35], v[24:25], v[36:37], v[34:35]
	s_waitcnt lgkmcnt(0)
	s_delay_alu instid0(VALU_DEP_1) | instskip(NEXT) | instid1(VALU_DEP_1)
	v_fma_f64 v[34:35], v[26:27], v[38:39], v[34:35]
	v_fma_f64 v[38:39], v[28:29], v[40:41], v[34:35]
	ds_load_b128 v[34:37], v46 offset:240
	s_waitcnt lgkmcnt(0)
	v_fma_f64 v[34:35], v[30:31], v[34:35], v[38:39]
	s_delay_alu instid0(VALU_DEP_1) | instskip(NEXT) | instid1(VALU_DEP_1)
	v_fma_f64 v[34:35], v[32:33], v[36:37], v[34:35]
	v_add_f64 v[12:13], v[12:13], -v[34:35]
	v_cmpx_lt_u32_e32 4, v0
	s_cbranch_execz .LBB79_110
; %bb.109:
	s_mov_b32 s1, 0
	v_mov_b32_e32 v43, v33
	v_dual_mov_b32 v42, v32 :: v_dual_mov_b32 v41, v31
	v_dual_mov_b32 v40, v30 :: v_dual_mov_b32 v39, v29
	;; [unrolled: 1-line block ×5, first 2 shown]
	v_mov_b32_e32 v32, v22
	v_mov_b32_e32 v31, v21
	;; [unrolled: 1-line block ×20, first 2 shown]
	v_dual_mov_b32 v12, v2 :: v_dual_mov_b32 v21, s1
	v_mov_b32_e32 v20, s1
	ds_store_b64 v1, v[10:11]
	v_mov_b32_e32 v2, v12
	v_dual_mov_b32 v3, v13 :: v_dual_mov_b32 v4, v14
	v_dual_mov_b32 v5, v15 :: v_dual_mov_b32 v6, v16
	;; [unrolled: 1-line block ×5, first 2 shown]
	v_mov_b32_e32 v13, v23
	v_mov_b32_e32 v14, v24
	;; [unrolled: 1-line block ×21, first 2 shown]
.LBB79_110:
	s_or_b32 exec_lo, exec_lo, s0
	v_mov_b32_e32 v42, 0
	s_waitcnt lgkmcnt(0)
	s_barrier
	buffer_gl0_inv
	s_mov_b32 s0, exec_lo
	ds_load_2addr_b64 v[34:37], v42 offset0:21 offset1:22
	ds_load_2addr_b64 v[38:41], v42 offset0:23 offset1:24
	s_waitcnt lgkmcnt(1)
	v_fma_f64 v[34:35], v[12:13], v[34:35], 0
	s_delay_alu instid0(VALU_DEP_1) | instskip(SKIP_1) | instid1(VALU_DEP_1)
	v_fma_f64 v[34:35], v[14:15], v[36:37], v[34:35]
	s_waitcnt lgkmcnt(0)
	v_fma_f64 v[34:35], v[16:17], v[38:39], v[34:35]
	s_delay_alu instid0(VALU_DEP_1) | instskip(SKIP_4) | instid1(VALU_DEP_1)
	v_fma_f64 v[43:44], v[18:19], v[40:41], v[34:35]
	ds_load_2addr_b64 v[34:37], v42 offset0:25 offset1:26
	ds_load_2addr_b64 v[38:41], v42 offset0:27 offset1:28
	s_waitcnt lgkmcnt(1)
	v_fma_f64 v[34:35], v[20:21], v[34:35], v[43:44]
	v_fma_f64 v[34:35], v[22:23], v[36:37], v[34:35]
	s_waitcnt lgkmcnt(0)
	s_delay_alu instid0(VALU_DEP_1) | instskip(NEXT) | instid1(VALU_DEP_1)
	v_fma_f64 v[34:35], v[24:25], v[38:39], v[34:35]
	v_fma_f64 v[38:39], v[26:27], v[40:41], v[34:35]
	ds_load_2addr_b64 v[34:37], v42 offset0:29 offset1:30
	ds_load_b64 v[40:41], v42 offset:248
	s_waitcnt lgkmcnt(1)
	v_fma_f64 v[34:35], v[28:29], v[34:35], v[38:39]
	s_delay_alu instid0(VALU_DEP_1) | instskip(SKIP_1) | instid1(VALU_DEP_1)
	v_fma_f64 v[34:35], v[30:31], v[36:37], v[34:35]
	s_waitcnt lgkmcnt(0)
	v_fma_f64 v[34:35], v[32:33], v[40:41], v[34:35]
	s_delay_alu instid0(VALU_DEP_1)
	v_add_f64 v[10:11], v[10:11], -v[34:35]
	v_cmpx_lt_u32_e32 3, v0
	s_cbranch_execz .LBB79_112
; %bb.111:
	s_mov_b32 s1, 0
	v_mov_b32_e32 v41, v33
	v_dual_mov_b32 v40, v32 :: v_dual_mov_b32 v39, v31
	v_dual_mov_b32 v38, v30 :: v_dual_mov_b32 v37, v29
	;; [unrolled: 1-line block ×4, first 2 shown]
	v_mov_b32_e32 v32, v24
	v_mov_b32_e32 v31, v23
	;; [unrolled: 1-line block ×22, first 2 shown]
	v_dual_mov_b32 v10, v2 :: v_dual_mov_b32 v17, s1
	v_mov_b32_e32 v16, s1
	ds_store_b64 v1, v[8:9]
	v_mov_b32_e32 v2, v10
	v_dual_mov_b32 v3, v11 :: v_dual_mov_b32 v4, v12
	v_dual_mov_b32 v5, v13 :: v_dual_mov_b32 v6, v14
	;; [unrolled: 1-line block ×4, first 2 shown]
	v_mov_b32_e32 v11, v19
	v_mov_b32_e32 v12, v20
	;; [unrolled: 1-line block ×23, first 2 shown]
.LBB79_112:
	s_or_b32 exec_lo, exec_lo, s0
	s_waitcnt lgkmcnt(0)
	s_barrier
	buffer_gl0_inv
	ds_load_b128 v[34:37], v42 offset:160
	ds_load_b128 v[38:41], v42 offset:176
	s_mov_b32 s0, exec_lo
	s_waitcnt lgkmcnt(1)
	v_fma_f64 v[34:35], v[10:11], v[34:35], 0
	s_delay_alu instid0(VALU_DEP_1) | instskip(SKIP_1) | instid1(VALU_DEP_1)
	v_fma_f64 v[34:35], v[12:13], v[36:37], v[34:35]
	s_waitcnt lgkmcnt(0)
	v_fma_f64 v[34:35], v[14:15], v[38:39], v[34:35]
	s_delay_alu instid0(VALU_DEP_1) | instskip(SKIP_4) | instid1(VALU_DEP_1)
	v_fma_f64 v[43:44], v[16:17], v[40:41], v[34:35]
	ds_load_b128 v[34:37], v42 offset:192
	ds_load_b128 v[38:41], v42 offset:208
	s_waitcnt lgkmcnt(1)
	v_fma_f64 v[34:35], v[18:19], v[34:35], v[43:44]
	v_fma_f64 v[34:35], v[20:21], v[36:37], v[34:35]
	s_waitcnt lgkmcnt(0)
	s_delay_alu instid0(VALU_DEP_1) | instskip(NEXT) | instid1(VALU_DEP_1)
	v_fma_f64 v[34:35], v[22:23], v[38:39], v[34:35]
	v_fma_f64 v[43:44], v[24:25], v[40:41], v[34:35]
	ds_load_b128 v[34:37], v42 offset:224
	ds_load_b128 v[38:41], v42 offset:240
	s_waitcnt lgkmcnt(1)
	v_fma_f64 v[34:35], v[26:27], v[34:35], v[43:44]
	s_delay_alu instid0(VALU_DEP_1) | instskip(SKIP_1) | instid1(VALU_DEP_1)
	v_fma_f64 v[34:35], v[28:29], v[36:37], v[34:35]
	s_waitcnt lgkmcnt(0)
	v_fma_f64 v[34:35], v[30:31], v[38:39], v[34:35]
	s_delay_alu instid0(VALU_DEP_1) | instskip(NEXT) | instid1(VALU_DEP_1)
	v_fma_f64 v[34:35], v[32:33], v[40:41], v[34:35]
	v_add_f64 v[8:9], v[8:9], -v[34:35]
	v_cmpx_lt_u32_e32 2, v0
	s_cbranch_execz .LBB79_114
; %bb.113:
	s_mov_b32 s1, 0
	v_mov_b32_e32 v39, v33
	v_dual_mov_b32 v38, v32 :: v_dual_mov_b32 v37, v31
	v_dual_mov_b32 v36, v30 :: v_dual_mov_b32 v35, v29
	;; [unrolled: 1-line block ×3, first 2 shown]
	v_mov_b32_e32 v32, v26
	v_mov_b32_e32 v31, v25
	;; [unrolled: 1-line block ×24, first 2 shown]
	v_dual_mov_b32 v8, v2 :: v_dual_mov_b32 v13, s1
	v_mov_b32_e32 v12, s1
	ds_store_b64 v1, v[6:7]
	v_mov_b32_e32 v2, v8
	v_dual_mov_b32 v3, v9 :: v_dual_mov_b32 v4, v10
	v_dual_mov_b32 v5, v11 :: v_dual_mov_b32 v6, v12
	;; [unrolled: 1-line block ×3, first 2 shown]
	v_mov_b32_e32 v9, v15
	v_mov_b32_e32 v10, v16
	;; [unrolled: 1-line block ×25, first 2 shown]
.LBB79_114:
	s_or_b32 exec_lo, exec_lo, s0
	v_mov_b32_e32 v38, 0
	s_waitcnt lgkmcnt(0)
	s_barrier
	buffer_gl0_inv
	s_mov_b32 s0, exec_lo
	ds_load_2addr_b64 v[34:37], v38 offset0:19 offset1:20
	ds_load_2addr_b64 v[39:42], v38 offset0:21 offset1:22
	s_waitcnt lgkmcnt(1)
	v_fma_f64 v[34:35], v[8:9], v[34:35], 0
	s_delay_alu instid0(VALU_DEP_1) | instskip(SKIP_1) | instid1(VALU_DEP_1)
	v_fma_f64 v[34:35], v[10:11], v[36:37], v[34:35]
	s_waitcnt lgkmcnt(0)
	v_fma_f64 v[34:35], v[12:13], v[39:40], v[34:35]
	s_delay_alu instid0(VALU_DEP_1) | instskip(SKIP_4) | instid1(VALU_DEP_1)
	v_fma_f64 v[43:44], v[14:15], v[41:42], v[34:35]
	ds_load_2addr_b64 v[34:37], v38 offset0:23 offset1:24
	ds_load_2addr_b64 v[39:42], v38 offset0:25 offset1:26
	s_waitcnt lgkmcnt(1)
	v_fma_f64 v[34:35], v[16:17], v[34:35], v[43:44]
	v_fma_f64 v[34:35], v[18:19], v[36:37], v[34:35]
	s_waitcnt lgkmcnt(0)
	s_delay_alu instid0(VALU_DEP_1) | instskip(NEXT) | instid1(VALU_DEP_1)
	v_fma_f64 v[34:35], v[20:21], v[39:40], v[34:35]
	v_fma_f64 v[43:44], v[22:23], v[41:42], v[34:35]
	ds_load_2addr_b64 v[34:37], v38 offset0:27 offset1:28
	ds_load_2addr_b64 v[39:42], v38 offset0:29 offset1:30
	s_waitcnt lgkmcnt(1)
	v_fma_f64 v[34:35], v[24:25], v[34:35], v[43:44]
	s_delay_alu instid0(VALU_DEP_1) | instskip(SKIP_3) | instid1(VALU_DEP_1)
	v_fma_f64 v[34:35], v[26:27], v[36:37], v[34:35]
	ds_load_b64 v[36:37], v38 offset:248
	s_waitcnt lgkmcnt(1)
	v_fma_f64 v[34:35], v[28:29], v[39:40], v[34:35]
	v_fma_f64 v[34:35], v[30:31], v[41:42], v[34:35]
	s_waitcnt lgkmcnt(0)
	s_delay_alu instid0(VALU_DEP_1) | instskip(NEXT) | instid1(VALU_DEP_1)
	v_fma_f64 v[34:35], v[32:33], v[36:37], v[34:35]
	v_add_f64 v[6:7], v[6:7], -v[34:35]
	v_cmpx_lt_u32_e32 1, v0
	s_cbranch_execz .LBB79_116
; %bb.115:
	s_mov_b32 s1, 0
	v_mov_b32_e32 v37, v33
	v_dual_mov_b32 v36, v32 :: v_dual_mov_b32 v35, v31
	v_dual_mov_b32 v34, v30 :: v_dual_mov_b32 v33, v29
	v_mov_b32_e32 v32, v28
	v_mov_b32_e32 v31, v27
	;; [unrolled: 1-line block ×26, first 2 shown]
	v_dual_mov_b32 v6, v2 :: v_dual_mov_b32 v9, s1
	v_mov_b32_e32 v8, s1
	ds_store_b64 v1, v[4:5]
	v_mov_b32_e32 v2, v6
	v_dual_mov_b32 v3, v7 :: v_dual_mov_b32 v4, v8
	v_dual_mov_b32 v5, v9 :: v_dual_mov_b32 v6, v10
	v_mov_b32_e32 v7, v11
	v_mov_b32_e32 v8, v12
	;; [unrolled: 1-line block ×27, first 2 shown]
.LBB79_116:
	s_or_b32 exec_lo, exec_lo, s0
	s_waitcnt lgkmcnt(0)
	s_barrier
	buffer_gl0_inv
	ds_load_b128 v[34:37], v38 offset:144
	ds_load_b128 v[39:42], v38 offset:160
	s_mov_b32 s1, 0
	s_mov_b32 s0, exec_lo
	s_waitcnt lgkmcnt(1)
	v_fma_f64 v[34:35], v[6:7], v[34:35], 0
	s_delay_alu instid0(VALU_DEP_1) | instskip(SKIP_1) | instid1(VALU_DEP_1)
	v_fma_f64 v[34:35], v[8:9], v[36:37], v[34:35]
	s_waitcnt lgkmcnt(0)
	v_fma_f64 v[34:35], v[10:11], v[39:40], v[34:35]
	s_delay_alu instid0(VALU_DEP_1) | instskip(SKIP_4) | instid1(VALU_DEP_1)
	v_fma_f64 v[43:44], v[12:13], v[41:42], v[34:35]
	ds_load_b128 v[34:37], v38 offset:176
	ds_load_b128 v[39:42], v38 offset:192
	s_waitcnt lgkmcnt(1)
	v_fma_f64 v[34:35], v[14:15], v[34:35], v[43:44]
	v_fma_f64 v[34:35], v[16:17], v[36:37], v[34:35]
	s_waitcnt lgkmcnt(0)
	s_delay_alu instid0(VALU_DEP_1) | instskip(NEXT) | instid1(VALU_DEP_1)
	v_fma_f64 v[34:35], v[18:19], v[39:40], v[34:35]
	v_fma_f64 v[43:44], v[20:21], v[41:42], v[34:35]
	ds_load_b128 v[34:37], v38 offset:208
	ds_load_b128 v[39:42], v38 offset:224
	s_waitcnt lgkmcnt(1)
	v_fma_f64 v[34:35], v[22:23], v[34:35], v[43:44]
	s_delay_alu instid0(VALU_DEP_1) | instskip(SKIP_1) | instid1(VALU_DEP_1)
	v_fma_f64 v[34:35], v[24:25], v[36:37], v[34:35]
	s_waitcnt lgkmcnt(0)
	v_fma_f64 v[34:35], v[26:27], v[39:40], v[34:35]
	s_delay_alu instid0(VALU_DEP_1) | instskip(SKIP_3) | instid1(VALU_DEP_1)
	v_fma_f64 v[39:40], v[28:29], v[41:42], v[34:35]
	ds_load_b128 v[34:37], v38 offset:240
	s_waitcnt lgkmcnt(0)
	v_fma_f64 v[34:35], v[30:31], v[34:35], v[39:40]
	v_fma_f64 v[34:35], v[32:33], v[36:37], v[34:35]
	s_delay_alu instid0(VALU_DEP_1)
	v_add_f64 v[4:5], v[4:5], -v[34:35]
	v_cmpx_ne_u32_e32 0, v0
	s_cbranch_execz .LBB79_118
; %bb.117:
	v_mov_b32_e32 v35, v33
	v_dual_mov_b32 v34, v32 :: v_dual_mov_b32 v33, v31
	v_mov_b32_e32 v32, v30
	v_mov_b32_e32 v31, v29
	;; [unrolled: 1-line block ×28, first 2 shown]
	v_dual_mov_b32 v4, v2 :: v_dual_mov_b32 v5, s1
	v_mov_b32_e32 v4, s1
	ds_store_b64 v1, v[2:3]
	v_mov_b32_e32 v2, v4
	v_dual_mov_b32 v3, v5 :: v_dual_mov_b32 v4, v6
	v_mov_b32_e32 v5, v7
	v_mov_b32_e32 v6, v8
	;; [unrolled: 1-line block ×29, first 2 shown]
.LBB79_118:
	s_or_b32 exec_lo, exec_lo, s0
	v_mov_b32_e32 v42, 0
	s_waitcnt lgkmcnt(0)
	s_barrier
	buffer_gl0_inv
	s_and_b32 vcc_lo, exec_lo, s15
	ds_load_2addr_b64 v[34:37], v42 offset0:17 offset1:18
	ds_load_2addr_b64 v[38:41], v42 offset0:19 offset1:20
	s_waitcnt lgkmcnt(1)
	v_fma_f64 v[0:1], v[4:5], v[34:35], 0
	s_delay_alu instid0(VALU_DEP_1) | instskip(SKIP_1) | instid1(VALU_DEP_1)
	v_fma_f64 v[0:1], v[6:7], v[36:37], v[0:1]
	s_waitcnt lgkmcnt(0)
	v_fma_f64 v[0:1], v[8:9], v[38:39], v[0:1]
	s_delay_alu instid0(VALU_DEP_1) | instskip(SKIP_4) | instid1(VALU_DEP_1)
	v_fma_f64 v[0:1], v[10:11], v[40:41], v[0:1]
	ds_load_2addr_b64 v[34:37], v42 offset0:21 offset1:22
	ds_load_2addr_b64 v[38:41], v42 offset0:23 offset1:24
	s_waitcnt lgkmcnt(1)
	v_fma_f64 v[0:1], v[12:13], v[34:35], v[0:1]
	v_fma_f64 v[0:1], v[14:15], v[36:37], v[0:1]
	s_waitcnt lgkmcnt(0)
	s_delay_alu instid0(VALU_DEP_1) | instskip(NEXT) | instid1(VALU_DEP_1)
	v_fma_f64 v[0:1], v[16:17], v[38:39], v[0:1]
	v_fma_f64 v[0:1], v[18:19], v[40:41], v[0:1]
	ds_load_2addr_b64 v[34:37], v42 offset0:25 offset1:26
	ds_load_2addr_b64 v[38:41], v42 offset0:27 offset1:28
	s_waitcnt lgkmcnt(1)
	v_fma_f64 v[0:1], v[20:21], v[34:35], v[0:1]
	s_delay_alu instid0(VALU_DEP_1) | instskip(SKIP_1) | instid1(VALU_DEP_1)
	v_fma_f64 v[0:1], v[22:23], v[36:37], v[0:1]
	s_waitcnt lgkmcnt(0)
	v_fma_f64 v[0:1], v[24:25], v[38:39], v[0:1]
	ds_load_2addr_b64 v[34:37], v42 offset0:29 offset1:30
	ds_load_b64 v[38:39], v42 offset:248
	v_fma_f64 v[0:1], v[26:27], v[40:41], v[0:1]
	s_waitcnt lgkmcnt(1)
	s_delay_alu instid0(VALU_DEP_1) | instskip(NEXT) | instid1(VALU_DEP_1)
	v_fma_f64 v[0:1], v[28:29], v[34:35], v[0:1]
	v_fma_f64 v[0:1], v[30:31], v[36:37], v[0:1]
	s_waitcnt lgkmcnt(0)
	s_delay_alu instid0(VALU_DEP_1) | instskip(NEXT) | instid1(VALU_DEP_1)
	v_fma_f64 v[0:1], v[32:33], v[38:39], v[0:1]
	v_add_f64 v[2:3], v[2:3], -v[0:1]
	s_cbranch_vccz .LBB79_150
; %bb.119:
	v_dual_mov_b32 v0, s20 :: v_dual_mov_b32 v1, s21
	s_mov_b32 s8, exec_lo
	flat_load_b32 v0, v[0:1] offset:56
	s_waitcnt vmcnt(0) lgkmcnt(0)
	v_add_nc_u32_e32 v0, -1, v0
	s_delay_alu instid0(VALU_DEP_1)
	v_cmpx_ne_u32_e32 14, v0
	s_cbranch_execz .LBB79_121
; %bb.120:
	v_cmp_eq_u32_e32 vcc_lo, 1, v0
	v_cmp_eq_u32_e64 s0, 2, v0
	v_cmp_eq_u32_e64 s1, 3, v0
	;; [unrolled: 1-line block ×4, first 2 shown]
	v_dual_cndmask_b32 v1, v2, v4 :: v_dual_cndmask_b32 v34, v3, v5
	v_cmp_eq_u32_e64 s4, 6, v0
	v_cmp_eq_u32_e64 s5, 7, v0
	;; [unrolled: 1-line block ×3, first 2 shown]
	s_delay_alu instid0(VALU_DEP_4)
	v_cndmask_b32_e64 v1, v1, v6, s0
	v_cndmask_b32_e64 v34, v34, v7, s0
	v_cmp_eq_u32_e64 s7, 8, v0
	v_cndmask_b32_e64 v38, v7, v31, s0
	v_cndmask_b32_e64 v37, v6, v30, s0
	;; [unrolled: 1-line block ×4, first 2 shown]
	v_cndmask_b32_e32 v36, v5, v31, vcc_lo
	v_cndmask_b32_e64 v40, v9, v31, s1
	v_cndmask_b32_e64 v39, v8, v30, s1
	;; [unrolled: 1-line block ×5, first 2 shown]
	v_cmp_eq_u32_e64 s0, 10, v0
	v_cndmask_b32_e64 v41, v10, v30, s2
	v_cndmask_b32_e64 v1, v1, v12, s3
	;; [unrolled: 1-line block ×5, first 2 shown]
	v_cmp_eq_u32_e64 s1, 11, v0
	v_cndmask_b32_e64 v1, v1, v14, s4
	v_cndmask_b32_e64 v35, v34, v15, s4
	;; [unrolled: 1-line block ×3, first 2 shown]
	v_cmp_eq_u32_e64 s2, 12, v0
	v_cmp_eq_u32_e64 s3, 13, v0
	v_cndmask_b32_e64 v1, v1, v16, s5
	v_cndmask_b32_e64 v3, v35, v17, s5
	v_cndmask_b32_e32 v35, v4, v30, vcc_lo
	v_cmp_eq_u32_e32 vcc_lo, 9, v0
	v_cndmask_b32_e64 v46, v15, v31, s4
	v_cndmask_b32_e64 v1, v1, v18, s7
	;; [unrolled: 1-line block ×7, first 2 shown]
	v_dual_cndmask_b32 v3, v3, v21 :: v_dual_cndmask_b32 v52, v21, v31
	v_cndmask_b32_e64 v49, v18, v30, s7
	v_cndmask_b32_e32 v51, v20, v30, vcc_lo
	v_cndmask_b32_e64 v54, v23, v31, s0
	v_cndmask_b32_e64 v53, v22, v30, s0
	;; [unrolled: 1-line block ×8, first 2 shown]
	v_cndmask_b32_e32 v1, v1, v20, vcc_lo
	v_cndmask_b32_e64 v3, v3, v23, s0
	v_cmp_eq_u32_e32 vcc_lo, 14, v0
	s_delay_alu instid0(VALU_DEP_3) | instskip(NEXT) | instid1(VALU_DEP_3)
	v_cndmask_b32_e64 v1, v1, v22, s0
	v_cndmask_b32_e64 v3, v3, v25, s1
	v_cmp_eq_u32_e64 s0, 15, v0
	s_delay_alu instid0(VALU_DEP_3) | instskip(NEXT) | instid1(VALU_DEP_3)
	v_cndmask_b32_e64 v1, v1, v24, s1
	v_cndmask_b32_e64 v3, v3, v27, s2
	s_delay_alu instid0(VALU_DEP_3) | instskip(SKIP_1) | instid1(VALU_DEP_4)
	v_cndmask_b32_e64 v64, v33, v31, s0
	v_cndmask_b32_e64 v63, v32, v30, s0
	;; [unrolled: 1-line block ×3, first 2 shown]
	s_delay_alu instid0(VALU_DEP_4) | instskip(NEXT) | instid1(VALU_DEP_2)
	v_cndmask_b32_e64 v3, v3, v29, s3
	v_cndmask_b32_e64 v1, v1, v28, s3
	s_delay_alu instid0(VALU_DEP_1) | instskip(NEXT) | instid1(VALU_DEP_1)
	v_cndmask_b32_e32 v1, v1, v30, vcc_lo
	v_cndmask_b32_e64 v0, v1, v32, s0
	s_delay_alu instid0(VALU_DEP_1) | instskip(SKIP_1) | instid1(VALU_DEP_1)
	v_cndmask_b32_e32 v61, v0, v30, vcc_lo
	v_cndmask_b32_e32 v3, v3, v31, vcc_lo
	v_cndmask_b32_e64 v1, v3, v33, s0
	v_cndmask_b32_e64 v33, v2, v30, s6
	s_delay_alu instid0(VALU_DEP_2) | instskip(NEXT) | instid1(VALU_DEP_2)
	v_cndmask_b32_e32 v62, v1, v31, vcc_lo
	v_mov_b32_e32 v2, v33
	v_dual_mov_b32 v6, v37 :: v_dual_mov_b32 v3, v34
	v_mov_b32_e32 v10, v41
	v_dual_mov_b32 v4, v35 :: v_dual_mov_b32 v5, v36
	v_dual_mov_b32 v12, v43 :: v_dual_mov_b32 v7, v38
	v_mov_b32_e32 v14, v45
	v_dual_mov_b32 v8, v39 :: v_dual_mov_b32 v9, v40
	v_dual_mov_b32 v16, v47 :: v_dual_mov_b32 v11, v42
	v_dual_mov_b32 v18, v49 :: v_dual_mov_b32 v13, v44
	v_dual_mov_b32 v20, v51 :: v_dual_mov_b32 v15, v46
	v_dual_mov_b32 v22, v53 :: v_dual_mov_b32 v17, v48
	v_dual_mov_b32 v24, v55 :: v_dual_mov_b32 v19, v50
	v_dual_mov_b32 v26, v57 :: v_dual_mov_b32 v21, v52
	v_dual_mov_b32 v28, v59 :: v_dual_mov_b32 v23, v54
	v_dual_mov_b32 v30, v61 :: v_dual_mov_b32 v25, v56
	v_dual_mov_b32 v32, v63 :: v_dual_mov_b32 v27, v58
	v_mov_b32_e32 v29, v60
	v_mov_b32_e32 v31, v62
	;; [unrolled: 1-line block ×3, first 2 shown]
.LBB79_121:
	s_or_b32 exec_lo, exec_lo, s8
	v_dual_mov_b32 v0, s20 :: v_dual_mov_b32 v1, s21
	s_mov_b32 s8, exec_lo
	flat_load_b32 v0, v[0:1] offset:52
	s_waitcnt vmcnt(0) lgkmcnt(0)
	v_add_nc_u32_e32 v0, -1, v0
	s_delay_alu instid0(VALU_DEP_1)
	v_cmpx_ne_u32_e32 13, v0
	s_cbranch_execz .LBB79_123
; %bb.122:
	v_cmp_eq_u32_e32 vcc_lo, 1, v0
	v_cmp_eq_u32_e64 s0, 2, v0
	v_cmp_eq_u32_e64 s1, 3, v0
	;; [unrolled: 1-line block ×4, first 2 shown]
	v_dual_cndmask_b32 v1, v2, v4 :: v_dual_cndmask_b32 v34, v3, v5
	v_cmp_eq_u32_e64 s4, 6, v0
	v_cmp_eq_u32_e64 s5, 7, v0
	;; [unrolled: 1-line block ×3, first 2 shown]
	s_delay_alu instid0(VALU_DEP_4)
	v_cndmask_b32_e64 v1, v1, v6, s0
	v_cndmask_b32_e64 v34, v34, v7, s0
	v_cmp_eq_u32_e64 s7, 8, v0
	v_cndmask_b32_e64 v38, v7, v29, s0
	v_cndmask_b32_e64 v37, v6, v28, s0
	v_cndmask_b32_e64 v1, v1, v8, s1
	v_cndmask_b32_e64 v34, v34, v9, s1
	v_cndmask_b32_e32 v36, v5, v29, vcc_lo
	v_cndmask_b32_e64 v40, v9, v29, s1
	v_cndmask_b32_e64 v39, v8, v28, s1
	;; [unrolled: 1-line block ×5, first 2 shown]
	v_cmp_eq_u32_e64 s0, 10, v0
	v_cndmask_b32_e64 v41, v10, v28, s2
	v_cndmask_b32_e64 v1, v1, v12, s3
	;; [unrolled: 1-line block ×3, first 2 shown]
	v_cmp_eq_u32_e64 s1, 11, v0
	v_cmp_eq_u32_e64 s2, 12, v0
	v_cndmask_b32_e64 v44, v13, v29, s3
	v_cndmask_b32_e64 v1, v1, v14, s4
	;; [unrolled: 1-line block ×8, first 2 shown]
	v_cndmask_b32_e32 v35, v4, v28, vcc_lo
	v_cmp_eq_u32_e32 vcc_lo, 9, v0
	v_cndmask_b32_e64 v45, v14, v28, s4
	v_cndmask_b32_e64 v1, v1, v18, s7
	v_cndmask_b32_e64 v3, v3, v19, s7
	v_cndmask_b32_e64 v48, v17, v29, s5
	v_cndmask_b32_e64 v47, v16, v28, s5
	v_cndmask_b32_e64 v50, v19, v29, s7
	v_cndmask_b32_e32 v1, v1, v20, vcc_lo
	v_cndmask_b32_e64 v49, v18, v28, s7
	v_dual_cndmask_b32 v52, v21, v29 :: v_dual_cndmask_b32 v51, v20, v28
	v_cndmask_b32_e64 v54, v23, v29, s0
	v_cndmask_b32_e64 v53, v22, v28, s0
	;; [unrolled: 1-line block ×6, first 2 shown]
	v_cndmask_b32_e32 v3, v3, v21, vcc_lo
	v_cmp_eq_u32_e32 vcc_lo, 14, v0
	v_cmp_eq_u32_e64 s3, 13, v0
	s_delay_alu instid0(VALU_DEP_3)
	v_cndmask_b32_e64 v3, v3, v23, s0
	v_cndmask_b32_e32 v62, v31, v29, vcc_lo
	v_cndmask_b32_e64 v1, v1, v22, s0
	v_cmp_eq_u32_e64 s0, 15, v0
	v_cndmask_b32_e32 v61, v30, v28, vcc_lo
	v_cndmask_b32_e64 v3, v3, v25, s1
	s_delay_alu instid0(VALU_DEP_4) | instskip(NEXT) | instid1(VALU_DEP_4)
	v_cndmask_b32_e64 v1, v1, v24, s1
	v_cndmask_b32_e64 v64, v33, v29, s0
	v_cndmask_b32_e64 v63, v32, v28, s0
	s_delay_alu instid0(VALU_DEP_4) | instskip(NEXT) | instid1(VALU_DEP_4)
	v_cndmask_b32_e64 v3, v3, v27, s2
	v_cndmask_b32_e64 v1, v1, v26, s2
	s_delay_alu instid0(VALU_DEP_2) | instskip(NEXT) | instid1(VALU_DEP_2)
	v_cndmask_b32_e64 v3, v3, v29, s3
	v_cndmask_b32_e64 v1, v1, v28, s3
	s_delay_alu instid0(VALU_DEP_1) | instskip(NEXT) | instid1(VALU_DEP_1)
	v_cndmask_b32_e32 v1, v1, v30, vcc_lo
	v_cndmask_b32_e64 v0, v1, v32, s0
	s_delay_alu instid0(VALU_DEP_1) | instskip(SKIP_1) | instid1(VALU_DEP_1)
	v_cndmask_b32_e64 v59, v0, v28, s3
	v_cndmask_b32_e32 v3, v3, v31, vcc_lo
	v_cndmask_b32_e64 v1, v3, v33, s0
	v_cndmask_b32_e64 v33, v2, v28, s6
	s_delay_alu instid0(VALU_DEP_2) | instskip(NEXT) | instid1(VALU_DEP_2)
	v_cndmask_b32_e64 v60, v1, v29, s3
	v_mov_b32_e32 v2, v33
	v_dual_mov_b32 v10, v41 :: v_dual_mov_b32 v3, v34
	v_mov_b32_e32 v8, v39
	v_dual_mov_b32 v4, v35 :: v_dual_mov_b32 v5, v36
	;; [unrolled: 2-line block ×3, first 2 shown]
	v_dual_mov_b32 v14, v45 :: v_dual_mov_b32 v9, v40
	v_dual_mov_b32 v16, v47 :: v_dual_mov_b32 v11, v42
	;; [unrolled: 1-line block ×10, first 2 shown]
	v_mov_b32_e32 v29, v60
	v_mov_b32_e32 v31, v62
	;; [unrolled: 1-line block ×3, first 2 shown]
.LBB79_123:
	s_or_b32 exec_lo, exec_lo, s8
	v_dual_mov_b32 v0, s20 :: v_dual_mov_b32 v1, s21
	s_mov_b32 s8, exec_lo
	flat_load_b32 v0, v[0:1] offset:48
	s_waitcnt vmcnt(0) lgkmcnt(0)
	v_add_nc_u32_e32 v0, -1, v0
	s_delay_alu instid0(VALU_DEP_1)
	v_cmpx_ne_u32_e32 12, v0
	s_cbranch_execz .LBB79_125
; %bb.124:
	v_cmp_eq_u32_e32 vcc_lo, 1, v0
	v_cmp_eq_u32_e64 s0, 2, v0
	v_cmp_eq_u32_e64 s1, 3, v0
	;; [unrolled: 1-line block ×4, first 2 shown]
	v_dual_cndmask_b32 v1, v2, v4 :: v_dual_cndmask_b32 v34, v3, v5
	v_cmp_eq_u32_e64 s4, 6, v0
	v_cmp_eq_u32_e64 s5, 7, v0
	v_cmp_eq_u32_e64 s6, 0, v0
	s_delay_alu instid0(VALU_DEP_4)
	v_cndmask_b32_e64 v1, v1, v6, s0
	v_cndmask_b32_e64 v34, v34, v7, s0
	v_cmp_eq_u32_e64 s7, 8, v0
	v_cndmask_b32_e32 v36, v5, v27, vcc_lo
	v_cndmask_b32_e64 v38, v7, v27, s0
	v_cndmask_b32_e64 v1, v1, v8, s1
	v_cndmask_b32_e64 v34, v34, v9, s1
	v_cndmask_b32_e64 v37, v6, v26, s0
	v_cmp_eq_u32_e64 s0, 10, v0
	v_cndmask_b32_e64 v40, v9, v27, s1
	v_cndmask_b32_e64 v1, v1, v10, s2
	v_cndmask_b32_e64 v34, v34, v11, s2
	v_cndmask_b32_e64 v39, v8, v26, s1
	v_cmp_eq_u32_e64 s1, 11, v0
	;; [unrolled: 5-line block ×3, first 2 shown]
	v_cndmask_b32_e64 v44, v13, v27, s3
	v_cndmask_b32_e64 v1, v1, v14, s4
	;; [unrolled: 1-line block ×5, first 2 shown]
	v_cmp_eq_u32_e64 s3, 13, v0
	v_cndmask_b32_e64 v1, v1, v16, s5
	v_cndmask_b32_e64 v3, v35, v17, s5
	v_cndmask_b32_e32 v35, v4, v26, vcc_lo
	v_cmp_eq_u32_e32 vcc_lo, 9, v0
	v_cndmask_b32_e64 v54, v23, v27, s0
	v_cndmask_b32_e64 v1, v1, v18, s7
	;; [unrolled: 1-line block ×4, first 2 shown]
	v_cndmask_b32_e32 v51, v20, v26, vcc_lo
	v_cndmask_b32_e64 v46, v15, v27, s4
	v_cndmask_b32_e32 v1, v1, v20, vcc_lo
	v_dual_cndmask_b32 v3, v3, v21 :: v_dual_cndmask_b32 v52, v21, v27
	v_cmp_eq_u32_e32 vcc_lo, 14, v0
	v_cndmask_b32_e64 v45, v14, v26, s4
	v_cndmask_b32_e64 v48, v17, v27, s5
	s_delay_alu instid0(VALU_DEP_4)
	v_cndmask_b32_e64 v3, v3, v23, s0
	v_cndmask_b32_e64 v47, v16, v26, s5
	v_cndmask_b32_e32 v62, v31, v27, vcc_lo
	v_cndmask_b32_e64 v1, v1, v22, s0
	v_cmp_eq_u32_e64 s0, 15, v0
	v_cndmask_b32_e64 v3, v3, v25, s1
	v_cndmask_b32_e64 v50, v19, v27, s7
	;; [unrolled: 1-line block ×10, first 2 shown]
	v_cndmask_b32_e32 v61, v30, v26, vcc_lo
	v_cndmask_b32_e64 v64, v33, v27, s0
	v_cndmask_b32_e64 v63, v32, v26, s0
	;; [unrolled: 1-line block ×4, first 2 shown]
	s_delay_alu instid0(VALU_DEP_2) | instskip(NEXT) | instid1(VALU_DEP_1)
	v_cndmask_b32_e32 v1, v1, v30, vcc_lo
	v_cndmask_b32_e64 v0, v1, v32, s0
	s_delay_alu instid0(VALU_DEP_1) | instskip(NEXT) | instid1(VALU_DEP_4)
	v_cndmask_b32_e64 v57, v0, v26, s2
	v_cndmask_b32_e32 v3, v3, v31, vcc_lo
	s_delay_alu instid0(VALU_DEP_1) | instskip(SKIP_1) | instid1(VALU_DEP_2)
	v_cndmask_b32_e64 v1, v3, v33, s0
	v_cndmask_b32_e64 v33, v2, v26, s6
	v_cndmask_b32_e64 v58, v1, v27, s2
	s_delay_alu instid0(VALU_DEP_2)
	v_mov_b32_e32 v2, v33
	v_dual_mov_b32 v6, v37 :: v_dual_mov_b32 v3, v34
	v_mov_b32_e32 v8, v39
	v_dual_mov_b32 v4, v35 :: v_dual_mov_b32 v5, v36
	v_dual_mov_b32 v10, v41 :: v_dual_mov_b32 v7, v38
	;; [unrolled: 1-line block ×13, first 2 shown]
	v_mov_b32_e32 v31, v62
	v_mov_b32_e32 v33, v64
.LBB79_125:
	s_or_b32 exec_lo, exec_lo, s8
	v_dual_mov_b32 v0, s20 :: v_dual_mov_b32 v1, s21
	s_mov_b32 s8, exec_lo
	flat_load_b32 v0, v[0:1] offset:44
	s_waitcnt vmcnt(0) lgkmcnt(0)
	v_add_nc_u32_e32 v0, -1, v0
	s_delay_alu instid0(VALU_DEP_1)
	v_cmpx_ne_u32_e32 11, v0
	s_cbranch_execz .LBB79_127
; %bb.126:
	v_cmp_eq_u32_e32 vcc_lo, 1, v0
	v_cmp_eq_u32_e64 s0, 2, v0
	v_cmp_eq_u32_e64 s1, 3, v0
	;; [unrolled: 1-line block ×4, first 2 shown]
	v_dual_cndmask_b32 v1, v2, v4 :: v_dual_cndmask_b32 v34, v3, v5
	v_cmp_eq_u32_e64 s4, 6, v0
	v_cmp_eq_u32_e64 s5, 7, v0
	;; [unrolled: 1-line block ×3, first 2 shown]
	s_delay_alu instid0(VALU_DEP_4)
	v_cndmask_b32_e64 v1, v1, v6, s0
	v_cndmask_b32_e64 v34, v34, v7, s0
	v_cmp_eq_u32_e64 s7, 8, v0
	v_cndmask_b32_e64 v38, v7, v25, s0
	v_cndmask_b32_e64 v37, v6, v24, s0
	;; [unrolled: 1-line block ×4, first 2 shown]
	v_cndmask_b32_e32 v36, v5, v25, vcc_lo
	v_cndmask_b32_e64 v42, v11, v25, s2
	v_cmp_eq_u32_e64 s0, 10, v0
	v_cndmask_b32_e64 v1, v1, v10, s2
	v_cndmask_b32_e64 v34, v34, v11, s2
	;; [unrolled: 1-line block ×7, first 2 shown]
	v_cmp_eq_u32_e64 s2, 12, v0
	v_cmp_eq_u32_e64 s3, 13, v0
	v_cndmask_b32_e64 v40, v9, v25, s1
	v_cndmask_b32_e64 v1, v1, v14, s4
	;; [unrolled: 1-line block ×8, first 2 shown]
	v_cndmask_b32_e32 v35, v4, v24, vcc_lo
	v_cmp_eq_u32_e32 vcc_lo, 9, v0
	v_cndmask_b32_e64 v45, v14, v24, s4
	v_cndmask_b32_e64 v1, v1, v18, s7
	;; [unrolled: 1-line block ×6, first 2 shown]
	v_cndmask_b32_e32 v1, v1, v20, vcc_lo
	v_cndmask_b32_e64 v49, v18, v24, s7
	v_dual_cndmask_b32 v52, v21, v25 :: v_dual_cndmask_b32 v51, v20, v24
	v_cndmask_b32_e64 v54, v23, v25, s0
	v_cndmask_b32_e64 v53, v22, v24, s0
	;; [unrolled: 1-line block ×6, first 2 shown]
	v_cndmask_b32_e32 v3, v3, v21, vcc_lo
	v_cmp_eq_u32_e32 vcc_lo, 14, v0
	v_cmp_eq_u32_e64 s1, 11, v0
	s_delay_alu instid0(VALU_DEP_3)
	v_cndmask_b32_e64 v3, v3, v23, s0
	v_cndmask_b32_e32 v62, v31, v25, vcc_lo
	v_cndmask_b32_e64 v1, v1, v22, s0
	v_cmp_eq_u32_e64 s0, 15, v0
	v_cndmask_b32_e32 v61, v30, v24, vcc_lo
	v_cndmask_b32_e64 v3, v3, v25, s1
	s_delay_alu instid0(VALU_DEP_4) | instskip(NEXT) | instid1(VALU_DEP_4)
	v_cndmask_b32_e64 v1, v1, v24, s1
	v_cndmask_b32_e64 v64, v33, v25, s0
	;; [unrolled: 1-line block ×3, first 2 shown]
	s_delay_alu instid0(VALU_DEP_4) | instskip(NEXT) | instid1(VALU_DEP_4)
	v_cndmask_b32_e64 v3, v3, v27, s2
	v_cndmask_b32_e64 v1, v1, v26, s2
	s_delay_alu instid0(VALU_DEP_2) | instskip(NEXT) | instid1(VALU_DEP_2)
	v_cndmask_b32_e64 v3, v3, v29, s3
	v_cndmask_b32_e64 v1, v1, v28, s3
	s_delay_alu instid0(VALU_DEP_1) | instskip(NEXT) | instid1(VALU_DEP_1)
	v_cndmask_b32_e32 v1, v1, v30, vcc_lo
	v_cndmask_b32_e64 v0, v1, v32, s0
	s_delay_alu instid0(VALU_DEP_1) | instskip(SKIP_1) | instid1(VALU_DEP_1)
	v_cndmask_b32_e64 v55, v0, v24, s1
	v_cndmask_b32_e32 v3, v3, v31, vcc_lo
	v_cndmask_b32_e64 v1, v3, v33, s0
	v_cndmask_b32_e64 v33, v2, v24, s6
	s_delay_alu instid0(VALU_DEP_2) | instskip(NEXT) | instid1(VALU_DEP_2)
	v_cndmask_b32_e64 v56, v1, v25, s1
	v_mov_b32_e32 v2, v33
	v_dual_mov_b32 v10, v41 :: v_dual_mov_b32 v3, v34
	v_mov_b32_e32 v8, v39
	v_dual_mov_b32 v4, v35 :: v_dual_mov_b32 v5, v36
	;; [unrolled: 2-line block ×3, first 2 shown]
	v_dual_mov_b32 v14, v45 :: v_dual_mov_b32 v9, v40
	v_dual_mov_b32 v16, v47 :: v_dual_mov_b32 v11, v42
	;; [unrolled: 1-line block ×10, first 2 shown]
	v_mov_b32_e32 v29, v60
	v_mov_b32_e32 v31, v62
	;; [unrolled: 1-line block ×3, first 2 shown]
.LBB79_127:
	s_or_b32 exec_lo, exec_lo, s8
	v_dual_mov_b32 v0, s20 :: v_dual_mov_b32 v1, s21
	s_mov_b32 s8, exec_lo
	flat_load_b32 v0, v[0:1] offset:40
	s_waitcnt vmcnt(0) lgkmcnt(0)
	v_add_nc_u32_e32 v0, -1, v0
	s_delay_alu instid0(VALU_DEP_1)
	v_cmpx_ne_u32_e32 10, v0
	s_cbranch_execz .LBB79_129
; %bb.128:
	v_cmp_eq_u32_e32 vcc_lo, 1, v0
	v_cmp_eq_u32_e64 s0, 2, v0
	v_cmp_eq_u32_e64 s1, 3, v0
	;; [unrolled: 1-line block ×4, first 2 shown]
	v_dual_cndmask_b32 v1, v2, v4 :: v_dual_cndmask_b32 v34, v3, v5
	v_cmp_eq_u32_e64 s4, 6, v0
	v_cmp_eq_u32_e64 s5, 7, v0
	;; [unrolled: 1-line block ×3, first 2 shown]
	s_delay_alu instid0(VALU_DEP_4)
	v_cndmask_b32_e64 v1, v1, v6, s0
	v_cndmask_b32_e64 v34, v34, v7, s0
	v_cmp_eq_u32_e64 s7, 8, v0
	v_cndmask_b32_e32 v36, v5, v23, vcc_lo
	v_cndmask_b32_e64 v38, v7, v23, s0
	v_cndmask_b32_e64 v1, v1, v8, s1
	v_cndmask_b32_e64 v34, v34, v9, s1
	v_cndmask_b32_e64 v37, v6, v22, s0
	v_cmp_eq_u32_e64 s0, 10, v0
	v_cndmask_b32_e64 v40, v9, v23, s1
	v_cndmask_b32_e64 v1, v1, v10, s2
	v_cndmask_b32_e64 v34, v34, v11, s2
	v_cndmask_b32_e64 v39, v8, v22, s1
	v_cmp_eq_u32_e64 s1, 11, v0
	;; [unrolled: 5-line block ×3, first 2 shown]
	v_cndmask_b32_e64 v44, v13, v23, s3
	v_cndmask_b32_e64 v1, v1, v14, s4
	;; [unrolled: 1-line block ×5, first 2 shown]
	v_cmp_eq_u32_e64 s3, 13, v0
	v_cndmask_b32_e64 v1, v1, v16, s5
	v_cndmask_b32_e64 v3, v35, v17, s5
	v_cndmask_b32_e32 v35, v4, v22, vcc_lo
	v_cmp_eq_u32_e32 vcc_lo, 9, v0
	v_cndmask_b32_e64 v56, v25, v23, s1
	v_cndmask_b32_e64 v1, v1, v18, s7
	;; [unrolled: 1-line block ×4, first 2 shown]
	v_cndmask_b32_e32 v51, v20, v22, vcc_lo
	v_cndmask_b32_e64 v46, v15, v23, s4
	v_cndmask_b32_e32 v1, v1, v20, vcc_lo
	v_dual_cndmask_b32 v3, v3, v21 :: v_dual_cndmask_b32 v52, v21, v23
	v_cmp_eq_u32_e32 vcc_lo, 14, v0
	v_cndmask_b32_e64 v45, v14, v22, s4
	v_cndmask_b32_e64 v48, v17, v23, s5
	s_delay_alu instid0(VALU_DEP_4)
	v_cndmask_b32_e64 v3, v3, v23, s0
	v_cndmask_b32_e64 v47, v16, v22, s5
	v_cndmask_b32_e32 v62, v31, v23, vcc_lo
	v_cndmask_b32_e64 v1, v1, v22, s0
	v_cndmask_b32_e64 v50, v19, v23, s7
	;; [unrolled: 1-line block ×6, first 2 shown]
	v_cmp_eq_u32_e64 s1, 15, v0
	v_cndmask_b32_e64 v3, v3, v27, s2
	v_cndmask_b32_e64 v57, v26, v22, s2
	;; [unrolled: 1-line block ×5, first 2 shown]
	v_cndmask_b32_e32 v61, v30, v22, vcc_lo
	v_cndmask_b32_e64 v64, v33, v23, s1
	v_cndmask_b32_e64 v63, v32, v22, s1
	;; [unrolled: 1-line block ×4, first 2 shown]
	s_delay_alu instid0(VALU_DEP_2) | instskip(NEXT) | instid1(VALU_DEP_1)
	v_cndmask_b32_e32 v1, v1, v30, vcc_lo
	v_cndmask_b32_e64 v0, v1, v32, s1
	s_delay_alu instid0(VALU_DEP_1) | instskip(NEXT) | instid1(VALU_DEP_4)
	v_cndmask_b32_e64 v53, v0, v22, s0
	v_cndmask_b32_e32 v3, v3, v31, vcc_lo
	s_delay_alu instid0(VALU_DEP_1) | instskip(SKIP_1) | instid1(VALU_DEP_2)
	v_cndmask_b32_e64 v1, v3, v33, s1
	v_cndmask_b32_e64 v33, v2, v22, s6
	;; [unrolled: 1-line block ×3, first 2 shown]
	s_delay_alu instid0(VALU_DEP_2)
	v_mov_b32_e32 v2, v33
	v_dual_mov_b32 v6, v37 :: v_dual_mov_b32 v3, v34
	v_mov_b32_e32 v8, v39
	v_dual_mov_b32 v4, v35 :: v_dual_mov_b32 v5, v36
	v_dual_mov_b32 v10, v41 :: v_dual_mov_b32 v7, v38
	v_dual_mov_b32 v12, v43 :: v_dual_mov_b32 v9, v40
	v_dual_mov_b32 v14, v45 :: v_dual_mov_b32 v11, v42
	v_dual_mov_b32 v16, v47 :: v_dual_mov_b32 v13, v44
	v_dual_mov_b32 v18, v49 :: v_dual_mov_b32 v15, v46
	v_dual_mov_b32 v20, v51 :: v_dual_mov_b32 v17, v48
	v_dual_mov_b32 v22, v53 :: v_dual_mov_b32 v19, v50
	v_dual_mov_b32 v24, v55 :: v_dual_mov_b32 v21, v52
	v_dual_mov_b32 v26, v57 :: v_dual_mov_b32 v23, v54
	v_dual_mov_b32 v28, v59 :: v_dual_mov_b32 v25, v56
	v_dual_mov_b32 v30, v61 :: v_dual_mov_b32 v27, v58
	v_dual_mov_b32 v32, v63 :: v_dual_mov_b32 v29, v60
	v_mov_b32_e32 v31, v62
	v_mov_b32_e32 v33, v64
.LBB79_129:
	s_or_b32 exec_lo, exec_lo, s8
	v_dual_mov_b32 v0, s20 :: v_dual_mov_b32 v1, s21
	s_mov_b32 s8, exec_lo
	flat_load_b32 v0, v[0:1] offset:36
	s_waitcnt vmcnt(0) lgkmcnt(0)
	v_add_nc_u32_e32 v0, -1, v0
	s_delay_alu instid0(VALU_DEP_1)
	v_cmpx_ne_u32_e32 9, v0
	s_cbranch_execz .LBB79_131
; %bb.130:
	v_cmp_eq_u32_e32 vcc_lo, 1, v0
	v_cmp_eq_u32_e64 s0, 2, v0
	v_cmp_eq_u32_e64 s1, 3, v0
	;; [unrolled: 1-line block ×4, first 2 shown]
	v_dual_cndmask_b32 v1, v2, v4 :: v_dual_cndmask_b32 v34, v3, v5
	v_cmp_eq_u32_e64 s4, 6, v0
	v_cmp_eq_u32_e64 s5, 7, v0
	;; [unrolled: 1-line block ×3, first 2 shown]
	s_delay_alu instid0(VALU_DEP_4)
	v_cndmask_b32_e64 v1, v1, v6, s0
	v_cndmask_b32_e64 v34, v34, v7, s0
	v_cmp_eq_u32_e64 s7, 8, v0
	v_cndmask_b32_e64 v38, v7, v21, s0
	v_cndmask_b32_e64 v37, v6, v20, s0
	;; [unrolled: 1-line block ×4, first 2 shown]
	v_cndmask_b32_e32 v36, v5, v21, vcc_lo
	v_cndmask_b32_e64 v40, v9, v21, s1
	v_cndmask_b32_e64 v39, v8, v20, s1
	v_cndmask_b32_e64 v1, v1, v10, s2
	v_cndmask_b32_e64 v34, v34, v11, s2
	v_cndmask_b32_e64 v42, v11, v21, s2
	v_cmp_eq_u32_e64 s0, 10, v0
	v_cndmask_b32_e64 v41, v10, v20, s2
	v_cndmask_b32_e64 v1, v1, v12, s3
	;; [unrolled: 1-line block ×5, first 2 shown]
	v_cmp_eq_u32_e64 s1, 11, v0
	v_cndmask_b32_e64 v1, v1, v14, s4
	v_cndmask_b32_e64 v35, v34, v15, s4
	;; [unrolled: 1-line block ×3, first 2 shown]
	v_cmp_eq_u32_e64 s2, 12, v0
	v_cmp_eq_u32_e64 s3, 13, v0
	v_cndmask_b32_e64 v1, v1, v16, s5
	v_cndmask_b32_e64 v3, v35, v17, s5
	v_cndmask_b32_e32 v35, v4, v20, vcc_lo
	v_cmp_eq_u32_e32 vcc_lo, 9, v0
	v_cndmask_b32_e64 v46, v15, v21, s4
	v_cndmask_b32_e64 v1, v1, v18, s7
	;; [unrolled: 1-line block ×16, first 2 shown]
	v_cndmask_b32_e32 v1, v1, v20, vcc_lo
	v_cndmask_b32_e32 v3, v3, v21, vcc_lo
	s_delay_alu instid0(VALU_DEP_2) | instskip(NEXT) | instid1(VALU_DEP_2)
	v_cndmask_b32_e64 v1, v1, v22, s0
	v_cndmask_b32_e64 v3, v3, v23, s0
	v_cmp_eq_u32_e64 s0, 14, v0
	s_delay_alu instid0(VALU_DEP_3) | instskip(NEXT) | instid1(VALU_DEP_3)
	v_cndmask_b32_e64 v1, v1, v24, s1
	v_cndmask_b32_e64 v3, v3, v25, s1
	v_cmp_eq_u32_e64 s1, 15, v0
	s_delay_alu instid0(VALU_DEP_4)
	v_cndmask_b32_e64 v62, v31, v21, s0
	v_cndmask_b32_e64 v61, v30, v20, s0
	;; [unrolled: 1-line block ×6, first 2 shown]
	s_delay_alu instid0(VALU_DEP_4) | instskip(NEXT) | instid1(VALU_DEP_4)
	v_cndmask_b32_e64 v1, v1, v28, s3
	v_cndmask_b32_e64 v3, v3, v29, s3
	s_delay_alu instid0(VALU_DEP_2) | instskip(NEXT) | instid1(VALU_DEP_2)
	v_cndmask_b32_e64 v1, v1, v30, s0
	v_cndmask_b32_e64 v3, v3, v31, s0
	s_delay_alu instid0(VALU_DEP_2) | instskip(NEXT) | instid1(VALU_DEP_2)
	v_cndmask_b32_e64 v0, v1, v32, s1
	v_cndmask_b32_e64 v1, v3, v33, s1
	;; [unrolled: 1-line block ×3, first 2 shown]
	s_delay_alu instid0(VALU_DEP_2) | instskip(NEXT) | instid1(VALU_DEP_2)
	v_dual_cndmask_b32 v51, v0, v20 :: v_dual_cndmask_b32 v52, v1, v21
	v_mov_b32_e32 v2, v33
	v_dual_mov_b32 v3, v34 :: v_dual_mov_b32 v8, v39
	v_dual_mov_b32 v4, v35 :: v_dual_mov_b32 v5, v36
	v_mov_b32_e32 v10, v41
	v_dual_mov_b32 v6, v37 :: v_dual_mov_b32 v7, v38
	v_dual_mov_b32 v12, v43 :: v_dual_mov_b32 v9, v40
	;; [unrolled: 1-line block ×12, first 2 shown]
	v_mov_b32_e32 v31, v62
	v_mov_b32_e32 v33, v64
.LBB79_131:
	s_or_b32 exec_lo, exec_lo, s8
	v_dual_mov_b32 v0, s20 :: v_dual_mov_b32 v1, s21
	s_mov_b32 s8, exec_lo
	flat_load_b32 v0, v[0:1] offset:32
	s_waitcnt vmcnt(0) lgkmcnt(0)
	v_add_nc_u32_e32 v0, -1, v0
	s_delay_alu instid0(VALU_DEP_1)
	v_cmpx_ne_u32_e32 8, v0
	s_cbranch_execz .LBB79_133
; %bb.132:
	v_cmp_eq_u32_e32 vcc_lo, 1, v0
	v_cmp_eq_u32_e64 s0, 2, v0
	v_cmp_eq_u32_e64 s1, 3, v0
	;; [unrolled: 1-line block ×4, first 2 shown]
	v_dual_cndmask_b32 v1, v2, v4 :: v_dual_cndmask_b32 v34, v3, v5
	v_cmp_eq_u32_e64 s4, 6, v0
	v_cmp_eq_u32_e64 s5, 7, v0
	;; [unrolled: 1-line block ×3, first 2 shown]
	s_delay_alu instid0(VALU_DEP_4)
	v_cndmask_b32_e64 v1, v1, v6, s0
	v_cndmask_b32_e64 v34, v34, v7, s0
	v_cmp_eq_u32_e64 s7, 8, v0
	v_cndmask_b32_e64 v38, v7, v19, s0
	v_cndmask_b32_e64 v37, v6, v18, s0
	;; [unrolled: 1-line block ×4, first 2 shown]
	v_cndmask_b32_e32 v36, v5, v19, vcc_lo
	v_cndmask_b32_e64 v40, v9, v19, s1
	v_cndmask_b32_e64 v39, v8, v18, s1
	;; [unrolled: 1-line block ×5, first 2 shown]
	v_cmp_eq_u32_e64 s0, 10, v0
	v_cndmask_b32_e64 v41, v10, v18, s2
	v_cndmask_b32_e64 v1, v1, v12, s3
	;; [unrolled: 1-line block ×3, first 2 shown]
	v_cmp_eq_u32_e64 s1, 11, v0
	v_cmp_eq_u32_e64 s2, 12, v0
	v_cndmask_b32_e64 v44, v13, v19, s3
	v_cndmask_b32_e64 v1, v1, v14, s4
	;; [unrolled: 1-line block ×8, first 2 shown]
	v_cndmask_b32_e32 v35, v4, v18, vcc_lo
	v_cmp_eq_u32_e32 vcc_lo, 9, v0
	v_cndmask_b32_e64 v45, v14, v18, s4
	v_cndmask_b32_e64 v1, v1, v18, s7
	;; [unrolled: 1-line block ×5, first 2 shown]
	v_dual_cndmask_b32 v51, v20, v18 :: v_dual_cndmask_b32 v52, v21, v19
	s_delay_alu instid0(VALU_DEP_4)
	v_cndmask_b32_e32 v3, v3, v21, vcc_lo
	v_cndmask_b32_e64 v54, v23, v19, s0
	v_cndmask_b32_e64 v53, v22, v18, s0
	;; [unrolled: 1-line block ×6, first 2 shown]
	v_cndmask_b32_e32 v1, v1, v20, vcc_lo
	v_cndmask_b32_e64 v3, v3, v23, s0
	v_cmp_eq_u32_e32 vcc_lo, 13, v0
	s_delay_alu instid0(VALU_DEP_3) | instskip(NEXT) | instid1(VALU_DEP_3)
	v_cndmask_b32_e64 v1, v1, v22, s0
	v_cndmask_b32_e64 v3, v3, v25, s1
	v_cmp_eq_u32_e64 s0, 14, v0
	v_dual_cndmask_b32 v60, v29, v19 :: v_dual_cndmask_b32 v59, v28, v18
	s_delay_alu instid0(VALU_DEP_4) | instskip(SKIP_1) | instid1(VALU_DEP_4)
	v_cndmask_b32_e64 v1, v1, v24, s1
	v_cmp_eq_u32_e64 s1, 15, v0
	v_cndmask_b32_e64 v62, v31, v19, s0
	v_cndmask_b32_e64 v61, v30, v18, s0
	;; [unrolled: 1-line block ×6, first 2 shown]
	s_delay_alu instid0(VALU_DEP_3) | instskip(NEXT) | instid1(VALU_DEP_1)
	v_cndmask_b32_e32 v1, v1, v28, vcc_lo
	v_cndmask_b32_e64 v1, v1, v30, s0
	s_delay_alu instid0(VALU_DEP_1) | instskip(NEXT) | instid1(VALU_DEP_1)
	v_cndmask_b32_e64 v0, v1, v32, s1
	v_cndmask_b32_e64 v49, v0, v18, s7
	v_cndmask_b32_e32 v3, v3, v29, vcc_lo
	s_delay_alu instid0(VALU_DEP_1) | instskip(NEXT) | instid1(VALU_DEP_1)
	v_cndmask_b32_e64 v3, v3, v31, s0
	v_cndmask_b32_e64 v1, v3, v33, s1
	;; [unrolled: 1-line block ×3, first 2 shown]
	s_delay_alu instid0(VALU_DEP_2) | instskip(NEXT) | instid1(VALU_DEP_2)
	v_cndmask_b32_e64 v50, v1, v19, s7
	v_mov_b32_e32 v2, v33
	v_dual_mov_b32 v6, v37 :: v_dual_mov_b32 v3, v34
	v_mov_b32_e32 v10, v41
	v_dual_mov_b32 v4, v35 :: v_dual_mov_b32 v5, v36
	v_dual_mov_b32 v12, v43 :: v_dual_mov_b32 v7, v38
	v_mov_b32_e32 v14, v45
	v_dual_mov_b32 v8, v39 :: v_dual_mov_b32 v9, v40
	v_dual_mov_b32 v16, v47 :: v_dual_mov_b32 v11, v42
	;; [unrolled: 1-line block ×10, first 2 shown]
	v_mov_b32_e32 v29, v60
	v_mov_b32_e32 v31, v62
	;; [unrolled: 1-line block ×3, first 2 shown]
.LBB79_133:
	s_or_b32 exec_lo, exec_lo, s8
	v_dual_mov_b32 v0, s20 :: v_dual_mov_b32 v1, s21
	s_mov_b32 s8, exec_lo
	flat_load_b32 v0, v[0:1] offset:28
	s_waitcnt vmcnt(0) lgkmcnt(0)
	v_add_nc_u32_e32 v0, -1, v0
	s_delay_alu instid0(VALU_DEP_1)
	v_cmpx_ne_u32_e32 7, v0
	s_cbranch_execz .LBB79_135
; %bb.134:
	v_cmp_eq_u32_e32 vcc_lo, 1, v0
	v_cmp_eq_u32_e64 s0, 2, v0
	v_cmp_eq_u32_e64 s1, 3, v0
	;; [unrolled: 1-line block ×4, first 2 shown]
	v_dual_cndmask_b32 v1, v2, v4 :: v_dual_cndmask_b32 v34, v3, v5
	v_cmp_eq_u32_e64 s4, 6, v0
	v_cmp_eq_u32_e64 s5, 7, v0
	;; [unrolled: 1-line block ×3, first 2 shown]
	s_delay_alu instid0(VALU_DEP_4)
	v_cndmask_b32_e64 v1, v1, v6, s0
	v_cndmask_b32_e64 v34, v34, v7, s0
	v_cmp_eq_u32_e64 s7, 8, v0
	v_cndmask_b32_e64 v38, v7, v17, s0
	v_cndmask_b32_e64 v37, v6, v16, s0
	;; [unrolled: 1-line block ×4, first 2 shown]
	v_cndmask_b32_e32 v36, v5, v17, vcc_lo
	v_cndmask_b32_e64 v40, v9, v17, s1
	v_cndmask_b32_e64 v39, v8, v16, s1
	;; [unrolled: 1-line block ×5, first 2 shown]
	v_cmp_eq_u32_e64 s0, 10, v0
	v_cndmask_b32_e64 v41, v10, v16, s2
	v_cndmask_b32_e64 v1, v1, v12, s3
	;; [unrolled: 1-line block ×3, first 2 shown]
	v_cmp_eq_u32_e64 s1, 11, v0
	v_cmp_eq_u32_e64 s2, 12, v0
	v_cndmask_b32_e64 v44, v13, v17, s3
	v_cndmask_b32_e64 v1, v1, v14, s4
	;; [unrolled: 1-line block ×8, first 2 shown]
	v_cndmask_b32_e32 v35, v4, v16, vcc_lo
	v_cmp_eq_u32_e32 vcc_lo, 9, v0
	v_cndmask_b32_e64 v45, v14, v16, s4
	v_cndmask_b32_e64 v1, v1, v18, s7
	;; [unrolled: 1-line block ×5, first 2 shown]
	v_dual_cndmask_b32 v52, v21, v17 :: v_dual_cndmask_b32 v51, v20, v16
	v_cndmask_b32_e64 v54, v23, v17, s0
	v_cndmask_b32_e64 v53, v22, v16, s0
	;; [unrolled: 1-line block ×6, first 2 shown]
	v_cndmask_b32_e32 v1, v1, v20, vcc_lo
	v_cndmask_b32_e32 v3, v3, v21, vcc_lo
	v_cmp_eq_u32_e32 vcc_lo, 13, v0
	s_delay_alu instid0(VALU_DEP_3) | instskip(NEXT) | instid1(VALU_DEP_3)
	v_cndmask_b32_e64 v1, v1, v22, s0
	v_cndmask_b32_e64 v3, v3, v23, s0
	v_cmp_eq_u32_e64 s0, 14, v0
	v_dual_cndmask_b32 v60, v29, v17 :: v_dual_cndmask_b32 v59, v28, v16
	s_delay_alu instid0(VALU_DEP_4) | instskip(NEXT) | instid1(VALU_DEP_4)
	v_cndmask_b32_e64 v1, v1, v24, s1
	v_cndmask_b32_e64 v3, v3, v25, s1
	v_cmp_eq_u32_e64 s1, 15, v0
	v_cndmask_b32_e64 v62, v31, v17, s0
	v_cndmask_b32_e64 v61, v30, v16, s0
	;; [unrolled: 1-line block ×6, first 2 shown]
	s_delay_alu instid0(VALU_DEP_4) | instskip(NEXT) | instid1(VALU_DEP_1)
	v_cndmask_b32_e32 v1, v1, v28, vcc_lo
	v_cndmask_b32_e64 v1, v1, v30, s0
	s_delay_alu instid0(VALU_DEP_1) | instskip(NEXT) | instid1(VALU_DEP_1)
	v_cndmask_b32_e64 v0, v1, v32, s1
	v_cndmask_b32_e64 v47, v0, v16, s5
	v_cndmask_b32_e32 v3, v3, v29, vcc_lo
	s_delay_alu instid0(VALU_DEP_1) | instskip(NEXT) | instid1(VALU_DEP_1)
	v_cndmask_b32_e64 v3, v3, v31, s0
	v_cndmask_b32_e64 v1, v3, v33, s1
	;; [unrolled: 1-line block ×3, first 2 shown]
	s_delay_alu instid0(VALU_DEP_2) | instskip(NEXT) | instid1(VALU_DEP_2)
	v_cndmask_b32_e64 v48, v1, v17, s5
	v_mov_b32_e32 v2, v33
	v_dual_mov_b32 v10, v41 :: v_dual_mov_b32 v3, v34
	v_mov_b32_e32 v12, v43
	v_dual_mov_b32 v4, v35 :: v_dual_mov_b32 v5, v36
	;; [unrolled: 2-line block ×4, first 2 shown]
	v_dual_mov_b32 v18, v49 :: v_dual_mov_b32 v11, v42
	v_dual_mov_b32 v20, v51 :: v_dual_mov_b32 v13, v44
	v_dual_mov_b32 v22, v53 :: v_dual_mov_b32 v15, v46
	v_dual_mov_b32 v24, v55 :: v_dual_mov_b32 v17, v48
	v_dual_mov_b32 v26, v57 :: v_dual_mov_b32 v19, v50
	v_dual_mov_b32 v28, v59 :: v_dual_mov_b32 v21, v52
	v_dual_mov_b32 v30, v61 :: v_dual_mov_b32 v23, v54
	v_dual_mov_b32 v32, v63 :: v_dual_mov_b32 v25, v56
	v_mov_b32_e32 v27, v58
	v_mov_b32_e32 v29, v60
	;; [unrolled: 1-line block ×4, first 2 shown]
.LBB79_135:
	s_or_b32 exec_lo, exec_lo, s8
	v_dual_mov_b32 v0, s20 :: v_dual_mov_b32 v1, s21
	s_mov_b32 s8, exec_lo
	flat_load_b32 v0, v[0:1] offset:24
	s_waitcnt vmcnt(0) lgkmcnt(0)
	v_add_nc_u32_e32 v0, -1, v0
	s_delay_alu instid0(VALU_DEP_1)
	v_cmpx_ne_u32_e32 6, v0
	s_cbranch_execz .LBB79_137
; %bb.136:
	v_cmp_eq_u32_e32 vcc_lo, 1, v0
	v_cmp_eq_u32_e64 s0, 2, v0
	v_cmp_eq_u32_e64 s1, 3, v0
	;; [unrolled: 1-line block ×4, first 2 shown]
	v_dual_cndmask_b32 v1, v2, v4 :: v_dual_cndmask_b32 v34, v3, v5
	v_cmp_eq_u32_e64 s4, 6, v0
	v_cmp_eq_u32_e64 s5, 7, v0
	;; [unrolled: 1-line block ×3, first 2 shown]
	s_delay_alu instid0(VALU_DEP_4)
	v_cndmask_b32_e64 v1, v1, v6, s0
	v_cndmask_b32_e64 v34, v34, v7, s0
	v_cmp_eq_u32_e64 s7, 8, v0
	v_cndmask_b32_e64 v38, v7, v15, s0
	v_cndmask_b32_e64 v37, v6, v14, s0
	;; [unrolled: 1-line block ×4, first 2 shown]
	v_cndmask_b32_e32 v36, v5, v15, vcc_lo
	v_cndmask_b32_e64 v40, v9, v15, s1
	v_cndmask_b32_e64 v39, v8, v14, s1
	;; [unrolled: 1-line block ×5, first 2 shown]
	v_cmp_eq_u32_e64 s0, 10, v0
	v_cndmask_b32_e64 v41, v10, v14, s2
	v_cndmask_b32_e64 v1, v1, v12, s3
	;; [unrolled: 1-line block ×3, first 2 shown]
	v_cmp_eq_u32_e64 s1, 11, v0
	v_cmp_eq_u32_e64 s2, 12, v0
	v_cndmask_b32_e64 v44, v13, v15, s3
	v_cndmask_b32_e64 v1, v1, v14, s4
	;; [unrolled: 1-line block ×8, first 2 shown]
	v_cndmask_b32_e32 v35, v4, v14, vcc_lo
	v_cmp_eq_u32_e32 vcc_lo, 9, v0
	v_cndmask_b32_e64 v47, v16, v14, s5
	v_cndmask_b32_e64 v1, v1, v18, s7
	;; [unrolled: 1-line block ×5, first 2 shown]
	v_dual_cndmask_b32 v51, v20, v14 :: v_dual_cndmask_b32 v52, v21, v15
	s_delay_alu instid0(VALU_DEP_4)
	v_cndmask_b32_e32 v3, v3, v21, vcc_lo
	v_cndmask_b32_e64 v54, v23, v15, s0
	v_cndmask_b32_e64 v53, v22, v14, s0
	;; [unrolled: 1-line block ×6, first 2 shown]
	v_cndmask_b32_e32 v1, v1, v20, vcc_lo
	v_cndmask_b32_e64 v3, v3, v23, s0
	v_cmp_eq_u32_e32 vcc_lo, 13, v0
	s_delay_alu instid0(VALU_DEP_3) | instskip(NEXT) | instid1(VALU_DEP_3)
	v_cndmask_b32_e64 v1, v1, v22, s0
	v_cndmask_b32_e64 v3, v3, v25, s1
	v_cmp_eq_u32_e64 s0, 14, v0
	v_dual_cndmask_b32 v60, v29, v15 :: v_dual_cndmask_b32 v59, v28, v14
	s_delay_alu instid0(VALU_DEP_4) | instskip(SKIP_1) | instid1(VALU_DEP_4)
	v_cndmask_b32_e64 v1, v1, v24, s1
	v_cmp_eq_u32_e64 s1, 15, v0
	v_cndmask_b32_e64 v62, v31, v15, s0
	v_cndmask_b32_e64 v61, v30, v14, s0
	;; [unrolled: 1-line block ×6, first 2 shown]
	s_delay_alu instid0(VALU_DEP_3) | instskip(NEXT) | instid1(VALU_DEP_1)
	v_cndmask_b32_e32 v1, v1, v28, vcc_lo
	v_cndmask_b32_e64 v1, v1, v30, s0
	s_delay_alu instid0(VALU_DEP_1) | instskip(NEXT) | instid1(VALU_DEP_1)
	v_cndmask_b32_e64 v0, v1, v32, s1
	v_cndmask_b32_e64 v45, v0, v14, s4
	v_cndmask_b32_e32 v3, v3, v29, vcc_lo
	s_delay_alu instid0(VALU_DEP_1) | instskip(NEXT) | instid1(VALU_DEP_1)
	v_cndmask_b32_e64 v3, v3, v31, s0
	v_cndmask_b32_e64 v1, v3, v33, s1
	;; [unrolled: 1-line block ×3, first 2 shown]
	s_delay_alu instid0(VALU_DEP_2) | instskip(NEXT) | instid1(VALU_DEP_2)
	v_cndmask_b32_e64 v46, v1, v15, s4
	v_mov_b32_e32 v2, v33
	v_dual_mov_b32 v6, v37 :: v_dual_mov_b32 v3, v34
	v_mov_b32_e32 v10, v41
	v_dual_mov_b32 v4, v35 :: v_dual_mov_b32 v5, v36
	v_dual_mov_b32 v12, v43 :: v_dual_mov_b32 v7, v38
	v_mov_b32_e32 v14, v45
	v_dual_mov_b32 v8, v39 :: v_dual_mov_b32 v9, v40
	v_dual_mov_b32 v16, v47 :: v_dual_mov_b32 v11, v42
	;; [unrolled: 1-line block ×10, first 2 shown]
	v_mov_b32_e32 v29, v60
	v_mov_b32_e32 v31, v62
	;; [unrolled: 1-line block ×3, first 2 shown]
.LBB79_137:
	s_or_b32 exec_lo, exec_lo, s8
	v_dual_mov_b32 v0, s20 :: v_dual_mov_b32 v1, s21
	s_mov_b32 s8, exec_lo
	flat_load_b32 v0, v[0:1] offset:20
	s_waitcnt vmcnt(0) lgkmcnt(0)
	v_add_nc_u32_e32 v0, -1, v0
	s_delay_alu instid0(VALU_DEP_1)
	v_cmpx_ne_u32_e32 5, v0
	s_cbranch_execz .LBB79_139
; %bb.138:
	v_cmp_eq_u32_e32 vcc_lo, 1, v0
	v_cmp_eq_u32_e64 s0, 2, v0
	v_cmp_eq_u32_e64 s1, 3, v0
	;; [unrolled: 1-line block ×4, first 2 shown]
	v_dual_cndmask_b32 v1, v2, v4 :: v_dual_cndmask_b32 v34, v3, v5
	v_cmp_eq_u32_e64 s4, 6, v0
	v_cmp_eq_u32_e64 s5, 7, v0
	;; [unrolled: 1-line block ×3, first 2 shown]
	s_delay_alu instid0(VALU_DEP_4)
	v_cndmask_b32_e64 v1, v1, v6, s0
	v_cndmask_b32_e64 v34, v34, v7, s0
	v_cmp_eq_u32_e64 s7, 8, v0
	v_cndmask_b32_e64 v38, v7, v13, s0
	v_cndmask_b32_e64 v37, v6, v12, s0
	v_cndmask_b32_e64 v1, v1, v8, s1
	v_cndmask_b32_e64 v34, v34, v9, s1
	v_cndmask_b32_e32 v36, v5, v13, vcc_lo
	v_cndmask_b32_e64 v40, v9, v13, s1
	v_cndmask_b32_e64 v39, v8, v12, s1
	;; [unrolled: 1-line block ×5, first 2 shown]
	v_cmp_eq_u32_e64 s0, 10, v0
	v_cndmask_b32_e64 v41, v10, v12, s2
	v_cndmask_b32_e64 v1, v1, v12, s3
	v_cndmask_b32_e64 v34, v34, v13, s3
	v_cmp_eq_u32_e64 s1, 11, v0
	v_cmp_eq_u32_e64 s2, 12, v0
	v_cndmask_b32_e64 v46, v15, v13, s4
	v_cndmask_b32_e64 v1, v1, v14, s4
	;; [unrolled: 1-line block ×8, first 2 shown]
	v_cndmask_b32_e32 v35, v4, v12, vcc_lo
	v_cmp_eq_u32_e32 vcc_lo, 9, v0
	v_cndmask_b32_e64 v47, v16, v12, s5
	v_cndmask_b32_e64 v1, v1, v18, s7
	;; [unrolled: 1-line block ×5, first 2 shown]
	v_dual_cndmask_b32 v52, v21, v13 :: v_dual_cndmask_b32 v51, v20, v12
	v_cndmask_b32_e64 v54, v23, v13, s0
	v_cndmask_b32_e64 v53, v22, v12, s0
	v_cndmask_b32_e64 v56, v25, v13, s1
	v_cndmask_b32_e64 v55, v24, v12, s1
	v_cndmask_b32_e64 v58, v27, v13, s2
	v_cndmask_b32_e64 v57, v26, v12, s2
	v_cndmask_b32_e32 v1, v1, v20, vcc_lo
	v_cndmask_b32_e32 v3, v3, v21, vcc_lo
	v_cmp_eq_u32_e32 vcc_lo, 13, v0
	s_delay_alu instid0(VALU_DEP_3) | instskip(NEXT) | instid1(VALU_DEP_3)
	v_cndmask_b32_e64 v1, v1, v22, s0
	v_cndmask_b32_e64 v3, v3, v23, s0
	v_cmp_eq_u32_e64 s0, 14, v0
	v_dual_cndmask_b32 v60, v29, v13 :: v_dual_cndmask_b32 v59, v28, v12
	s_delay_alu instid0(VALU_DEP_4) | instskip(NEXT) | instid1(VALU_DEP_4)
	v_cndmask_b32_e64 v1, v1, v24, s1
	v_cndmask_b32_e64 v3, v3, v25, s1
	v_cmp_eq_u32_e64 s1, 15, v0
	v_cndmask_b32_e64 v62, v31, v13, s0
	v_cndmask_b32_e64 v61, v30, v12, s0
	;; [unrolled: 1-line block ×6, first 2 shown]
	s_delay_alu instid0(VALU_DEP_4) | instskip(NEXT) | instid1(VALU_DEP_1)
	v_cndmask_b32_e32 v1, v1, v28, vcc_lo
	v_cndmask_b32_e64 v1, v1, v30, s0
	s_delay_alu instid0(VALU_DEP_1) | instskip(NEXT) | instid1(VALU_DEP_1)
	v_cndmask_b32_e64 v0, v1, v32, s1
	v_cndmask_b32_e64 v43, v0, v12, s3
	v_cndmask_b32_e32 v3, v3, v29, vcc_lo
	s_delay_alu instid0(VALU_DEP_1) | instskip(NEXT) | instid1(VALU_DEP_1)
	v_cndmask_b32_e64 v3, v3, v31, s0
	v_cndmask_b32_e64 v1, v3, v33, s1
	v_cndmask_b32_e64 v33, v2, v12, s6
	s_delay_alu instid0(VALU_DEP_2) | instskip(NEXT) | instid1(VALU_DEP_2)
	v_cndmask_b32_e64 v44, v1, v13, s3
	v_mov_b32_e32 v2, v33
	v_dual_mov_b32 v10, v41 :: v_dual_mov_b32 v3, v34
	v_mov_b32_e32 v12, v43
	v_dual_mov_b32 v4, v35 :: v_dual_mov_b32 v5, v36
	;; [unrolled: 2-line block ×4, first 2 shown]
	v_dual_mov_b32 v18, v49 :: v_dual_mov_b32 v11, v42
	v_dual_mov_b32 v20, v51 :: v_dual_mov_b32 v13, v44
	;; [unrolled: 1-line block ×8, first 2 shown]
	v_mov_b32_e32 v27, v58
	v_mov_b32_e32 v29, v60
	;; [unrolled: 1-line block ×4, first 2 shown]
.LBB79_139:
	s_or_b32 exec_lo, exec_lo, s8
	v_dual_mov_b32 v0, s20 :: v_dual_mov_b32 v1, s21
	s_mov_b32 s8, exec_lo
	flat_load_b32 v0, v[0:1] offset:16
	s_waitcnt vmcnt(0) lgkmcnt(0)
	v_add_nc_u32_e32 v0, -1, v0
	s_delay_alu instid0(VALU_DEP_1)
	v_cmpx_ne_u32_e32 4, v0
	s_cbranch_execz .LBB79_141
; %bb.140:
	v_cmp_eq_u32_e32 vcc_lo, 1, v0
	v_cmp_eq_u32_e64 s0, 2, v0
	v_cmp_eq_u32_e64 s1, 3, v0
	;; [unrolled: 1-line block ×4, first 2 shown]
	v_dual_cndmask_b32 v1, v2, v4 :: v_dual_cndmask_b32 v34, v3, v5
	v_cmp_eq_u32_e64 s4, 6, v0
	v_cmp_eq_u32_e64 s5, 7, v0
	;; [unrolled: 1-line block ×3, first 2 shown]
	s_delay_alu instid0(VALU_DEP_4)
	v_cndmask_b32_e64 v1, v1, v6, s0
	v_cndmask_b32_e64 v34, v34, v7, s0
	v_cmp_eq_u32_e64 s7, 8, v0
	v_cndmask_b32_e64 v38, v7, v11, s0
	v_cndmask_b32_e64 v37, v6, v10, s0
	;; [unrolled: 1-line block ×4, first 2 shown]
	v_cndmask_b32_e32 v36, v5, v11, vcc_lo
	v_cndmask_b32_e64 v40, v9, v11, s1
	v_cndmask_b32_e64 v39, v8, v10, s1
	;; [unrolled: 1-line block ×5, first 2 shown]
	v_cmp_eq_u32_e64 s0, 10, v0
	v_cndmask_b32_e64 v43, v12, v10, s3
	v_cndmask_b32_e64 v1, v1, v12, s3
	;; [unrolled: 1-line block ×3, first 2 shown]
	v_cmp_eq_u32_e64 s1, 11, v0
	v_cmp_eq_u32_e64 s3, 12, v0
	v_cndmask_b32_e64 v46, v15, v11, s4
	v_cndmask_b32_e64 v1, v1, v14, s4
	;; [unrolled: 1-line block ×8, first 2 shown]
	v_cndmask_b32_e32 v35, v4, v10, vcc_lo
	v_cmp_eq_u32_e32 vcc_lo, 9, v0
	v_cndmask_b32_e64 v47, v16, v10, s5
	v_cndmask_b32_e64 v1, v1, v18, s7
	;; [unrolled: 1-line block ×5, first 2 shown]
	v_dual_cndmask_b32 v51, v20, v10 :: v_dual_cndmask_b32 v52, v21, v11
	s_delay_alu instid0(VALU_DEP_4)
	v_cndmask_b32_e32 v3, v3, v21, vcc_lo
	v_cndmask_b32_e64 v54, v23, v11, s0
	v_cndmask_b32_e64 v53, v22, v10, s0
	;; [unrolled: 1-line block ×6, first 2 shown]
	v_cndmask_b32_e32 v1, v1, v20, vcc_lo
	v_cndmask_b32_e64 v3, v3, v23, s0
	v_cmp_eq_u32_e32 vcc_lo, 13, v0
	s_delay_alu instid0(VALU_DEP_3) | instskip(NEXT) | instid1(VALU_DEP_3)
	v_cndmask_b32_e64 v1, v1, v22, s0
	v_cndmask_b32_e64 v3, v3, v25, s1
	v_cmp_eq_u32_e64 s0, 14, v0
	v_dual_cndmask_b32 v60, v29, v11 :: v_dual_cndmask_b32 v59, v28, v10
	s_delay_alu instid0(VALU_DEP_4) | instskip(SKIP_1) | instid1(VALU_DEP_4)
	v_cndmask_b32_e64 v1, v1, v24, s1
	v_cmp_eq_u32_e64 s1, 15, v0
	v_cndmask_b32_e64 v62, v31, v11, s0
	v_cndmask_b32_e64 v61, v30, v10, s0
	;; [unrolled: 1-line block ×6, first 2 shown]
	s_delay_alu instid0(VALU_DEP_3) | instskip(NEXT) | instid1(VALU_DEP_1)
	v_cndmask_b32_e32 v1, v1, v28, vcc_lo
	v_cndmask_b32_e64 v1, v1, v30, s0
	s_delay_alu instid0(VALU_DEP_1) | instskip(NEXT) | instid1(VALU_DEP_1)
	v_cndmask_b32_e64 v0, v1, v32, s1
	v_cndmask_b32_e64 v41, v0, v10, s2
	v_cndmask_b32_e32 v3, v3, v29, vcc_lo
	s_delay_alu instid0(VALU_DEP_1) | instskip(NEXT) | instid1(VALU_DEP_1)
	v_cndmask_b32_e64 v3, v3, v31, s0
	v_cndmask_b32_e64 v1, v3, v33, s1
	;; [unrolled: 1-line block ×3, first 2 shown]
	s_delay_alu instid0(VALU_DEP_2) | instskip(NEXT) | instid1(VALU_DEP_2)
	v_cndmask_b32_e64 v42, v1, v11, s2
	v_mov_b32_e32 v2, v33
	v_dual_mov_b32 v6, v37 :: v_dual_mov_b32 v3, v34
	v_mov_b32_e32 v10, v41
	v_dual_mov_b32 v4, v35 :: v_dual_mov_b32 v5, v36
	v_dual_mov_b32 v12, v43 :: v_dual_mov_b32 v7, v38
	v_mov_b32_e32 v14, v45
	v_dual_mov_b32 v8, v39 :: v_dual_mov_b32 v9, v40
	v_dual_mov_b32 v16, v47 :: v_dual_mov_b32 v11, v42
	;; [unrolled: 1-line block ×10, first 2 shown]
	v_mov_b32_e32 v29, v60
	v_mov_b32_e32 v31, v62
	;; [unrolled: 1-line block ×3, first 2 shown]
.LBB79_141:
	s_or_b32 exec_lo, exec_lo, s8
	v_dual_mov_b32 v0, s20 :: v_dual_mov_b32 v1, s21
	s_mov_b32 s8, exec_lo
	flat_load_b32 v0, v[0:1] offset:12
	s_waitcnt vmcnt(0) lgkmcnt(0)
	v_add_nc_u32_e32 v0, -1, v0
	s_delay_alu instid0(VALU_DEP_1)
	v_cmpx_ne_u32_e32 3, v0
	s_cbranch_execz .LBB79_143
; %bb.142:
	v_cmp_eq_u32_e32 vcc_lo, 1, v0
	v_cmp_eq_u32_e64 s0, 2, v0
	v_cmp_eq_u32_e64 s1, 3, v0
	;; [unrolled: 1-line block ×4, first 2 shown]
	v_dual_cndmask_b32 v1, v2, v4 :: v_dual_cndmask_b32 v34, v3, v5
	v_cmp_eq_u32_e64 s4, 6, v0
	v_cmp_eq_u32_e64 s5, 7, v0
	;; [unrolled: 1-line block ×3, first 2 shown]
	s_delay_alu instid0(VALU_DEP_4)
	v_cndmask_b32_e64 v1, v1, v6, s0
	v_cndmask_b32_e64 v34, v34, v7, s0
	v_cmp_eq_u32_e64 s7, 8, v0
	v_cndmask_b32_e64 v38, v7, v9, s0
	v_cndmask_b32_e64 v37, v6, v8, s0
	;; [unrolled: 1-line block ×4, first 2 shown]
	v_cndmask_b32_e32 v36, v5, v9, vcc_lo
	v_cndmask_b32_e64 v42, v11, v9, s2
	v_cndmask_b32_e64 v41, v10, v8, s2
	v_cndmask_b32_e64 v1, v1, v10, s2
	v_cndmask_b32_e64 v34, v34, v11, s2
	v_cndmask_b32_e64 v44, v13, v9, s3
	v_cmp_eq_u32_e64 s0, 10, v0
	v_cndmask_b32_e64 v43, v12, v8, s3
	v_cndmask_b32_e64 v1, v1, v12, s3
	;; [unrolled: 1-line block ×3, first 2 shown]
	v_cmp_eq_u32_e64 s2, 11, v0
	v_cmp_eq_u32_e64 s3, 12, v0
	v_cndmask_b32_e64 v46, v15, v9, s4
	v_cndmask_b32_e64 v1, v1, v14, s4
	;; [unrolled: 1-line block ×8, first 2 shown]
	v_cndmask_b32_e32 v35, v4, v8, vcc_lo
	v_cmp_eq_u32_e32 vcc_lo, 9, v0
	v_cndmask_b32_e64 v47, v16, v8, s5
	v_cndmask_b32_e64 v1, v1, v18, s7
	;; [unrolled: 1-line block ×5, first 2 shown]
	v_dual_cndmask_b32 v52, v21, v9 :: v_dual_cndmask_b32 v51, v20, v8
	v_cndmask_b32_e64 v54, v23, v9, s0
	v_cndmask_b32_e64 v53, v22, v8, s0
	;; [unrolled: 1-line block ×6, first 2 shown]
	v_cndmask_b32_e32 v1, v1, v20, vcc_lo
	v_cndmask_b32_e32 v3, v3, v21, vcc_lo
	v_cmp_eq_u32_e32 vcc_lo, 13, v0
	s_delay_alu instid0(VALU_DEP_3) | instskip(NEXT) | instid1(VALU_DEP_3)
	v_cndmask_b32_e64 v1, v1, v22, s0
	v_cndmask_b32_e64 v3, v3, v23, s0
	v_cmp_eq_u32_e64 s0, 14, v0
	v_dual_cndmask_b32 v60, v29, v9 :: v_dual_cndmask_b32 v59, v28, v8
	s_delay_alu instid0(VALU_DEP_4) | instskip(NEXT) | instid1(VALU_DEP_4)
	v_cndmask_b32_e64 v1, v1, v24, s2
	v_cndmask_b32_e64 v3, v3, v25, s2
	v_cmp_eq_u32_e64 s2, 15, v0
	v_cndmask_b32_e64 v62, v31, v9, s0
	v_cndmask_b32_e64 v61, v30, v8, s0
	;; [unrolled: 1-line block ×6, first 2 shown]
	s_delay_alu instid0(VALU_DEP_4) | instskip(NEXT) | instid1(VALU_DEP_1)
	v_cndmask_b32_e32 v1, v1, v28, vcc_lo
	v_cndmask_b32_e64 v1, v1, v30, s0
	s_delay_alu instid0(VALU_DEP_1) | instskip(NEXT) | instid1(VALU_DEP_1)
	v_cndmask_b32_e64 v0, v1, v32, s2
	v_cndmask_b32_e64 v39, v0, v8, s1
	v_cndmask_b32_e32 v3, v3, v29, vcc_lo
	s_delay_alu instid0(VALU_DEP_1) | instskip(NEXT) | instid1(VALU_DEP_1)
	v_cndmask_b32_e64 v3, v3, v31, s0
	v_cndmask_b32_e64 v1, v3, v33, s2
	;; [unrolled: 1-line block ×3, first 2 shown]
	s_delay_alu instid0(VALU_DEP_2) | instskip(NEXT) | instid1(VALU_DEP_2)
	v_cndmask_b32_e64 v40, v1, v9, s1
	v_mov_b32_e32 v2, v33
	v_dual_mov_b32 v10, v41 :: v_dual_mov_b32 v3, v34
	v_mov_b32_e32 v12, v43
	v_dual_mov_b32 v4, v35 :: v_dual_mov_b32 v5, v36
	;; [unrolled: 2-line block ×4, first 2 shown]
	v_dual_mov_b32 v18, v49 :: v_dual_mov_b32 v11, v42
	v_dual_mov_b32 v20, v51 :: v_dual_mov_b32 v13, v44
	;; [unrolled: 1-line block ×8, first 2 shown]
	v_mov_b32_e32 v27, v58
	v_mov_b32_e32 v29, v60
	;; [unrolled: 1-line block ×4, first 2 shown]
.LBB79_143:
	s_or_b32 exec_lo, exec_lo, s8
	v_dual_mov_b32 v0, s20 :: v_dual_mov_b32 v1, s21
	s_mov_b32 s8, exec_lo
	flat_load_b32 v0, v[0:1] offset:8
	s_waitcnt vmcnt(0) lgkmcnt(0)
	v_add_nc_u32_e32 v0, -1, v0
	s_delay_alu instid0(VALU_DEP_1)
	v_cmpx_ne_u32_e32 2, v0
	s_cbranch_execz .LBB79_145
; %bb.144:
	v_cmp_eq_u32_e32 vcc_lo, 1, v0
	v_cmp_eq_u32_e64 s0, 2, v0
	v_cmp_eq_u32_e64 s1, 3, v0
	;; [unrolled: 1-line block ×4, first 2 shown]
	v_dual_cndmask_b32 v1, v2, v4 :: v_dual_cndmask_b32 v34, v3, v5
	v_cmp_eq_u32_e64 s4, 6, v0
	v_cmp_eq_u32_e64 s5, 7, v0
	;; [unrolled: 1-line block ×3, first 2 shown]
	s_delay_alu instid0(VALU_DEP_4)
	v_cndmask_b32_e64 v1, v1, v6, s0
	v_cndmask_b32_e64 v34, v34, v7, s0
	v_cmp_eq_u32_e64 s7, 8, v0
	v_cndmask_b32_e32 v36, v5, v7, vcc_lo
	v_cndmask_b32_e64 v40, v9, v7, s1
	v_cndmask_b32_e64 v1, v1, v8, s1
	;; [unrolled: 1-line block ×9, first 2 shown]
	v_cmp_eq_u32_e64 s1, 10, v0
	v_cndmask_b32_e64 v43, v12, v6, s3
	v_cndmask_b32_e64 v1, v1, v12, s3
	;; [unrolled: 1-line block ×3, first 2 shown]
	v_cmp_eq_u32_e64 s2, 11, v0
	v_cmp_eq_u32_e64 s3, 12, v0
	v_cndmask_b32_e64 v46, v15, v7, s4
	v_cndmask_b32_e64 v1, v1, v14, s4
	;; [unrolled: 1-line block ×8, first 2 shown]
	v_cndmask_b32_e32 v35, v4, v6, vcc_lo
	v_cmp_eq_u32_e32 vcc_lo, 9, v0
	v_cndmask_b32_e64 v47, v16, v6, s5
	v_cndmask_b32_e64 v1, v1, v18, s7
	;; [unrolled: 1-line block ×5, first 2 shown]
	v_dual_cndmask_b32 v51, v20, v6 :: v_dual_cndmask_b32 v52, v21, v7
	s_delay_alu instid0(VALU_DEP_4)
	v_cndmask_b32_e32 v3, v3, v21, vcc_lo
	v_cndmask_b32_e64 v54, v23, v7, s1
	v_cndmask_b32_e64 v53, v22, v6, s1
	;; [unrolled: 1-line block ×6, first 2 shown]
	v_cndmask_b32_e32 v1, v1, v20, vcc_lo
	v_cndmask_b32_e64 v3, v3, v23, s1
	v_cmp_eq_u32_e32 vcc_lo, 13, v0
	s_delay_alu instid0(VALU_DEP_3) | instskip(NEXT) | instid1(VALU_DEP_3)
	v_cndmask_b32_e64 v1, v1, v22, s1
	v_cndmask_b32_e64 v3, v3, v25, s2
	v_cmp_eq_u32_e64 s1, 14, v0
	v_dual_cndmask_b32 v60, v29, v7 :: v_dual_cndmask_b32 v59, v28, v6
	s_delay_alu instid0(VALU_DEP_4) | instskip(SKIP_1) | instid1(VALU_DEP_4)
	v_cndmask_b32_e64 v1, v1, v24, s2
	v_cmp_eq_u32_e64 s2, 15, v0
	v_cndmask_b32_e64 v62, v31, v7, s1
	v_cndmask_b32_e64 v61, v30, v6, s1
	;; [unrolled: 1-line block ×6, first 2 shown]
	s_delay_alu instid0(VALU_DEP_3) | instskip(NEXT) | instid1(VALU_DEP_1)
	v_cndmask_b32_e32 v1, v1, v28, vcc_lo
	v_cndmask_b32_e64 v1, v1, v30, s1
	s_delay_alu instid0(VALU_DEP_1) | instskip(NEXT) | instid1(VALU_DEP_1)
	v_cndmask_b32_e64 v0, v1, v32, s2
	v_cndmask_b32_e64 v37, v0, v6, s0
	v_cndmask_b32_e32 v3, v3, v29, vcc_lo
	s_delay_alu instid0(VALU_DEP_1) | instskip(NEXT) | instid1(VALU_DEP_1)
	v_cndmask_b32_e64 v3, v3, v31, s1
	v_cndmask_b32_e64 v1, v3, v33, s2
	;; [unrolled: 1-line block ×3, first 2 shown]
	s_delay_alu instid0(VALU_DEP_2) | instskip(NEXT) | instid1(VALU_DEP_2)
	v_cndmask_b32_e64 v38, v1, v7, s0
	v_mov_b32_e32 v2, v33
	v_dual_mov_b32 v6, v37 :: v_dual_mov_b32 v3, v34
	v_mov_b32_e32 v10, v41
	v_dual_mov_b32 v4, v35 :: v_dual_mov_b32 v5, v36
	v_dual_mov_b32 v12, v43 :: v_dual_mov_b32 v7, v38
	v_mov_b32_e32 v14, v45
	v_dual_mov_b32 v8, v39 :: v_dual_mov_b32 v9, v40
	v_dual_mov_b32 v16, v47 :: v_dual_mov_b32 v11, v42
	;; [unrolled: 1-line block ×10, first 2 shown]
	v_mov_b32_e32 v29, v60
	v_mov_b32_e32 v31, v62
	;; [unrolled: 1-line block ×3, first 2 shown]
.LBB79_145:
	s_or_b32 exec_lo, exec_lo, s8
	v_dual_mov_b32 v0, s20 :: v_dual_mov_b32 v1, s21
	s_mov_b32 s8, exec_lo
	flat_load_b32 v0, v[0:1] offset:4
	s_waitcnt vmcnt(0) lgkmcnt(0)
	v_add_nc_u32_e32 v0, -1, v0
	s_delay_alu instid0(VALU_DEP_1)
	v_cmpx_ne_u32_e32 1, v0
	s_cbranch_execz .LBB79_147
; %bb.146:
	v_cmp_eq_u32_e32 vcc_lo, 1, v0
	v_cmp_eq_u32_e64 s0, 2, v0
	v_cmp_eq_u32_e64 s1, 3, v0
	;; [unrolled: 1-line block ×4, first 2 shown]
	v_dual_cndmask_b32 v1, v2, v4 :: v_dual_cndmask_b32 v34, v3, v5
	v_cmp_eq_u32_e64 s4, 6, v0
	v_cmp_eq_u32_e64 s5, 7, v0
	;; [unrolled: 1-line block ×3, first 2 shown]
	s_delay_alu instid0(VALU_DEP_4)
	v_cndmask_b32_e64 v1, v1, v6, s0
	v_cndmask_b32_e64 v34, v34, v7, s0
	v_cmp_eq_u32_e64 s7, 8, v0
	v_cndmask_b32_e64 v38, v7, v5, s0
	v_cndmask_b32_e64 v37, v6, v4, s0
	v_cndmask_b32_e64 v1, v1, v8, s1
	v_cndmask_b32_e64 v34, v34, v9, s1
	v_cmp_eq_u32_e64 s0, 9, v0
	v_cndmask_b32_e64 v40, v9, v5, s1
	v_cndmask_b32_e64 v39, v8, v4, s1
	;; [unrolled: 5-line block ×4, first 2 shown]
	v_cndmask_b32_e64 v1, v1, v14, s4
	v_cndmask_b32_e64 v35, v34, v15, s4
	;; [unrolled: 1-line block ×3, first 2 shown]
	v_cmp_eq_u32_e64 s3, 12, v0
	v_cndmask_b32_e64 v52, v21, v5, s0
	v_cndmask_b32_e64 v1, v1, v16, s5
	v_cndmask_b32_e64 v3, v35, v17, s5
	v_cndmask_b32_e64 v51, v20, v4, s0
	v_cndmask_b32_e64 v54, v23, v5, s1
	v_cndmask_b32_e64 v53, v22, v4, s1
	v_cndmask_b32_e64 v1, v1, v18, s7
	v_cndmask_b32_e64 v3, v3, v19, s7
	v_cndmask_b32_e64 v56, v25, v5, s2
	v_cndmask_b32_e64 v55, v24, v4, s2
	v_cndmask_b32_e64 v46, v15, v5, s4
	v_cndmask_b32_e64 v1, v1, v20, s0
	v_cndmask_b32_e64 v3, v3, v21, s0
	v_cmp_eq_u32_e64 s0, 13, v0
	v_cndmask_b32_e64 v45, v14, v4, s4
	v_cndmask_b32_e64 v48, v17, v5, s5
	v_cndmask_b32_e64 v1, v1, v22, s1
	v_cndmask_b32_e64 v3, v3, v23, s1
	v_cmp_eq_u32_e64 s1, 14, v0
	v_cndmask_b32_e64 v47, v16, v4, s5
	v_cndmask_b32_e64 v50, v19, v5, s7
	v_cndmask_b32_e64 v1, v1, v24, s2
	v_cndmask_b32_e64 v3, v3, v25, s2
	;; [unrolled: 5-line block ×3, first 2 shown]
	v_cndmask_b32_e64 v64, v33, v5, s2
	v_cndmask_b32_e64 v57, v26, v4, s3
	;; [unrolled: 1-line block ×11, first 2 shown]
	s_delay_alu instid0(VALU_DEP_3) | instskip(NEXT) | instid1(VALU_DEP_3)
	v_cndmask_b32_e64 v0, v1, v32, s2
	v_cndmask_b32_e64 v1, v3, v33, s2
	;; [unrolled: 1-line block ×3, first 2 shown]
	s_delay_alu instid0(VALU_DEP_2) | instskip(NEXT) | instid1(VALU_DEP_2)
	v_dual_cndmask_b32 v35, v0, v4 :: v_dual_cndmask_b32 v36, v1, v5
	v_mov_b32_e32 v2, v33
	v_mov_b32_e32 v3, v34
	v_dual_mov_b32 v7, v38 :: v_dual_mov_b32 v8, v39
	s_delay_alu instid0(VALU_DEP_4)
	v_dual_mov_b32 v4, v35 :: v_dual_mov_b32 v5, v36
	v_dual_mov_b32 v6, v37 :: v_dual_mov_b32 v9, v40
	;; [unrolled: 1-line block ×14, first 2 shown]
.LBB79_147:
	s_or_b32 exec_lo, exec_lo, s8
	v_dual_mov_b32 v0, s20 :: v_dual_mov_b32 v1, s21
	s_mov_b32 s6, exec_lo
	flat_load_b32 v0, v[0:1]
	s_waitcnt vmcnt(0) lgkmcnt(0)
	v_add_nc_u32_e32 v0, -1, v0
	s_delay_alu instid0(VALU_DEP_1)
	v_cmpx_ne_u32_e32 0, v0
	s_cbranch_execz .LBB79_149
; %bb.148:
	v_cmp_eq_u32_e32 vcc_lo, 1, v0
	v_cmp_eq_u32_e64 s0, 2, v0
	v_cmp_eq_u32_e64 s1, 3, v0
	;; [unrolled: 1-line block ×4, first 2 shown]
	v_dual_cndmask_b32 v1, v2, v4 :: v_dual_cndmask_b32 v34, v3, v5
	v_cmp_eq_u32_e64 s4, 6, v0
	v_cmp_eq_u32_e64 s5, 7, v0
	v_cndmask_b32_e64 v36, v7, v3, s0
	s_delay_alu instid0(VALU_DEP_4)
	v_cndmask_b32_e64 v1, v1, v6, s0
	v_cndmask_b32_e64 v34, v34, v7, s0
	v_cndmask_b32_e64 v35, v6, v2, s0
	v_cmp_eq_u32_e64 s0, 8, v0
	v_cndmask_b32_e64 v38, v9, v3, s1
	v_cndmask_b32_e64 v1, v1, v8, s1
	v_cndmask_b32_e64 v34, v34, v9, s1
	v_cndmask_b32_e64 v37, v8, v2, s1
	v_cmp_eq_u32_e64 s1, 9, v0
	v_cndmask_b32_e64 v40, v11, v3, s2
	;; [unrolled: 5-line block ×5, first 2 shown]
	v_cndmask_b32_e64 v1, v1, v16, s5
	v_cndmask_b32_e64 v6, v34, v17, s5
	v_cndmask_b32_e32 v34, v5, v3, vcc_lo
	v_cndmask_b32_e64 v47, v18, v2, s0
	v_cndmask_b32_e64 v50, v21, v3, s1
	v_cndmask_b32_e64 v1, v1, v18, s0
	v_cndmask_b32_e64 v5, v6, v19, s0
	v_cmp_eq_u32_e64 s0, 13, v0
	v_cndmask_b32_e64 v49, v20, v2, s1
	v_cndmask_b32_e64 v52, v23, v3, s2
	v_cndmask_b32_e64 v1, v1, v20, s1
	v_cndmask_b32_e64 v5, v5, v21, s1
	v_cmp_eq_u32_e64 s1, 14, v0
	;; [unrolled: 5-line block ×3, first 2 shown]
	v_cndmask_b32_e64 v57, v28, v2, s0
	v_cndmask_b32_e64 v60, v31, v3, s1
	v_cndmask_b32_e64 v1, v1, v24, s3
	v_cndmask_b32_e64 v5, v5, v25, s3
	v_cndmask_b32_e64 v46, v17, v3, s5
	v_cndmask_b32_e64 v45, v16, v2, s5
	v_cndmask_b32_e64 v54, v25, v3, s3
	v_cndmask_b32_e64 v1, v1, v26, s4
	v_cndmask_b32_e64 v5, v5, v27, s4
	v_cndmask_b32_e64 v53, v24, v2, s3
	v_cndmask_b32_e64 v56, v27, v3, s4
	v_cndmask_b32_e64 v55, v26, v2, s4
	v_cndmask_b32_e64 v1, v1, v28, s0
	v_cndmask_b32_e64 v5, v5, v29, s0
	v_cmp_eq_u32_e64 s0, 0, v0
	v_cndmask_b32_e64 v59, v30, v2, s1
	v_cndmask_b32_e64 v62, v33, v3, s2
	;; [unrolled: 1-line block ×5, first 2 shown]
	s_delay_alu instid0(VALU_DEP_3) | instskip(NEXT) | instid1(VALU_DEP_3)
	v_cndmask_b32_e64 v1, v1, v32, s2
	v_cndmask_b32_e64 v5, v5, v33, s2
	v_cndmask_b32_e32 v33, v4, v2, vcc_lo
	s_delay_alu instid0(VALU_DEP_3) | instskip(NEXT) | instid1(VALU_DEP_3)
	v_cndmask_b32_e64 v31, v1, v2, s0
	v_cndmask_b32_e64 v32, v5, v3, s0
	s_delay_alu instid0(VALU_DEP_2) | instskip(NEXT) | instid1(VALU_DEP_2)
	v_mov_b32_e32 v2, v31
	v_dual_mov_b32 v3, v32 :: v_dual_mov_b32 v4, v33
	v_dual_mov_b32 v5, v34 :: v_dual_mov_b32 v6, v35
	;; [unrolled: 1-line block ×14, first 2 shown]
	v_mov_b32_e32 v31, v60
	v_mov_b32_e32 v32, v61
	;; [unrolled: 1-line block ×3, first 2 shown]
.LBB79_149:
	s_or_b32 exec_lo, exec_lo, s6
.LBB79_150:
	s_clause 0xf
	global_store_b64 v[65:66], v[2:3], off
	global_store_b64 v[67:68], v[4:5], off
	;; [unrolled: 1-line block ×16, first 2 shown]
	s_nop 0
	s_sendmsg sendmsg(MSG_DEALLOC_VGPRS)
	s_endpgm
	.section	.rodata,"a",@progbits
	.p2align	6, 0x0
	.amdhsa_kernel _ZN9rocsolver6v33100L18getri_kernel_smallILi16EdPKPdEEvT1_iilPiilS6_bb
		.amdhsa_group_segment_fixed_size 264
		.amdhsa_private_segment_fixed_size 0
		.amdhsa_kernarg_size 60
		.amdhsa_user_sgpr_count 15
		.amdhsa_user_sgpr_dispatch_ptr 0
		.amdhsa_user_sgpr_queue_ptr 0
		.amdhsa_user_sgpr_kernarg_segment_ptr 1
		.amdhsa_user_sgpr_dispatch_id 0
		.amdhsa_user_sgpr_private_segment_size 0
		.amdhsa_wavefront_size32 1
		.amdhsa_uses_dynamic_stack 0
		.amdhsa_enable_private_segment 0
		.amdhsa_system_sgpr_workgroup_id_x 1
		.amdhsa_system_sgpr_workgroup_id_y 0
		.amdhsa_system_sgpr_workgroup_id_z 0
		.amdhsa_system_sgpr_workgroup_info 0
		.amdhsa_system_vgpr_workitem_id 0
		.amdhsa_next_free_vgpr 97
		.amdhsa_next_free_sgpr 24
		.amdhsa_reserve_vcc 1
		.amdhsa_float_round_mode_32 0
		.amdhsa_float_round_mode_16_64 0
		.amdhsa_float_denorm_mode_32 3
		.amdhsa_float_denorm_mode_16_64 3
		.amdhsa_dx10_clamp 1
		.amdhsa_ieee_mode 1
		.amdhsa_fp16_overflow 0
		.amdhsa_workgroup_processor_mode 1
		.amdhsa_memory_ordered 1
		.amdhsa_forward_progress 0
		.amdhsa_shared_vgpr_count 0
		.amdhsa_exception_fp_ieee_invalid_op 0
		.amdhsa_exception_fp_denorm_src 0
		.amdhsa_exception_fp_ieee_div_zero 0
		.amdhsa_exception_fp_ieee_overflow 0
		.amdhsa_exception_fp_ieee_underflow 0
		.amdhsa_exception_fp_ieee_inexact 0
		.amdhsa_exception_int_div_zero 0
	.end_amdhsa_kernel
	.section	.text._ZN9rocsolver6v33100L18getri_kernel_smallILi16EdPKPdEEvT1_iilPiilS6_bb,"axG",@progbits,_ZN9rocsolver6v33100L18getri_kernel_smallILi16EdPKPdEEvT1_iilPiilS6_bb,comdat
.Lfunc_end79:
	.size	_ZN9rocsolver6v33100L18getri_kernel_smallILi16EdPKPdEEvT1_iilPiilS6_bb, .Lfunc_end79-_ZN9rocsolver6v33100L18getri_kernel_smallILi16EdPKPdEEvT1_iilPiilS6_bb
                                        ; -- End function
	.section	.AMDGPU.csdata,"",@progbits
; Kernel info:
; codeLenInByte = 30536
; NumSgprs: 26
; NumVgprs: 97
; ScratchSize: 0
; MemoryBound: 0
; FloatMode: 240
; IeeeMode: 1
; LDSByteSize: 264 bytes/workgroup (compile time only)
; SGPRBlocks: 3
; VGPRBlocks: 12
; NumSGPRsForWavesPerEU: 26
; NumVGPRsForWavesPerEU: 97
; Occupancy: 12
; WaveLimiterHint : 1
; COMPUTE_PGM_RSRC2:SCRATCH_EN: 0
; COMPUTE_PGM_RSRC2:USER_SGPR: 15
; COMPUTE_PGM_RSRC2:TRAP_HANDLER: 0
; COMPUTE_PGM_RSRC2:TGID_X_EN: 1
; COMPUTE_PGM_RSRC2:TGID_Y_EN: 0
; COMPUTE_PGM_RSRC2:TGID_Z_EN: 0
; COMPUTE_PGM_RSRC2:TIDIG_COMP_CNT: 0
	.section	.text._ZN9rocsolver6v33100L18getri_kernel_smallILi17EdPKPdEEvT1_iilPiilS6_bb,"axG",@progbits,_ZN9rocsolver6v33100L18getri_kernel_smallILi17EdPKPdEEvT1_iilPiilS6_bb,comdat
	.globl	_ZN9rocsolver6v33100L18getri_kernel_smallILi17EdPKPdEEvT1_iilPiilS6_bb ; -- Begin function _ZN9rocsolver6v33100L18getri_kernel_smallILi17EdPKPdEEvT1_iilPiilS6_bb
	.p2align	8
	.type	_ZN9rocsolver6v33100L18getri_kernel_smallILi17EdPKPdEEvT1_iilPiilS6_bb,@function
_ZN9rocsolver6v33100L18getri_kernel_smallILi17EdPKPdEEvT1_iilPiilS6_bb: ; @_ZN9rocsolver6v33100L18getri_kernel_smallILi17EdPKPdEEvT1_iilPiilS6_bb
; %bb.0:
	s_mov_b32 s2, exec_lo
	v_cmpx_gt_u32_e32 17, v0
	s_cbranch_execz .LBB80_78
; %bb.1:
	s_clause 0x1
	s_load_b32 s13, s[0:1], 0x38
	s_load_b64 s[2:3], s[0:1], 0x0
	s_mov_b32 s8, s15
	s_load_b128 s[4:7], s[0:1], 0x28
	s_waitcnt lgkmcnt(0)
	s_bitcmp1_b32 s13, 8
	s_cselect_b32 s12, -1, 0
	s_ashr_i32 s9, s15, 31
	s_delay_alu instid0(SALU_CYCLE_1) | instskip(NEXT) | instid1(SALU_CYCLE_1)
	s_lshl_b64 s[10:11], s[8:9], 3
	s_add_u32 s2, s2, s10
	s_addc_u32 s3, s3, s11
	s_load_b64 s[10:11], s[2:3], 0x0
	s_bfe_u32 s2, s13, 0x10008
	s_delay_alu instid0(SALU_CYCLE_1)
	s_cmp_eq_u32 s2, 0
                                        ; implicit-def: $sgpr2_sgpr3
	s_cbranch_scc1 .LBB80_3
; %bb.2:
	s_clause 0x1
	s_load_b32 s2, s[0:1], 0x20
	s_load_b64 s[14:15], s[0:1], 0x18
	s_mul_i32 s3, s8, s5
	s_mul_hi_u32 s5, s8, s4
	s_mul_i32 s16, s9, s4
	s_add_i32 s3, s5, s3
	s_mul_i32 s4, s8, s4
	s_add_i32 s5, s3, s16
	s_delay_alu instid0(SALU_CYCLE_1)
	s_lshl_b64 s[4:5], s[4:5], 2
	s_waitcnt lgkmcnt(0)
	s_ashr_i32 s3, s2, 31
	s_add_u32 s4, s14, s4
	s_addc_u32 s5, s15, s5
	s_lshl_b64 s[2:3], s[2:3], 2
	s_delay_alu instid0(SALU_CYCLE_1)
	s_add_u32 s2, s4, s2
	s_addc_u32 s3, s5, s3
.LBB80_3:
	s_load_b64 s[0:1], s[0:1], 0x8
	v_lshlrev_b32_e32 v3, 3, v0
	s_waitcnt lgkmcnt(0)
	v_add3_u32 v1, s1, s1, v0
	s_ashr_i32 s5, s0, 31
	s_mov_b32 s4, s0
	s_mov_b32 s14, s1
	s_lshl_b64 s[4:5], s[4:5], 3
	v_add_nc_u32_e32 v8, s1, v1
	v_ashrrev_i32_e32 v2, 31, v1
	s_add_u32 s4, s10, s4
	s_addc_u32 s5, s11, s5
	v_add_co_u32 v4, s0, s4, v3
	v_add_nc_u32_e32 v10, s1, v8
	s_ashr_i32 s15, s1, 31
	v_add_co_ci_u32_e64 v5, null, s5, 0, s0
	v_lshlrev_b64 v[1:2], 3, v[1:2]
	s_delay_alu instid0(VALU_DEP_3)
	v_add_nc_u32_e32 v14, s1, v10
	v_ashrrev_i32_e32 v9, 31, v8
	s_lshl_b64 s[10:11], s[14:15], 3
	v_ashrrev_i32_e32 v11, 31, v10
	v_add_co_u32 v6, vcc_lo, v4, s10
	v_add_nc_u32_e32 v16, s1, v14
	v_add_co_ci_u32_e32 v7, vcc_lo, s11, v5, vcc_lo
	v_lshlrev_b64 v[12:13], 3, v[8:9]
	v_add_co_u32 v8, vcc_lo, s4, v1
	v_add_co_ci_u32_e32 v9, vcc_lo, s5, v2, vcc_lo
	v_lshlrev_b64 v[1:2], 3, v[10:11]
	v_ashrrev_i32_e32 v15, 31, v14
	v_add_nc_u32_e32 v18, s1, v16
	v_add_co_u32 v10, vcc_lo, s4, v12
	v_ashrrev_i32_e32 v17, 31, v16
	v_add_co_ci_u32_e32 v11, vcc_lo, s5, v13, vcc_lo
	v_lshlrev_b64 v[14:15], 3, v[14:15]
	v_add_co_u32 v12, vcc_lo, s4, v1
	v_add_nc_u32_e32 v20, s1, v18
	v_add_co_ci_u32_e32 v13, vcc_lo, s5, v2, vcc_lo
	v_lshlrev_b64 v[1:2], 3, v[16:17]
	v_ashrrev_i32_e32 v19, 31, v18
	v_add_co_u32 v14, vcc_lo, s4, v14
	v_ashrrev_i32_e32 v21, 31, v20
	v_add_nc_u32_e32 v22, s1, v20
	v_add_co_ci_u32_e32 v15, vcc_lo, s5, v15, vcc_lo
	v_lshlrev_b64 v[18:19], 3, v[18:19]
	v_add_co_u32 v16, vcc_lo, s4, v1
	v_add_co_ci_u32_e32 v17, vcc_lo, s5, v2, vcc_lo
	v_lshlrev_b64 v[1:2], 3, v[20:21]
	v_add_nc_u32_e32 v24, s1, v22
	v_add_co_u32 v18, vcc_lo, s4, v18
	v_ashrrev_i32_e32 v23, 31, v22
	v_add_co_ci_u32_e32 v19, vcc_lo, s5, v19, vcc_lo
	v_add_co_u32 v20, vcc_lo, s4, v1
	v_add_nc_u32_e32 v26, s1, v24
	v_add_co_ci_u32_e32 v21, vcc_lo, s5, v2, vcc_lo
	v_lshlrev_b64 v[1:2], 3, v[22:23]
	v_ashrrev_i32_e32 v25, 31, v24
	s_delay_alu instid0(VALU_DEP_4)
	v_ashrrev_i32_e32 v27, 31, v26
	v_add_nc_u32_e32 v28, s1, v26
	s_clause 0x4
	global_load_b64 v[38:39], v3, s[4:5]
	global_load_b64 v[40:41], v[6:7], off
	global_load_b64 v[42:43], v[8:9], off
	;; [unrolled: 1-line block ×4, first 2 shown]
	v_lshlrev_b64 v[24:25], 3, v[24:25]
	v_add_co_u32 v22, vcc_lo, s4, v1
	v_add_co_ci_u32_e32 v23, vcc_lo, s5, v2, vcc_lo
	v_lshlrev_b64 v[1:2], 3, v[26:27]
	v_add_nc_u32_e32 v31, s1, v28
	v_ashrrev_i32_e32 v29, 31, v28
	v_add_co_u32 v24, vcc_lo, s4, v24
	v_add_co_ci_u32_e32 v25, vcc_lo, s5, v25, vcc_lo
	v_add_co_u32 v26, vcc_lo, s4, v1
	v_add_nc_u32_e32 v1, s1, v31
	v_lshlrev_b64 v[29:30], 3, v[28:29]
	v_ashrrev_i32_e32 v32, 31, v31
	v_add_co_ci_u32_e32 v27, vcc_lo, s5, v2, vcc_lo
	s_delay_alu instid0(VALU_DEP_4)
	v_add_nc_u32_e32 v34, s1, v1
	v_ashrrev_i32_e32 v2, 31, v1
	v_add_co_u32 v28, vcc_lo, s4, v29
	v_add_co_ci_u32_e32 v29, vcc_lo, s5, v30, vcc_lo
	v_lshlrev_b64 v[30:31], 3, v[31:32]
	v_add_nc_u32_e32 v64, s1, v34
	v_lshlrev_b64 v[1:2], 3, v[1:2]
	v_ashrrev_i32_e32 v35, 31, v34
	s_clause 0x7
	global_load_b64 v[48:49], v[14:15], off
	global_load_b64 v[50:51], v[16:17], off
	;; [unrolled: 1-line block ×8, first 2 shown]
	v_add_co_u32 v32, vcc_lo, s4, v30
	v_ashrrev_i32_e32 v65, 31, v64
	v_add_co_ci_u32_e32 v33, vcc_lo, s5, v31, vcc_lo
	v_lshlrev_b64 v[30:31], 3, v[34:35]
	v_add_co_u32 v36, vcc_lo, s4, v1
	v_add_co_ci_u32_e32 v37, vcc_lo, s5, v2, vcc_lo
	v_lshlrev_b64 v[1:2], 3, v[64:65]
	s_delay_alu instid0(VALU_DEP_4) | instskip(SKIP_2) | instid1(VALU_DEP_3)
	v_add_co_u32 v30, vcc_lo, s4, v30
	v_add_co_ci_u32_e32 v31, vcc_lo, s5, v31, vcc_lo
	s_bitcmp0_b32 s13, 0
	v_add_co_u32 v34, vcc_lo, s4, v1
	s_delay_alu instid0(VALU_DEP_4)
	v_add_co_ci_u32_e32 v35, vcc_lo, s5, v2, vcc_lo
	s_clause 0x3
	global_load_b64 v[64:65], v[32:33], off
	global_load_b64 v[66:67], v[36:37], off
	;; [unrolled: 1-line block ×4, first 2 shown]
	s_mov_b32 s1, -1
	s_waitcnt vmcnt(15)
	scratch_store_b128 off, v[38:41], off
	s_waitcnt vmcnt(13)
	scratch_store_b128 off, v[42:45], off offset:16
	s_waitcnt vmcnt(11)
	scratch_store_b128 off, v[46:49], off offset:32
	;; [unrolled: 2-line block ×7, first 2 shown]
	s_waitcnt vmcnt(0)
	scratch_store_b64 off, v[1:2], off offset:128
	s_cbranch_scc1 .LBB80_76
; %bb.4:
	v_cmp_eq_u32_e64 s0, 0, v0
	s_delay_alu instid0(VALU_DEP_1)
	s_and_saveexec_b32 s1, s0
	s_cbranch_execz .LBB80_6
; %bb.5:
	v_mov_b32_e32 v1, 0
	ds_store_b32 v1, v1 offset:136
.LBB80_6:
	s_or_b32 exec_lo, exec_lo, s1
	s_waitcnt lgkmcnt(0)
	s_waitcnt_vscnt null, 0x0
	s_barrier
	buffer_gl0_inv
	scratch_load_b64 v[1:2], v3, off
	s_mov_b32 s4, exec_lo
	s_waitcnt vmcnt(0)
	v_cmpx_eq_f64_e32 0, v[1:2]
	s_cbranch_execz .LBB80_10
; %bb.7:
	v_mov_b32_e32 v1, 0
	s_mov_b32 s5, 0
	ds_load_b32 v2, v1 offset:136
	s_waitcnt lgkmcnt(0)
	v_readfirstlane_b32 s1, v2
	v_add_nc_u32_e32 v2, 1, v0
	s_delay_alu instid0(VALU_DEP_2) | instskip(NEXT) | instid1(VALU_DEP_1)
	s_cmp_eq_u32 s1, 0
	v_cmp_gt_i32_e32 vcc_lo, s1, v2
	s_cselect_b32 s10, -1, 0
	s_delay_alu instid0(SALU_CYCLE_1) | instskip(NEXT) | instid1(SALU_CYCLE_1)
	s_or_b32 s10, s10, vcc_lo
	s_and_b32 exec_lo, exec_lo, s10
	s_cbranch_execz .LBB80_10
; %bb.8:
	v_mov_b32_e32 v38, s1
.LBB80_9:                               ; =>This Inner Loop Header: Depth=1
	ds_cmpstore_rtn_b32 v38, v1, v2, v38 offset:136
	s_waitcnt lgkmcnt(0)
	v_cmp_ne_u32_e32 vcc_lo, 0, v38
	v_cmp_le_i32_e64 s1, v38, v2
	s_delay_alu instid0(VALU_DEP_1) | instskip(NEXT) | instid1(SALU_CYCLE_1)
	s_and_b32 s1, vcc_lo, s1
	s_and_b32 s1, exec_lo, s1
	s_delay_alu instid0(SALU_CYCLE_1) | instskip(NEXT) | instid1(SALU_CYCLE_1)
	s_or_b32 s5, s1, s5
	s_and_not1_b32 exec_lo, exec_lo, s5
	s_cbranch_execnz .LBB80_9
.LBB80_10:
	s_or_b32 exec_lo, exec_lo, s4
	v_mov_b32_e32 v1, 0
	s_barrier
	buffer_gl0_inv
	ds_load_b32 v2, v1 offset:136
	s_and_saveexec_b32 s1, s0
	s_cbranch_execz .LBB80_12
; %bb.11:
	s_lshl_b64 s[4:5], s[8:9], 2
	s_delay_alu instid0(SALU_CYCLE_1)
	s_add_u32 s4, s6, s4
	s_addc_u32 s5, s7, s5
	s_waitcnt lgkmcnt(0)
	global_store_b32 v1, v2, s[4:5]
.LBB80_12:
	s_or_b32 exec_lo, exec_lo, s1
	s_waitcnt lgkmcnt(0)
	v_cmp_ne_u32_e32 vcc_lo, 0, v2
	s_mov_b32 s1, 0
	s_cbranch_vccnz .LBB80_76
; %bb.13:
	v_add_nc_u32_e32 v38, 0, v3
	scratch_load_b64 v[1:2], v38, off
	s_waitcnt vmcnt(0)
	v_div_scale_f64 v[39:40], null, v[1:2], v[1:2], 1.0
	v_div_scale_f64 v[45:46], vcc_lo, 1.0, v[1:2], 1.0
	s_delay_alu instid0(VALU_DEP_2) | instskip(SKIP_2) | instid1(VALU_DEP_1)
	v_rcp_f64_e32 v[41:42], v[39:40]
	s_waitcnt_depctr 0xfff
	v_fma_f64 v[43:44], -v[39:40], v[41:42], 1.0
	v_fma_f64 v[41:42], v[41:42], v[43:44], v[41:42]
	s_delay_alu instid0(VALU_DEP_1) | instskip(NEXT) | instid1(VALU_DEP_1)
	v_fma_f64 v[43:44], -v[39:40], v[41:42], 1.0
	v_fma_f64 v[41:42], v[41:42], v[43:44], v[41:42]
	s_delay_alu instid0(VALU_DEP_1) | instskip(NEXT) | instid1(VALU_DEP_1)
	v_mul_f64 v[43:44], v[45:46], v[41:42]
	v_fma_f64 v[39:40], -v[39:40], v[43:44], v[45:46]
	s_delay_alu instid0(VALU_DEP_1) | instskip(NEXT) | instid1(VALU_DEP_1)
	v_div_fmas_f64 v[39:40], v[39:40], v[41:42], v[43:44]
	v_div_fixup_f64 v[1:2], v[39:40], v[1:2], 1.0
	v_add_nc_u32_e32 v39, 0x90, v3
	scratch_store_b64 v38, v[1:2], off
	scratch_load_b64 v[40:41], off, off offset:8
	v_xor_b32_e32 v2, 0x80000000, v2
	s_waitcnt vmcnt(0)
	ds_store_2addr_b64 v3, v[1:2], v[40:41] offset1:18
	s_waitcnt lgkmcnt(0)
	s_waitcnt_vscnt null, 0x0
	s_barrier
	buffer_gl0_inv
	s_and_saveexec_b32 s1, s0
	s_cbranch_execz .LBB80_15
; %bb.14:
	scratch_load_b64 v[1:2], v38, off
	ds_load_b64 v[40:41], v39
	s_waitcnt vmcnt(0) lgkmcnt(0)
	v_fma_f64 v[1:2], v[1:2], v[40:41], 0
	v_mov_b32_e32 v40, 0
	ds_load_b64 v[40:41], v40 offset:8
	s_waitcnt lgkmcnt(0)
	v_mul_f64 v[1:2], v[1:2], v[40:41]
	scratch_store_b64 off, v[1:2], off offset:8
.LBB80_15:
	s_or_b32 exec_lo, exec_lo, s1
	s_waitcnt_vscnt null, 0x0
	s_barrier
	buffer_gl0_inv
	scratch_load_b64 v[1:2], off, off offset:16
	s_mov_b32 s1, exec_lo
	s_waitcnt vmcnt(0)
	ds_store_b64 v39, v[1:2]
	s_waitcnt lgkmcnt(0)
	s_barrier
	buffer_gl0_inv
	v_cmpx_gt_u32_e32 2, v0
	s_cbranch_execz .LBB80_19
; %bb.16:
	scratch_load_b64 v[1:2], v38, off
	ds_load_b64 v[40:41], v39
	s_waitcnt vmcnt(0) lgkmcnt(0)
	v_fma_f64 v[1:2], v[1:2], v[40:41], 0
	s_and_saveexec_b32 s4, s0
	s_cbranch_execz .LBB80_18
; %bb.17:
	scratch_load_b64 v[40:41], off, off offset:8
	v_mov_b32_e32 v42, 0
	ds_load_b64 v[42:43], v42 offset:152
	s_waitcnt vmcnt(0) lgkmcnt(0)
	v_fma_f64 v[1:2], v[40:41], v[42:43], v[1:2]
.LBB80_18:
	s_or_b32 exec_lo, exec_lo, s4
	v_mov_b32_e32 v40, 0
	ds_load_b64 v[40:41], v40 offset:16
	s_waitcnt lgkmcnt(0)
	v_mul_f64 v[1:2], v[1:2], v[40:41]
	scratch_store_b64 off, v[1:2], off offset:16
.LBB80_19:
	s_or_b32 exec_lo, exec_lo, s1
	s_waitcnt_vscnt null, 0x0
	s_barrier
	buffer_gl0_inv
	scratch_load_b64 v[1:2], off, off offset:24
	v_add_nc_u32_e32 v40, -1, v0
	s_mov_b32 s0, exec_lo
	s_waitcnt vmcnt(0)
	ds_store_b64 v39, v[1:2]
	s_waitcnt lgkmcnt(0)
	s_barrier
	buffer_gl0_inv
	v_cmpx_gt_u32_e32 3, v0
	s_cbranch_execz .LBB80_23
; %bb.20:
	v_dual_mov_b32 v1, 0 :: v_dual_add_nc_u32 v42, 0x90, v3
	v_dual_mov_b32 v2, 0 :: v_dual_add_nc_u32 v41, -1, v0
	v_add_nc_u32_e32 v43, 0, v3
	s_mov_b32 s1, 0
.LBB80_21:                              ; =>This Inner Loop Header: Depth=1
	scratch_load_b64 v[44:45], v43, off
	ds_load_b64 v[46:47], v42
	v_add_nc_u32_e32 v41, 1, v41
	v_add_nc_u32_e32 v42, 8, v42
	v_add_nc_u32_e32 v43, 8, v43
	s_delay_alu instid0(VALU_DEP_3)
	v_cmp_lt_u32_e32 vcc_lo, 1, v41
	s_or_b32 s1, vcc_lo, s1
	s_waitcnt vmcnt(0) lgkmcnt(0)
	v_fma_f64 v[1:2], v[44:45], v[46:47], v[1:2]
	s_and_not1_b32 exec_lo, exec_lo, s1
	s_cbranch_execnz .LBB80_21
; %bb.22:
	s_or_b32 exec_lo, exec_lo, s1
	v_mov_b32_e32 v41, 0
	ds_load_b64 v[41:42], v41 offset:24
	s_waitcnt lgkmcnt(0)
	v_mul_f64 v[1:2], v[1:2], v[41:42]
	scratch_store_b64 off, v[1:2], off offset:24
.LBB80_23:
	s_or_b32 exec_lo, exec_lo, s0
	s_waitcnt_vscnt null, 0x0
	s_barrier
	buffer_gl0_inv
	scratch_load_b64 v[1:2], off, off offset:32
	s_mov_b32 s0, exec_lo
	s_waitcnt vmcnt(0)
	ds_store_b64 v39, v[1:2]
	s_waitcnt lgkmcnt(0)
	s_barrier
	buffer_gl0_inv
	v_cmpx_gt_u32_e32 4, v0
	s_cbranch_execz .LBB80_27
; %bb.24:
	v_dual_mov_b32 v1, 0 :: v_dual_add_nc_u32 v42, 0x90, v3
	v_dual_mov_b32 v2, 0 :: v_dual_add_nc_u32 v41, -1, v0
	v_add_nc_u32_e32 v43, 0, v3
	s_mov_b32 s1, 0
.LBB80_25:                              ; =>This Inner Loop Header: Depth=1
	scratch_load_b64 v[44:45], v43, off
	ds_load_b64 v[46:47], v42
	v_add_nc_u32_e32 v41, 1, v41
	v_add_nc_u32_e32 v42, 8, v42
	v_add_nc_u32_e32 v43, 8, v43
	s_delay_alu instid0(VALU_DEP_3)
	v_cmp_lt_u32_e32 vcc_lo, 2, v41
	s_or_b32 s1, vcc_lo, s1
	s_waitcnt vmcnt(0) lgkmcnt(0)
	v_fma_f64 v[1:2], v[44:45], v[46:47], v[1:2]
	s_and_not1_b32 exec_lo, exec_lo, s1
	s_cbranch_execnz .LBB80_25
; %bb.26:
	s_or_b32 exec_lo, exec_lo, s1
	v_mov_b32_e32 v41, 0
	ds_load_b64 v[41:42], v41 offset:32
	s_waitcnt lgkmcnt(0)
	v_mul_f64 v[1:2], v[1:2], v[41:42]
	scratch_store_b64 off, v[1:2], off offset:32
.LBB80_27:
	s_or_b32 exec_lo, exec_lo, s0
	s_waitcnt_vscnt null, 0x0
	s_barrier
	buffer_gl0_inv
	scratch_load_b64 v[1:2], off, off offset:40
	s_mov_b32 s0, exec_lo
	s_waitcnt vmcnt(0)
	ds_store_b64 v39, v[1:2]
	s_waitcnt lgkmcnt(0)
	s_barrier
	buffer_gl0_inv
	v_cmpx_gt_u32_e32 5, v0
	s_cbranch_execz .LBB80_31
; %bb.28:
	v_dual_mov_b32 v1, 0 :: v_dual_add_nc_u32 v42, 0x90, v3
	v_dual_mov_b32 v2, 0 :: v_dual_add_nc_u32 v41, -1, v0
	v_add_nc_u32_e32 v43, 0, v3
	s_mov_b32 s1, 0
.LBB80_29:                              ; =>This Inner Loop Header: Depth=1
	scratch_load_b64 v[44:45], v43, off
	ds_load_b64 v[46:47], v42
	v_add_nc_u32_e32 v41, 1, v41
	v_add_nc_u32_e32 v42, 8, v42
	v_add_nc_u32_e32 v43, 8, v43
	s_delay_alu instid0(VALU_DEP_3)
	v_cmp_lt_u32_e32 vcc_lo, 3, v41
	s_or_b32 s1, vcc_lo, s1
	s_waitcnt vmcnt(0) lgkmcnt(0)
	v_fma_f64 v[1:2], v[44:45], v[46:47], v[1:2]
	s_and_not1_b32 exec_lo, exec_lo, s1
	s_cbranch_execnz .LBB80_29
; %bb.30:
	s_or_b32 exec_lo, exec_lo, s1
	v_mov_b32_e32 v41, 0
	ds_load_b64 v[41:42], v41 offset:40
	s_waitcnt lgkmcnt(0)
	v_mul_f64 v[1:2], v[1:2], v[41:42]
	scratch_store_b64 off, v[1:2], off offset:40
.LBB80_31:
	s_or_b32 exec_lo, exec_lo, s0
	s_waitcnt_vscnt null, 0x0
	s_barrier
	buffer_gl0_inv
	scratch_load_b64 v[1:2], off, off offset:48
	s_mov_b32 s0, exec_lo
	s_waitcnt vmcnt(0)
	ds_store_b64 v39, v[1:2]
	s_waitcnt lgkmcnt(0)
	s_barrier
	buffer_gl0_inv
	v_cmpx_gt_u32_e32 6, v0
	s_cbranch_execz .LBB80_35
; %bb.32:
	v_dual_mov_b32 v1, 0 :: v_dual_add_nc_u32 v42, 0x90, v3
	v_dual_mov_b32 v2, 0 :: v_dual_add_nc_u32 v41, -1, v0
	v_add_nc_u32_e32 v43, 0, v3
	s_mov_b32 s1, 0
.LBB80_33:                              ; =>This Inner Loop Header: Depth=1
	scratch_load_b64 v[44:45], v43, off
	ds_load_b64 v[46:47], v42
	v_add_nc_u32_e32 v41, 1, v41
	v_add_nc_u32_e32 v42, 8, v42
	v_add_nc_u32_e32 v43, 8, v43
	s_delay_alu instid0(VALU_DEP_3)
	v_cmp_lt_u32_e32 vcc_lo, 4, v41
	s_or_b32 s1, vcc_lo, s1
	s_waitcnt vmcnt(0) lgkmcnt(0)
	v_fma_f64 v[1:2], v[44:45], v[46:47], v[1:2]
	s_and_not1_b32 exec_lo, exec_lo, s1
	s_cbranch_execnz .LBB80_33
; %bb.34:
	s_or_b32 exec_lo, exec_lo, s1
	v_mov_b32_e32 v41, 0
	ds_load_b64 v[41:42], v41 offset:48
	s_waitcnt lgkmcnt(0)
	v_mul_f64 v[1:2], v[1:2], v[41:42]
	scratch_store_b64 off, v[1:2], off offset:48
.LBB80_35:
	s_or_b32 exec_lo, exec_lo, s0
	s_waitcnt_vscnt null, 0x0
	s_barrier
	buffer_gl0_inv
	scratch_load_b64 v[1:2], off, off offset:56
	s_mov_b32 s0, exec_lo
	s_waitcnt vmcnt(0)
	ds_store_b64 v39, v[1:2]
	s_waitcnt lgkmcnt(0)
	s_barrier
	buffer_gl0_inv
	v_cmpx_gt_u32_e32 7, v0
	s_cbranch_execz .LBB80_39
; %bb.36:
	v_dual_mov_b32 v1, 0 :: v_dual_add_nc_u32 v42, 0x90, v3
	v_dual_mov_b32 v2, 0 :: v_dual_add_nc_u32 v41, -1, v0
	v_add_nc_u32_e32 v43, 0, v3
	s_mov_b32 s1, 0
.LBB80_37:                              ; =>This Inner Loop Header: Depth=1
	scratch_load_b64 v[44:45], v43, off
	ds_load_b64 v[46:47], v42
	v_add_nc_u32_e32 v41, 1, v41
	v_add_nc_u32_e32 v42, 8, v42
	v_add_nc_u32_e32 v43, 8, v43
	s_delay_alu instid0(VALU_DEP_3)
	v_cmp_lt_u32_e32 vcc_lo, 5, v41
	s_or_b32 s1, vcc_lo, s1
	s_waitcnt vmcnt(0) lgkmcnt(0)
	v_fma_f64 v[1:2], v[44:45], v[46:47], v[1:2]
	s_and_not1_b32 exec_lo, exec_lo, s1
	s_cbranch_execnz .LBB80_37
; %bb.38:
	s_or_b32 exec_lo, exec_lo, s1
	v_mov_b32_e32 v41, 0
	ds_load_b64 v[41:42], v41 offset:56
	s_waitcnt lgkmcnt(0)
	v_mul_f64 v[1:2], v[1:2], v[41:42]
	scratch_store_b64 off, v[1:2], off offset:56
.LBB80_39:
	s_or_b32 exec_lo, exec_lo, s0
	s_waitcnt_vscnt null, 0x0
	s_barrier
	buffer_gl0_inv
	scratch_load_b64 v[1:2], off, off offset:64
	s_mov_b32 s0, exec_lo
	s_waitcnt vmcnt(0)
	ds_store_b64 v39, v[1:2]
	s_waitcnt lgkmcnt(0)
	s_barrier
	buffer_gl0_inv
	v_cmpx_gt_u32_e32 8, v0
	s_cbranch_execz .LBB80_43
; %bb.40:
	v_dual_mov_b32 v1, 0 :: v_dual_add_nc_u32 v42, 0x90, v3
	v_dual_mov_b32 v2, 0 :: v_dual_add_nc_u32 v41, -1, v0
	v_add_nc_u32_e32 v43, 0, v3
	s_mov_b32 s1, 0
.LBB80_41:                              ; =>This Inner Loop Header: Depth=1
	scratch_load_b64 v[44:45], v43, off
	ds_load_b64 v[46:47], v42
	v_add_nc_u32_e32 v41, 1, v41
	v_add_nc_u32_e32 v42, 8, v42
	v_add_nc_u32_e32 v43, 8, v43
	s_delay_alu instid0(VALU_DEP_3)
	v_cmp_lt_u32_e32 vcc_lo, 6, v41
	s_or_b32 s1, vcc_lo, s1
	s_waitcnt vmcnt(0) lgkmcnt(0)
	v_fma_f64 v[1:2], v[44:45], v[46:47], v[1:2]
	s_and_not1_b32 exec_lo, exec_lo, s1
	s_cbranch_execnz .LBB80_41
; %bb.42:
	s_or_b32 exec_lo, exec_lo, s1
	v_mov_b32_e32 v41, 0
	ds_load_b64 v[41:42], v41 offset:64
	s_waitcnt lgkmcnt(0)
	v_mul_f64 v[1:2], v[1:2], v[41:42]
	scratch_store_b64 off, v[1:2], off offset:64
.LBB80_43:
	s_or_b32 exec_lo, exec_lo, s0
	s_waitcnt_vscnt null, 0x0
	s_barrier
	buffer_gl0_inv
	scratch_load_b64 v[1:2], off, off offset:72
	s_mov_b32 s0, exec_lo
	s_waitcnt vmcnt(0)
	ds_store_b64 v39, v[1:2]
	s_waitcnt lgkmcnt(0)
	s_barrier
	buffer_gl0_inv
	v_cmpx_gt_u32_e32 9, v0
	s_cbranch_execz .LBB80_47
; %bb.44:
	v_dual_mov_b32 v1, 0 :: v_dual_add_nc_u32 v42, 0x90, v3
	v_dual_mov_b32 v2, 0 :: v_dual_add_nc_u32 v41, -1, v0
	v_add_nc_u32_e32 v43, 0, v3
	s_mov_b32 s1, 0
.LBB80_45:                              ; =>This Inner Loop Header: Depth=1
	scratch_load_b64 v[44:45], v43, off
	ds_load_b64 v[46:47], v42
	v_add_nc_u32_e32 v41, 1, v41
	v_add_nc_u32_e32 v42, 8, v42
	v_add_nc_u32_e32 v43, 8, v43
	s_delay_alu instid0(VALU_DEP_3)
	v_cmp_lt_u32_e32 vcc_lo, 7, v41
	s_or_b32 s1, vcc_lo, s1
	s_waitcnt vmcnt(0) lgkmcnt(0)
	v_fma_f64 v[1:2], v[44:45], v[46:47], v[1:2]
	s_and_not1_b32 exec_lo, exec_lo, s1
	s_cbranch_execnz .LBB80_45
; %bb.46:
	s_or_b32 exec_lo, exec_lo, s1
	v_mov_b32_e32 v41, 0
	ds_load_b64 v[41:42], v41 offset:72
	s_waitcnt lgkmcnt(0)
	v_mul_f64 v[1:2], v[1:2], v[41:42]
	scratch_store_b64 off, v[1:2], off offset:72
.LBB80_47:
	s_or_b32 exec_lo, exec_lo, s0
	s_waitcnt_vscnt null, 0x0
	s_barrier
	buffer_gl0_inv
	scratch_load_b64 v[1:2], off, off offset:80
	s_mov_b32 s0, exec_lo
	s_waitcnt vmcnt(0)
	ds_store_b64 v39, v[1:2]
	s_waitcnt lgkmcnt(0)
	s_barrier
	buffer_gl0_inv
	v_cmpx_gt_u32_e32 10, v0
	s_cbranch_execz .LBB80_51
; %bb.48:
	v_dual_mov_b32 v1, 0 :: v_dual_add_nc_u32 v42, 0x90, v3
	v_dual_mov_b32 v2, 0 :: v_dual_add_nc_u32 v41, -1, v0
	v_add_nc_u32_e32 v43, 0, v3
	s_mov_b32 s1, 0
.LBB80_49:                              ; =>This Inner Loop Header: Depth=1
	scratch_load_b64 v[44:45], v43, off
	ds_load_b64 v[46:47], v42
	v_add_nc_u32_e32 v41, 1, v41
	v_add_nc_u32_e32 v42, 8, v42
	v_add_nc_u32_e32 v43, 8, v43
	s_delay_alu instid0(VALU_DEP_3)
	v_cmp_lt_u32_e32 vcc_lo, 8, v41
	s_or_b32 s1, vcc_lo, s1
	s_waitcnt vmcnt(0) lgkmcnt(0)
	v_fma_f64 v[1:2], v[44:45], v[46:47], v[1:2]
	s_and_not1_b32 exec_lo, exec_lo, s1
	s_cbranch_execnz .LBB80_49
; %bb.50:
	s_or_b32 exec_lo, exec_lo, s1
	v_mov_b32_e32 v41, 0
	ds_load_b64 v[41:42], v41 offset:80
	s_waitcnt lgkmcnt(0)
	v_mul_f64 v[1:2], v[1:2], v[41:42]
	scratch_store_b64 off, v[1:2], off offset:80
.LBB80_51:
	s_or_b32 exec_lo, exec_lo, s0
	s_waitcnt_vscnt null, 0x0
	s_barrier
	buffer_gl0_inv
	scratch_load_b64 v[1:2], off, off offset:88
	s_mov_b32 s0, exec_lo
	s_waitcnt vmcnt(0)
	ds_store_b64 v39, v[1:2]
	s_waitcnt lgkmcnt(0)
	s_barrier
	buffer_gl0_inv
	v_cmpx_gt_u32_e32 11, v0
	s_cbranch_execz .LBB80_55
; %bb.52:
	v_dual_mov_b32 v1, 0 :: v_dual_add_nc_u32 v42, 0x90, v3
	v_dual_mov_b32 v2, 0 :: v_dual_add_nc_u32 v41, -1, v0
	v_add_nc_u32_e32 v43, 0, v3
	s_mov_b32 s1, 0
.LBB80_53:                              ; =>This Inner Loop Header: Depth=1
	scratch_load_b64 v[44:45], v43, off
	ds_load_b64 v[46:47], v42
	v_add_nc_u32_e32 v41, 1, v41
	v_add_nc_u32_e32 v42, 8, v42
	v_add_nc_u32_e32 v43, 8, v43
	s_delay_alu instid0(VALU_DEP_3)
	v_cmp_lt_u32_e32 vcc_lo, 9, v41
	s_or_b32 s1, vcc_lo, s1
	s_waitcnt vmcnt(0) lgkmcnt(0)
	v_fma_f64 v[1:2], v[44:45], v[46:47], v[1:2]
	s_and_not1_b32 exec_lo, exec_lo, s1
	s_cbranch_execnz .LBB80_53
; %bb.54:
	s_or_b32 exec_lo, exec_lo, s1
	v_mov_b32_e32 v41, 0
	ds_load_b64 v[41:42], v41 offset:88
	s_waitcnt lgkmcnt(0)
	v_mul_f64 v[1:2], v[1:2], v[41:42]
	scratch_store_b64 off, v[1:2], off offset:88
.LBB80_55:
	s_or_b32 exec_lo, exec_lo, s0
	s_waitcnt_vscnt null, 0x0
	s_barrier
	buffer_gl0_inv
	scratch_load_b64 v[1:2], off, off offset:96
	s_mov_b32 s0, exec_lo
	s_waitcnt vmcnt(0)
	ds_store_b64 v39, v[1:2]
	s_waitcnt lgkmcnt(0)
	s_barrier
	buffer_gl0_inv
	v_cmpx_gt_u32_e32 12, v0
	s_cbranch_execz .LBB80_59
; %bb.56:
	v_dual_mov_b32 v1, 0 :: v_dual_add_nc_u32 v42, 0x90, v3
	v_dual_mov_b32 v2, 0 :: v_dual_add_nc_u32 v41, -1, v0
	v_add_nc_u32_e32 v43, 0, v3
	s_mov_b32 s1, 0
.LBB80_57:                              ; =>This Inner Loop Header: Depth=1
	scratch_load_b64 v[44:45], v43, off
	ds_load_b64 v[46:47], v42
	v_add_nc_u32_e32 v41, 1, v41
	v_add_nc_u32_e32 v42, 8, v42
	v_add_nc_u32_e32 v43, 8, v43
	s_delay_alu instid0(VALU_DEP_3)
	v_cmp_lt_u32_e32 vcc_lo, 10, v41
	s_or_b32 s1, vcc_lo, s1
	s_waitcnt vmcnt(0) lgkmcnt(0)
	v_fma_f64 v[1:2], v[44:45], v[46:47], v[1:2]
	s_and_not1_b32 exec_lo, exec_lo, s1
	s_cbranch_execnz .LBB80_57
; %bb.58:
	s_or_b32 exec_lo, exec_lo, s1
	v_mov_b32_e32 v41, 0
	ds_load_b64 v[41:42], v41 offset:96
	s_waitcnt lgkmcnt(0)
	v_mul_f64 v[1:2], v[1:2], v[41:42]
	scratch_store_b64 off, v[1:2], off offset:96
.LBB80_59:
	s_or_b32 exec_lo, exec_lo, s0
	s_waitcnt_vscnt null, 0x0
	s_barrier
	buffer_gl0_inv
	scratch_load_b64 v[1:2], off, off offset:104
	s_mov_b32 s0, exec_lo
	s_waitcnt vmcnt(0)
	ds_store_b64 v39, v[1:2]
	s_waitcnt lgkmcnt(0)
	s_barrier
	buffer_gl0_inv
	v_cmpx_gt_u32_e32 13, v0
	s_cbranch_execz .LBB80_63
; %bb.60:
	v_dual_mov_b32 v1, 0 :: v_dual_add_nc_u32 v42, 0x90, v3
	v_dual_mov_b32 v2, 0 :: v_dual_add_nc_u32 v41, -1, v0
	v_add_nc_u32_e32 v43, 0, v3
	s_mov_b32 s1, 0
.LBB80_61:                              ; =>This Inner Loop Header: Depth=1
	scratch_load_b64 v[44:45], v43, off
	ds_load_b64 v[46:47], v42
	v_add_nc_u32_e32 v41, 1, v41
	v_add_nc_u32_e32 v42, 8, v42
	v_add_nc_u32_e32 v43, 8, v43
	s_delay_alu instid0(VALU_DEP_3)
	v_cmp_lt_u32_e32 vcc_lo, 11, v41
	s_or_b32 s1, vcc_lo, s1
	s_waitcnt vmcnt(0) lgkmcnt(0)
	v_fma_f64 v[1:2], v[44:45], v[46:47], v[1:2]
	s_and_not1_b32 exec_lo, exec_lo, s1
	s_cbranch_execnz .LBB80_61
; %bb.62:
	s_or_b32 exec_lo, exec_lo, s1
	v_mov_b32_e32 v41, 0
	ds_load_b64 v[41:42], v41 offset:104
	s_waitcnt lgkmcnt(0)
	v_mul_f64 v[1:2], v[1:2], v[41:42]
	scratch_store_b64 off, v[1:2], off offset:104
.LBB80_63:
	s_or_b32 exec_lo, exec_lo, s0
	s_waitcnt_vscnt null, 0x0
	s_barrier
	buffer_gl0_inv
	scratch_load_b64 v[1:2], off, off offset:112
	s_mov_b32 s0, exec_lo
	s_waitcnt vmcnt(0)
	ds_store_b64 v39, v[1:2]
	s_waitcnt lgkmcnt(0)
	s_barrier
	buffer_gl0_inv
	v_cmpx_gt_u32_e32 14, v0
	s_cbranch_execz .LBB80_67
; %bb.64:
	v_dual_mov_b32 v1, 0 :: v_dual_add_nc_u32 v42, 0x90, v3
	v_dual_mov_b32 v2, 0 :: v_dual_add_nc_u32 v41, -1, v0
	v_add_nc_u32_e32 v43, 0, v3
	s_mov_b32 s1, 0
.LBB80_65:                              ; =>This Inner Loop Header: Depth=1
	scratch_load_b64 v[44:45], v43, off
	ds_load_b64 v[46:47], v42
	v_add_nc_u32_e32 v41, 1, v41
	v_add_nc_u32_e32 v42, 8, v42
	v_add_nc_u32_e32 v43, 8, v43
	s_delay_alu instid0(VALU_DEP_3)
	v_cmp_lt_u32_e32 vcc_lo, 12, v41
	s_or_b32 s1, vcc_lo, s1
	s_waitcnt vmcnt(0) lgkmcnt(0)
	v_fma_f64 v[1:2], v[44:45], v[46:47], v[1:2]
	s_and_not1_b32 exec_lo, exec_lo, s1
	s_cbranch_execnz .LBB80_65
; %bb.66:
	s_or_b32 exec_lo, exec_lo, s1
	v_mov_b32_e32 v41, 0
	ds_load_b64 v[41:42], v41 offset:112
	s_waitcnt lgkmcnt(0)
	v_mul_f64 v[1:2], v[1:2], v[41:42]
	scratch_store_b64 off, v[1:2], off offset:112
.LBB80_67:
	s_or_b32 exec_lo, exec_lo, s0
	s_waitcnt_vscnt null, 0x0
	s_barrier
	buffer_gl0_inv
	scratch_load_b64 v[1:2], off, off offset:120
	s_mov_b32 s0, exec_lo
	s_waitcnt vmcnt(0)
	ds_store_b64 v39, v[1:2]
	s_waitcnt lgkmcnt(0)
	s_barrier
	buffer_gl0_inv
	v_cmpx_gt_u32_e32 15, v0
	s_cbranch_execz .LBB80_71
; %bb.68:
	v_dual_mov_b32 v1, 0 :: v_dual_add_nc_u32 v42, 0x90, v3
	v_dual_mov_b32 v2, 0 :: v_dual_add_nc_u32 v41, -1, v0
	v_add_nc_u32_e32 v3, 0, v3
	s_mov_b32 s1, 0
.LBB80_69:                              ; =>This Inner Loop Header: Depth=1
	scratch_load_b64 v[43:44], v3, off
	ds_load_b64 v[45:46], v42
	v_add_nc_u32_e32 v41, 1, v41
	v_add_nc_u32_e32 v42, 8, v42
	v_add_nc_u32_e32 v3, 8, v3
	s_delay_alu instid0(VALU_DEP_3)
	v_cmp_lt_u32_e32 vcc_lo, 13, v41
	s_or_b32 s1, vcc_lo, s1
	s_waitcnt vmcnt(0) lgkmcnt(0)
	v_fma_f64 v[1:2], v[43:44], v[45:46], v[1:2]
	s_and_not1_b32 exec_lo, exec_lo, s1
	s_cbranch_execnz .LBB80_69
; %bb.70:
	s_or_b32 exec_lo, exec_lo, s1
	v_mov_b32_e32 v3, 0
	ds_load_b64 v[41:42], v3 offset:120
	s_waitcnt lgkmcnt(0)
	v_mul_f64 v[1:2], v[1:2], v[41:42]
	scratch_store_b64 off, v[1:2], off offset:120
.LBB80_71:
	s_or_b32 exec_lo, exec_lo, s0
	s_waitcnt_vscnt null, 0x0
	s_barrier
	buffer_gl0_inv
	scratch_load_b64 v[1:2], off, off offset:128
	s_mov_b32 s0, exec_lo
	s_waitcnt vmcnt(0)
	ds_store_b64 v39, v[1:2]
	s_waitcnt lgkmcnt(0)
	s_barrier
	buffer_gl0_inv
	v_cmpx_ne_u32_e32 16, v0
	s_cbranch_execz .LBB80_75
; %bb.72:
	v_mov_b32_e32 v1, 0
	v_mov_b32_e32 v2, 0
	s_mov_b32 s1, 0
.LBB80_73:                              ; =>This Inner Loop Header: Depth=1
	scratch_load_b64 v[41:42], v38, off
	ds_load_b64 v[43:44], v39
	v_add_nc_u32_e32 v40, 1, v40
	v_add_nc_u32_e32 v39, 8, v39
	;; [unrolled: 1-line block ×3, first 2 shown]
	s_delay_alu instid0(VALU_DEP_3)
	v_cmp_lt_u32_e32 vcc_lo, 14, v40
	s_or_b32 s1, vcc_lo, s1
	s_waitcnt vmcnt(0) lgkmcnt(0)
	v_fma_f64 v[1:2], v[41:42], v[43:44], v[1:2]
	s_and_not1_b32 exec_lo, exec_lo, s1
	s_cbranch_execnz .LBB80_73
; %bb.74:
	s_or_b32 exec_lo, exec_lo, s1
	v_mov_b32_e32 v3, 0
	ds_load_b64 v[38:39], v3 offset:128
	s_waitcnt lgkmcnt(0)
	v_mul_f64 v[1:2], v[1:2], v[38:39]
	scratch_store_b64 off, v[1:2], off offset:128
.LBB80_75:
	s_or_b32 exec_lo, exec_lo, s0
	s_mov_b32 s1, -1
	s_waitcnt_vscnt null, 0x0
	s_barrier
	buffer_gl0_inv
.LBB80_76:
	s_and_b32 vcc_lo, exec_lo, s1
	s_cbranch_vccz .LBB80_78
; %bb.77:
	s_lshl_b64 s[0:1], s[8:9], 2
	v_mov_b32_e32 v1, 0
	s_add_u32 s0, s6, s0
	s_addc_u32 s1, s7, s1
	global_load_b32 v1, v1, s[0:1]
	s_waitcnt vmcnt(0)
	v_cmp_ne_u32_e32 vcc_lo, 0, v1
	s_cbranch_vccz .LBB80_79
.LBB80_78:
	s_endpgm
.LBB80_79:
	v_lshl_add_u32 v3, v0, 3, 0x90
	s_mov_b32 s0, exec_lo
	v_cmpx_eq_u32_e32 16, v0
	s_cbranch_execz .LBB80_81
; %bb.80:
	scratch_load_b64 v[1:2], off, off offset:120
	v_mov_b32_e32 v38, 0
	s_delay_alu instid0(VALU_DEP_1)
	v_mov_b32_e32 v39, v38
	scratch_store_b64 off, v[38:39], off offset:120
	s_waitcnt vmcnt(0)
	ds_store_b64 v3, v[1:2]
.LBB80_81:
	s_or_b32 exec_lo, exec_lo, s0
	s_waitcnt lgkmcnt(0)
	s_waitcnt_vscnt null, 0x0
	s_barrier
	buffer_gl0_inv
	scratch_load_b128 v[38:41], off, off offset:120
	v_mov_b32_e32 v1, 0
	s_mov_b32 s0, exec_lo
	ds_load_b64 v[42:43], v1 offset:272
	s_waitcnt vmcnt(0) lgkmcnt(0)
	v_fma_f64 v[40:41], v[40:41], v[42:43], 0
	s_delay_alu instid0(VALU_DEP_1)
	v_add_f64 v[38:39], v[38:39], -v[40:41]
	scratch_store_b64 off, v[38:39], off offset:120
	v_cmpx_lt_u32_e32 14, v0
	s_cbranch_execz .LBB80_83
; %bb.82:
	scratch_load_b64 v[38:39], off, off offset:112
	v_mov_b32_e32 v2, v1
	scratch_store_b64 off, v[1:2], off offset:112
	s_waitcnt vmcnt(0)
	ds_store_b64 v3, v[38:39]
.LBB80_83:
	s_or_b32 exec_lo, exec_lo, s0
	s_waitcnt lgkmcnt(0)
	s_waitcnt_vscnt null, 0x0
	s_barrier
	buffer_gl0_inv
	s_clause 0x1
	scratch_load_b128 v[38:41], off, off offset:112
	scratch_load_b64 v[46:47], off, off offset:128
	ds_load_2addr_b64 v[42:45], v1 offset0:33 offset1:34
	s_mov_b32 s0, exec_lo
	s_waitcnt vmcnt(1) lgkmcnt(0)
	v_fma_f64 v[1:2], v[40:41], v[42:43], 0
	s_waitcnt vmcnt(0)
	s_delay_alu instid0(VALU_DEP_1) | instskip(NEXT) | instid1(VALU_DEP_1)
	v_fma_f64 v[1:2], v[46:47], v[44:45], v[1:2]
	v_add_f64 v[1:2], v[38:39], -v[1:2]
	scratch_store_b64 off, v[1:2], off offset:112
	v_cmpx_lt_u32_e32 13, v0
	s_cbranch_execz .LBB80_85
; %bb.84:
	scratch_load_b64 v[1:2], off, off offset:104
	v_mov_b32_e32 v38, 0
	s_delay_alu instid0(VALU_DEP_1)
	v_mov_b32_e32 v39, v38
	scratch_store_b64 off, v[38:39], off offset:104
	s_waitcnt vmcnt(0)
	ds_store_b64 v3, v[1:2]
.LBB80_85:
	s_or_b32 exec_lo, exec_lo, s0
	s_waitcnt lgkmcnt(0)
	s_waitcnt_vscnt null, 0x0
	s_barrier
	buffer_gl0_inv
	s_clause 0x1
	scratch_load_b128 v[38:41], off, off offset:104
	scratch_load_b128 v[42:45], off, off offset:120
	v_mov_b32_e32 v1, 0
	ds_load_b128 v[46:49], v1 offset:256
	ds_load_b64 v[50:51], v1 offset:272
	s_mov_b32 s0, exec_lo
	s_waitcnt vmcnt(1) lgkmcnt(1)
	v_fma_f64 v[40:41], v[40:41], v[46:47], 0
	s_waitcnt vmcnt(0)
	s_delay_alu instid0(VALU_DEP_1) | instskip(SKIP_1) | instid1(VALU_DEP_1)
	v_fma_f64 v[40:41], v[42:43], v[48:49], v[40:41]
	s_waitcnt lgkmcnt(0)
	v_fma_f64 v[40:41], v[44:45], v[50:51], v[40:41]
	s_delay_alu instid0(VALU_DEP_1)
	v_add_f64 v[38:39], v[38:39], -v[40:41]
	scratch_store_b64 off, v[38:39], off offset:104
	v_cmpx_lt_u32_e32 12, v0
	s_cbranch_execz .LBB80_87
; %bb.86:
	scratch_load_b64 v[38:39], off, off offset:96
	v_mov_b32_e32 v2, v1
	scratch_store_b64 off, v[1:2], off offset:96
	s_waitcnt vmcnt(0)
	ds_store_b64 v3, v[38:39]
.LBB80_87:
	s_or_b32 exec_lo, exec_lo, s0
	s_waitcnt lgkmcnt(0)
	s_waitcnt_vscnt null, 0x0
	s_barrier
	buffer_gl0_inv
	s_clause 0x2
	scratch_load_b128 v[38:41], off, off offset:96
	scratch_load_b128 v[42:45], off, off offset:112
	scratch_load_b64 v[54:55], off, off offset:128
	ds_load_2addr_b64 v[46:49], v1 offset0:31 offset1:32
	ds_load_2addr_b64 v[50:53], v1 offset0:33 offset1:34
	s_mov_b32 s0, exec_lo
	s_waitcnt vmcnt(2) lgkmcnt(1)
	v_fma_f64 v[1:2], v[40:41], v[46:47], 0
	s_waitcnt vmcnt(1)
	s_delay_alu instid0(VALU_DEP_1) | instskip(SKIP_1) | instid1(VALU_DEP_1)
	v_fma_f64 v[1:2], v[42:43], v[48:49], v[1:2]
	s_waitcnt lgkmcnt(0)
	v_fma_f64 v[1:2], v[44:45], v[50:51], v[1:2]
	s_waitcnt vmcnt(0)
	s_delay_alu instid0(VALU_DEP_1) | instskip(NEXT) | instid1(VALU_DEP_1)
	v_fma_f64 v[1:2], v[54:55], v[52:53], v[1:2]
	v_add_f64 v[1:2], v[38:39], -v[1:2]
	scratch_store_b64 off, v[1:2], off offset:96
	v_cmpx_lt_u32_e32 11, v0
	s_cbranch_execz .LBB80_89
; %bb.88:
	scratch_load_b64 v[1:2], off, off offset:88
	v_mov_b32_e32 v38, 0
	s_delay_alu instid0(VALU_DEP_1)
	v_mov_b32_e32 v39, v38
	scratch_store_b64 off, v[38:39], off offset:88
	s_waitcnt vmcnt(0)
	ds_store_b64 v3, v[1:2]
.LBB80_89:
	s_or_b32 exec_lo, exec_lo, s0
	s_waitcnt lgkmcnt(0)
	s_waitcnt_vscnt null, 0x0
	s_barrier
	buffer_gl0_inv
	s_clause 0x2
	scratch_load_b128 v[38:41], off, off offset:88
	scratch_load_b128 v[42:45], off, off offset:104
	;; [unrolled: 1-line block ×3, first 2 shown]
	v_mov_b32_e32 v1, 0
	ds_load_b128 v[50:53], v1 offset:240
	ds_load_b128 v[54:57], v1 offset:256
	s_mov_b32 s0, exec_lo
	s_waitcnt vmcnt(2) lgkmcnt(1)
	v_fma_f64 v[40:41], v[40:41], v[50:51], 0
	s_waitcnt vmcnt(1)
	s_delay_alu instid0(VALU_DEP_1) | instskip(SKIP_4) | instid1(VALU_DEP_1)
	v_fma_f64 v[40:41], v[42:43], v[52:53], v[40:41]
	ds_load_b64 v[42:43], v1 offset:272
	s_waitcnt lgkmcnt(1)
	v_fma_f64 v[40:41], v[44:45], v[54:55], v[40:41]
	s_waitcnt vmcnt(0)
	v_fma_f64 v[40:41], v[46:47], v[56:57], v[40:41]
	s_waitcnt lgkmcnt(0)
	s_delay_alu instid0(VALU_DEP_1) | instskip(NEXT) | instid1(VALU_DEP_1)
	v_fma_f64 v[40:41], v[48:49], v[42:43], v[40:41]
	v_add_f64 v[38:39], v[38:39], -v[40:41]
	scratch_store_b64 off, v[38:39], off offset:88
	v_cmpx_lt_u32_e32 10, v0
	s_cbranch_execz .LBB80_91
; %bb.90:
	scratch_load_b64 v[38:39], off, off offset:80
	v_mov_b32_e32 v2, v1
	scratch_store_b64 off, v[1:2], off offset:80
	s_waitcnt vmcnt(0)
	ds_store_b64 v3, v[38:39]
.LBB80_91:
	s_or_b32 exec_lo, exec_lo, s0
	s_waitcnt lgkmcnt(0)
	s_waitcnt_vscnt null, 0x0
	s_barrier
	buffer_gl0_inv
	s_clause 0x3
	scratch_load_b128 v[38:41], off, off offset:80
	scratch_load_b128 v[42:45], off, off offset:96
	;; [unrolled: 1-line block ×3, first 2 shown]
	scratch_load_b64 v[58:59], off, off offset:128
	ds_load_2addr_b64 v[50:53], v1 offset0:29 offset1:30
	ds_load_2addr_b64 v[54:57], v1 offset0:31 offset1:32
	s_mov_b32 s0, exec_lo
	s_waitcnt vmcnt(3) lgkmcnt(1)
	v_fma_f64 v[40:41], v[40:41], v[50:51], 0
	s_waitcnt vmcnt(2)
	s_delay_alu instid0(VALU_DEP_1) | instskip(SKIP_1) | instid1(VALU_DEP_1)
	v_fma_f64 v[40:41], v[42:43], v[52:53], v[40:41]
	s_waitcnt lgkmcnt(0)
	v_fma_f64 v[40:41], v[44:45], v[54:55], v[40:41]
	s_waitcnt vmcnt(1)
	s_delay_alu instid0(VALU_DEP_1) | instskip(SKIP_4) | instid1(VALU_DEP_1)
	v_fma_f64 v[44:45], v[46:47], v[56:57], v[40:41]
	ds_load_2addr_b64 v[40:43], v1 offset0:33 offset1:34
	s_waitcnt lgkmcnt(0)
	v_fma_f64 v[1:2], v[48:49], v[40:41], v[44:45]
	s_waitcnt vmcnt(0)
	v_fma_f64 v[1:2], v[58:59], v[42:43], v[1:2]
	s_delay_alu instid0(VALU_DEP_1)
	v_add_f64 v[1:2], v[38:39], -v[1:2]
	scratch_store_b64 off, v[1:2], off offset:80
	v_cmpx_lt_u32_e32 9, v0
	s_cbranch_execz .LBB80_93
; %bb.92:
	scratch_load_b64 v[1:2], off, off offset:72
	v_mov_b32_e32 v38, 0
	s_delay_alu instid0(VALU_DEP_1)
	v_mov_b32_e32 v39, v38
	scratch_store_b64 off, v[38:39], off offset:72
	s_waitcnt vmcnt(0)
	ds_store_b64 v3, v[1:2]
.LBB80_93:
	s_or_b32 exec_lo, exec_lo, s0
	s_waitcnt lgkmcnt(0)
	s_waitcnt_vscnt null, 0x0
	s_barrier
	buffer_gl0_inv
	s_clause 0x3
	scratch_load_b128 v[38:41], off, off offset:72
	scratch_load_b128 v[42:45], off, off offset:88
	;; [unrolled: 1-line block ×4, first 2 shown]
	v_mov_b32_e32 v1, 0
	ds_load_b128 v[54:57], v1 offset:224
	ds_load_b128 v[58:61], v1 offset:240
	s_mov_b32 s0, exec_lo
	s_waitcnt vmcnt(3) lgkmcnt(1)
	v_fma_f64 v[40:41], v[40:41], v[54:55], 0
	s_waitcnt vmcnt(2)
	s_delay_alu instid0(VALU_DEP_1) | instskip(SKIP_1) | instid1(VALU_DEP_1)
	v_fma_f64 v[40:41], v[42:43], v[56:57], v[40:41]
	s_waitcnt lgkmcnt(0)
	v_fma_f64 v[40:41], v[44:45], v[58:59], v[40:41]
	s_waitcnt vmcnt(1)
	s_delay_alu instid0(VALU_DEP_1)
	v_fma_f64 v[44:45], v[46:47], v[60:61], v[40:41]
	ds_load_b128 v[40:43], v1 offset:256
	ds_load_b64 v[46:47], v1 offset:272
	s_waitcnt lgkmcnt(1)
	v_fma_f64 v[40:41], v[48:49], v[40:41], v[44:45]
	s_waitcnt vmcnt(0)
	s_delay_alu instid0(VALU_DEP_1) | instskip(SKIP_1) | instid1(VALU_DEP_1)
	v_fma_f64 v[40:41], v[50:51], v[42:43], v[40:41]
	s_waitcnt lgkmcnt(0)
	v_fma_f64 v[40:41], v[52:53], v[46:47], v[40:41]
	s_delay_alu instid0(VALU_DEP_1)
	v_add_f64 v[38:39], v[38:39], -v[40:41]
	scratch_store_b64 off, v[38:39], off offset:72
	v_cmpx_lt_u32_e32 8, v0
	s_cbranch_execz .LBB80_95
; %bb.94:
	scratch_load_b64 v[38:39], off, off offset:64
	v_mov_b32_e32 v2, v1
	scratch_store_b64 off, v[1:2], off offset:64
	s_waitcnt vmcnt(0)
	ds_store_b64 v3, v[38:39]
.LBB80_95:
	s_or_b32 exec_lo, exec_lo, s0
	s_waitcnt lgkmcnt(0)
	s_waitcnt_vscnt null, 0x0
	s_barrier
	buffer_gl0_inv
	s_clause 0x4
	scratch_load_b128 v[38:41], off, off offset:64
	scratch_load_b128 v[42:45], off, off offset:80
	;; [unrolled: 1-line block ×4, first 2 shown]
	scratch_load_b64 v[62:63], off, off offset:128
	ds_load_2addr_b64 v[54:57], v1 offset0:27 offset1:28
	ds_load_2addr_b64 v[58:61], v1 offset0:29 offset1:30
	s_mov_b32 s0, exec_lo
	s_waitcnt vmcnt(4) lgkmcnt(1)
	v_fma_f64 v[40:41], v[40:41], v[54:55], 0
	s_waitcnt vmcnt(3)
	s_delay_alu instid0(VALU_DEP_1) | instskip(SKIP_1) | instid1(VALU_DEP_1)
	v_fma_f64 v[40:41], v[42:43], v[56:57], v[40:41]
	s_waitcnt lgkmcnt(0)
	v_fma_f64 v[40:41], v[44:45], v[58:59], v[40:41]
	s_waitcnt vmcnt(2)
	s_delay_alu instid0(VALU_DEP_1)
	v_fma_f64 v[54:55], v[46:47], v[60:61], v[40:41]
	ds_load_2addr_b64 v[40:43], v1 offset0:31 offset1:32
	ds_load_2addr_b64 v[44:47], v1 offset0:33 offset1:34
	s_waitcnt lgkmcnt(1)
	v_fma_f64 v[1:2], v[48:49], v[40:41], v[54:55]
	s_waitcnt vmcnt(1)
	s_delay_alu instid0(VALU_DEP_1) | instskip(SKIP_1) | instid1(VALU_DEP_1)
	v_fma_f64 v[1:2], v[50:51], v[42:43], v[1:2]
	s_waitcnt lgkmcnt(0)
	v_fma_f64 v[1:2], v[52:53], v[44:45], v[1:2]
	s_waitcnt vmcnt(0)
	s_delay_alu instid0(VALU_DEP_1) | instskip(NEXT) | instid1(VALU_DEP_1)
	v_fma_f64 v[1:2], v[62:63], v[46:47], v[1:2]
	v_add_f64 v[1:2], v[38:39], -v[1:2]
	scratch_store_b64 off, v[1:2], off offset:64
	v_cmpx_lt_u32_e32 7, v0
	s_cbranch_execz .LBB80_97
; %bb.96:
	scratch_load_b64 v[1:2], off, off offset:56
	v_mov_b32_e32 v38, 0
	s_delay_alu instid0(VALU_DEP_1)
	v_mov_b32_e32 v39, v38
	scratch_store_b64 off, v[38:39], off offset:56
	s_waitcnt vmcnt(0)
	ds_store_b64 v3, v[1:2]
.LBB80_97:
	s_or_b32 exec_lo, exec_lo, s0
	s_waitcnt lgkmcnt(0)
	s_waitcnt_vscnt null, 0x0
	s_barrier
	buffer_gl0_inv
	s_clause 0x4
	scratch_load_b128 v[38:41], off, off offset:56
	scratch_load_b128 v[42:45], off, off offset:72
	;; [unrolled: 1-line block ×5, first 2 shown]
	v_mov_b32_e32 v1, 0
	ds_load_b128 v[58:61], v1 offset:208
	ds_load_b128 v[62:65], v1 offset:224
	s_mov_b32 s0, exec_lo
	s_waitcnt vmcnt(4) lgkmcnt(1)
	v_fma_f64 v[40:41], v[40:41], v[58:59], 0
	s_waitcnt vmcnt(3)
	s_delay_alu instid0(VALU_DEP_1) | instskip(SKIP_1) | instid1(VALU_DEP_1)
	v_fma_f64 v[40:41], v[42:43], v[60:61], v[40:41]
	s_waitcnt lgkmcnt(0)
	v_fma_f64 v[40:41], v[44:45], v[62:63], v[40:41]
	s_waitcnt vmcnt(2)
	s_delay_alu instid0(VALU_DEP_1)
	v_fma_f64 v[58:59], v[46:47], v[64:65], v[40:41]
	ds_load_b128 v[40:43], v1 offset:240
	ds_load_b128 v[44:47], v1 offset:256
	s_waitcnt lgkmcnt(1)
	v_fma_f64 v[40:41], v[48:49], v[40:41], v[58:59]
	s_waitcnt vmcnt(1)
	s_delay_alu instid0(VALU_DEP_1) | instskip(SKIP_4) | instid1(VALU_DEP_1)
	v_fma_f64 v[40:41], v[50:51], v[42:43], v[40:41]
	ds_load_b64 v[42:43], v1 offset:272
	s_waitcnt lgkmcnt(1)
	v_fma_f64 v[40:41], v[52:53], v[44:45], v[40:41]
	s_waitcnt vmcnt(0)
	v_fma_f64 v[40:41], v[54:55], v[46:47], v[40:41]
	s_waitcnt lgkmcnt(0)
	s_delay_alu instid0(VALU_DEP_1) | instskip(NEXT) | instid1(VALU_DEP_1)
	v_fma_f64 v[40:41], v[56:57], v[42:43], v[40:41]
	v_add_f64 v[38:39], v[38:39], -v[40:41]
	scratch_store_b64 off, v[38:39], off offset:56
	v_cmpx_lt_u32_e32 6, v0
	s_cbranch_execz .LBB80_99
; %bb.98:
	scratch_load_b64 v[38:39], off, off offset:48
	v_mov_b32_e32 v2, v1
	scratch_store_b64 off, v[1:2], off offset:48
	s_waitcnt vmcnt(0)
	ds_store_b64 v3, v[38:39]
.LBB80_99:
	s_or_b32 exec_lo, exec_lo, s0
	s_waitcnt lgkmcnt(0)
	s_waitcnt_vscnt null, 0x0
	s_barrier
	buffer_gl0_inv
	s_clause 0x4
	scratch_load_b128 v[38:41], off, off offset:48
	scratch_load_b128 v[42:45], off, off offset:64
	;; [unrolled: 1-line block ×5, first 2 shown]
	ds_load_2addr_b64 v[58:61], v1 offset0:25 offset1:26
	ds_load_2addr_b64 v[62:65], v1 offset0:27 offset1:28
	s_mov_b32 s0, exec_lo
	s_waitcnt vmcnt(4) lgkmcnt(1)
	v_fma_f64 v[40:41], v[40:41], v[58:59], 0
	scratch_load_b64 v[58:59], off, off offset:128
	s_waitcnt vmcnt(4)
	v_fma_f64 v[40:41], v[42:43], v[60:61], v[40:41]
	s_waitcnt lgkmcnt(0)
	s_delay_alu instid0(VALU_DEP_1) | instskip(SKIP_1) | instid1(VALU_DEP_1)
	v_fma_f64 v[40:41], v[44:45], v[62:63], v[40:41]
	s_waitcnt vmcnt(3)
	v_fma_f64 v[60:61], v[46:47], v[64:65], v[40:41]
	ds_load_2addr_b64 v[40:43], v1 offset0:29 offset1:30
	ds_load_2addr_b64 v[44:47], v1 offset0:31 offset1:32
	s_waitcnt lgkmcnt(1)
	v_fma_f64 v[40:41], v[48:49], v[40:41], v[60:61]
	s_waitcnt vmcnt(2)
	s_delay_alu instid0(VALU_DEP_1) | instskip(SKIP_1) | instid1(VALU_DEP_1)
	v_fma_f64 v[40:41], v[50:51], v[42:43], v[40:41]
	s_waitcnt lgkmcnt(0)
	v_fma_f64 v[40:41], v[52:53], v[44:45], v[40:41]
	s_waitcnt vmcnt(1)
	s_delay_alu instid0(VALU_DEP_1) | instskip(SKIP_4) | instid1(VALU_DEP_1)
	v_fma_f64 v[44:45], v[54:55], v[46:47], v[40:41]
	ds_load_2addr_b64 v[40:43], v1 offset0:33 offset1:34
	s_waitcnt lgkmcnt(0)
	v_fma_f64 v[1:2], v[56:57], v[40:41], v[44:45]
	s_waitcnt vmcnt(0)
	v_fma_f64 v[1:2], v[58:59], v[42:43], v[1:2]
	s_delay_alu instid0(VALU_DEP_1)
	v_add_f64 v[1:2], v[38:39], -v[1:2]
	scratch_store_b64 off, v[1:2], off offset:48
	v_cmpx_lt_u32_e32 5, v0
	s_cbranch_execz .LBB80_101
; %bb.100:
	scratch_load_b64 v[1:2], off, off offset:40
	v_mov_b32_e32 v38, 0
	s_delay_alu instid0(VALU_DEP_1)
	v_mov_b32_e32 v39, v38
	scratch_store_b64 off, v[38:39], off offset:40
	s_waitcnt vmcnt(0)
	ds_store_b64 v3, v[1:2]
.LBB80_101:
	s_or_b32 exec_lo, exec_lo, s0
	s_waitcnt lgkmcnt(0)
	s_waitcnt_vscnt null, 0x0
	s_barrier
	buffer_gl0_inv
	s_clause 0x4
	scratch_load_b128 v[38:41], off, off offset:40
	scratch_load_b128 v[42:45], off, off offset:56
	;; [unrolled: 1-line block ×5, first 2 shown]
	v_mov_b32_e32 v1, 0
	ds_load_b128 v[58:61], v1 offset:192
	ds_load_b128 v[62:65], v1 offset:208
	scratch_load_b128 v[66:69], off, off offset:120
	s_mov_b32 s0, exec_lo
	s_waitcnt vmcnt(5) lgkmcnt(1)
	v_fma_f64 v[40:41], v[40:41], v[58:59], 0
	s_waitcnt vmcnt(4)
	s_delay_alu instid0(VALU_DEP_1) | instskip(SKIP_1) | instid1(VALU_DEP_1)
	v_fma_f64 v[40:41], v[42:43], v[60:61], v[40:41]
	s_waitcnt lgkmcnt(0)
	v_fma_f64 v[40:41], v[44:45], v[62:63], v[40:41]
	s_waitcnt vmcnt(3)
	s_delay_alu instid0(VALU_DEP_1)
	v_fma_f64 v[58:59], v[46:47], v[64:65], v[40:41]
	ds_load_b128 v[40:43], v1 offset:224
	ds_load_b128 v[44:47], v1 offset:240
	s_waitcnt lgkmcnt(1)
	v_fma_f64 v[40:41], v[48:49], v[40:41], v[58:59]
	s_waitcnt vmcnt(2)
	s_delay_alu instid0(VALU_DEP_1) | instskip(SKIP_1) | instid1(VALU_DEP_1)
	v_fma_f64 v[40:41], v[50:51], v[42:43], v[40:41]
	s_waitcnt lgkmcnt(0)
	v_fma_f64 v[40:41], v[52:53], v[44:45], v[40:41]
	s_waitcnt vmcnt(1)
	s_delay_alu instid0(VALU_DEP_1)
	v_fma_f64 v[44:45], v[54:55], v[46:47], v[40:41]
	ds_load_b128 v[40:43], v1 offset:256
	ds_load_b64 v[46:47], v1 offset:272
	s_waitcnt lgkmcnt(1)
	v_fma_f64 v[40:41], v[56:57], v[40:41], v[44:45]
	s_waitcnt vmcnt(0)
	s_delay_alu instid0(VALU_DEP_1) | instskip(SKIP_1) | instid1(VALU_DEP_1)
	v_fma_f64 v[40:41], v[66:67], v[42:43], v[40:41]
	s_waitcnt lgkmcnt(0)
	v_fma_f64 v[40:41], v[68:69], v[46:47], v[40:41]
	s_delay_alu instid0(VALU_DEP_1)
	v_add_f64 v[38:39], v[38:39], -v[40:41]
	scratch_store_b64 off, v[38:39], off offset:40
	v_cmpx_lt_u32_e32 4, v0
	s_cbranch_execz .LBB80_103
; %bb.102:
	scratch_load_b64 v[38:39], off, off offset:32
	v_mov_b32_e32 v2, v1
	scratch_store_b64 off, v[1:2], off offset:32
	s_waitcnt vmcnt(0)
	ds_store_b64 v3, v[38:39]
.LBB80_103:
	s_or_b32 exec_lo, exec_lo, s0
	s_waitcnt lgkmcnt(0)
	s_waitcnt_vscnt null, 0x0
	s_barrier
	buffer_gl0_inv
	s_clause 0x4
	scratch_load_b128 v[38:41], off, off offset:32
	scratch_load_b128 v[42:45], off, off offset:48
	;; [unrolled: 1-line block ×5, first 2 shown]
	ds_load_2addr_b64 v[58:61], v1 offset0:23 offset1:24
	ds_load_2addr_b64 v[62:65], v1 offset0:25 offset1:26
	scratch_load_b128 v[66:69], off, off offset:112
	s_mov_b32 s0, exec_lo
	s_waitcnt vmcnt(5) lgkmcnt(1)
	v_fma_f64 v[40:41], v[40:41], v[58:59], 0
	scratch_load_b64 v[58:59], off, off offset:128
	s_waitcnt vmcnt(5)
	v_fma_f64 v[40:41], v[42:43], v[60:61], v[40:41]
	s_waitcnt lgkmcnt(0)
	s_delay_alu instid0(VALU_DEP_1) | instskip(SKIP_1) | instid1(VALU_DEP_1)
	v_fma_f64 v[40:41], v[44:45], v[62:63], v[40:41]
	s_waitcnt vmcnt(4)
	v_fma_f64 v[60:61], v[46:47], v[64:65], v[40:41]
	ds_load_2addr_b64 v[40:43], v1 offset0:27 offset1:28
	ds_load_2addr_b64 v[44:47], v1 offset0:29 offset1:30
	s_waitcnt lgkmcnt(1)
	v_fma_f64 v[40:41], v[48:49], v[40:41], v[60:61]
	s_waitcnt vmcnt(3)
	s_delay_alu instid0(VALU_DEP_1) | instskip(SKIP_1) | instid1(VALU_DEP_1)
	v_fma_f64 v[40:41], v[50:51], v[42:43], v[40:41]
	s_waitcnt lgkmcnt(0)
	v_fma_f64 v[40:41], v[52:53], v[44:45], v[40:41]
	s_waitcnt vmcnt(2)
	s_delay_alu instid0(VALU_DEP_1)
	v_fma_f64 v[48:49], v[54:55], v[46:47], v[40:41]
	ds_load_2addr_b64 v[40:43], v1 offset0:31 offset1:32
	ds_load_2addr_b64 v[44:47], v1 offset0:33 offset1:34
	s_waitcnt lgkmcnt(1)
	v_fma_f64 v[1:2], v[56:57], v[40:41], v[48:49]
	s_waitcnt vmcnt(1)
	s_delay_alu instid0(VALU_DEP_1) | instskip(SKIP_1) | instid1(VALU_DEP_1)
	v_fma_f64 v[1:2], v[66:67], v[42:43], v[1:2]
	s_waitcnt lgkmcnt(0)
	v_fma_f64 v[1:2], v[68:69], v[44:45], v[1:2]
	s_waitcnt vmcnt(0)
	s_delay_alu instid0(VALU_DEP_1) | instskip(NEXT) | instid1(VALU_DEP_1)
	v_fma_f64 v[1:2], v[58:59], v[46:47], v[1:2]
	v_add_f64 v[1:2], v[38:39], -v[1:2]
	scratch_store_b64 off, v[1:2], off offset:32
	v_cmpx_lt_u32_e32 3, v0
	s_cbranch_execz .LBB80_105
; %bb.104:
	scratch_load_b64 v[1:2], off, off offset:24
	v_mov_b32_e32 v38, 0
	s_delay_alu instid0(VALU_DEP_1)
	v_mov_b32_e32 v39, v38
	scratch_store_b64 off, v[38:39], off offset:24
	s_waitcnt vmcnt(0)
	ds_store_b64 v3, v[1:2]
.LBB80_105:
	s_or_b32 exec_lo, exec_lo, s0
	s_waitcnt lgkmcnt(0)
	s_waitcnt_vscnt null, 0x0
	s_barrier
	buffer_gl0_inv
	s_clause 0x4
	scratch_load_b128 v[38:41], off, off offset:24
	scratch_load_b128 v[42:45], off, off offset:40
	;; [unrolled: 1-line block ×5, first 2 shown]
	v_mov_b32_e32 v1, 0
	ds_load_b128 v[58:61], v1 offset:176
	ds_load_b128 v[62:65], v1 offset:192
	scratch_load_b128 v[66:69], off, off offset:104
	s_mov_b32 s0, exec_lo
	s_waitcnt vmcnt(5) lgkmcnt(1)
	v_fma_f64 v[40:41], v[40:41], v[58:59], 0
	s_waitcnt vmcnt(4)
	s_delay_alu instid0(VALU_DEP_1) | instskip(SKIP_1) | instid1(VALU_DEP_1)
	v_fma_f64 v[40:41], v[42:43], v[60:61], v[40:41]
	s_waitcnt lgkmcnt(0)
	v_fma_f64 v[44:45], v[44:45], v[62:63], v[40:41]
	scratch_load_b128 v[40:43], off, off offset:120
	s_waitcnt vmcnt(4)
	v_fma_f64 v[62:63], v[46:47], v[64:65], v[44:45]
	ds_load_b128 v[44:47], v1 offset:208
	ds_load_b128 v[58:61], v1 offset:224
	s_waitcnt lgkmcnt(1)
	v_fma_f64 v[44:45], v[48:49], v[44:45], v[62:63]
	s_waitcnt vmcnt(3)
	s_delay_alu instid0(VALU_DEP_1) | instskip(SKIP_1) | instid1(VALU_DEP_1)
	v_fma_f64 v[44:45], v[50:51], v[46:47], v[44:45]
	s_waitcnt lgkmcnt(0)
	v_fma_f64 v[44:45], v[52:53], v[58:59], v[44:45]
	s_waitcnt vmcnt(2)
	s_delay_alu instid0(VALU_DEP_1)
	v_fma_f64 v[52:53], v[54:55], v[60:61], v[44:45]
	ds_load_b128 v[44:47], v1 offset:240
	ds_load_b128 v[48:51], v1 offset:256
	s_waitcnt lgkmcnt(1)
	v_fma_f64 v[44:45], v[56:57], v[44:45], v[52:53]
	s_waitcnt vmcnt(1)
	s_delay_alu instid0(VALU_DEP_1) | instskip(SKIP_1) | instid1(VALU_DEP_1)
	v_fma_f64 v[44:45], v[66:67], v[46:47], v[44:45]
	s_waitcnt lgkmcnt(0)
	v_fma_f64 v[44:45], v[68:69], v[48:49], v[44:45]
	s_waitcnt vmcnt(0)
	s_delay_alu instid0(VALU_DEP_1) | instskip(SKIP_3) | instid1(VALU_DEP_1)
	v_fma_f64 v[40:41], v[40:41], v[50:51], v[44:45]
	ds_load_b64 v[44:45], v1 offset:272
	s_waitcnt lgkmcnt(0)
	v_fma_f64 v[40:41], v[42:43], v[44:45], v[40:41]
	v_add_f64 v[38:39], v[38:39], -v[40:41]
	scratch_store_b64 off, v[38:39], off offset:24
	v_cmpx_lt_u32_e32 2, v0
	s_cbranch_execz .LBB80_107
; %bb.106:
	scratch_load_b64 v[38:39], off, off offset:16
	v_mov_b32_e32 v2, v1
	scratch_store_b64 off, v[1:2], off offset:16
	s_waitcnt vmcnt(0)
	ds_store_b64 v3, v[38:39]
.LBB80_107:
	s_or_b32 exec_lo, exec_lo, s0
	s_waitcnt lgkmcnt(0)
	s_waitcnt_vscnt null, 0x0
	s_barrier
	buffer_gl0_inv
	s_clause 0x4
	scratch_load_b128 v[38:41], off, off offset:16
	scratch_load_b128 v[42:45], off, off offset:32
	;; [unrolled: 1-line block ×5, first 2 shown]
	ds_load_2addr_b64 v[58:61], v1 offset0:21 offset1:22
	ds_load_2addr_b64 v[62:65], v1 offset0:23 offset1:24
	scratch_load_b128 v[66:69], off, off offset:96
	s_mov_b32 s0, exec_lo
	s_waitcnt vmcnt(5) lgkmcnt(1)
	v_fma_f64 v[40:41], v[40:41], v[58:59], 0
	s_waitcnt vmcnt(4)
	s_delay_alu instid0(VALU_DEP_1) | instskip(SKIP_1) | instid1(VALU_DEP_1)
	v_fma_f64 v[40:41], v[42:43], v[60:61], v[40:41]
	s_waitcnt lgkmcnt(0)
	v_fma_f64 v[44:45], v[44:45], v[62:63], v[40:41]
	scratch_load_b128 v[40:43], off, off offset:112
	s_waitcnt vmcnt(4)
	v_fma_f64 v[62:63], v[46:47], v[64:65], v[44:45]
	ds_load_2addr_b64 v[44:47], v1 offset0:25 offset1:26
	ds_load_2addr_b64 v[58:61], v1 offset0:27 offset1:28
	s_waitcnt lgkmcnt(1)
	v_fma_f64 v[44:45], v[48:49], v[44:45], v[62:63]
	scratch_load_b64 v[62:63], off, off offset:128
	s_waitcnt vmcnt(4)
	v_fma_f64 v[44:45], v[50:51], v[46:47], v[44:45]
	s_waitcnt lgkmcnt(0)
	s_delay_alu instid0(VALU_DEP_1) | instskip(SKIP_1) | instid1(VALU_DEP_1)
	v_fma_f64 v[44:45], v[52:53], v[58:59], v[44:45]
	s_waitcnt vmcnt(3)
	v_fma_f64 v[52:53], v[54:55], v[60:61], v[44:45]
	ds_load_2addr_b64 v[44:47], v1 offset0:29 offset1:30
	ds_load_2addr_b64 v[48:51], v1 offset0:31 offset1:32
	s_waitcnt lgkmcnt(1)
	v_fma_f64 v[44:45], v[56:57], v[44:45], v[52:53]
	s_waitcnt vmcnt(2)
	s_delay_alu instid0(VALU_DEP_1) | instskip(SKIP_1) | instid1(VALU_DEP_1)
	v_fma_f64 v[44:45], v[66:67], v[46:47], v[44:45]
	s_waitcnt lgkmcnt(0)
	v_fma_f64 v[44:45], v[68:69], v[48:49], v[44:45]
	s_waitcnt vmcnt(1)
	s_delay_alu instid0(VALU_DEP_1) | instskip(SKIP_4) | instid1(VALU_DEP_1)
	v_fma_f64 v[40:41], v[40:41], v[50:51], v[44:45]
	ds_load_2addr_b64 v[44:47], v1 offset0:33 offset1:34
	s_waitcnt lgkmcnt(0)
	v_fma_f64 v[1:2], v[42:43], v[44:45], v[40:41]
	s_waitcnt vmcnt(0)
	v_fma_f64 v[1:2], v[62:63], v[46:47], v[1:2]
	s_delay_alu instid0(VALU_DEP_1)
	v_add_f64 v[1:2], v[38:39], -v[1:2]
	scratch_store_b64 off, v[1:2], off offset:16
	v_cmpx_lt_u32_e32 1, v0
	s_cbranch_execz .LBB80_109
; %bb.108:
	scratch_load_b64 v[1:2], off, off offset:8
	v_mov_b32_e32 v38, 0
	s_delay_alu instid0(VALU_DEP_1)
	v_mov_b32_e32 v39, v38
	scratch_store_b64 off, v[38:39], off offset:8
	s_waitcnt vmcnt(0)
	ds_store_b64 v3, v[1:2]
.LBB80_109:
	s_or_b32 exec_lo, exec_lo, s0
	s_waitcnt lgkmcnt(0)
	s_waitcnt_vscnt null, 0x0
	s_barrier
	buffer_gl0_inv
	s_clause 0x4
	scratch_load_b128 v[39:42], off, off offset:8
	scratch_load_b128 v[43:46], off, off offset:24
	;; [unrolled: 1-line block ×5, first 2 shown]
	v_mov_b32_e32 v38, 0
	ds_load_b128 v[59:62], v38 offset:160
	ds_load_b128 v[63:66], v38 offset:176
	scratch_load_b128 v[67:70], off, off offset:88
	s_mov_b32 s0, exec_lo
	s_waitcnt vmcnt(5) lgkmcnt(1)
	v_fma_f64 v[1:2], v[41:42], v[59:60], 0
	s_waitcnt vmcnt(4)
	s_delay_alu instid0(VALU_DEP_1) | instskip(SKIP_4) | instid1(VALU_DEP_1)
	v_fma_f64 v[1:2], v[43:44], v[61:62], v[1:2]
	scratch_load_b128 v[41:44], off, off offset:104
	s_waitcnt lgkmcnt(0)
	v_fma_f64 v[1:2], v[45:46], v[63:64], v[1:2]
	s_waitcnt vmcnt(4)
	v_fma_f64 v[1:2], v[47:48], v[65:66], v[1:2]
	ds_load_b128 v[45:48], v38 offset:192
	ds_load_b128 v[59:62], v38 offset:208
	scratch_load_b128 v[63:66], off, off offset:120
	s_waitcnt lgkmcnt(1)
	v_fma_f64 v[1:2], v[49:50], v[45:46], v[1:2]
	s_waitcnt vmcnt(4)
	s_delay_alu instid0(VALU_DEP_1)
	v_fma_f64 v[1:2], v[51:52], v[47:48], v[1:2]
	ds_load_b128 v[45:48], v38 offset:224
	ds_load_b128 v[49:52], v38 offset:240
	s_waitcnt lgkmcnt(2)
	v_fma_f64 v[1:2], v[53:54], v[59:60], v[1:2]
	s_waitcnt vmcnt(3)
	s_delay_alu instid0(VALU_DEP_1) | instskip(SKIP_1) | instid1(VALU_DEP_1)
	v_fma_f64 v[1:2], v[55:56], v[61:62], v[1:2]
	s_waitcnt lgkmcnt(1)
	v_fma_f64 v[1:2], v[57:58], v[45:46], v[1:2]
	s_waitcnt vmcnt(2)
	s_delay_alu instid0(VALU_DEP_1) | instskip(SKIP_1) | instid1(VALU_DEP_1)
	v_fma_f64 v[1:2], v[67:68], v[47:48], v[1:2]
	s_waitcnt lgkmcnt(0)
	v_fma_f64 v[1:2], v[69:70], v[49:50], v[1:2]
	s_waitcnt vmcnt(1)
	s_delay_alu instid0(VALU_DEP_1)
	v_fma_f64 v[1:2], v[41:42], v[51:52], v[1:2]
	ds_load_b128 v[45:48], v38 offset:256
	ds_load_b64 v[41:42], v38 offset:272
	s_waitcnt lgkmcnt(1)
	v_fma_f64 v[1:2], v[43:44], v[45:46], v[1:2]
	s_waitcnt vmcnt(0)
	s_delay_alu instid0(VALU_DEP_1) | instskip(SKIP_1) | instid1(VALU_DEP_1)
	v_fma_f64 v[1:2], v[63:64], v[47:48], v[1:2]
	s_waitcnt lgkmcnt(0)
	v_fma_f64 v[1:2], v[65:66], v[41:42], v[1:2]
	s_delay_alu instid0(VALU_DEP_1)
	v_add_f64 v[1:2], v[39:40], -v[1:2]
	scratch_store_b64 off, v[1:2], off offset:8
	v_cmpx_ne_u32_e32 0, v0
	s_cbranch_execz .LBB80_111
; %bb.110:
	scratch_load_b64 v[0:1], off, off
	v_mov_b32_e32 v39, v38
	scratch_store_b64 off, v[38:39], off
	s_waitcnt vmcnt(0)
	ds_store_b64 v3, v[0:1]
.LBB80_111:
	s_or_b32 exec_lo, exec_lo, s0
	s_waitcnt lgkmcnt(0)
	s_waitcnt_vscnt null, 0x0
	s_barrier
	buffer_gl0_inv
	s_clause 0x4
	scratch_load_b128 v[39:42], off, off
	scratch_load_b128 v[0:3], off, off offset:16
	scratch_load_b128 v[43:46], off, off offset:32
	;; [unrolled: 1-line block ×4, first 2 shown]
	ds_load_2addr_b64 v[55:58], v38 offset0:19 offset1:20
	ds_load_2addr_b64 v[59:62], v38 offset0:21 offset1:22
	scratch_load_b128 v[63:66], off, off offset:80
	s_and_b32 vcc_lo, exec_lo, s12
	s_waitcnt vmcnt(5) lgkmcnt(1)
	v_fma_f64 v[41:42], v[41:42], v[55:56], 0
	s_waitcnt vmcnt(4)
	s_delay_alu instid0(VALU_DEP_1) | instskip(SKIP_4) | instid1(VALU_DEP_1)
	v_fma_f64 v[0:1], v[0:1], v[57:58], v[41:42]
	scratch_load_b128 v[55:58], off, off offset:96
	s_waitcnt lgkmcnt(0)
	v_fma_f64 v[0:1], v[2:3], v[59:60], v[0:1]
	s_waitcnt vmcnt(4)
	v_fma_f64 v[0:1], v[43:44], v[61:62], v[0:1]
	ds_load_2addr_b64 v[41:44], v38 offset0:23 offset1:24
	ds_load_2addr_b64 v[59:62], v38 offset0:25 offset1:26
	s_waitcnt lgkmcnt(1)
	v_fma_f64 v[41:42], v[45:46], v[41:42], v[0:1]
	scratch_load_b128 v[0:3], off, off offset:112
	s_waitcnt vmcnt(4)
	v_fma_f64 v[41:42], v[47:48], v[43:44], v[41:42]
	s_waitcnt lgkmcnt(0)
	s_delay_alu instid0(VALU_DEP_1)
	v_fma_f64 v[41:42], v[49:50], v[59:60], v[41:42]
	scratch_load_b64 v[49:50], off, off offset:128
	s_waitcnt vmcnt(4)
	v_fma_f64 v[51:52], v[51:52], v[61:62], v[41:42]
	ds_load_2addr_b64 v[41:44], v38 offset0:27 offset1:28
	ds_load_2addr_b64 v[45:48], v38 offset0:29 offset1:30
	s_waitcnt lgkmcnt(1)
	v_fma_f64 v[41:42], v[53:54], v[41:42], v[51:52]
	s_waitcnt vmcnt(3)
	s_delay_alu instid0(VALU_DEP_1) | instskip(SKIP_1) | instid1(VALU_DEP_1)
	v_fma_f64 v[41:42], v[63:64], v[43:44], v[41:42]
	s_waitcnt lgkmcnt(0)
	v_fma_f64 v[41:42], v[65:66], v[45:46], v[41:42]
	s_waitcnt vmcnt(2)
	s_delay_alu instid0(VALU_DEP_1)
	v_fma_f64 v[51:52], v[55:56], v[47:48], v[41:42]
	ds_load_2addr_b64 v[41:44], v38 offset0:31 offset1:32
	ds_load_2addr_b64 v[45:48], v38 offset0:33 offset1:34
	s_waitcnt lgkmcnt(1)
	v_fma_f64 v[41:42], v[57:58], v[41:42], v[51:52]
	s_waitcnt vmcnt(1)
	s_delay_alu instid0(VALU_DEP_1) | instskip(SKIP_1) | instid1(VALU_DEP_1)
	v_fma_f64 v[0:1], v[0:1], v[43:44], v[41:42]
	s_waitcnt lgkmcnt(0)
	v_fma_f64 v[0:1], v[2:3], v[45:46], v[0:1]
	s_waitcnt vmcnt(0)
	s_delay_alu instid0(VALU_DEP_1) | instskip(NEXT) | instid1(VALU_DEP_1)
	v_fma_f64 v[0:1], v[49:50], v[47:48], v[0:1]
	v_add_f64 v[0:1], v[39:40], -v[0:1]
	scratch_store_b64 off, v[0:1], off
	s_cbranch_vccz .LBB80_145
; %bb.112:
	v_dual_mov_b32 v0, s2 :: v_dual_mov_b32 v1, s3
	s_mov_b32 s0, exec_lo
	flat_load_b32 v0, v[0:1] offset:60
	s_waitcnt vmcnt(0) lgkmcnt(0)
	v_cmpx_ne_u32_e32 16, v0
	s_cbranch_execz .LBB80_114
; %bb.113:
	v_lshl_add_u32 v38, v0, 3, 0
	scratch_load_b64 v[0:1], v38, off offset:-8
	s_waitcnt vmcnt(0)
	scratch_store_b64 off, v[0:1], off offset:120
	scratch_store_b64 v38, v[2:3], off offset:-8
.LBB80_114:
	s_or_b32 exec_lo, exec_lo, s0
	v_dual_mov_b32 v0, s2 :: v_dual_mov_b32 v1, s3
	s_mov_b32 s0, exec_lo
	flat_load_b32 v0, v[0:1] offset:56
	s_waitcnt vmcnt(0) lgkmcnt(0)
	v_cmpx_ne_u32_e32 15, v0
	s_cbranch_execz .LBB80_116
; %bb.115:
	v_lshl_add_u32 v38, v0, 3, 0
	scratch_load_b64 v[0:1], v38, off offset:-8
	scratch_load_b64 v[2:3], off, off offset:112
	s_waitcnt vmcnt(1)
	scratch_store_b64 off, v[0:1], off offset:112
	s_waitcnt vmcnt(0)
	scratch_store_b64 v38, v[2:3], off offset:-8
.LBB80_116:
	s_or_b32 exec_lo, exec_lo, s0
	v_dual_mov_b32 v0, s2 :: v_dual_mov_b32 v1, s3
	s_mov_b32 s0, exec_lo
	flat_load_b32 v0, v[0:1] offset:52
	s_waitcnt vmcnt(0) lgkmcnt(0)
	v_cmpx_ne_u32_e32 14, v0
	s_cbranch_execz .LBB80_118
; %bb.117:
	v_lshl_add_u32 v38, v0, 3, 0
	scratch_load_b64 v[0:1], v38, off offset:-8
	scratch_load_b64 v[2:3], off, off offset:104
	s_waitcnt vmcnt(1)
	scratch_store_b64 off, v[0:1], off offset:104
	s_waitcnt vmcnt(0)
	scratch_store_b64 v38, v[2:3], off offset:-8
.LBB80_118:
	;; [unrolled: 16-line block ×14, first 2 shown]
	s_or_b32 exec_lo, exec_lo, s0
	v_dual_mov_b32 v0, s2 :: v_dual_mov_b32 v1, s3
	s_mov_b32 s0, exec_lo
	flat_load_b32 v2, v[0:1]
	scratch_load_b64 v[0:1], off, off
	s_waitcnt vmcnt(1) lgkmcnt(0)
	v_cmpx_ne_u32_e32 1, v2
	s_cbranch_execz .LBB80_144
; %bb.143:
	v_lshl_add_u32 v38, v2, 3, 0
	scratch_load_b64 v[2:3], v38, off offset:-8
	s_waitcnt vmcnt(0)
	scratch_store_b64 off, v[2:3], off
	scratch_store_b64 v38, v[0:1], off offset:-8
	scratch_load_b64 v[0:1], off, off
.LBB80_144:
	s_or_b32 exec_lo, exec_lo, s0
.LBB80_145:
	s_clause 0x7
	scratch_load_b128 v[38:41], off, off offset:8
	scratch_load_b128 v[42:45], off, off offset:24
	;; [unrolled: 1-line block ×8, first 2 shown]
	s_waitcnt vmcnt(8)
	global_store_b64 v[4:5], v[0:1], off
	s_waitcnt vmcnt(7)
	s_clause 0x1
	global_store_b64 v[6:7], v[38:39], off
	global_store_b64 v[8:9], v[40:41], off
	s_waitcnt vmcnt(6)
	s_clause 0x1
	global_store_b64 v[10:11], v[42:43], off
	;; [unrolled: 4-line block ×8, first 2 shown]
	global_store_b64 v[34:35], v[68:69], off
	s_endpgm
	.section	.rodata,"a",@progbits
	.p2align	6, 0x0
	.amdhsa_kernel _ZN9rocsolver6v33100L18getri_kernel_smallILi17EdPKPdEEvT1_iilPiilS6_bb
		.amdhsa_group_segment_fixed_size 280
		.amdhsa_private_segment_fixed_size 144
		.amdhsa_kernarg_size 60
		.amdhsa_user_sgpr_count 15
		.amdhsa_user_sgpr_dispatch_ptr 0
		.amdhsa_user_sgpr_queue_ptr 0
		.amdhsa_user_sgpr_kernarg_segment_ptr 1
		.amdhsa_user_sgpr_dispatch_id 0
		.amdhsa_user_sgpr_private_segment_size 0
		.amdhsa_wavefront_size32 1
		.amdhsa_uses_dynamic_stack 0
		.amdhsa_enable_private_segment 1
		.amdhsa_system_sgpr_workgroup_id_x 1
		.amdhsa_system_sgpr_workgroup_id_y 0
		.amdhsa_system_sgpr_workgroup_id_z 0
		.amdhsa_system_sgpr_workgroup_info 0
		.amdhsa_system_vgpr_workitem_id 0
		.amdhsa_next_free_vgpr 71
		.amdhsa_next_free_sgpr 17
		.amdhsa_reserve_vcc 1
		.amdhsa_float_round_mode_32 0
		.amdhsa_float_round_mode_16_64 0
		.amdhsa_float_denorm_mode_32 3
		.amdhsa_float_denorm_mode_16_64 3
		.amdhsa_dx10_clamp 1
		.amdhsa_ieee_mode 1
		.amdhsa_fp16_overflow 0
		.amdhsa_workgroup_processor_mode 1
		.amdhsa_memory_ordered 1
		.amdhsa_forward_progress 0
		.amdhsa_shared_vgpr_count 0
		.amdhsa_exception_fp_ieee_invalid_op 0
		.amdhsa_exception_fp_denorm_src 0
		.amdhsa_exception_fp_ieee_div_zero 0
		.amdhsa_exception_fp_ieee_overflow 0
		.amdhsa_exception_fp_ieee_underflow 0
		.amdhsa_exception_fp_ieee_inexact 0
		.amdhsa_exception_int_div_zero 0
	.end_amdhsa_kernel
	.section	.text._ZN9rocsolver6v33100L18getri_kernel_smallILi17EdPKPdEEvT1_iilPiilS6_bb,"axG",@progbits,_ZN9rocsolver6v33100L18getri_kernel_smallILi17EdPKPdEEvT1_iilPiilS6_bb,comdat
.Lfunc_end80:
	.size	_ZN9rocsolver6v33100L18getri_kernel_smallILi17EdPKPdEEvT1_iilPiilS6_bb, .Lfunc_end80-_ZN9rocsolver6v33100L18getri_kernel_smallILi17EdPKPdEEvT1_iilPiilS6_bb
                                        ; -- End function
	.section	.AMDGPU.csdata,"",@progbits
; Kernel info:
; codeLenInByte = 10652
; NumSgprs: 19
; NumVgprs: 71
; ScratchSize: 144
; MemoryBound: 0
; FloatMode: 240
; IeeeMode: 1
; LDSByteSize: 280 bytes/workgroup (compile time only)
; SGPRBlocks: 2
; VGPRBlocks: 8
; NumSGPRsForWavesPerEU: 19
; NumVGPRsForWavesPerEU: 71
; Occupancy: 16
; WaveLimiterHint : 1
; COMPUTE_PGM_RSRC2:SCRATCH_EN: 1
; COMPUTE_PGM_RSRC2:USER_SGPR: 15
; COMPUTE_PGM_RSRC2:TRAP_HANDLER: 0
; COMPUTE_PGM_RSRC2:TGID_X_EN: 1
; COMPUTE_PGM_RSRC2:TGID_Y_EN: 0
; COMPUTE_PGM_RSRC2:TGID_Z_EN: 0
; COMPUTE_PGM_RSRC2:TIDIG_COMP_CNT: 0
	.section	.text._ZN9rocsolver6v33100L18getri_kernel_smallILi18EdPKPdEEvT1_iilPiilS6_bb,"axG",@progbits,_ZN9rocsolver6v33100L18getri_kernel_smallILi18EdPKPdEEvT1_iilPiilS6_bb,comdat
	.globl	_ZN9rocsolver6v33100L18getri_kernel_smallILi18EdPKPdEEvT1_iilPiilS6_bb ; -- Begin function _ZN9rocsolver6v33100L18getri_kernel_smallILi18EdPKPdEEvT1_iilPiilS6_bb
	.p2align	8
	.type	_ZN9rocsolver6v33100L18getri_kernel_smallILi18EdPKPdEEvT1_iilPiilS6_bb,@function
_ZN9rocsolver6v33100L18getri_kernel_smallILi18EdPKPdEEvT1_iilPiilS6_bb: ; @_ZN9rocsolver6v33100L18getri_kernel_smallILi18EdPKPdEEvT1_iilPiilS6_bb
; %bb.0:
	s_mov_b32 s2, exec_lo
	v_cmpx_gt_u32_e32 18, v0
	s_cbranch_execz .LBB81_82
; %bb.1:
	s_clause 0x1
	s_load_b32 s13, s[0:1], 0x38
	s_load_b64 s[2:3], s[0:1], 0x0
	s_mov_b32 s8, s15
	s_load_b128 s[4:7], s[0:1], 0x28
	s_waitcnt lgkmcnt(0)
	s_bitcmp1_b32 s13, 8
	s_cselect_b32 s12, -1, 0
	s_ashr_i32 s9, s15, 31
	s_delay_alu instid0(SALU_CYCLE_1) | instskip(NEXT) | instid1(SALU_CYCLE_1)
	s_lshl_b64 s[10:11], s[8:9], 3
	s_add_u32 s2, s2, s10
	s_addc_u32 s3, s3, s11
	s_load_b64 s[10:11], s[2:3], 0x0
	s_bfe_u32 s2, s13, 0x10008
	s_delay_alu instid0(SALU_CYCLE_1)
	s_cmp_eq_u32 s2, 0
                                        ; implicit-def: $sgpr2_sgpr3
	s_cbranch_scc1 .LBB81_3
; %bb.2:
	s_clause 0x1
	s_load_b32 s2, s[0:1], 0x20
	s_load_b64 s[14:15], s[0:1], 0x18
	s_mul_i32 s3, s8, s5
	s_mul_hi_u32 s5, s8, s4
	s_mul_i32 s16, s9, s4
	s_add_i32 s3, s5, s3
	s_mul_i32 s4, s8, s4
	s_add_i32 s5, s3, s16
	s_delay_alu instid0(SALU_CYCLE_1)
	s_lshl_b64 s[4:5], s[4:5], 2
	s_waitcnt lgkmcnt(0)
	s_ashr_i32 s3, s2, 31
	s_add_u32 s4, s14, s4
	s_addc_u32 s5, s15, s5
	s_lshl_b64 s[2:3], s[2:3], 2
	s_delay_alu instid0(SALU_CYCLE_1)
	s_add_u32 s2, s4, s2
	s_addc_u32 s3, s5, s3
.LBB81_3:
	s_load_b64 s[0:1], s[0:1], 0x8
	v_lshlrev_b32_e32 v3, 3, v0
	s_waitcnt lgkmcnt(0)
	v_add3_u32 v1, s1, s1, v0
	s_ashr_i32 s5, s0, 31
	s_mov_b32 s4, s0
	s_mov_b32 s14, s1
	s_lshl_b64 s[4:5], s[4:5], 3
	v_add_nc_u32_e32 v8, s1, v1
	v_ashrrev_i32_e32 v2, 31, v1
	s_add_u32 s4, s10, s4
	s_addc_u32 s5, s11, s5
	v_add_co_u32 v4, s0, s4, v3
	v_add_nc_u32_e32 v10, s1, v8
	s_ashr_i32 s15, s1, 31
	v_add_co_ci_u32_e64 v5, null, s5, 0, s0
	v_lshlrev_b64 v[1:2], 3, v[1:2]
	s_delay_alu instid0(VALU_DEP_3)
	v_add_nc_u32_e32 v14, s1, v10
	v_ashrrev_i32_e32 v9, 31, v8
	s_lshl_b64 s[10:11], s[14:15], 3
	v_ashrrev_i32_e32 v11, 31, v10
	v_add_co_u32 v6, vcc_lo, v4, s10
	v_add_nc_u32_e32 v16, s1, v14
	v_add_co_ci_u32_e32 v7, vcc_lo, s11, v5, vcc_lo
	v_lshlrev_b64 v[12:13], 3, v[8:9]
	v_add_co_u32 v8, vcc_lo, s4, v1
	v_add_co_ci_u32_e32 v9, vcc_lo, s5, v2, vcc_lo
	v_lshlrev_b64 v[1:2], 3, v[10:11]
	v_ashrrev_i32_e32 v15, 31, v14
	v_add_nc_u32_e32 v18, s1, v16
	v_add_co_u32 v10, vcc_lo, s4, v12
	v_ashrrev_i32_e32 v17, 31, v16
	v_add_co_ci_u32_e32 v11, vcc_lo, s5, v13, vcc_lo
	v_lshlrev_b64 v[14:15], 3, v[14:15]
	v_add_nc_u32_e32 v20, s1, v18
	v_add_co_u32 v12, vcc_lo, s4, v1
	v_add_co_ci_u32_e32 v13, vcc_lo, s5, v2, vcc_lo
	v_lshlrev_b64 v[1:2], 3, v[16:17]
	v_ashrrev_i32_e32 v19, 31, v18
	v_add_nc_u32_e32 v22, s1, v20
	v_add_co_u32 v14, vcc_lo, s4, v14
	v_ashrrev_i32_e32 v21, 31, v20
	v_add_co_ci_u32_e32 v15, vcc_lo, s5, v15, vcc_lo
	v_lshlrev_b64 v[18:19], 3, v[18:19]
	v_add_co_u32 v16, vcc_lo, s4, v1
	v_add_nc_u32_e32 v24, s1, v22
	v_add_co_ci_u32_e32 v17, vcc_lo, s5, v2, vcc_lo
	v_lshlrev_b64 v[1:2], 3, v[20:21]
	v_add_co_u32 v18, vcc_lo, s4, v18
	v_ashrrev_i32_e32 v23, 31, v22
	v_add_nc_u32_e32 v26, s1, v24
	v_add_co_ci_u32_e32 v19, vcc_lo, s5, v19, vcc_lo
	v_add_co_u32 v20, vcc_lo, s4, v1
	v_add_co_ci_u32_e32 v21, vcc_lo, s5, v2, vcc_lo
	v_lshlrev_b64 v[1:2], 3, v[22:23]
	v_ashrrev_i32_e32 v25, 31, v24
	v_add_nc_u32_e32 v28, s1, v26
	v_ashrrev_i32_e32 v27, 31, v26
	s_clause 0x4
	global_load_b64 v[40:41], v3, s[4:5]
	global_load_b64 v[42:43], v[6:7], off
	global_load_b64 v[44:45], v[8:9], off
	;; [unrolled: 1-line block ×4, first 2 shown]
	v_lshlrev_b64 v[24:25], 3, v[24:25]
	v_add_co_u32 v22, vcc_lo, s4, v1
	v_ashrrev_i32_e32 v29, 31, v28
	v_add_co_ci_u32_e32 v23, vcc_lo, s5, v2, vcc_lo
	v_lshlrev_b64 v[1:2], 3, v[26:27]
	v_add_nc_u32_e32 v31, s1, v28
	v_add_co_u32 v24, vcc_lo, s4, v24
	v_lshlrev_b64 v[29:30], 3, v[28:29]
	v_add_co_ci_u32_e32 v25, vcc_lo, s5, v25, vcc_lo
	v_add_co_u32 v26, vcc_lo, s4, v1
	v_ashrrev_i32_e32 v32, 31, v31
	v_add_nc_u32_e32 v1, s1, v31
	v_add_co_ci_u32_e32 v27, vcc_lo, s5, v2, vcc_lo
	v_add_co_u32 v28, vcc_lo, s4, v29
	v_add_co_ci_u32_e32 v29, vcc_lo, s5, v30, vcc_lo
	v_lshlrev_b64 v[30:31], 3, v[31:32]
	v_add_nc_u32_e32 v32, s1, v1
	v_ashrrev_i32_e32 v2, 31, v1
	s_clause 0x7
	global_load_b64 v[50:51], v[14:15], off
	global_load_b64 v[52:53], v[16:17], off
	;; [unrolled: 1-line block ×8, first 2 shown]
	s_bitcmp0_b32 s13, 0
	v_add_nc_u32_e32 v34, s1, v32
	v_lshlrev_b64 v[1:2], 3, v[1:2]
	v_ashrrev_i32_e32 v33, 31, v32
	v_add_co_u32 v30, vcc_lo, s4, v30
	s_delay_alu instid0(VALU_DEP_4)
	v_add_nc_u32_e32 v38, s1, v34
	v_ashrrev_i32_e32 v35, 31, v34
	v_add_co_ci_u32_e32 v31, vcc_lo, s5, v31, vcc_lo
	v_lshlrev_b64 v[36:37], 3, v[32:33]
	v_add_co_u32 v32, vcc_lo, s4, v1
	v_ashrrev_i32_e32 v39, 31, v38
	v_add_co_ci_u32_e32 v33, vcc_lo, s5, v2, vcc_lo
	v_lshlrev_b64 v[1:2], 3, v[34:35]
	v_add_co_u32 v34, vcc_lo, s4, v36
	s_delay_alu instid0(VALU_DEP_4) | instskip(SKIP_1) | instid1(VALU_DEP_4)
	v_lshlrev_b64 v[38:39], 3, v[38:39]
	v_add_co_ci_u32_e32 v35, vcc_lo, s5, v37, vcc_lo
	v_add_co_u32 v36, vcc_lo, s4, v1
	v_add_co_ci_u32_e32 v37, vcc_lo, s5, v2, vcc_lo
	s_delay_alu instid0(VALU_DEP_4)
	v_add_co_u32 v38, vcc_lo, s4, v38
	v_add_co_ci_u32_e32 v39, vcc_lo, s5, v39, vcc_lo
	s_clause 0x4
	global_load_b64 v[66:67], v[30:31], off
	global_load_b64 v[68:69], v[32:33], off
	;; [unrolled: 1-line block ×5, first 2 shown]
	s_mov_b32 s1, -1
	s_waitcnt vmcnt(16)
	scratch_store_b128 off, v[40:43], off
	s_waitcnt vmcnt(14)
	scratch_store_b128 off, v[44:47], off offset:16
	s_waitcnt vmcnt(12)
	scratch_store_b128 off, v[48:51], off offset:32
	;; [unrolled: 2-line block ×8, first 2 shown]
	s_cbranch_scc1 .LBB81_80
; %bb.4:
	v_cmp_eq_u32_e64 s0, 0, v0
	s_delay_alu instid0(VALU_DEP_1)
	s_and_saveexec_b32 s1, s0
	s_cbranch_execz .LBB81_6
; %bb.5:
	v_mov_b32_e32 v1, 0
	ds_store_b32 v1, v1 offset:288
.LBB81_6:
	s_or_b32 exec_lo, exec_lo, s1
	s_waitcnt lgkmcnt(0)
	s_waitcnt_vscnt null, 0x0
	s_barrier
	buffer_gl0_inv
	scratch_load_b64 v[1:2], v3, off
	s_mov_b32 s4, exec_lo
	s_waitcnt vmcnt(0)
	v_cmpx_eq_f64_e32 0, v[1:2]
	s_cbranch_execz .LBB81_10
; %bb.7:
	v_mov_b32_e32 v1, 0
	s_mov_b32 s5, 0
	ds_load_b32 v2, v1 offset:288
	s_waitcnt lgkmcnt(0)
	v_readfirstlane_b32 s1, v2
	v_add_nc_u32_e32 v2, 1, v0
	s_delay_alu instid0(VALU_DEP_2) | instskip(NEXT) | instid1(VALU_DEP_1)
	s_cmp_eq_u32 s1, 0
	v_cmp_gt_i32_e32 vcc_lo, s1, v2
	s_cselect_b32 s10, -1, 0
	s_delay_alu instid0(SALU_CYCLE_1) | instskip(NEXT) | instid1(SALU_CYCLE_1)
	s_or_b32 s10, s10, vcc_lo
	s_and_b32 exec_lo, exec_lo, s10
	s_cbranch_execz .LBB81_10
; %bb.8:
	v_mov_b32_e32 v40, s1
.LBB81_9:                               ; =>This Inner Loop Header: Depth=1
	ds_cmpstore_rtn_b32 v40, v1, v2, v40 offset:288
	s_waitcnt lgkmcnt(0)
	v_cmp_ne_u32_e32 vcc_lo, 0, v40
	v_cmp_le_i32_e64 s1, v40, v2
	s_delay_alu instid0(VALU_DEP_1) | instskip(NEXT) | instid1(SALU_CYCLE_1)
	s_and_b32 s1, vcc_lo, s1
	s_and_b32 s1, exec_lo, s1
	s_delay_alu instid0(SALU_CYCLE_1) | instskip(NEXT) | instid1(SALU_CYCLE_1)
	s_or_b32 s5, s1, s5
	s_and_not1_b32 exec_lo, exec_lo, s5
	s_cbranch_execnz .LBB81_9
.LBB81_10:
	s_or_b32 exec_lo, exec_lo, s4
	v_mov_b32_e32 v1, 0
	s_barrier
	buffer_gl0_inv
	ds_load_b32 v2, v1 offset:288
	s_and_saveexec_b32 s1, s0
	s_cbranch_execz .LBB81_12
; %bb.11:
	s_lshl_b64 s[4:5], s[8:9], 2
	s_delay_alu instid0(SALU_CYCLE_1)
	s_add_u32 s4, s6, s4
	s_addc_u32 s5, s7, s5
	s_waitcnt lgkmcnt(0)
	global_store_b32 v1, v2, s[4:5]
.LBB81_12:
	s_or_b32 exec_lo, exec_lo, s1
	s_waitcnt lgkmcnt(0)
	v_cmp_ne_u32_e32 vcc_lo, 0, v2
	s_mov_b32 s1, 0
	s_cbranch_vccnz .LBB81_80
; %bb.13:
	v_add_nc_u32_e32 v40, 0, v3
	scratch_load_b64 v[1:2], v40, off
	s_waitcnt vmcnt(0)
	v_div_scale_f64 v[41:42], null, v[1:2], v[1:2], 1.0
	v_div_scale_f64 v[47:48], vcc_lo, 1.0, v[1:2], 1.0
	s_delay_alu instid0(VALU_DEP_2) | instskip(SKIP_2) | instid1(VALU_DEP_1)
	v_rcp_f64_e32 v[43:44], v[41:42]
	s_waitcnt_depctr 0xfff
	v_fma_f64 v[45:46], -v[41:42], v[43:44], 1.0
	v_fma_f64 v[43:44], v[43:44], v[45:46], v[43:44]
	s_delay_alu instid0(VALU_DEP_1) | instskip(NEXT) | instid1(VALU_DEP_1)
	v_fma_f64 v[45:46], -v[41:42], v[43:44], 1.0
	v_fma_f64 v[43:44], v[43:44], v[45:46], v[43:44]
	s_delay_alu instid0(VALU_DEP_1) | instskip(NEXT) | instid1(VALU_DEP_1)
	v_mul_f64 v[45:46], v[47:48], v[43:44]
	v_fma_f64 v[41:42], -v[41:42], v[45:46], v[47:48]
	s_delay_alu instid0(VALU_DEP_1) | instskip(NEXT) | instid1(VALU_DEP_1)
	v_div_fmas_f64 v[41:42], v[41:42], v[43:44], v[45:46]
	v_div_fixup_f64 v[1:2], v[41:42], v[1:2], 1.0
	v_add_nc_u32_e32 v41, 0x90, v3
	scratch_store_b64 v40, v[1:2], off
	scratch_load_b64 v[42:43], off, off offset:8
	v_xor_b32_e32 v2, 0x80000000, v2
	s_waitcnt vmcnt(0)
	ds_store_2addr_b64 v3, v[1:2], v[42:43] offset1:18
	s_waitcnt lgkmcnt(0)
	s_waitcnt_vscnt null, 0x0
	s_barrier
	buffer_gl0_inv
	s_and_saveexec_b32 s1, s0
	s_cbranch_execz .LBB81_15
; %bb.14:
	scratch_load_b64 v[1:2], v40, off
	ds_load_b64 v[42:43], v41
	s_waitcnt vmcnt(0) lgkmcnt(0)
	v_fma_f64 v[1:2], v[1:2], v[42:43], 0
	v_mov_b32_e32 v42, 0
	ds_load_b64 v[42:43], v42 offset:8
	s_waitcnt lgkmcnt(0)
	v_mul_f64 v[1:2], v[1:2], v[42:43]
	scratch_store_b64 off, v[1:2], off offset:8
.LBB81_15:
	s_or_b32 exec_lo, exec_lo, s1
	s_waitcnt_vscnt null, 0x0
	s_barrier
	buffer_gl0_inv
	scratch_load_b64 v[1:2], off, off offset:16
	s_mov_b32 s1, exec_lo
	s_waitcnt vmcnt(0)
	ds_store_b64 v41, v[1:2]
	s_waitcnt lgkmcnt(0)
	s_barrier
	buffer_gl0_inv
	v_cmpx_gt_u32_e32 2, v0
	s_cbranch_execz .LBB81_19
; %bb.16:
	scratch_load_b64 v[1:2], v40, off
	ds_load_b64 v[42:43], v41
	s_waitcnt vmcnt(0) lgkmcnt(0)
	v_fma_f64 v[1:2], v[1:2], v[42:43], 0
	s_and_saveexec_b32 s4, s0
	s_cbranch_execz .LBB81_18
; %bb.17:
	scratch_load_b64 v[42:43], off, off offset:8
	v_mov_b32_e32 v44, 0
	ds_load_b64 v[44:45], v44 offset:152
	s_waitcnt vmcnt(0) lgkmcnt(0)
	v_fma_f64 v[1:2], v[42:43], v[44:45], v[1:2]
.LBB81_18:
	s_or_b32 exec_lo, exec_lo, s4
	v_mov_b32_e32 v42, 0
	ds_load_b64 v[42:43], v42 offset:16
	s_waitcnt lgkmcnt(0)
	v_mul_f64 v[1:2], v[1:2], v[42:43]
	scratch_store_b64 off, v[1:2], off offset:16
.LBB81_19:
	s_or_b32 exec_lo, exec_lo, s1
	s_waitcnt_vscnt null, 0x0
	s_barrier
	buffer_gl0_inv
	scratch_load_b64 v[1:2], off, off offset:24
	v_add_nc_u32_e32 v42, -1, v0
	s_mov_b32 s0, exec_lo
	s_waitcnt vmcnt(0)
	ds_store_b64 v41, v[1:2]
	s_waitcnt lgkmcnt(0)
	s_barrier
	buffer_gl0_inv
	v_cmpx_gt_u32_e32 3, v0
	s_cbranch_execz .LBB81_23
; %bb.20:
	v_dual_mov_b32 v1, 0 :: v_dual_add_nc_u32 v44, 0x90, v3
	v_dual_mov_b32 v2, 0 :: v_dual_add_nc_u32 v43, -1, v0
	v_add_nc_u32_e32 v45, 0, v3
	s_mov_b32 s1, 0
.LBB81_21:                              ; =>This Inner Loop Header: Depth=1
	scratch_load_b64 v[46:47], v45, off
	ds_load_b64 v[48:49], v44
	v_add_nc_u32_e32 v43, 1, v43
	v_add_nc_u32_e32 v44, 8, v44
	v_add_nc_u32_e32 v45, 8, v45
	s_delay_alu instid0(VALU_DEP_3)
	v_cmp_lt_u32_e32 vcc_lo, 1, v43
	s_or_b32 s1, vcc_lo, s1
	s_waitcnt vmcnt(0) lgkmcnt(0)
	v_fma_f64 v[1:2], v[46:47], v[48:49], v[1:2]
	s_and_not1_b32 exec_lo, exec_lo, s1
	s_cbranch_execnz .LBB81_21
; %bb.22:
	s_or_b32 exec_lo, exec_lo, s1
	v_mov_b32_e32 v43, 0
	ds_load_b64 v[43:44], v43 offset:24
	s_waitcnt lgkmcnt(0)
	v_mul_f64 v[1:2], v[1:2], v[43:44]
	scratch_store_b64 off, v[1:2], off offset:24
.LBB81_23:
	s_or_b32 exec_lo, exec_lo, s0
	s_waitcnt_vscnt null, 0x0
	s_barrier
	buffer_gl0_inv
	scratch_load_b64 v[1:2], off, off offset:32
	s_mov_b32 s0, exec_lo
	s_waitcnt vmcnt(0)
	ds_store_b64 v41, v[1:2]
	s_waitcnt lgkmcnt(0)
	s_barrier
	buffer_gl0_inv
	v_cmpx_gt_u32_e32 4, v0
	s_cbranch_execz .LBB81_27
; %bb.24:
	v_dual_mov_b32 v1, 0 :: v_dual_add_nc_u32 v44, 0x90, v3
	v_dual_mov_b32 v2, 0 :: v_dual_add_nc_u32 v43, -1, v0
	v_add_nc_u32_e32 v45, 0, v3
	s_mov_b32 s1, 0
.LBB81_25:                              ; =>This Inner Loop Header: Depth=1
	scratch_load_b64 v[46:47], v45, off
	ds_load_b64 v[48:49], v44
	v_add_nc_u32_e32 v43, 1, v43
	v_add_nc_u32_e32 v44, 8, v44
	v_add_nc_u32_e32 v45, 8, v45
	s_delay_alu instid0(VALU_DEP_3)
	v_cmp_lt_u32_e32 vcc_lo, 2, v43
	s_or_b32 s1, vcc_lo, s1
	s_waitcnt vmcnt(0) lgkmcnt(0)
	v_fma_f64 v[1:2], v[46:47], v[48:49], v[1:2]
	s_and_not1_b32 exec_lo, exec_lo, s1
	s_cbranch_execnz .LBB81_25
; %bb.26:
	s_or_b32 exec_lo, exec_lo, s1
	v_mov_b32_e32 v43, 0
	ds_load_b64 v[43:44], v43 offset:32
	s_waitcnt lgkmcnt(0)
	v_mul_f64 v[1:2], v[1:2], v[43:44]
	scratch_store_b64 off, v[1:2], off offset:32
.LBB81_27:
	s_or_b32 exec_lo, exec_lo, s0
	s_waitcnt_vscnt null, 0x0
	s_barrier
	buffer_gl0_inv
	scratch_load_b64 v[1:2], off, off offset:40
	;; [unrolled: 39-line block ×14, first 2 shown]
	s_mov_b32 s0, exec_lo
	s_waitcnt vmcnt(0)
	ds_store_b64 v41, v[1:2]
	s_waitcnt lgkmcnt(0)
	s_barrier
	buffer_gl0_inv
	v_cmpx_ne_u32_e32 17, v0
	s_cbranch_execz .LBB81_79
; %bb.76:
	v_mov_b32_e32 v1, 0
	v_mov_b32_e32 v2, 0
	s_mov_b32 s1, 0
.LBB81_77:                              ; =>This Inner Loop Header: Depth=1
	scratch_load_b64 v[43:44], v40, off
	ds_load_b64 v[45:46], v41
	v_add_nc_u32_e32 v42, 1, v42
	v_add_nc_u32_e32 v41, 8, v41
	;; [unrolled: 1-line block ×3, first 2 shown]
	s_delay_alu instid0(VALU_DEP_3)
	v_cmp_lt_u32_e32 vcc_lo, 15, v42
	s_or_b32 s1, vcc_lo, s1
	s_waitcnt vmcnt(0) lgkmcnt(0)
	v_fma_f64 v[1:2], v[43:44], v[45:46], v[1:2]
	s_and_not1_b32 exec_lo, exec_lo, s1
	s_cbranch_execnz .LBB81_77
; %bb.78:
	s_or_b32 exec_lo, exec_lo, s1
	v_mov_b32_e32 v3, 0
	ds_load_b64 v[40:41], v3 offset:136
	s_waitcnt lgkmcnt(0)
	v_mul_f64 v[1:2], v[1:2], v[40:41]
	scratch_store_b64 off, v[1:2], off offset:136
.LBB81_79:
	s_or_b32 exec_lo, exec_lo, s0
	s_mov_b32 s1, -1
	s_waitcnt_vscnt null, 0x0
	s_barrier
	buffer_gl0_inv
.LBB81_80:
	s_and_b32 vcc_lo, exec_lo, s1
	s_cbranch_vccz .LBB81_82
; %bb.81:
	s_lshl_b64 s[0:1], s[8:9], 2
	v_mov_b32_e32 v1, 0
	s_add_u32 s0, s6, s0
	s_addc_u32 s1, s7, s1
	global_load_b32 v1, v1, s[0:1]
	s_waitcnt vmcnt(0)
	v_cmp_ne_u32_e32 vcc_lo, 0, v1
	s_cbranch_vccz .LBB81_83
.LBB81_82:
	s_endpgm
.LBB81_83:
	v_lshl_add_u32 v3, v0, 3, 0x90
	s_mov_b32 s0, exec_lo
	v_cmpx_eq_u32_e32 17, v0
	s_cbranch_execz .LBB81_85
; %bb.84:
	scratch_load_b64 v[1:2], off, off offset:128
	v_mov_b32_e32 v40, 0
	s_delay_alu instid0(VALU_DEP_1)
	v_mov_b32_e32 v41, v40
	scratch_store_b64 off, v[40:41], off offset:128
	s_waitcnt vmcnt(0)
	ds_store_b64 v3, v[1:2]
.LBB81_85:
	s_or_b32 exec_lo, exec_lo, s0
	s_waitcnt lgkmcnt(0)
	s_waitcnt_vscnt null, 0x0
	s_barrier
	buffer_gl0_inv
	scratch_load_b128 v[40:43], off, off offset:128
	v_mov_b32_e32 v1, 0
	s_mov_b32 s0, exec_lo
	ds_load_b64 v[44:45], v1 offset:280
	s_waitcnt vmcnt(0) lgkmcnt(0)
	v_fma_f64 v[42:43], v[42:43], v[44:45], 0
	s_delay_alu instid0(VALU_DEP_1)
	v_add_f64 v[40:41], v[40:41], -v[42:43]
	scratch_store_b64 off, v[40:41], off offset:128
	v_cmpx_lt_u32_e32 15, v0
	s_cbranch_execz .LBB81_87
; %bb.86:
	scratch_load_b64 v[40:41], off, off offset:120
	v_mov_b32_e32 v2, v1
	scratch_store_b64 off, v[1:2], off offset:120
	s_waitcnt vmcnt(0)
	ds_store_b64 v3, v[40:41]
.LBB81_87:
	s_or_b32 exec_lo, exec_lo, s0
	s_waitcnt lgkmcnt(0)
	s_waitcnt_vscnt null, 0x0
	s_barrier
	buffer_gl0_inv
	s_clause 0x1
	scratch_load_b128 v[40:43], off, off offset:120
	scratch_load_b64 v[48:49], off, off offset:136
	ds_load_b128 v[44:47], v1 offset:272
	s_mov_b32 s0, exec_lo
	s_waitcnt vmcnt(1) lgkmcnt(0)
	v_fma_f64 v[1:2], v[42:43], v[44:45], 0
	s_waitcnt vmcnt(0)
	s_delay_alu instid0(VALU_DEP_1) | instskip(NEXT) | instid1(VALU_DEP_1)
	v_fma_f64 v[1:2], v[48:49], v[46:47], v[1:2]
	v_add_f64 v[1:2], v[40:41], -v[1:2]
	scratch_store_b64 off, v[1:2], off offset:120
	v_cmpx_lt_u32_e32 14, v0
	s_cbranch_execz .LBB81_89
; %bb.88:
	scratch_load_b64 v[1:2], off, off offset:112
	v_mov_b32_e32 v40, 0
	s_delay_alu instid0(VALU_DEP_1)
	v_mov_b32_e32 v41, v40
	scratch_store_b64 off, v[40:41], off offset:112
	s_waitcnt vmcnt(0)
	ds_store_b64 v3, v[1:2]
.LBB81_89:
	s_or_b32 exec_lo, exec_lo, s0
	s_waitcnt lgkmcnt(0)
	s_waitcnt_vscnt null, 0x0
	s_barrier
	buffer_gl0_inv
	s_clause 0x1
	scratch_load_b128 v[40:43], off, off offset:112
	scratch_load_b128 v[44:47], off, off offset:128
	v_mov_b32_e32 v1, 0
	ds_load_2addr_b64 v[48:51], v1 offset0:33 offset1:34
	ds_load_b64 v[52:53], v1 offset:280
	s_mov_b32 s0, exec_lo
	s_waitcnt vmcnt(1) lgkmcnt(1)
	v_fma_f64 v[42:43], v[42:43], v[48:49], 0
	s_waitcnt vmcnt(0)
	s_delay_alu instid0(VALU_DEP_1) | instskip(SKIP_1) | instid1(VALU_DEP_1)
	v_fma_f64 v[42:43], v[44:45], v[50:51], v[42:43]
	s_waitcnt lgkmcnt(0)
	v_fma_f64 v[42:43], v[46:47], v[52:53], v[42:43]
	s_delay_alu instid0(VALU_DEP_1)
	v_add_f64 v[40:41], v[40:41], -v[42:43]
	scratch_store_b64 off, v[40:41], off offset:112
	v_cmpx_lt_u32_e32 13, v0
	s_cbranch_execz .LBB81_91
; %bb.90:
	scratch_load_b64 v[40:41], off, off offset:104
	v_mov_b32_e32 v2, v1
	scratch_store_b64 off, v[1:2], off offset:104
	s_waitcnt vmcnt(0)
	ds_store_b64 v3, v[40:41]
.LBB81_91:
	s_or_b32 exec_lo, exec_lo, s0
	s_waitcnt lgkmcnt(0)
	s_waitcnt_vscnt null, 0x0
	s_barrier
	buffer_gl0_inv
	s_clause 0x2
	scratch_load_b128 v[40:43], off, off offset:104
	scratch_load_b128 v[44:47], off, off offset:120
	scratch_load_b64 v[56:57], off, off offset:136
	ds_load_b128 v[48:51], v1 offset:256
	ds_load_b128 v[52:55], v1 offset:272
	s_mov_b32 s0, exec_lo
	s_waitcnt vmcnt(2) lgkmcnt(1)
	v_fma_f64 v[1:2], v[42:43], v[48:49], 0
	s_waitcnt vmcnt(1)
	s_delay_alu instid0(VALU_DEP_1) | instskip(SKIP_1) | instid1(VALU_DEP_1)
	v_fma_f64 v[1:2], v[44:45], v[50:51], v[1:2]
	s_waitcnt lgkmcnt(0)
	v_fma_f64 v[1:2], v[46:47], v[52:53], v[1:2]
	s_waitcnt vmcnt(0)
	s_delay_alu instid0(VALU_DEP_1) | instskip(NEXT) | instid1(VALU_DEP_1)
	v_fma_f64 v[1:2], v[56:57], v[54:55], v[1:2]
	v_add_f64 v[1:2], v[40:41], -v[1:2]
	scratch_store_b64 off, v[1:2], off offset:104
	v_cmpx_lt_u32_e32 12, v0
	s_cbranch_execz .LBB81_93
; %bb.92:
	scratch_load_b64 v[1:2], off, off offset:96
	v_mov_b32_e32 v40, 0
	s_delay_alu instid0(VALU_DEP_1)
	v_mov_b32_e32 v41, v40
	scratch_store_b64 off, v[40:41], off offset:96
	s_waitcnt vmcnt(0)
	ds_store_b64 v3, v[1:2]
.LBB81_93:
	s_or_b32 exec_lo, exec_lo, s0
	s_waitcnt lgkmcnt(0)
	s_waitcnt_vscnt null, 0x0
	s_barrier
	buffer_gl0_inv
	s_clause 0x2
	scratch_load_b128 v[40:43], off, off offset:96
	scratch_load_b128 v[44:47], off, off offset:112
	;; [unrolled: 1-line block ×3, first 2 shown]
	v_mov_b32_e32 v1, 0
	ds_load_2addr_b64 v[52:55], v1 offset0:31 offset1:32
	ds_load_2addr_b64 v[56:59], v1 offset0:33 offset1:34
	s_mov_b32 s0, exec_lo
	s_waitcnt vmcnt(2) lgkmcnt(1)
	v_fma_f64 v[42:43], v[42:43], v[52:53], 0
	s_waitcnt vmcnt(1)
	s_delay_alu instid0(VALU_DEP_1) | instskip(SKIP_4) | instid1(VALU_DEP_1)
	v_fma_f64 v[42:43], v[44:45], v[54:55], v[42:43]
	ds_load_b64 v[44:45], v1 offset:280
	s_waitcnt lgkmcnt(1)
	v_fma_f64 v[42:43], v[46:47], v[56:57], v[42:43]
	s_waitcnt vmcnt(0)
	v_fma_f64 v[42:43], v[48:49], v[58:59], v[42:43]
	s_waitcnt lgkmcnt(0)
	s_delay_alu instid0(VALU_DEP_1) | instskip(NEXT) | instid1(VALU_DEP_1)
	v_fma_f64 v[42:43], v[50:51], v[44:45], v[42:43]
	v_add_f64 v[40:41], v[40:41], -v[42:43]
	scratch_store_b64 off, v[40:41], off offset:96
	v_cmpx_lt_u32_e32 11, v0
	s_cbranch_execz .LBB81_95
; %bb.94:
	scratch_load_b64 v[40:41], off, off offset:88
	v_mov_b32_e32 v2, v1
	scratch_store_b64 off, v[1:2], off offset:88
	s_waitcnt vmcnt(0)
	ds_store_b64 v3, v[40:41]
.LBB81_95:
	s_or_b32 exec_lo, exec_lo, s0
	s_waitcnt lgkmcnt(0)
	s_waitcnt_vscnt null, 0x0
	s_barrier
	buffer_gl0_inv
	s_clause 0x3
	scratch_load_b128 v[40:43], off, off offset:88
	scratch_load_b128 v[44:47], off, off offset:104
	;; [unrolled: 1-line block ×3, first 2 shown]
	scratch_load_b64 v[60:61], off, off offset:136
	ds_load_b128 v[52:55], v1 offset:240
	ds_load_b128 v[56:59], v1 offset:256
	s_mov_b32 s0, exec_lo
	s_waitcnt vmcnt(3) lgkmcnt(1)
	v_fma_f64 v[42:43], v[42:43], v[52:53], 0
	s_waitcnt vmcnt(2)
	s_delay_alu instid0(VALU_DEP_1) | instskip(SKIP_1) | instid1(VALU_DEP_1)
	v_fma_f64 v[42:43], v[44:45], v[54:55], v[42:43]
	s_waitcnt lgkmcnt(0)
	v_fma_f64 v[42:43], v[46:47], v[56:57], v[42:43]
	s_waitcnt vmcnt(1)
	s_delay_alu instid0(VALU_DEP_1) | instskip(SKIP_4) | instid1(VALU_DEP_1)
	v_fma_f64 v[46:47], v[48:49], v[58:59], v[42:43]
	ds_load_b128 v[42:45], v1 offset:272
	s_waitcnt lgkmcnt(0)
	v_fma_f64 v[1:2], v[50:51], v[42:43], v[46:47]
	s_waitcnt vmcnt(0)
	v_fma_f64 v[1:2], v[60:61], v[44:45], v[1:2]
	s_delay_alu instid0(VALU_DEP_1)
	v_add_f64 v[1:2], v[40:41], -v[1:2]
	scratch_store_b64 off, v[1:2], off offset:88
	v_cmpx_lt_u32_e32 10, v0
	s_cbranch_execz .LBB81_97
; %bb.96:
	scratch_load_b64 v[1:2], off, off offset:80
	v_mov_b32_e32 v40, 0
	s_delay_alu instid0(VALU_DEP_1)
	v_mov_b32_e32 v41, v40
	scratch_store_b64 off, v[40:41], off offset:80
	s_waitcnt vmcnt(0)
	ds_store_b64 v3, v[1:2]
.LBB81_97:
	s_or_b32 exec_lo, exec_lo, s0
	s_waitcnt lgkmcnt(0)
	s_waitcnt_vscnt null, 0x0
	s_barrier
	buffer_gl0_inv
	s_clause 0x3
	scratch_load_b128 v[40:43], off, off offset:80
	scratch_load_b128 v[44:47], off, off offset:96
	;; [unrolled: 1-line block ×4, first 2 shown]
	v_mov_b32_e32 v1, 0
	ds_load_2addr_b64 v[56:59], v1 offset0:29 offset1:30
	ds_load_2addr_b64 v[60:63], v1 offset0:31 offset1:32
	s_mov_b32 s0, exec_lo
	s_waitcnt vmcnt(3) lgkmcnt(1)
	v_fma_f64 v[42:43], v[42:43], v[56:57], 0
	s_waitcnt vmcnt(2)
	s_delay_alu instid0(VALU_DEP_1) | instskip(SKIP_1) | instid1(VALU_DEP_1)
	v_fma_f64 v[42:43], v[44:45], v[58:59], v[42:43]
	s_waitcnt lgkmcnt(0)
	v_fma_f64 v[42:43], v[46:47], v[60:61], v[42:43]
	s_waitcnt vmcnt(1)
	s_delay_alu instid0(VALU_DEP_1)
	v_fma_f64 v[46:47], v[48:49], v[62:63], v[42:43]
	ds_load_2addr_b64 v[42:45], v1 offset0:33 offset1:34
	ds_load_b64 v[48:49], v1 offset:280
	s_waitcnt lgkmcnt(1)
	v_fma_f64 v[42:43], v[50:51], v[42:43], v[46:47]
	s_waitcnt vmcnt(0)
	s_delay_alu instid0(VALU_DEP_1) | instskip(SKIP_1) | instid1(VALU_DEP_1)
	v_fma_f64 v[42:43], v[52:53], v[44:45], v[42:43]
	s_waitcnt lgkmcnt(0)
	v_fma_f64 v[42:43], v[54:55], v[48:49], v[42:43]
	s_delay_alu instid0(VALU_DEP_1)
	v_add_f64 v[40:41], v[40:41], -v[42:43]
	scratch_store_b64 off, v[40:41], off offset:80
	v_cmpx_lt_u32_e32 9, v0
	s_cbranch_execz .LBB81_99
; %bb.98:
	scratch_load_b64 v[40:41], off, off offset:72
	v_mov_b32_e32 v2, v1
	scratch_store_b64 off, v[1:2], off offset:72
	s_waitcnt vmcnt(0)
	ds_store_b64 v3, v[40:41]
.LBB81_99:
	s_or_b32 exec_lo, exec_lo, s0
	s_waitcnt lgkmcnt(0)
	s_waitcnt_vscnt null, 0x0
	s_barrier
	buffer_gl0_inv
	s_clause 0x4
	scratch_load_b128 v[40:43], off, off offset:72
	scratch_load_b128 v[44:47], off, off offset:88
	;; [unrolled: 1-line block ×4, first 2 shown]
	scratch_load_b64 v[64:65], off, off offset:136
	ds_load_b128 v[56:59], v1 offset:224
	ds_load_b128 v[60:63], v1 offset:240
	s_mov_b32 s0, exec_lo
	s_waitcnt vmcnt(4) lgkmcnt(1)
	v_fma_f64 v[42:43], v[42:43], v[56:57], 0
	s_waitcnt vmcnt(3)
	s_delay_alu instid0(VALU_DEP_1) | instskip(SKIP_1) | instid1(VALU_DEP_1)
	v_fma_f64 v[42:43], v[44:45], v[58:59], v[42:43]
	s_waitcnt lgkmcnt(0)
	v_fma_f64 v[42:43], v[46:47], v[60:61], v[42:43]
	s_waitcnt vmcnt(2)
	s_delay_alu instid0(VALU_DEP_1)
	v_fma_f64 v[56:57], v[48:49], v[62:63], v[42:43]
	ds_load_b128 v[42:45], v1 offset:256
	ds_load_b128 v[46:49], v1 offset:272
	s_waitcnt lgkmcnt(1)
	v_fma_f64 v[1:2], v[50:51], v[42:43], v[56:57]
	s_waitcnt vmcnt(1)
	s_delay_alu instid0(VALU_DEP_1) | instskip(SKIP_1) | instid1(VALU_DEP_1)
	v_fma_f64 v[1:2], v[52:53], v[44:45], v[1:2]
	s_waitcnt lgkmcnt(0)
	v_fma_f64 v[1:2], v[54:55], v[46:47], v[1:2]
	s_waitcnt vmcnt(0)
	s_delay_alu instid0(VALU_DEP_1) | instskip(NEXT) | instid1(VALU_DEP_1)
	v_fma_f64 v[1:2], v[64:65], v[48:49], v[1:2]
	v_add_f64 v[1:2], v[40:41], -v[1:2]
	scratch_store_b64 off, v[1:2], off offset:72
	v_cmpx_lt_u32_e32 8, v0
	s_cbranch_execz .LBB81_101
; %bb.100:
	scratch_load_b64 v[1:2], off, off offset:64
	v_mov_b32_e32 v40, 0
	s_delay_alu instid0(VALU_DEP_1)
	v_mov_b32_e32 v41, v40
	scratch_store_b64 off, v[40:41], off offset:64
	s_waitcnt vmcnt(0)
	ds_store_b64 v3, v[1:2]
.LBB81_101:
	s_or_b32 exec_lo, exec_lo, s0
	s_waitcnt lgkmcnt(0)
	s_waitcnt_vscnt null, 0x0
	s_barrier
	buffer_gl0_inv
	s_clause 0x4
	scratch_load_b128 v[40:43], off, off offset:64
	scratch_load_b128 v[44:47], off, off offset:80
	;; [unrolled: 1-line block ×5, first 2 shown]
	v_mov_b32_e32 v1, 0
	ds_load_2addr_b64 v[60:63], v1 offset0:27 offset1:28
	ds_load_2addr_b64 v[64:67], v1 offset0:29 offset1:30
	s_mov_b32 s0, exec_lo
	s_waitcnt vmcnt(4) lgkmcnt(1)
	v_fma_f64 v[42:43], v[42:43], v[60:61], 0
	s_waitcnt vmcnt(3)
	s_delay_alu instid0(VALU_DEP_1) | instskip(SKIP_1) | instid1(VALU_DEP_1)
	v_fma_f64 v[42:43], v[44:45], v[62:63], v[42:43]
	s_waitcnt lgkmcnt(0)
	v_fma_f64 v[42:43], v[46:47], v[64:65], v[42:43]
	s_waitcnt vmcnt(2)
	s_delay_alu instid0(VALU_DEP_1)
	v_fma_f64 v[60:61], v[48:49], v[66:67], v[42:43]
	ds_load_2addr_b64 v[42:45], v1 offset0:31 offset1:32
	ds_load_2addr_b64 v[46:49], v1 offset0:33 offset1:34
	s_waitcnt lgkmcnt(1)
	v_fma_f64 v[42:43], v[50:51], v[42:43], v[60:61]
	s_waitcnt vmcnt(1)
	s_delay_alu instid0(VALU_DEP_1) | instskip(SKIP_4) | instid1(VALU_DEP_1)
	v_fma_f64 v[42:43], v[52:53], v[44:45], v[42:43]
	ds_load_b64 v[44:45], v1 offset:280
	s_waitcnt lgkmcnt(1)
	v_fma_f64 v[42:43], v[54:55], v[46:47], v[42:43]
	s_waitcnt vmcnt(0)
	v_fma_f64 v[42:43], v[56:57], v[48:49], v[42:43]
	s_waitcnt lgkmcnt(0)
	s_delay_alu instid0(VALU_DEP_1) | instskip(NEXT) | instid1(VALU_DEP_1)
	v_fma_f64 v[42:43], v[58:59], v[44:45], v[42:43]
	v_add_f64 v[40:41], v[40:41], -v[42:43]
	scratch_store_b64 off, v[40:41], off offset:64
	v_cmpx_lt_u32_e32 7, v0
	s_cbranch_execz .LBB81_103
; %bb.102:
	scratch_load_b64 v[40:41], off, off offset:56
	v_mov_b32_e32 v2, v1
	scratch_store_b64 off, v[1:2], off offset:56
	s_waitcnt vmcnt(0)
	ds_store_b64 v3, v[40:41]
.LBB81_103:
	s_or_b32 exec_lo, exec_lo, s0
	s_waitcnt lgkmcnt(0)
	s_waitcnt_vscnt null, 0x0
	s_barrier
	buffer_gl0_inv
	s_clause 0x4
	scratch_load_b128 v[40:43], off, off offset:56
	scratch_load_b128 v[44:47], off, off offset:72
	;; [unrolled: 1-line block ×5, first 2 shown]
	ds_load_b128 v[60:63], v1 offset:208
	ds_load_b128 v[64:67], v1 offset:224
	s_mov_b32 s0, exec_lo
	s_waitcnt vmcnt(4) lgkmcnt(1)
	v_fma_f64 v[42:43], v[42:43], v[60:61], 0
	scratch_load_b64 v[60:61], off, off offset:136
	s_waitcnt vmcnt(4)
	v_fma_f64 v[42:43], v[44:45], v[62:63], v[42:43]
	s_waitcnt lgkmcnt(0)
	s_delay_alu instid0(VALU_DEP_1) | instskip(SKIP_1) | instid1(VALU_DEP_1)
	v_fma_f64 v[42:43], v[46:47], v[64:65], v[42:43]
	s_waitcnt vmcnt(3)
	v_fma_f64 v[62:63], v[48:49], v[66:67], v[42:43]
	ds_load_b128 v[42:45], v1 offset:240
	ds_load_b128 v[46:49], v1 offset:256
	s_waitcnt lgkmcnt(1)
	v_fma_f64 v[42:43], v[50:51], v[42:43], v[62:63]
	s_waitcnt vmcnt(2)
	s_delay_alu instid0(VALU_DEP_1) | instskip(SKIP_1) | instid1(VALU_DEP_1)
	v_fma_f64 v[42:43], v[52:53], v[44:45], v[42:43]
	s_waitcnt lgkmcnt(0)
	v_fma_f64 v[42:43], v[54:55], v[46:47], v[42:43]
	s_waitcnt vmcnt(1)
	s_delay_alu instid0(VALU_DEP_1) | instskip(SKIP_4) | instid1(VALU_DEP_1)
	v_fma_f64 v[46:47], v[56:57], v[48:49], v[42:43]
	ds_load_b128 v[42:45], v1 offset:272
	s_waitcnt lgkmcnt(0)
	v_fma_f64 v[1:2], v[58:59], v[42:43], v[46:47]
	s_waitcnt vmcnt(0)
	v_fma_f64 v[1:2], v[60:61], v[44:45], v[1:2]
	s_delay_alu instid0(VALU_DEP_1)
	v_add_f64 v[1:2], v[40:41], -v[1:2]
	scratch_store_b64 off, v[1:2], off offset:56
	v_cmpx_lt_u32_e32 6, v0
	s_cbranch_execz .LBB81_105
; %bb.104:
	scratch_load_b64 v[1:2], off, off offset:48
	v_mov_b32_e32 v40, 0
	s_delay_alu instid0(VALU_DEP_1)
	v_mov_b32_e32 v41, v40
	scratch_store_b64 off, v[40:41], off offset:48
	s_waitcnt vmcnt(0)
	ds_store_b64 v3, v[1:2]
.LBB81_105:
	s_or_b32 exec_lo, exec_lo, s0
	s_waitcnt lgkmcnt(0)
	s_waitcnt_vscnt null, 0x0
	s_barrier
	buffer_gl0_inv
	s_clause 0x4
	scratch_load_b128 v[40:43], off, off offset:48
	scratch_load_b128 v[44:47], off, off offset:64
	;; [unrolled: 1-line block ×5, first 2 shown]
	v_mov_b32_e32 v1, 0
	ds_load_2addr_b64 v[60:63], v1 offset0:25 offset1:26
	ds_load_2addr_b64 v[64:67], v1 offset0:27 offset1:28
	scratch_load_b128 v[68:71], off, off offset:128
	s_mov_b32 s0, exec_lo
	s_waitcnt vmcnt(5) lgkmcnt(1)
	v_fma_f64 v[42:43], v[42:43], v[60:61], 0
	s_waitcnt vmcnt(4)
	s_delay_alu instid0(VALU_DEP_1) | instskip(SKIP_1) | instid1(VALU_DEP_1)
	v_fma_f64 v[42:43], v[44:45], v[62:63], v[42:43]
	s_waitcnt lgkmcnt(0)
	v_fma_f64 v[42:43], v[46:47], v[64:65], v[42:43]
	s_waitcnt vmcnt(3)
	s_delay_alu instid0(VALU_DEP_1)
	v_fma_f64 v[60:61], v[48:49], v[66:67], v[42:43]
	ds_load_2addr_b64 v[42:45], v1 offset0:29 offset1:30
	ds_load_2addr_b64 v[46:49], v1 offset0:31 offset1:32
	s_waitcnt lgkmcnt(1)
	v_fma_f64 v[42:43], v[50:51], v[42:43], v[60:61]
	s_waitcnt vmcnt(2)
	s_delay_alu instid0(VALU_DEP_1) | instskip(SKIP_1) | instid1(VALU_DEP_1)
	v_fma_f64 v[42:43], v[52:53], v[44:45], v[42:43]
	s_waitcnt lgkmcnt(0)
	v_fma_f64 v[42:43], v[54:55], v[46:47], v[42:43]
	s_waitcnt vmcnt(1)
	s_delay_alu instid0(VALU_DEP_1)
	v_fma_f64 v[46:47], v[56:57], v[48:49], v[42:43]
	ds_load_2addr_b64 v[42:45], v1 offset0:33 offset1:34
	ds_load_b64 v[48:49], v1 offset:280
	s_waitcnt lgkmcnt(1)
	v_fma_f64 v[42:43], v[58:59], v[42:43], v[46:47]
	s_waitcnt vmcnt(0)
	s_delay_alu instid0(VALU_DEP_1) | instskip(SKIP_1) | instid1(VALU_DEP_1)
	v_fma_f64 v[42:43], v[68:69], v[44:45], v[42:43]
	s_waitcnt lgkmcnt(0)
	v_fma_f64 v[42:43], v[70:71], v[48:49], v[42:43]
	s_delay_alu instid0(VALU_DEP_1)
	v_add_f64 v[40:41], v[40:41], -v[42:43]
	scratch_store_b64 off, v[40:41], off offset:48
	v_cmpx_lt_u32_e32 5, v0
	s_cbranch_execz .LBB81_107
; %bb.106:
	scratch_load_b64 v[40:41], off, off offset:40
	v_mov_b32_e32 v2, v1
	scratch_store_b64 off, v[1:2], off offset:40
	s_waitcnt vmcnt(0)
	ds_store_b64 v3, v[40:41]
.LBB81_107:
	s_or_b32 exec_lo, exec_lo, s0
	s_waitcnt lgkmcnt(0)
	s_waitcnt_vscnt null, 0x0
	s_barrier
	buffer_gl0_inv
	s_clause 0x4
	scratch_load_b128 v[40:43], off, off offset:40
	scratch_load_b128 v[44:47], off, off offset:56
	;; [unrolled: 1-line block ×5, first 2 shown]
	ds_load_b128 v[60:63], v1 offset:192
	ds_load_b128 v[64:67], v1 offset:208
	scratch_load_b128 v[68:71], off, off offset:120
	s_mov_b32 s0, exec_lo
	s_waitcnt vmcnt(5) lgkmcnt(1)
	v_fma_f64 v[42:43], v[42:43], v[60:61], 0
	scratch_load_b64 v[60:61], off, off offset:136
	s_waitcnt vmcnt(5)
	v_fma_f64 v[42:43], v[44:45], v[62:63], v[42:43]
	s_waitcnt lgkmcnt(0)
	s_delay_alu instid0(VALU_DEP_1) | instskip(SKIP_1) | instid1(VALU_DEP_1)
	v_fma_f64 v[42:43], v[46:47], v[64:65], v[42:43]
	s_waitcnt vmcnt(4)
	v_fma_f64 v[62:63], v[48:49], v[66:67], v[42:43]
	ds_load_b128 v[42:45], v1 offset:224
	ds_load_b128 v[46:49], v1 offset:240
	s_waitcnt lgkmcnt(1)
	v_fma_f64 v[42:43], v[50:51], v[42:43], v[62:63]
	s_waitcnt vmcnt(3)
	s_delay_alu instid0(VALU_DEP_1) | instskip(SKIP_1) | instid1(VALU_DEP_1)
	v_fma_f64 v[42:43], v[52:53], v[44:45], v[42:43]
	s_waitcnt lgkmcnt(0)
	v_fma_f64 v[42:43], v[54:55], v[46:47], v[42:43]
	s_waitcnt vmcnt(2)
	s_delay_alu instid0(VALU_DEP_1)
	v_fma_f64 v[50:51], v[56:57], v[48:49], v[42:43]
	ds_load_b128 v[42:45], v1 offset:256
	ds_load_b128 v[46:49], v1 offset:272
	s_waitcnt lgkmcnt(1)
	v_fma_f64 v[1:2], v[58:59], v[42:43], v[50:51]
	s_waitcnt vmcnt(1)
	s_delay_alu instid0(VALU_DEP_1) | instskip(SKIP_1) | instid1(VALU_DEP_1)
	v_fma_f64 v[1:2], v[68:69], v[44:45], v[1:2]
	s_waitcnt lgkmcnt(0)
	v_fma_f64 v[1:2], v[70:71], v[46:47], v[1:2]
	s_waitcnt vmcnt(0)
	s_delay_alu instid0(VALU_DEP_1) | instskip(NEXT) | instid1(VALU_DEP_1)
	v_fma_f64 v[1:2], v[60:61], v[48:49], v[1:2]
	v_add_f64 v[1:2], v[40:41], -v[1:2]
	scratch_store_b64 off, v[1:2], off offset:40
	v_cmpx_lt_u32_e32 4, v0
	s_cbranch_execz .LBB81_109
; %bb.108:
	scratch_load_b64 v[1:2], off, off offset:32
	v_mov_b32_e32 v40, 0
	s_delay_alu instid0(VALU_DEP_1)
	v_mov_b32_e32 v41, v40
	scratch_store_b64 off, v[40:41], off offset:32
	s_waitcnt vmcnt(0)
	ds_store_b64 v3, v[1:2]
.LBB81_109:
	s_or_b32 exec_lo, exec_lo, s0
	s_waitcnt lgkmcnt(0)
	s_waitcnt_vscnt null, 0x0
	s_barrier
	buffer_gl0_inv
	s_clause 0x4
	scratch_load_b128 v[40:43], off, off offset:32
	scratch_load_b128 v[44:47], off, off offset:48
	;; [unrolled: 1-line block ×5, first 2 shown]
	v_mov_b32_e32 v1, 0
	ds_load_2addr_b64 v[60:63], v1 offset0:23 offset1:24
	ds_load_2addr_b64 v[64:67], v1 offset0:25 offset1:26
	scratch_load_b128 v[68:71], off, off offset:112
	s_mov_b32 s0, exec_lo
	s_waitcnt vmcnt(5) lgkmcnt(1)
	v_fma_f64 v[42:43], v[42:43], v[60:61], 0
	s_waitcnt vmcnt(4)
	s_delay_alu instid0(VALU_DEP_1) | instskip(SKIP_1) | instid1(VALU_DEP_1)
	v_fma_f64 v[42:43], v[44:45], v[62:63], v[42:43]
	s_waitcnt lgkmcnt(0)
	v_fma_f64 v[46:47], v[46:47], v[64:65], v[42:43]
	scratch_load_b128 v[42:45], off, off offset:128
	s_waitcnt vmcnt(4)
	v_fma_f64 v[64:65], v[48:49], v[66:67], v[46:47]
	ds_load_2addr_b64 v[46:49], v1 offset0:27 offset1:28
	ds_load_2addr_b64 v[60:63], v1 offset0:29 offset1:30
	s_waitcnt lgkmcnt(1)
	v_fma_f64 v[46:47], v[50:51], v[46:47], v[64:65]
	s_waitcnt vmcnt(3)
	s_delay_alu instid0(VALU_DEP_1) | instskip(SKIP_1) | instid1(VALU_DEP_1)
	v_fma_f64 v[46:47], v[52:53], v[48:49], v[46:47]
	s_waitcnt lgkmcnt(0)
	v_fma_f64 v[46:47], v[54:55], v[60:61], v[46:47]
	s_waitcnt vmcnt(2)
	s_delay_alu instid0(VALU_DEP_1)
	v_fma_f64 v[54:55], v[56:57], v[62:63], v[46:47]
	ds_load_2addr_b64 v[46:49], v1 offset0:31 offset1:32
	ds_load_2addr_b64 v[50:53], v1 offset0:33 offset1:34
	s_waitcnt lgkmcnt(1)
	v_fma_f64 v[46:47], v[58:59], v[46:47], v[54:55]
	s_waitcnt vmcnt(1)
	s_delay_alu instid0(VALU_DEP_1) | instskip(SKIP_1) | instid1(VALU_DEP_1)
	v_fma_f64 v[46:47], v[68:69], v[48:49], v[46:47]
	s_waitcnt lgkmcnt(0)
	v_fma_f64 v[46:47], v[70:71], v[50:51], v[46:47]
	s_waitcnt vmcnt(0)
	s_delay_alu instid0(VALU_DEP_1) | instskip(SKIP_3) | instid1(VALU_DEP_1)
	v_fma_f64 v[42:43], v[42:43], v[52:53], v[46:47]
	ds_load_b64 v[46:47], v1 offset:280
	s_waitcnt lgkmcnt(0)
	v_fma_f64 v[42:43], v[44:45], v[46:47], v[42:43]
	v_add_f64 v[40:41], v[40:41], -v[42:43]
	scratch_store_b64 off, v[40:41], off offset:32
	v_cmpx_lt_u32_e32 3, v0
	s_cbranch_execz .LBB81_111
; %bb.110:
	scratch_load_b64 v[40:41], off, off offset:24
	v_mov_b32_e32 v2, v1
	scratch_store_b64 off, v[1:2], off offset:24
	s_waitcnt vmcnt(0)
	ds_store_b64 v3, v[40:41]
.LBB81_111:
	s_or_b32 exec_lo, exec_lo, s0
	s_waitcnt lgkmcnt(0)
	s_waitcnt_vscnt null, 0x0
	s_barrier
	buffer_gl0_inv
	s_clause 0x4
	scratch_load_b128 v[40:43], off, off offset:24
	scratch_load_b128 v[44:47], off, off offset:40
	;; [unrolled: 1-line block ×5, first 2 shown]
	ds_load_b128 v[60:63], v1 offset:176
	ds_load_b128 v[64:67], v1 offset:192
	scratch_load_b128 v[68:71], off, off offset:104
	s_mov_b32 s0, exec_lo
	s_waitcnt vmcnt(5) lgkmcnt(1)
	v_fma_f64 v[42:43], v[42:43], v[60:61], 0
	s_waitcnt vmcnt(4)
	s_delay_alu instid0(VALU_DEP_1) | instskip(SKIP_1) | instid1(VALU_DEP_1)
	v_fma_f64 v[42:43], v[44:45], v[62:63], v[42:43]
	s_waitcnt lgkmcnt(0)
	v_fma_f64 v[46:47], v[46:47], v[64:65], v[42:43]
	scratch_load_b128 v[42:45], off, off offset:120
	s_waitcnt vmcnt(4)
	v_fma_f64 v[64:65], v[48:49], v[66:67], v[46:47]
	ds_load_b128 v[46:49], v1 offset:208
	ds_load_b128 v[60:63], v1 offset:224
	s_waitcnt lgkmcnt(1)
	v_fma_f64 v[46:47], v[50:51], v[46:47], v[64:65]
	scratch_load_b64 v[64:65], off, off offset:136
	s_waitcnt vmcnt(4)
	v_fma_f64 v[46:47], v[52:53], v[48:49], v[46:47]
	s_waitcnt lgkmcnt(0)
	s_delay_alu instid0(VALU_DEP_1) | instskip(SKIP_1) | instid1(VALU_DEP_1)
	v_fma_f64 v[46:47], v[54:55], v[60:61], v[46:47]
	s_waitcnt vmcnt(3)
	v_fma_f64 v[54:55], v[56:57], v[62:63], v[46:47]
	ds_load_b128 v[46:49], v1 offset:240
	ds_load_b128 v[50:53], v1 offset:256
	s_waitcnt lgkmcnt(1)
	v_fma_f64 v[46:47], v[58:59], v[46:47], v[54:55]
	s_waitcnt vmcnt(2)
	s_delay_alu instid0(VALU_DEP_1) | instskip(SKIP_1) | instid1(VALU_DEP_1)
	v_fma_f64 v[46:47], v[68:69], v[48:49], v[46:47]
	s_waitcnt lgkmcnt(0)
	v_fma_f64 v[46:47], v[70:71], v[50:51], v[46:47]
	s_waitcnt vmcnt(1)
	s_delay_alu instid0(VALU_DEP_1) | instskip(SKIP_4) | instid1(VALU_DEP_1)
	v_fma_f64 v[42:43], v[42:43], v[52:53], v[46:47]
	ds_load_b128 v[46:49], v1 offset:272
	s_waitcnt lgkmcnt(0)
	v_fma_f64 v[1:2], v[44:45], v[46:47], v[42:43]
	s_waitcnt vmcnt(0)
	v_fma_f64 v[1:2], v[64:65], v[48:49], v[1:2]
	s_delay_alu instid0(VALU_DEP_1)
	v_add_f64 v[1:2], v[40:41], -v[1:2]
	scratch_store_b64 off, v[1:2], off offset:24
	v_cmpx_lt_u32_e32 2, v0
	s_cbranch_execz .LBB81_113
; %bb.112:
	scratch_load_b64 v[1:2], off, off offset:16
	v_mov_b32_e32 v40, 0
	s_delay_alu instid0(VALU_DEP_1)
	v_mov_b32_e32 v41, v40
	scratch_store_b64 off, v[40:41], off offset:16
	s_waitcnt vmcnt(0)
	ds_store_b64 v3, v[1:2]
.LBB81_113:
	s_or_b32 exec_lo, exec_lo, s0
	s_waitcnt lgkmcnt(0)
	s_waitcnt_vscnt null, 0x0
	s_barrier
	buffer_gl0_inv
	s_clause 0x4
	scratch_load_b128 v[40:43], off, off offset:16
	scratch_load_b128 v[44:47], off, off offset:32
	scratch_load_b128 v[48:51], off, off offset:48
	scratch_load_b128 v[52:55], off, off offset:64
	scratch_load_b128 v[56:59], off, off offset:80
	v_mov_b32_e32 v1, 0
	ds_load_2addr_b64 v[60:63], v1 offset0:21 offset1:22
	ds_load_2addr_b64 v[64:67], v1 offset0:23 offset1:24
	scratch_load_b128 v[68:71], off, off offset:96
	s_mov_b32 s0, exec_lo
	s_waitcnt vmcnt(5) lgkmcnt(1)
	v_fma_f64 v[42:43], v[42:43], v[60:61], 0
	s_waitcnt vmcnt(4)
	s_delay_alu instid0(VALU_DEP_1) | instskip(SKIP_1) | instid1(VALU_DEP_1)
	v_fma_f64 v[42:43], v[44:45], v[62:63], v[42:43]
	s_waitcnt lgkmcnt(0)
	v_fma_f64 v[46:47], v[46:47], v[64:65], v[42:43]
	scratch_load_b128 v[42:45], off, off offset:112
	s_waitcnt vmcnt(4)
	v_fma_f64 v[64:65], v[48:49], v[66:67], v[46:47]
	ds_load_2addr_b64 v[46:49], v1 offset0:25 offset1:26
	ds_load_2addr_b64 v[60:63], v1 offset0:27 offset1:28
	s_waitcnt lgkmcnt(1)
	v_fma_f64 v[46:47], v[50:51], v[46:47], v[64:65]
	scratch_load_b128 v[64:67], off, off offset:128
	s_waitcnt vmcnt(4)
	v_fma_f64 v[46:47], v[52:53], v[48:49], v[46:47]
	s_waitcnt lgkmcnt(0)
	s_delay_alu instid0(VALU_DEP_1) | instskip(SKIP_1) | instid1(VALU_DEP_1)
	v_fma_f64 v[46:47], v[54:55], v[60:61], v[46:47]
	s_waitcnt vmcnt(3)
	v_fma_f64 v[54:55], v[56:57], v[62:63], v[46:47]
	ds_load_2addr_b64 v[46:49], v1 offset0:29 offset1:30
	ds_load_2addr_b64 v[50:53], v1 offset0:31 offset1:32
	s_waitcnt lgkmcnt(1)
	v_fma_f64 v[46:47], v[58:59], v[46:47], v[54:55]
	s_waitcnt vmcnt(2)
	s_delay_alu instid0(VALU_DEP_1) | instskip(SKIP_1) | instid1(VALU_DEP_1)
	v_fma_f64 v[46:47], v[68:69], v[48:49], v[46:47]
	s_waitcnt lgkmcnt(0)
	v_fma_f64 v[46:47], v[70:71], v[50:51], v[46:47]
	s_waitcnt vmcnt(1)
	s_delay_alu instid0(VALU_DEP_1)
	v_fma_f64 v[42:43], v[42:43], v[52:53], v[46:47]
	ds_load_2addr_b64 v[46:49], v1 offset0:33 offset1:34
	ds_load_b64 v[50:51], v1 offset:280
	s_waitcnt lgkmcnt(1)
	v_fma_f64 v[42:43], v[44:45], v[46:47], v[42:43]
	s_waitcnt vmcnt(0)
	s_delay_alu instid0(VALU_DEP_1) | instskip(SKIP_1) | instid1(VALU_DEP_1)
	v_fma_f64 v[42:43], v[64:65], v[48:49], v[42:43]
	s_waitcnt lgkmcnt(0)
	v_fma_f64 v[42:43], v[66:67], v[50:51], v[42:43]
	s_delay_alu instid0(VALU_DEP_1)
	v_add_f64 v[40:41], v[40:41], -v[42:43]
	scratch_store_b64 off, v[40:41], off offset:16
	v_cmpx_lt_u32_e32 1, v0
	s_cbranch_execz .LBB81_115
; %bb.114:
	scratch_load_b64 v[40:41], off, off offset:8
	v_mov_b32_e32 v2, v1
	scratch_store_b64 off, v[1:2], off offset:8
	s_waitcnt vmcnt(0)
	ds_store_b64 v3, v[40:41]
.LBB81_115:
	s_or_b32 exec_lo, exec_lo, s0
	s_waitcnt lgkmcnt(0)
	s_waitcnt_vscnt null, 0x0
	s_barrier
	buffer_gl0_inv
	s_clause 0x4
	scratch_load_b128 v[40:43], off, off offset:8
	scratch_load_b128 v[44:47], off, off offset:24
	;; [unrolled: 1-line block ×5, first 2 shown]
	ds_load_b128 v[60:63], v1 offset:160
	ds_load_b128 v[64:67], v1 offset:176
	scratch_load_b128 v[68:71], off, off offset:88
	s_mov_b32 s0, exec_lo
	s_waitcnt vmcnt(5) lgkmcnt(1)
	v_fma_f64 v[42:43], v[42:43], v[60:61], 0
	s_waitcnt vmcnt(4)
	s_delay_alu instid0(VALU_DEP_1) | instskip(SKIP_1) | instid1(VALU_DEP_1)
	v_fma_f64 v[42:43], v[44:45], v[62:63], v[42:43]
	s_waitcnt lgkmcnt(0)
	v_fma_f64 v[46:47], v[46:47], v[64:65], v[42:43]
	scratch_load_b128 v[42:45], off, off offset:104
	s_waitcnt vmcnt(4)
	v_fma_f64 v[64:65], v[48:49], v[66:67], v[46:47]
	ds_load_b128 v[46:49], v1 offset:192
	ds_load_b128 v[60:63], v1 offset:208
	s_waitcnt lgkmcnt(1)
	v_fma_f64 v[46:47], v[50:51], v[46:47], v[64:65]
	scratch_load_b128 v[64:67], off, off offset:120
	s_waitcnt vmcnt(4)
	v_fma_f64 v[46:47], v[52:53], v[48:49], v[46:47]
	s_waitcnt lgkmcnt(0)
	s_delay_alu instid0(VALU_DEP_1)
	v_fma_f64 v[46:47], v[54:55], v[60:61], v[46:47]
	scratch_load_b64 v[54:55], off, off offset:136
	s_waitcnt vmcnt(4)
	v_fma_f64 v[56:57], v[56:57], v[62:63], v[46:47]
	ds_load_b128 v[46:49], v1 offset:224
	ds_load_b128 v[50:53], v1 offset:240
	s_waitcnt lgkmcnt(1)
	v_fma_f64 v[46:47], v[58:59], v[46:47], v[56:57]
	s_waitcnt vmcnt(3)
	s_delay_alu instid0(VALU_DEP_1) | instskip(SKIP_1) | instid1(VALU_DEP_1)
	v_fma_f64 v[46:47], v[68:69], v[48:49], v[46:47]
	s_waitcnt lgkmcnt(0)
	v_fma_f64 v[46:47], v[70:71], v[50:51], v[46:47]
	s_waitcnt vmcnt(2)
	s_delay_alu instid0(VALU_DEP_1)
	v_fma_f64 v[42:43], v[42:43], v[52:53], v[46:47]
	ds_load_b128 v[46:49], v1 offset:256
	ds_load_b128 v[50:53], v1 offset:272
	s_waitcnt lgkmcnt(1)
	v_fma_f64 v[1:2], v[44:45], v[46:47], v[42:43]
	s_waitcnt vmcnt(1)
	s_delay_alu instid0(VALU_DEP_1) | instskip(SKIP_1) | instid1(VALU_DEP_1)
	v_fma_f64 v[1:2], v[64:65], v[48:49], v[1:2]
	s_waitcnt lgkmcnt(0)
	v_fma_f64 v[1:2], v[66:67], v[50:51], v[1:2]
	s_waitcnt vmcnt(0)
	s_delay_alu instid0(VALU_DEP_1) | instskip(NEXT) | instid1(VALU_DEP_1)
	v_fma_f64 v[1:2], v[54:55], v[52:53], v[1:2]
	v_add_f64 v[1:2], v[40:41], -v[1:2]
	scratch_store_b64 off, v[1:2], off offset:8
	v_cmpx_ne_u32_e32 0, v0
	s_cbranch_execz .LBB81_117
; %bb.116:
	scratch_load_b64 v[0:1], off, off
	v_mov_b32_e32 v40, 0
	s_delay_alu instid0(VALU_DEP_1)
	v_mov_b32_e32 v41, v40
	scratch_store_b64 off, v[40:41], off
	s_waitcnt vmcnt(0)
	ds_store_b64 v3, v[0:1]
.LBB81_117:
	s_or_b32 exec_lo, exec_lo, s0
	s_waitcnt lgkmcnt(0)
	s_waitcnt_vscnt null, 0x0
	s_barrier
	buffer_gl0_inv
	s_clause 0x4
	scratch_load_b128 v[40:43], off, off
	scratch_load_b128 v[0:3], off, off offset:16
	scratch_load_b128 v[44:47], off, off offset:32
	;; [unrolled: 1-line block ×4, first 2 shown]
	v_mov_b32_e32 v68, 0
	ds_load_2addr_b64 v[56:59], v68 offset0:19 offset1:20
	ds_load_2addr_b64 v[60:63], v68 offset0:21 offset1:22
	scratch_load_b128 v[64:67], off, off offset:80
	s_and_b32 vcc_lo, exec_lo, s12
	s_waitcnt vmcnt(5) lgkmcnt(1)
	v_fma_f64 v[42:43], v[42:43], v[56:57], 0
	s_waitcnt vmcnt(4)
	s_delay_alu instid0(VALU_DEP_1) | instskip(SKIP_4) | instid1(VALU_DEP_1)
	v_fma_f64 v[0:1], v[0:1], v[58:59], v[42:43]
	scratch_load_b128 v[56:59], off, off offset:96
	s_waitcnt lgkmcnt(0)
	v_fma_f64 v[0:1], v[2:3], v[60:61], v[0:1]
	s_waitcnt vmcnt(4)
	v_fma_f64 v[60:61], v[44:45], v[62:63], v[0:1]
	ds_load_2addr_b64 v[0:3], v68 offset0:23 offset1:24
	ds_load_2addr_b64 v[42:45], v68 offset0:25 offset1:26
	s_waitcnt lgkmcnt(1)
	v_fma_f64 v[0:1], v[46:47], v[0:1], v[60:61]
	scratch_load_b128 v[60:63], off, off offset:112
	s_waitcnt vmcnt(4)
	v_fma_f64 v[0:1], v[48:49], v[2:3], v[0:1]
	s_waitcnt lgkmcnt(0)
	s_delay_alu instid0(VALU_DEP_1)
	v_fma_f64 v[42:43], v[50:51], v[42:43], v[0:1]
	scratch_load_b128 v[0:3], off, off offset:128
	s_waitcnt vmcnt(4)
	v_fma_f64 v[50:51], v[52:53], v[44:45], v[42:43]
	ds_load_2addr_b64 v[42:45], v68 offset0:27 offset1:28
	ds_load_2addr_b64 v[46:49], v68 offset0:29 offset1:30
	s_waitcnt lgkmcnt(1)
	v_fma_f64 v[42:43], v[54:55], v[42:43], v[50:51]
	s_waitcnt vmcnt(3)
	s_delay_alu instid0(VALU_DEP_1) | instskip(SKIP_1) | instid1(VALU_DEP_1)
	v_fma_f64 v[42:43], v[64:65], v[44:45], v[42:43]
	s_waitcnt lgkmcnt(0)
	v_fma_f64 v[42:43], v[66:67], v[46:47], v[42:43]
	s_waitcnt vmcnt(2)
	s_delay_alu instid0(VALU_DEP_1)
	v_fma_f64 v[50:51], v[56:57], v[48:49], v[42:43]
	ds_load_2addr_b64 v[42:45], v68 offset0:31 offset1:32
	ds_load_2addr_b64 v[46:49], v68 offset0:33 offset1:34
	s_waitcnt lgkmcnt(1)
	v_fma_f64 v[42:43], v[58:59], v[42:43], v[50:51]
	s_waitcnt vmcnt(1)
	s_delay_alu instid0(VALU_DEP_1) | instskip(SKIP_4) | instid1(VALU_DEP_1)
	v_fma_f64 v[42:43], v[60:61], v[44:45], v[42:43]
	ds_load_b64 v[44:45], v68 offset:280
	s_waitcnt lgkmcnt(1)
	v_fma_f64 v[42:43], v[62:63], v[46:47], v[42:43]
	s_waitcnt vmcnt(0)
	v_fma_f64 v[42:43], v[0:1], v[48:49], v[42:43]
	s_waitcnt lgkmcnt(0)
	s_delay_alu instid0(VALU_DEP_1) | instskip(NEXT) | instid1(VALU_DEP_1)
	v_fma_f64 v[2:3], v[2:3], v[44:45], v[42:43]
	v_add_f64 v[2:3], v[40:41], -v[2:3]
	scratch_store_b64 off, v[2:3], off
	s_cbranch_vccz .LBB81_153
; %bb.118:
	v_dual_mov_b32 v2, s2 :: v_dual_mov_b32 v3, s3
	s_mov_b32 s0, exec_lo
	flat_load_b32 v2, v[2:3] offset:64
	s_waitcnt vmcnt(0) lgkmcnt(0)
	v_cmpx_ne_u32_e32 17, v2
	s_cbranch_execz .LBB81_120
; %bb.119:
	v_lshl_add_u32 v40, v2, 3, 0
	scratch_load_b64 v[2:3], v40, off offset:-8
	s_waitcnt vmcnt(0)
	scratch_store_b64 off, v[2:3], off offset:128
	scratch_store_b64 v40, v[0:1], off offset:-8
.LBB81_120:
	s_or_b32 exec_lo, exec_lo, s0
	v_dual_mov_b32 v0, s2 :: v_dual_mov_b32 v1, s3
	s_mov_b32 s0, exec_lo
	flat_load_b32 v0, v[0:1] offset:60
	s_waitcnt vmcnt(0) lgkmcnt(0)
	v_cmpx_ne_u32_e32 16, v0
	s_cbranch_execz .LBB81_122
; %bb.121:
	v_lshl_add_u32 v40, v0, 3, 0
	scratch_load_b64 v[0:1], v40, off offset:-8
	scratch_load_b64 v[2:3], off, off offset:120
	s_waitcnt vmcnt(1)
	scratch_store_b64 off, v[0:1], off offset:120
	s_waitcnt vmcnt(0)
	scratch_store_b64 v40, v[2:3], off offset:-8
.LBB81_122:
	s_or_b32 exec_lo, exec_lo, s0
	v_dual_mov_b32 v0, s2 :: v_dual_mov_b32 v1, s3
	s_mov_b32 s0, exec_lo
	flat_load_b32 v0, v[0:1] offset:56
	s_waitcnt vmcnt(0) lgkmcnt(0)
	v_cmpx_ne_u32_e32 15, v0
	s_cbranch_execz .LBB81_124
; %bb.123:
	v_lshl_add_u32 v40, v0, 3, 0
	scratch_load_b64 v[0:1], v40, off offset:-8
	scratch_load_b64 v[2:3], off, off offset:112
	s_waitcnt vmcnt(1)
	scratch_store_b64 off, v[0:1], off offset:112
	s_waitcnt vmcnt(0)
	scratch_store_b64 v40, v[2:3], off offset:-8
.LBB81_124:
	;; [unrolled: 16-line block ×15, first 2 shown]
	s_or_b32 exec_lo, exec_lo, s0
	v_dual_mov_b32 v0, s2 :: v_dual_mov_b32 v1, s3
	s_mov_b32 s0, exec_lo
	flat_load_b32 v0, v[0:1]
	scratch_load_b64 v[2:3], off, off
	s_waitcnt vmcnt(1) lgkmcnt(0)
	v_cmpx_ne_u32_e32 1, v0
	s_cbranch_execz .LBB81_152
; %bb.151:
	v_lshl_add_u32 v40, v0, 3, 0
	scratch_load_b64 v[0:1], v40, off offset:-8
	s_waitcnt vmcnt(0)
	scratch_store_b64 off, v[0:1], off
	scratch_store_b64 v40, v[2:3], off offset:-8
	scratch_load_b64 v[2:3], off, off
.LBB81_152:
	s_or_b32 exec_lo, exec_lo, s0
.LBB81_153:
	s_clause 0x8
	scratch_load_b128 v[40:43], off, off offset:8
	scratch_load_b128 v[44:47], off, off offset:24
	;; [unrolled: 1-line block ×8, first 2 shown]
	scratch_load_b64 v[0:1], off, off offset:136
	s_waitcnt vmcnt(9)
	global_store_b64 v[4:5], v[2:3], off
	s_waitcnt vmcnt(8)
	s_clause 0x1
	global_store_b64 v[6:7], v[40:41], off
	global_store_b64 v[8:9], v[42:43], off
	s_waitcnt vmcnt(7)
	s_clause 0x1
	global_store_b64 v[10:11], v[44:45], off
	;; [unrolled: 4-line block ×8, first 2 shown]
	global_store_b64 v[36:37], v[70:71], off
	s_waitcnt vmcnt(0)
	global_store_b64 v[38:39], v[0:1], off
	s_endpgm
	.section	.rodata,"a",@progbits
	.p2align	6, 0x0
	.amdhsa_kernel _ZN9rocsolver6v33100L18getri_kernel_smallILi18EdPKPdEEvT1_iilPiilS6_bb
		.amdhsa_group_segment_fixed_size 296
		.amdhsa_private_segment_fixed_size 160
		.amdhsa_kernarg_size 60
		.amdhsa_user_sgpr_count 15
		.amdhsa_user_sgpr_dispatch_ptr 0
		.amdhsa_user_sgpr_queue_ptr 0
		.amdhsa_user_sgpr_kernarg_segment_ptr 1
		.amdhsa_user_sgpr_dispatch_id 0
		.amdhsa_user_sgpr_private_segment_size 0
		.amdhsa_wavefront_size32 1
		.amdhsa_uses_dynamic_stack 0
		.amdhsa_enable_private_segment 1
		.amdhsa_system_sgpr_workgroup_id_x 1
		.amdhsa_system_sgpr_workgroup_id_y 0
		.amdhsa_system_sgpr_workgroup_id_z 0
		.amdhsa_system_sgpr_workgroup_info 0
		.amdhsa_system_vgpr_workitem_id 0
		.amdhsa_next_free_vgpr 76
		.amdhsa_next_free_sgpr 17
		.amdhsa_reserve_vcc 1
		.amdhsa_float_round_mode_32 0
		.amdhsa_float_round_mode_16_64 0
		.amdhsa_float_denorm_mode_32 3
		.amdhsa_float_denorm_mode_16_64 3
		.amdhsa_dx10_clamp 1
		.amdhsa_ieee_mode 1
		.amdhsa_fp16_overflow 0
		.amdhsa_workgroup_processor_mode 1
		.amdhsa_memory_ordered 1
		.amdhsa_forward_progress 0
		.amdhsa_shared_vgpr_count 0
		.amdhsa_exception_fp_ieee_invalid_op 0
		.amdhsa_exception_fp_denorm_src 0
		.amdhsa_exception_fp_ieee_div_zero 0
		.amdhsa_exception_fp_ieee_overflow 0
		.amdhsa_exception_fp_ieee_underflow 0
		.amdhsa_exception_fp_ieee_inexact 0
		.amdhsa_exception_int_div_zero 0
	.end_amdhsa_kernel
	.section	.text._ZN9rocsolver6v33100L18getri_kernel_smallILi18EdPKPdEEvT1_iilPiilS6_bb,"axG",@progbits,_ZN9rocsolver6v33100L18getri_kernel_smallILi18EdPKPdEEvT1_iilPiilS6_bb,comdat
.Lfunc_end81:
	.size	_ZN9rocsolver6v33100L18getri_kernel_smallILi18EdPKPdEEvT1_iilPiilS6_bb, .Lfunc_end81-_ZN9rocsolver6v33100L18getri_kernel_smallILi18EdPKPdEEvT1_iilPiilS6_bb
                                        ; -- End function
	.section	.AMDGPU.csdata,"",@progbits
; Kernel info:
; codeLenInByte = 11448
; NumSgprs: 19
; NumVgprs: 76
; ScratchSize: 160
; MemoryBound: 0
; FloatMode: 240
; IeeeMode: 1
; LDSByteSize: 296 bytes/workgroup (compile time only)
; SGPRBlocks: 2
; VGPRBlocks: 9
; NumSGPRsForWavesPerEU: 19
; NumVGPRsForWavesPerEU: 76
; Occupancy: 16
; WaveLimiterHint : 1
; COMPUTE_PGM_RSRC2:SCRATCH_EN: 1
; COMPUTE_PGM_RSRC2:USER_SGPR: 15
; COMPUTE_PGM_RSRC2:TRAP_HANDLER: 0
; COMPUTE_PGM_RSRC2:TGID_X_EN: 1
; COMPUTE_PGM_RSRC2:TGID_Y_EN: 0
; COMPUTE_PGM_RSRC2:TGID_Z_EN: 0
; COMPUTE_PGM_RSRC2:TIDIG_COMP_CNT: 0
	.section	.text._ZN9rocsolver6v33100L18getri_kernel_smallILi19EdPKPdEEvT1_iilPiilS6_bb,"axG",@progbits,_ZN9rocsolver6v33100L18getri_kernel_smallILi19EdPKPdEEvT1_iilPiilS6_bb,comdat
	.globl	_ZN9rocsolver6v33100L18getri_kernel_smallILi19EdPKPdEEvT1_iilPiilS6_bb ; -- Begin function _ZN9rocsolver6v33100L18getri_kernel_smallILi19EdPKPdEEvT1_iilPiilS6_bb
	.p2align	8
	.type	_ZN9rocsolver6v33100L18getri_kernel_smallILi19EdPKPdEEvT1_iilPiilS6_bb,@function
_ZN9rocsolver6v33100L18getri_kernel_smallILi19EdPKPdEEvT1_iilPiilS6_bb: ; @_ZN9rocsolver6v33100L18getri_kernel_smallILi19EdPKPdEEvT1_iilPiilS6_bb
; %bb.0:
	s_mov_b32 s2, exec_lo
	v_cmpx_gt_u32_e32 19, v0
	s_cbranch_execz .LBB82_86
; %bb.1:
	s_clause 0x1
	s_load_b32 s13, s[0:1], 0x38
	s_load_b64 s[2:3], s[0:1], 0x0
	s_mov_b32 s8, s15
	s_load_b128 s[4:7], s[0:1], 0x28
	s_waitcnt lgkmcnt(0)
	s_bitcmp1_b32 s13, 8
	s_cselect_b32 s12, -1, 0
	s_ashr_i32 s9, s15, 31
	s_delay_alu instid0(SALU_CYCLE_1) | instskip(NEXT) | instid1(SALU_CYCLE_1)
	s_lshl_b64 s[10:11], s[8:9], 3
	s_add_u32 s2, s2, s10
	s_addc_u32 s3, s3, s11
	s_load_b64 s[10:11], s[2:3], 0x0
	s_bfe_u32 s2, s13, 0x10008
	s_delay_alu instid0(SALU_CYCLE_1)
	s_cmp_eq_u32 s2, 0
                                        ; implicit-def: $sgpr2_sgpr3
	s_cbranch_scc1 .LBB82_3
; %bb.2:
	s_clause 0x1
	s_load_b32 s2, s[0:1], 0x20
	s_load_b64 s[14:15], s[0:1], 0x18
	s_mul_i32 s3, s8, s5
	s_mul_hi_u32 s5, s8, s4
	s_mul_i32 s16, s9, s4
	s_add_i32 s3, s5, s3
	s_mul_i32 s4, s8, s4
	s_add_i32 s5, s3, s16
	s_delay_alu instid0(SALU_CYCLE_1)
	s_lshl_b64 s[4:5], s[4:5], 2
	s_waitcnt lgkmcnt(0)
	s_ashr_i32 s3, s2, 31
	s_add_u32 s4, s14, s4
	s_addc_u32 s5, s15, s5
	s_lshl_b64 s[2:3], s[2:3], 2
	s_delay_alu instid0(SALU_CYCLE_1)
	s_add_u32 s2, s4, s2
	s_addc_u32 s3, s5, s3
.LBB82_3:
	s_load_b64 s[0:1], s[0:1], 0x8
	v_lshlrev_b32_e32 v3, 3, v0
	s_waitcnt lgkmcnt(0)
	v_add3_u32 v1, s1, s1, v0
	s_ashr_i32 s5, s0, 31
	s_mov_b32 s4, s0
	s_mov_b32 s14, s1
	s_lshl_b64 s[4:5], s[4:5], 3
	v_add_nc_u32_e32 v8, s1, v1
	v_ashrrev_i32_e32 v2, 31, v1
	s_add_u32 s4, s10, s4
	s_addc_u32 s5, s11, s5
	v_add_co_u32 v4, s0, s4, v3
	v_add_nc_u32_e32 v10, s1, v8
	s_ashr_i32 s15, s1, 31
	v_add_co_ci_u32_e64 v5, null, s5, 0, s0
	v_lshlrev_b64 v[1:2], 3, v[1:2]
	s_delay_alu instid0(VALU_DEP_3)
	v_add_nc_u32_e32 v14, s1, v10
	v_ashrrev_i32_e32 v9, 31, v8
	s_lshl_b64 s[10:11], s[14:15], 3
	v_ashrrev_i32_e32 v11, 31, v10
	v_add_co_u32 v6, vcc_lo, v4, s10
	v_add_nc_u32_e32 v16, s1, v14
	v_add_co_ci_u32_e32 v7, vcc_lo, s11, v5, vcc_lo
	v_lshlrev_b64 v[12:13], 3, v[8:9]
	v_add_co_u32 v8, vcc_lo, s4, v1
	v_add_co_ci_u32_e32 v9, vcc_lo, s5, v2, vcc_lo
	v_lshlrev_b64 v[1:2], 3, v[10:11]
	v_ashrrev_i32_e32 v15, 31, v14
	v_add_nc_u32_e32 v18, s1, v16
	v_add_co_u32 v10, vcc_lo, s4, v12
	v_ashrrev_i32_e32 v17, 31, v16
	v_add_co_ci_u32_e32 v11, vcc_lo, s5, v13, vcc_lo
	v_lshlrev_b64 v[14:15], 3, v[14:15]
	v_add_nc_u32_e32 v20, s1, v18
	v_add_co_u32 v12, vcc_lo, s4, v1
	v_add_co_ci_u32_e32 v13, vcc_lo, s5, v2, vcc_lo
	v_lshlrev_b64 v[1:2], 3, v[16:17]
	v_ashrrev_i32_e32 v19, 31, v18
	v_add_nc_u32_e32 v22, s1, v20
	v_add_co_u32 v14, vcc_lo, s4, v14
	v_ashrrev_i32_e32 v21, 31, v20
	v_add_co_ci_u32_e32 v15, vcc_lo, s5, v15, vcc_lo
	v_lshlrev_b64 v[18:19], 3, v[18:19]
	v_add_co_u32 v16, vcc_lo, s4, v1
	v_add_nc_u32_e32 v24, s1, v22
	v_add_co_ci_u32_e32 v17, vcc_lo, s5, v2, vcc_lo
	v_lshlrev_b64 v[1:2], 3, v[20:21]
	v_add_co_u32 v18, vcc_lo, s4, v18
	v_ashrrev_i32_e32 v23, 31, v22
	v_add_nc_u32_e32 v26, s1, v24
	v_add_co_ci_u32_e32 v19, vcc_lo, s5, v19, vcc_lo
	v_add_co_u32 v20, vcc_lo, s4, v1
	v_add_co_ci_u32_e32 v21, vcc_lo, s5, v2, vcc_lo
	v_lshlrev_b64 v[1:2], 3, v[22:23]
	v_ashrrev_i32_e32 v25, 31, v24
	v_add_nc_u32_e32 v28, s1, v26
	v_ashrrev_i32_e32 v27, 31, v26
	s_clause 0x4
	global_load_b64 v[42:43], v3, s[4:5]
	global_load_b64 v[44:45], v[6:7], off
	global_load_b64 v[46:47], v[8:9], off
	;; [unrolled: 1-line block ×4, first 2 shown]
	v_lshlrev_b64 v[24:25], 3, v[24:25]
	v_add_co_u32 v22, vcc_lo, s4, v1
	v_ashrrev_i32_e32 v29, 31, v28
	v_add_co_ci_u32_e32 v23, vcc_lo, s5, v2, vcc_lo
	v_lshlrev_b64 v[1:2], 3, v[26:27]
	v_add_nc_u32_e32 v31, s1, v28
	v_add_co_u32 v24, vcc_lo, s4, v24
	v_lshlrev_b64 v[29:30], 3, v[28:29]
	v_add_co_ci_u32_e32 v25, vcc_lo, s5, v25, vcc_lo
	v_add_co_u32 v26, vcc_lo, s4, v1
	v_ashrrev_i32_e32 v32, 31, v31
	v_add_nc_u32_e32 v1, s1, v31
	v_add_co_ci_u32_e32 v27, vcc_lo, s5, v2, vcc_lo
	v_add_co_u32 v28, vcc_lo, s4, v29
	v_add_co_ci_u32_e32 v29, vcc_lo, s5, v30, vcc_lo
	v_lshlrev_b64 v[30:31], 3, v[31:32]
	v_add_nc_u32_e32 v32, s1, v1
	v_ashrrev_i32_e32 v2, 31, v1
	s_clause 0x7
	global_load_b64 v[52:53], v[14:15], off
	global_load_b64 v[54:55], v[16:17], off
	;; [unrolled: 1-line block ×8, first 2 shown]
	s_bitcmp0_b32 s13, 0
	v_add_nc_u32_e32 v34, s1, v32
	v_lshlrev_b64 v[1:2], 3, v[1:2]
	v_ashrrev_i32_e32 v33, 31, v32
	v_add_co_u32 v30, vcc_lo, s4, v30
	s_delay_alu instid0(VALU_DEP_4)
	v_ashrrev_i32_e32 v35, 31, v34
	v_add_nc_u32_e32 v38, s1, v34
	v_add_co_ci_u32_e32 v31, vcc_lo, s5, v31, vcc_lo
	v_lshlrev_b64 v[36:37], 3, v[32:33]
	v_add_co_u32 v32, vcc_lo, s4, v1
	v_add_co_ci_u32_e32 v33, vcc_lo, s5, v2, vcc_lo
	v_lshlrev_b64 v[1:2], 3, v[34:35]
	v_add_nc_u32_e32 v34, s1, v38
	v_ashrrev_i32_e32 v39, 31, v38
	v_add_co_u32 v36, vcc_lo, s4, v36
	v_add_co_ci_u32_e32 v37, vcc_lo, s5, v37, vcc_lo
	s_delay_alu instid0(VALU_DEP_4) | instskip(NEXT) | instid1(VALU_DEP_4)
	v_ashrrev_i32_e32 v35, 31, v34
	v_lshlrev_b64 v[38:39], 3, v[38:39]
	v_add_co_u32 v40, vcc_lo, s4, v1
	v_add_co_ci_u32_e32 v41, vcc_lo, s5, v2, vcc_lo
	s_delay_alu instid0(VALU_DEP_4) | instskip(NEXT) | instid1(VALU_DEP_4)
	v_lshlrev_b64 v[1:2], 3, v[34:35]
	v_add_co_u32 v34, vcc_lo, s4, v38
	v_add_co_ci_u32_e32 v35, vcc_lo, s5, v39, vcc_lo
	s_mov_b32 s1, -1
	s_delay_alu instid0(VALU_DEP_3) | instskip(NEXT) | instid1(VALU_DEP_4)
	v_add_co_u32 v38, vcc_lo, s4, v1
	v_add_co_ci_u32_e32 v39, vcc_lo, s5, v2, vcc_lo
	s_clause 0x5
	global_load_b64 v[68:69], v[30:31], off
	global_load_b64 v[70:71], v[32:33], off
	;; [unrolled: 1-line block ×6, first 2 shown]
	s_waitcnt vmcnt(17)
	scratch_store_b128 off, v[42:45], off
	s_waitcnt vmcnt(15)
	scratch_store_b128 off, v[46:49], off offset:16
	s_waitcnt vmcnt(13)
	scratch_store_b128 off, v[50:53], off offset:32
	;; [unrolled: 2-line block ×8, first 2 shown]
	s_waitcnt vmcnt(0)
	scratch_store_b64 off, v[1:2], off offset:144
	s_cbranch_scc1 .LBB82_84
; %bb.4:
	v_cmp_eq_u32_e64 s0, 0, v0
	s_delay_alu instid0(VALU_DEP_1)
	s_and_saveexec_b32 s1, s0
	s_cbranch_execz .LBB82_6
; %bb.5:
	v_mov_b32_e32 v1, 0
	ds_store_b32 v1, v1 offset:152
.LBB82_6:
	s_or_b32 exec_lo, exec_lo, s1
	s_waitcnt lgkmcnt(0)
	s_waitcnt_vscnt null, 0x0
	s_barrier
	buffer_gl0_inv
	scratch_load_b64 v[1:2], v3, off
	s_mov_b32 s4, exec_lo
	s_waitcnt vmcnt(0)
	v_cmpx_eq_f64_e32 0, v[1:2]
	s_cbranch_execz .LBB82_10
; %bb.7:
	v_mov_b32_e32 v1, 0
	s_mov_b32 s5, 0
	ds_load_b32 v2, v1 offset:152
	s_waitcnt lgkmcnt(0)
	v_readfirstlane_b32 s1, v2
	v_add_nc_u32_e32 v2, 1, v0
	s_delay_alu instid0(VALU_DEP_2) | instskip(NEXT) | instid1(VALU_DEP_1)
	s_cmp_eq_u32 s1, 0
	v_cmp_gt_i32_e32 vcc_lo, s1, v2
	s_cselect_b32 s10, -1, 0
	s_delay_alu instid0(SALU_CYCLE_1) | instskip(NEXT) | instid1(SALU_CYCLE_1)
	s_or_b32 s10, s10, vcc_lo
	s_and_b32 exec_lo, exec_lo, s10
	s_cbranch_execz .LBB82_10
; %bb.8:
	v_mov_b32_e32 v42, s1
.LBB82_9:                               ; =>This Inner Loop Header: Depth=1
	ds_cmpstore_rtn_b32 v42, v1, v2, v42 offset:152
	s_waitcnt lgkmcnt(0)
	v_cmp_ne_u32_e32 vcc_lo, 0, v42
	v_cmp_le_i32_e64 s1, v42, v2
	s_delay_alu instid0(VALU_DEP_1) | instskip(NEXT) | instid1(SALU_CYCLE_1)
	s_and_b32 s1, vcc_lo, s1
	s_and_b32 s1, exec_lo, s1
	s_delay_alu instid0(SALU_CYCLE_1) | instskip(NEXT) | instid1(SALU_CYCLE_1)
	s_or_b32 s5, s1, s5
	s_and_not1_b32 exec_lo, exec_lo, s5
	s_cbranch_execnz .LBB82_9
.LBB82_10:
	s_or_b32 exec_lo, exec_lo, s4
	v_mov_b32_e32 v1, 0
	s_barrier
	buffer_gl0_inv
	ds_load_b32 v2, v1 offset:152
	s_and_saveexec_b32 s1, s0
	s_cbranch_execz .LBB82_12
; %bb.11:
	s_lshl_b64 s[4:5], s[8:9], 2
	s_delay_alu instid0(SALU_CYCLE_1)
	s_add_u32 s4, s6, s4
	s_addc_u32 s5, s7, s5
	s_waitcnt lgkmcnt(0)
	global_store_b32 v1, v2, s[4:5]
.LBB82_12:
	s_or_b32 exec_lo, exec_lo, s1
	s_waitcnt lgkmcnt(0)
	v_cmp_ne_u32_e32 vcc_lo, 0, v2
	s_mov_b32 s1, 0
	s_cbranch_vccnz .LBB82_84
; %bb.13:
	v_add_nc_u32_e32 v42, 0, v3
	scratch_load_b64 v[1:2], v42, off
	s_waitcnt vmcnt(0)
	v_div_scale_f64 v[43:44], null, v[1:2], v[1:2], 1.0
	v_div_scale_f64 v[49:50], vcc_lo, 1.0, v[1:2], 1.0
	s_delay_alu instid0(VALU_DEP_2) | instskip(SKIP_2) | instid1(VALU_DEP_1)
	v_rcp_f64_e32 v[45:46], v[43:44]
	s_waitcnt_depctr 0xfff
	v_fma_f64 v[47:48], -v[43:44], v[45:46], 1.0
	v_fma_f64 v[45:46], v[45:46], v[47:48], v[45:46]
	s_delay_alu instid0(VALU_DEP_1) | instskip(NEXT) | instid1(VALU_DEP_1)
	v_fma_f64 v[47:48], -v[43:44], v[45:46], 1.0
	v_fma_f64 v[45:46], v[45:46], v[47:48], v[45:46]
	s_delay_alu instid0(VALU_DEP_1) | instskip(NEXT) | instid1(VALU_DEP_1)
	v_mul_f64 v[47:48], v[49:50], v[45:46]
	v_fma_f64 v[43:44], -v[43:44], v[47:48], v[49:50]
	s_delay_alu instid0(VALU_DEP_1) | instskip(NEXT) | instid1(VALU_DEP_1)
	v_div_fmas_f64 v[43:44], v[43:44], v[45:46], v[47:48]
	v_div_fixup_f64 v[1:2], v[43:44], v[1:2], 1.0
	v_add_nc_u32_e32 v43, 0xa0, v3
	scratch_store_b64 v42, v[1:2], off
	scratch_load_b64 v[44:45], off, off offset:8
	v_xor_b32_e32 v2, 0x80000000, v2
	s_waitcnt vmcnt(0)
	ds_store_2addr_b64 v3, v[1:2], v[44:45] offset1:20
	s_waitcnt lgkmcnt(0)
	s_waitcnt_vscnt null, 0x0
	s_barrier
	buffer_gl0_inv
	s_and_saveexec_b32 s1, s0
	s_cbranch_execz .LBB82_15
; %bb.14:
	scratch_load_b64 v[1:2], v42, off
	ds_load_b64 v[44:45], v43
	s_waitcnt vmcnt(0) lgkmcnt(0)
	v_fma_f64 v[1:2], v[1:2], v[44:45], 0
	v_mov_b32_e32 v44, 0
	ds_load_b64 v[44:45], v44 offset:8
	s_waitcnt lgkmcnt(0)
	v_mul_f64 v[1:2], v[1:2], v[44:45]
	scratch_store_b64 off, v[1:2], off offset:8
.LBB82_15:
	s_or_b32 exec_lo, exec_lo, s1
	s_waitcnt_vscnt null, 0x0
	s_barrier
	buffer_gl0_inv
	scratch_load_b64 v[1:2], off, off offset:16
	s_mov_b32 s1, exec_lo
	s_waitcnt vmcnt(0)
	ds_store_b64 v43, v[1:2]
	s_waitcnt lgkmcnt(0)
	s_barrier
	buffer_gl0_inv
	v_cmpx_gt_u32_e32 2, v0
	s_cbranch_execz .LBB82_19
; %bb.16:
	scratch_load_b64 v[1:2], v42, off
	ds_load_b64 v[44:45], v43
	s_waitcnt vmcnt(0) lgkmcnt(0)
	v_fma_f64 v[1:2], v[1:2], v[44:45], 0
	s_and_saveexec_b32 s4, s0
	s_cbranch_execz .LBB82_18
; %bb.17:
	scratch_load_b64 v[44:45], off, off offset:8
	v_mov_b32_e32 v46, 0
	ds_load_b64 v[46:47], v46 offset:168
	s_waitcnt vmcnt(0) lgkmcnt(0)
	v_fma_f64 v[1:2], v[44:45], v[46:47], v[1:2]
.LBB82_18:
	s_or_b32 exec_lo, exec_lo, s4
	v_mov_b32_e32 v44, 0
	ds_load_b64 v[44:45], v44 offset:16
	s_waitcnt lgkmcnt(0)
	v_mul_f64 v[1:2], v[1:2], v[44:45]
	scratch_store_b64 off, v[1:2], off offset:16
.LBB82_19:
	s_or_b32 exec_lo, exec_lo, s1
	s_waitcnt_vscnt null, 0x0
	s_barrier
	buffer_gl0_inv
	scratch_load_b64 v[1:2], off, off offset:24
	v_add_nc_u32_e32 v44, -1, v0
	s_mov_b32 s0, exec_lo
	s_waitcnt vmcnt(0)
	ds_store_b64 v43, v[1:2]
	s_waitcnt lgkmcnt(0)
	s_barrier
	buffer_gl0_inv
	v_cmpx_gt_u32_e32 3, v0
	s_cbranch_execz .LBB82_23
; %bb.20:
	v_dual_mov_b32 v1, 0 :: v_dual_add_nc_u32 v46, 0xa0, v3
	v_dual_mov_b32 v2, 0 :: v_dual_add_nc_u32 v45, -1, v0
	v_add_nc_u32_e32 v47, 0, v3
	s_mov_b32 s1, 0
.LBB82_21:                              ; =>This Inner Loop Header: Depth=1
	scratch_load_b64 v[48:49], v47, off
	ds_load_b64 v[50:51], v46
	v_add_nc_u32_e32 v45, 1, v45
	v_add_nc_u32_e32 v46, 8, v46
	v_add_nc_u32_e32 v47, 8, v47
	s_delay_alu instid0(VALU_DEP_3)
	v_cmp_lt_u32_e32 vcc_lo, 1, v45
	s_or_b32 s1, vcc_lo, s1
	s_waitcnt vmcnt(0) lgkmcnt(0)
	v_fma_f64 v[1:2], v[48:49], v[50:51], v[1:2]
	s_and_not1_b32 exec_lo, exec_lo, s1
	s_cbranch_execnz .LBB82_21
; %bb.22:
	s_or_b32 exec_lo, exec_lo, s1
	v_mov_b32_e32 v45, 0
	ds_load_b64 v[45:46], v45 offset:24
	s_waitcnt lgkmcnt(0)
	v_mul_f64 v[1:2], v[1:2], v[45:46]
	scratch_store_b64 off, v[1:2], off offset:24
.LBB82_23:
	s_or_b32 exec_lo, exec_lo, s0
	s_waitcnt_vscnt null, 0x0
	s_barrier
	buffer_gl0_inv
	scratch_load_b64 v[1:2], off, off offset:32
	s_mov_b32 s0, exec_lo
	s_waitcnt vmcnt(0)
	ds_store_b64 v43, v[1:2]
	s_waitcnt lgkmcnt(0)
	s_barrier
	buffer_gl0_inv
	v_cmpx_gt_u32_e32 4, v0
	s_cbranch_execz .LBB82_27
; %bb.24:
	v_dual_mov_b32 v1, 0 :: v_dual_add_nc_u32 v46, 0xa0, v3
	v_dual_mov_b32 v2, 0 :: v_dual_add_nc_u32 v45, -1, v0
	v_add_nc_u32_e32 v47, 0, v3
	s_mov_b32 s1, 0
.LBB82_25:                              ; =>This Inner Loop Header: Depth=1
	scratch_load_b64 v[48:49], v47, off
	ds_load_b64 v[50:51], v46
	v_add_nc_u32_e32 v45, 1, v45
	v_add_nc_u32_e32 v46, 8, v46
	v_add_nc_u32_e32 v47, 8, v47
	s_delay_alu instid0(VALU_DEP_3)
	v_cmp_lt_u32_e32 vcc_lo, 2, v45
	s_or_b32 s1, vcc_lo, s1
	s_waitcnt vmcnt(0) lgkmcnt(0)
	v_fma_f64 v[1:2], v[48:49], v[50:51], v[1:2]
	s_and_not1_b32 exec_lo, exec_lo, s1
	s_cbranch_execnz .LBB82_25
; %bb.26:
	s_or_b32 exec_lo, exec_lo, s1
	v_mov_b32_e32 v45, 0
	ds_load_b64 v[45:46], v45 offset:32
	s_waitcnt lgkmcnt(0)
	v_mul_f64 v[1:2], v[1:2], v[45:46]
	scratch_store_b64 off, v[1:2], off offset:32
.LBB82_27:
	s_or_b32 exec_lo, exec_lo, s0
	s_waitcnt_vscnt null, 0x0
	s_barrier
	buffer_gl0_inv
	scratch_load_b64 v[1:2], off, off offset:40
	;; [unrolled: 39-line block ×15, first 2 shown]
	s_mov_b32 s0, exec_lo
	s_waitcnt vmcnt(0)
	ds_store_b64 v43, v[1:2]
	s_waitcnt lgkmcnt(0)
	s_barrier
	buffer_gl0_inv
	v_cmpx_ne_u32_e32 18, v0
	s_cbranch_execz .LBB82_83
; %bb.80:
	v_mov_b32_e32 v1, 0
	v_mov_b32_e32 v2, 0
	s_mov_b32 s1, 0
.LBB82_81:                              ; =>This Inner Loop Header: Depth=1
	scratch_load_b64 v[45:46], v42, off
	ds_load_b64 v[47:48], v43
	v_add_nc_u32_e32 v44, 1, v44
	v_add_nc_u32_e32 v43, 8, v43
	v_add_nc_u32_e32 v42, 8, v42
	s_delay_alu instid0(VALU_DEP_3)
	v_cmp_lt_u32_e32 vcc_lo, 16, v44
	s_or_b32 s1, vcc_lo, s1
	s_waitcnt vmcnt(0) lgkmcnt(0)
	v_fma_f64 v[1:2], v[45:46], v[47:48], v[1:2]
	s_and_not1_b32 exec_lo, exec_lo, s1
	s_cbranch_execnz .LBB82_81
; %bb.82:
	s_or_b32 exec_lo, exec_lo, s1
	v_mov_b32_e32 v3, 0
	ds_load_b64 v[42:43], v3 offset:144
	s_waitcnt lgkmcnt(0)
	v_mul_f64 v[1:2], v[1:2], v[42:43]
	scratch_store_b64 off, v[1:2], off offset:144
.LBB82_83:
	s_or_b32 exec_lo, exec_lo, s0
	s_mov_b32 s1, -1
	s_waitcnt_vscnt null, 0x0
	s_barrier
	buffer_gl0_inv
.LBB82_84:
	s_and_b32 vcc_lo, exec_lo, s1
	s_cbranch_vccz .LBB82_86
; %bb.85:
	s_lshl_b64 s[0:1], s[8:9], 2
	v_mov_b32_e32 v1, 0
	s_add_u32 s0, s6, s0
	s_addc_u32 s1, s7, s1
	global_load_b32 v1, v1, s[0:1]
	s_waitcnt vmcnt(0)
	v_cmp_ne_u32_e32 vcc_lo, 0, v1
	s_cbranch_vccz .LBB82_87
.LBB82_86:
	s_endpgm
.LBB82_87:
	v_lshl_add_u32 v3, v0, 3, 0xa0
	s_mov_b32 s0, exec_lo
	v_cmpx_eq_u32_e32 18, v0
	s_cbranch_execz .LBB82_89
; %bb.88:
	scratch_load_b64 v[1:2], off, off offset:136
	v_mov_b32_e32 v42, 0
	s_delay_alu instid0(VALU_DEP_1)
	v_mov_b32_e32 v43, v42
	scratch_store_b64 off, v[42:43], off offset:136
	s_waitcnt vmcnt(0)
	ds_store_b64 v3, v[1:2]
.LBB82_89:
	s_or_b32 exec_lo, exec_lo, s0
	s_waitcnt lgkmcnt(0)
	s_waitcnt_vscnt null, 0x0
	s_barrier
	buffer_gl0_inv
	scratch_load_b128 v[42:45], off, off offset:136
	v_mov_b32_e32 v1, 0
	s_mov_b32 s0, exec_lo
	ds_load_b64 v[46:47], v1 offset:304
	s_waitcnt vmcnt(0) lgkmcnt(0)
	v_fma_f64 v[44:45], v[44:45], v[46:47], 0
	s_delay_alu instid0(VALU_DEP_1)
	v_add_f64 v[42:43], v[42:43], -v[44:45]
	scratch_store_b64 off, v[42:43], off offset:136
	v_cmpx_lt_u32_e32 16, v0
	s_cbranch_execz .LBB82_91
; %bb.90:
	scratch_load_b64 v[42:43], off, off offset:128
	v_mov_b32_e32 v2, v1
	scratch_store_b64 off, v[1:2], off offset:128
	s_waitcnt vmcnt(0)
	ds_store_b64 v3, v[42:43]
.LBB82_91:
	s_or_b32 exec_lo, exec_lo, s0
	s_waitcnt lgkmcnt(0)
	s_waitcnt_vscnt null, 0x0
	s_barrier
	buffer_gl0_inv
	s_clause 0x1
	scratch_load_b128 v[42:45], off, off offset:128
	scratch_load_b64 v[50:51], off, off offset:144
	ds_load_2addr_b64 v[46:49], v1 offset0:37 offset1:38
	s_mov_b32 s0, exec_lo
	s_waitcnt vmcnt(1) lgkmcnt(0)
	v_fma_f64 v[1:2], v[44:45], v[46:47], 0
	s_waitcnt vmcnt(0)
	s_delay_alu instid0(VALU_DEP_1) | instskip(NEXT) | instid1(VALU_DEP_1)
	v_fma_f64 v[1:2], v[50:51], v[48:49], v[1:2]
	v_add_f64 v[1:2], v[42:43], -v[1:2]
	scratch_store_b64 off, v[1:2], off offset:128
	v_cmpx_lt_u32_e32 15, v0
	s_cbranch_execz .LBB82_93
; %bb.92:
	scratch_load_b64 v[1:2], off, off offset:120
	v_mov_b32_e32 v42, 0
	s_delay_alu instid0(VALU_DEP_1)
	v_mov_b32_e32 v43, v42
	scratch_store_b64 off, v[42:43], off offset:120
	s_waitcnt vmcnt(0)
	ds_store_b64 v3, v[1:2]
.LBB82_93:
	s_or_b32 exec_lo, exec_lo, s0
	s_waitcnt lgkmcnt(0)
	s_waitcnt_vscnt null, 0x0
	s_barrier
	buffer_gl0_inv
	s_clause 0x1
	scratch_load_b128 v[42:45], off, off offset:120
	scratch_load_b128 v[46:49], off, off offset:136
	v_mov_b32_e32 v1, 0
	ds_load_b128 v[50:53], v1 offset:288
	ds_load_b64 v[54:55], v1 offset:304
	s_mov_b32 s0, exec_lo
	s_waitcnt vmcnt(1) lgkmcnt(1)
	v_fma_f64 v[44:45], v[44:45], v[50:51], 0
	s_waitcnt vmcnt(0)
	s_delay_alu instid0(VALU_DEP_1) | instskip(SKIP_1) | instid1(VALU_DEP_1)
	v_fma_f64 v[44:45], v[46:47], v[52:53], v[44:45]
	s_waitcnt lgkmcnt(0)
	v_fma_f64 v[44:45], v[48:49], v[54:55], v[44:45]
	s_delay_alu instid0(VALU_DEP_1)
	v_add_f64 v[42:43], v[42:43], -v[44:45]
	scratch_store_b64 off, v[42:43], off offset:120
	v_cmpx_lt_u32_e32 14, v0
	s_cbranch_execz .LBB82_95
; %bb.94:
	scratch_load_b64 v[42:43], off, off offset:112
	v_mov_b32_e32 v2, v1
	scratch_store_b64 off, v[1:2], off offset:112
	s_waitcnt vmcnt(0)
	ds_store_b64 v3, v[42:43]
.LBB82_95:
	s_or_b32 exec_lo, exec_lo, s0
	s_waitcnt lgkmcnt(0)
	s_waitcnt_vscnt null, 0x0
	s_barrier
	buffer_gl0_inv
	s_clause 0x2
	scratch_load_b128 v[42:45], off, off offset:112
	scratch_load_b128 v[46:49], off, off offset:128
	scratch_load_b64 v[58:59], off, off offset:144
	ds_load_2addr_b64 v[50:53], v1 offset0:35 offset1:36
	ds_load_2addr_b64 v[54:57], v1 offset0:37 offset1:38
	s_mov_b32 s0, exec_lo
	s_waitcnt vmcnt(2) lgkmcnt(1)
	v_fma_f64 v[1:2], v[44:45], v[50:51], 0
	s_waitcnt vmcnt(1)
	s_delay_alu instid0(VALU_DEP_1) | instskip(SKIP_1) | instid1(VALU_DEP_1)
	v_fma_f64 v[1:2], v[46:47], v[52:53], v[1:2]
	s_waitcnt lgkmcnt(0)
	v_fma_f64 v[1:2], v[48:49], v[54:55], v[1:2]
	s_waitcnt vmcnt(0)
	s_delay_alu instid0(VALU_DEP_1) | instskip(NEXT) | instid1(VALU_DEP_1)
	v_fma_f64 v[1:2], v[58:59], v[56:57], v[1:2]
	v_add_f64 v[1:2], v[42:43], -v[1:2]
	scratch_store_b64 off, v[1:2], off offset:112
	v_cmpx_lt_u32_e32 13, v0
	s_cbranch_execz .LBB82_97
; %bb.96:
	scratch_load_b64 v[1:2], off, off offset:104
	v_mov_b32_e32 v42, 0
	s_delay_alu instid0(VALU_DEP_1)
	v_mov_b32_e32 v43, v42
	scratch_store_b64 off, v[42:43], off offset:104
	s_waitcnt vmcnt(0)
	ds_store_b64 v3, v[1:2]
.LBB82_97:
	s_or_b32 exec_lo, exec_lo, s0
	s_waitcnt lgkmcnt(0)
	s_waitcnt_vscnt null, 0x0
	s_barrier
	buffer_gl0_inv
	s_clause 0x2
	scratch_load_b128 v[42:45], off, off offset:104
	scratch_load_b128 v[46:49], off, off offset:120
	scratch_load_b128 v[50:53], off, off offset:136
	v_mov_b32_e32 v1, 0
	ds_load_b128 v[54:57], v1 offset:272
	ds_load_b128 v[58:61], v1 offset:288
	s_mov_b32 s0, exec_lo
	s_waitcnt vmcnt(2) lgkmcnt(1)
	v_fma_f64 v[44:45], v[44:45], v[54:55], 0
	s_waitcnt vmcnt(1)
	s_delay_alu instid0(VALU_DEP_1) | instskip(SKIP_4) | instid1(VALU_DEP_1)
	v_fma_f64 v[44:45], v[46:47], v[56:57], v[44:45]
	ds_load_b64 v[46:47], v1 offset:304
	s_waitcnt lgkmcnt(1)
	v_fma_f64 v[44:45], v[48:49], v[58:59], v[44:45]
	s_waitcnt vmcnt(0)
	v_fma_f64 v[44:45], v[50:51], v[60:61], v[44:45]
	s_waitcnt lgkmcnt(0)
	s_delay_alu instid0(VALU_DEP_1) | instskip(NEXT) | instid1(VALU_DEP_1)
	v_fma_f64 v[44:45], v[52:53], v[46:47], v[44:45]
	v_add_f64 v[42:43], v[42:43], -v[44:45]
	scratch_store_b64 off, v[42:43], off offset:104
	v_cmpx_lt_u32_e32 12, v0
	s_cbranch_execz .LBB82_99
; %bb.98:
	scratch_load_b64 v[42:43], off, off offset:96
	v_mov_b32_e32 v2, v1
	scratch_store_b64 off, v[1:2], off offset:96
	s_waitcnt vmcnt(0)
	ds_store_b64 v3, v[42:43]
.LBB82_99:
	s_or_b32 exec_lo, exec_lo, s0
	s_waitcnt lgkmcnt(0)
	s_waitcnt_vscnt null, 0x0
	s_barrier
	buffer_gl0_inv
	s_clause 0x3
	scratch_load_b128 v[42:45], off, off offset:96
	scratch_load_b128 v[46:49], off, off offset:112
	scratch_load_b128 v[50:53], off, off offset:128
	scratch_load_b64 v[62:63], off, off offset:144
	ds_load_2addr_b64 v[54:57], v1 offset0:33 offset1:34
	ds_load_2addr_b64 v[58:61], v1 offset0:35 offset1:36
	s_mov_b32 s0, exec_lo
	s_waitcnt vmcnt(3) lgkmcnt(1)
	v_fma_f64 v[44:45], v[44:45], v[54:55], 0
	s_waitcnt vmcnt(2)
	s_delay_alu instid0(VALU_DEP_1) | instskip(SKIP_1) | instid1(VALU_DEP_1)
	v_fma_f64 v[44:45], v[46:47], v[56:57], v[44:45]
	s_waitcnt lgkmcnt(0)
	v_fma_f64 v[44:45], v[48:49], v[58:59], v[44:45]
	s_waitcnt vmcnt(1)
	s_delay_alu instid0(VALU_DEP_1) | instskip(SKIP_4) | instid1(VALU_DEP_1)
	v_fma_f64 v[48:49], v[50:51], v[60:61], v[44:45]
	ds_load_2addr_b64 v[44:47], v1 offset0:37 offset1:38
	s_waitcnt lgkmcnt(0)
	v_fma_f64 v[1:2], v[52:53], v[44:45], v[48:49]
	s_waitcnt vmcnt(0)
	v_fma_f64 v[1:2], v[62:63], v[46:47], v[1:2]
	s_delay_alu instid0(VALU_DEP_1)
	v_add_f64 v[1:2], v[42:43], -v[1:2]
	scratch_store_b64 off, v[1:2], off offset:96
	v_cmpx_lt_u32_e32 11, v0
	s_cbranch_execz .LBB82_101
; %bb.100:
	scratch_load_b64 v[1:2], off, off offset:88
	v_mov_b32_e32 v42, 0
	s_delay_alu instid0(VALU_DEP_1)
	v_mov_b32_e32 v43, v42
	scratch_store_b64 off, v[42:43], off offset:88
	s_waitcnt vmcnt(0)
	ds_store_b64 v3, v[1:2]
.LBB82_101:
	s_or_b32 exec_lo, exec_lo, s0
	s_waitcnt lgkmcnt(0)
	s_waitcnt_vscnt null, 0x0
	s_barrier
	buffer_gl0_inv
	s_clause 0x3
	scratch_load_b128 v[42:45], off, off offset:88
	scratch_load_b128 v[46:49], off, off offset:104
	;; [unrolled: 1-line block ×4, first 2 shown]
	v_mov_b32_e32 v1, 0
	ds_load_b128 v[58:61], v1 offset:256
	ds_load_b128 v[62:65], v1 offset:272
	s_mov_b32 s0, exec_lo
	s_waitcnt vmcnt(3) lgkmcnt(1)
	v_fma_f64 v[44:45], v[44:45], v[58:59], 0
	s_waitcnt vmcnt(2)
	s_delay_alu instid0(VALU_DEP_1) | instskip(SKIP_1) | instid1(VALU_DEP_1)
	v_fma_f64 v[44:45], v[46:47], v[60:61], v[44:45]
	s_waitcnt lgkmcnt(0)
	v_fma_f64 v[44:45], v[48:49], v[62:63], v[44:45]
	s_waitcnt vmcnt(1)
	s_delay_alu instid0(VALU_DEP_1)
	v_fma_f64 v[48:49], v[50:51], v[64:65], v[44:45]
	ds_load_b128 v[44:47], v1 offset:288
	ds_load_b64 v[50:51], v1 offset:304
	s_waitcnt lgkmcnt(1)
	v_fma_f64 v[44:45], v[52:53], v[44:45], v[48:49]
	s_waitcnt vmcnt(0)
	s_delay_alu instid0(VALU_DEP_1) | instskip(SKIP_1) | instid1(VALU_DEP_1)
	v_fma_f64 v[44:45], v[54:55], v[46:47], v[44:45]
	s_waitcnt lgkmcnt(0)
	v_fma_f64 v[44:45], v[56:57], v[50:51], v[44:45]
	s_delay_alu instid0(VALU_DEP_1)
	v_add_f64 v[42:43], v[42:43], -v[44:45]
	scratch_store_b64 off, v[42:43], off offset:88
	v_cmpx_lt_u32_e32 10, v0
	s_cbranch_execz .LBB82_103
; %bb.102:
	scratch_load_b64 v[42:43], off, off offset:80
	v_mov_b32_e32 v2, v1
	scratch_store_b64 off, v[1:2], off offset:80
	s_waitcnt vmcnt(0)
	ds_store_b64 v3, v[42:43]
.LBB82_103:
	s_or_b32 exec_lo, exec_lo, s0
	s_waitcnt lgkmcnt(0)
	s_waitcnt_vscnt null, 0x0
	s_barrier
	buffer_gl0_inv
	s_clause 0x4
	scratch_load_b128 v[42:45], off, off offset:80
	scratch_load_b128 v[46:49], off, off offset:96
	;; [unrolled: 1-line block ×4, first 2 shown]
	scratch_load_b64 v[66:67], off, off offset:144
	ds_load_2addr_b64 v[58:61], v1 offset0:31 offset1:32
	ds_load_2addr_b64 v[62:65], v1 offset0:33 offset1:34
	s_mov_b32 s0, exec_lo
	s_waitcnt vmcnt(4) lgkmcnt(1)
	v_fma_f64 v[44:45], v[44:45], v[58:59], 0
	s_waitcnt vmcnt(3)
	s_delay_alu instid0(VALU_DEP_1) | instskip(SKIP_1) | instid1(VALU_DEP_1)
	v_fma_f64 v[44:45], v[46:47], v[60:61], v[44:45]
	s_waitcnt lgkmcnt(0)
	v_fma_f64 v[44:45], v[48:49], v[62:63], v[44:45]
	s_waitcnt vmcnt(2)
	s_delay_alu instid0(VALU_DEP_1)
	v_fma_f64 v[58:59], v[50:51], v[64:65], v[44:45]
	ds_load_2addr_b64 v[44:47], v1 offset0:35 offset1:36
	ds_load_2addr_b64 v[48:51], v1 offset0:37 offset1:38
	s_waitcnt lgkmcnt(1)
	v_fma_f64 v[1:2], v[52:53], v[44:45], v[58:59]
	s_waitcnt vmcnt(1)
	s_delay_alu instid0(VALU_DEP_1) | instskip(SKIP_1) | instid1(VALU_DEP_1)
	v_fma_f64 v[1:2], v[54:55], v[46:47], v[1:2]
	s_waitcnt lgkmcnt(0)
	v_fma_f64 v[1:2], v[56:57], v[48:49], v[1:2]
	s_waitcnt vmcnt(0)
	s_delay_alu instid0(VALU_DEP_1) | instskip(NEXT) | instid1(VALU_DEP_1)
	v_fma_f64 v[1:2], v[66:67], v[50:51], v[1:2]
	v_add_f64 v[1:2], v[42:43], -v[1:2]
	scratch_store_b64 off, v[1:2], off offset:80
	v_cmpx_lt_u32_e32 9, v0
	s_cbranch_execz .LBB82_105
; %bb.104:
	scratch_load_b64 v[1:2], off, off offset:72
	v_mov_b32_e32 v42, 0
	s_delay_alu instid0(VALU_DEP_1)
	v_mov_b32_e32 v43, v42
	scratch_store_b64 off, v[42:43], off offset:72
	s_waitcnt vmcnt(0)
	ds_store_b64 v3, v[1:2]
.LBB82_105:
	s_or_b32 exec_lo, exec_lo, s0
	s_waitcnt lgkmcnt(0)
	s_waitcnt_vscnt null, 0x0
	s_barrier
	buffer_gl0_inv
	s_clause 0x4
	scratch_load_b128 v[42:45], off, off offset:72
	scratch_load_b128 v[46:49], off, off offset:88
	;; [unrolled: 1-line block ×5, first 2 shown]
	v_mov_b32_e32 v1, 0
	ds_load_b128 v[62:65], v1 offset:240
	ds_load_b128 v[66:69], v1 offset:256
	s_mov_b32 s0, exec_lo
	s_waitcnt vmcnt(4) lgkmcnt(1)
	v_fma_f64 v[44:45], v[44:45], v[62:63], 0
	s_waitcnt vmcnt(3)
	s_delay_alu instid0(VALU_DEP_1) | instskip(SKIP_1) | instid1(VALU_DEP_1)
	v_fma_f64 v[44:45], v[46:47], v[64:65], v[44:45]
	s_waitcnt lgkmcnt(0)
	v_fma_f64 v[44:45], v[48:49], v[66:67], v[44:45]
	s_waitcnt vmcnt(2)
	s_delay_alu instid0(VALU_DEP_1)
	v_fma_f64 v[62:63], v[50:51], v[68:69], v[44:45]
	ds_load_b128 v[44:47], v1 offset:272
	ds_load_b128 v[48:51], v1 offset:288
	s_waitcnt lgkmcnt(1)
	v_fma_f64 v[44:45], v[52:53], v[44:45], v[62:63]
	s_waitcnt vmcnt(1)
	s_delay_alu instid0(VALU_DEP_1) | instskip(SKIP_4) | instid1(VALU_DEP_1)
	v_fma_f64 v[44:45], v[54:55], v[46:47], v[44:45]
	ds_load_b64 v[46:47], v1 offset:304
	s_waitcnt lgkmcnt(1)
	v_fma_f64 v[44:45], v[56:57], v[48:49], v[44:45]
	s_waitcnt vmcnt(0)
	v_fma_f64 v[44:45], v[58:59], v[50:51], v[44:45]
	s_waitcnt lgkmcnt(0)
	s_delay_alu instid0(VALU_DEP_1) | instskip(NEXT) | instid1(VALU_DEP_1)
	v_fma_f64 v[44:45], v[60:61], v[46:47], v[44:45]
	v_add_f64 v[42:43], v[42:43], -v[44:45]
	scratch_store_b64 off, v[42:43], off offset:72
	v_cmpx_lt_u32_e32 8, v0
	s_cbranch_execz .LBB82_107
; %bb.106:
	scratch_load_b64 v[42:43], off, off offset:64
	v_mov_b32_e32 v2, v1
	scratch_store_b64 off, v[1:2], off offset:64
	s_waitcnt vmcnt(0)
	ds_store_b64 v3, v[42:43]
.LBB82_107:
	s_or_b32 exec_lo, exec_lo, s0
	s_waitcnt lgkmcnt(0)
	s_waitcnt_vscnt null, 0x0
	s_barrier
	buffer_gl0_inv
	s_clause 0x4
	scratch_load_b128 v[42:45], off, off offset:64
	scratch_load_b128 v[46:49], off, off offset:80
	;; [unrolled: 1-line block ×5, first 2 shown]
	ds_load_2addr_b64 v[62:65], v1 offset0:29 offset1:30
	ds_load_2addr_b64 v[66:69], v1 offset0:31 offset1:32
	s_mov_b32 s0, exec_lo
	s_waitcnt vmcnt(4) lgkmcnt(1)
	v_fma_f64 v[44:45], v[44:45], v[62:63], 0
	scratch_load_b64 v[62:63], off, off offset:144
	s_waitcnt vmcnt(4)
	v_fma_f64 v[44:45], v[46:47], v[64:65], v[44:45]
	s_waitcnt lgkmcnt(0)
	s_delay_alu instid0(VALU_DEP_1) | instskip(SKIP_1) | instid1(VALU_DEP_1)
	v_fma_f64 v[44:45], v[48:49], v[66:67], v[44:45]
	s_waitcnt vmcnt(3)
	v_fma_f64 v[64:65], v[50:51], v[68:69], v[44:45]
	ds_load_2addr_b64 v[44:47], v1 offset0:33 offset1:34
	ds_load_2addr_b64 v[48:51], v1 offset0:35 offset1:36
	s_waitcnt lgkmcnt(1)
	v_fma_f64 v[44:45], v[52:53], v[44:45], v[64:65]
	s_waitcnt vmcnt(2)
	s_delay_alu instid0(VALU_DEP_1) | instskip(SKIP_1) | instid1(VALU_DEP_1)
	v_fma_f64 v[44:45], v[54:55], v[46:47], v[44:45]
	s_waitcnt lgkmcnt(0)
	v_fma_f64 v[44:45], v[56:57], v[48:49], v[44:45]
	s_waitcnt vmcnt(1)
	s_delay_alu instid0(VALU_DEP_1) | instskip(SKIP_4) | instid1(VALU_DEP_1)
	v_fma_f64 v[48:49], v[58:59], v[50:51], v[44:45]
	ds_load_2addr_b64 v[44:47], v1 offset0:37 offset1:38
	s_waitcnt lgkmcnt(0)
	v_fma_f64 v[1:2], v[60:61], v[44:45], v[48:49]
	s_waitcnt vmcnt(0)
	v_fma_f64 v[1:2], v[62:63], v[46:47], v[1:2]
	s_delay_alu instid0(VALU_DEP_1)
	v_add_f64 v[1:2], v[42:43], -v[1:2]
	scratch_store_b64 off, v[1:2], off offset:64
	v_cmpx_lt_u32_e32 7, v0
	s_cbranch_execz .LBB82_109
; %bb.108:
	scratch_load_b64 v[1:2], off, off offset:56
	v_mov_b32_e32 v42, 0
	s_delay_alu instid0(VALU_DEP_1)
	v_mov_b32_e32 v43, v42
	scratch_store_b64 off, v[42:43], off offset:56
	s_waitcnt vmcnt(0)
	ds_store_b64 v3, v[1:2]
.LBB82_109:
	s_or_b32 exec_lo, exec_lo, s0
	s_waitcnt lgkmcnt(0)
	s_waitcnt_vscnt null, 0x0
	s_barrier
	buffer_gl0_inv
	s_clause 0x4
	scratch_load_b128 v[42:45], off, off offset:56
	scratch_load_b128 v[46:49], off, off offset:72
	;; [unrolled: 1-line block ×5, first 2 shown]
	v_mov_b32_e32 v1, 0
	ds_load_b128 v[62:65], v1 offset:224
	ds_load_b128 v[66:69], v1 offset:240
	scratch_load_b128 v[70:73], off, off offset:136
	s_mov_b32 s0, exec_lo
	s_waitcnt vmcnt(5) lgkmcnt(1)
	v_fma_f64 v[44:45], v[44:45], v[62:63], 0
	s_waitcnt vmcnt(4)
	s_delay_alu instid0(VALU_DEP_1) | instskip(SKIP_1) | instid1(VALU_DEP_1)
	v_fma_f64 v[44:45], v[46:47], v[64:65], v[44:45]
	s_waitcnt lgkmcnt(0)
	v_fma_f64 v[44:45], v[48:49], v[66:67], v[44:45]
	s_waitcnt vmcnt(3)
	s_delay_alu instid0(VALU_DEP_1)
	v_fma_f64 v[62:63], v[50:51], v[68:69], v[44:45]
	ds_load_b128 v[44:47], v1 offset:256
	ds_load_b128 v[48:51], v1 offset:272
	s_waitcnt lgkmcnt(1)
	v_fma_f64 v[44:45], v[52:53], v[44:45], v[62:63]
	s_waitcnt vmcnt(2)
	s_delay_alu instid0(VALU_DEP_1) | instskip(SKIP_1) | instid1(VALU_DEP_1)
	v_fma_f64 v[44:45], v[54:55], v[46:47], v[44:45]
	s_waitcnt lgkmcnt(0)
	v_fma_f64 v[44:45], v[56:57], v[48:49], v[44:45]
	s_waitcnt vmcnt(1)
	s_delay_alu instid0(VALU_DEP_1)
	v_fma_f64 v[48:49], v[58:59], v[50:51], v[44:45]
	ds_load_b128 v[44:47], v1 offset:288
	ds_load_b64 v[50:51], v1 offset:304
	s_waitcnt lgkmcnt(1)
	v_fma_f64 v[44:45], v[60:61], v[44:45], v[48:49]
	s_waitcnt vmcnt(0)
	s_delay_alu instid0(VALU_DEP_1) | instskip(SKIP_1) | instid1(VALU_DEP_1)
	v_fma_f64 v[44:45], v[70:71], v[46:47], v[44:45]
	s_waitcnt lgkmcnt(0)
	v_fma_f64 v[44:45], v[72:73], v[50:51], v[44:45]
	s_delay_alu instid0(VALU_DEP_1)
	v_add_f64 v[42:43], v[42:43], -v[44:45]
	scratch_store_b64 off, v[42:43], off offset:56
	v_cmpx_lt_u32_e32 6, v0
	s_cbranch_execz .LBB82_111
; %bb.110:
	scratch_load_b64 v[42:43], off, off offset:48
	v_mov_b32_e32 v2, v1
	scratch_store_b64 off, v[1:2], off offset:48
	s_waitcnt vmcnt(0)
	ds_store_b64 v3, v[42:43]
.LBB82_111:
	s_or_b32 exec_lo, exec_lo, s0
	s_waitcnt lgkmcnt(0)
	s_waitcnt_vscnt null, 0x0
	s_barrier
	buffer_gl0_inv
	s_clause 0x4
	scratch_load_b128 v[42:45], off, off offset:48
	scratch_load_b128 v[46:49], off, off offset:64
	;; [unrolled: 1-line block ×5, first 2 shown]
	ds_load_2addr_b64 v[62:65], v1 offset0:27 offset1:28
	ds_load_2addr_b64 v[66:69], v1 offset0:29 offset1:30
	scratch_load_b128 v[70:73], off, off offset:128
	s_mov_b32 s0, exec_lo
	s_waitcnt vmcnt(5) lgkmcnt(1)
	v_fma_f64 v[44:45], v[44:45], v[62:63], 0
	scratch_load_b64 v[62:63], off, off offset:144
	s_waitcnt vmcnt(5)
	v_fma_f64 v[44:45], v[46:47], v[64:65], v[44:45]
	s_waitcnt lgkmcnt(0)
	s_delay_alu instid0(VALU_DEP_1) | instskip(SKIP_1) | instid1(VALU_DEP_1)
	v_fma_f64 v[44:45], v[48:49], v[66:67], v[44:45]
	s_waitcnt vmcnt(4)
	v_fma_f64 v[64:65], v[50:51], v[68:69], v[44:45]
	ds_load_2addr_b64 v[44:47], v1 offset0:31 offset1:32
	ds_load_2addr_b64 v[48:51], v1 offset0:33 offset1:34
	s_waitcnt lgkmcnt(1)
	v_fma_f64 v[44:45], v[52:53], v[44:45], v[64:65]
	s_waitcnt vmcnt(3)
	s_delay_alu instid0(VALU_DEP_1) | instskip(SKIP_1) | instid1(VALU_DEP_1)
	v_fma_f64 v[44:45], v[54:55], v[46:47], v[44:45]
	s_waitcnt lgkmcnt(0)
	v_fma_f64 v[44:45], v[56:57], v[48:49], v[44:45]
	s_waitcnt vmcnt(2)
	s_delay_alu instid0(VALU_DEP_1)
	v_fma_f64 v[52:53], v[58:59], v[50:51], v[44:45]
	ds_load_2addr_b64 v[44:47], v1 offset0:35 offset1:36
	ds_load_2addr_b64 v[48:51], v1 offset0:37 offset1:38
	s_waitcnt lgkmcnt(1)
	v_fma_f64 v[1:2], v[60:61], v[44:45], v[52:53]
	s_waitcnt vmcnt(1)
	s_delay_alu instid0(VALU_DEP_1) | instskip(SKIP_1) | instid1(VALU_DEP_1)
	v_fma_f64 v[1:2], v[70:71], v[46:47], v[1:2]
	s_waitcnt lgkmcnt(0)
	v_fma_f64 v[1:2], v[72:73], v[48:49], v[1:2]
	s_waitcnt vmcnt(0)
	s_delay_alu instid0(VALU_DEP_1) | instskip(NEXT) | instid1(VALU_DEP_1)
	v_fma_f64 v[1:2], v[62:63], v[50:51], v[1:2]
	v_add_f64 v[1:2], v[42:43], -v[1:2]
	scratch_store_b64 off, v[1:2], off offset:48
	v_cmpx_lt_u32_e32 5, v0
	s_cbranch_execz .LBB82_113
; %bb.112:
	scratch_load_b64 v[1:2], off, off offset:40
	v_mov_b32_e32 v42, 0
	s_delay_alu instid0(VALU_DEP_1)
	v_mov_b32_e32 v43, v42
	scratch_store_b64 off, v[42:43], off offset:40
	s_waitcnt vmcnt(0)
	ds_store_b64 v3, v[1:2]
.LBB82_113:
	s_or_b32 exec_lo, exec_lo, s0
	s_waitcnt lgkmcnt(0)
	s_waitcnt_vscnt null, 0x0
	s_barrier
	buffer_gl0_inv
	s_clause 0x4
	scratch_load_b128 v[42:45], off, off offset:40
	scratch_load_b128 v[46:49], off, off offset:56
	;; [unrolled: 1-line block ×5, first 2 shown]
	v_mov_b32_e32 v1, 0
	ds_load_b128 v[62:65], v1 offset:208
	ds_load_b128 v[66:69], v1 offset:224
	scratch_load_b128 v[70:73], off, off offset:120
	s_mov_b32 s0, exec_lo
	s_waitcnt vmcnt(5) lgkmcnt(1)
	v_fma_f64 v[44:45], v[44:45], v[62:63], 0
	s_waitcnt vmcnt(4)
	s_delay_alu instid0(VALU_DEP_1) | instskip(SKIP_1) | instid1(VALU_DEP_1)
	v_fma_f64 v[44:45], v[46:47], v[64:65], v[44:45]
	s_waitcnt lgkmcnt(0)
	v_fma_f64 v[48:49], v[48:49], v[66:67], v[44:45]
	scratch_load_b128 v[44:47], off, off offset:136
	s_waitcnt vmcnt(4)
	v_fma_f64 v[66:67], v[50:51], v[68:69], v[48:49]
	ds_load_b128 v[48:51], v1 offset:240
	ds_load_b128 v[62:65], v1 offset:256
	s_waitcnt lgkmcnt(1)
	v_fma_f64 v[48:49], v[52:53], v[48:49], v[66:67]
	s_waitcnt vmcnt(3)
	s_delay_alu instid0(VALU_DEP_1) | instskip(SKIP_1) | instid1(VALU_DEP_1)
	v_fma_f64 v[48:49], v[54:55], v[50:51], v[48:49]
	s_waitcnt lgkmcnt(0)
	v_fma_f64 v[48:49], v[56:57], v[62:63], v[48:49]
	s_waitcnt vmcnt(2)
	s_delay_alu instid0(VALU_DEP_1)
	v_fma_f64 v[56:57], v[58:59], v[64:65], v[48:49]
	ds_load_b128 v[48:51], v1 offset:272
	ds_load_b128 v[52:55], v1 offset:288
	s_waitcnt lgkmcnt(1)
	v_fma_f64 v[48:49], v[60:61], v[48:49], v[56:57]
	s_waitcnt vmcnt(1)
	s_delay_alu instid0(VALU_DEP_1) | instskip(SKIP_1) | instid1(VALU_DEP_1)
	v_fma_f64 v[48:49], v[70:71], v[50:51], v[48:49]
	s_waitcnt lgkmcnt(0)
	v_fma_f64 v[48:49], v[72:73], v[52:53], v[48:49]
	s_waitcnt vmcnt(0)
	s_delay_alu instid0(VALU_DEP_1) | instskip(SKIP_3) | instid1(VALU_DEP_1)
	v_fma_f64 v[44:45], v[44:45], v[54:55], v[48:49]
	ds_load_b64 v[48:49], v1 offset:304
	s_waitcnt lgkmcnt(0)
	v_fma_f64 v[44:45], v[46:47], v[48:49], v[44:45]
	v_add_f64 v[42:43], v[42:43], -v[44:45]
	scratch_store_b64 off, v[42:43], off offset:40
	v_cmpx_lt_u32_e32 4, v0
	s_cbranch_execz .LBB82_115
; %bb.114:
	scratch_load_b64 v[42:43], off, off offset:32
	v_mov_b32_e32 v2, v1
	scratch_store_b64 off, v[1:2], off offset:32
	s_waitcnt vmcnt(0)
	ds_store_b64 v3, v[42:43]
.LBB82_115:
	s_or_b32 exec_lo, exec_lo, s0
	s_waitcnt lgkmcnt(0)
	s_waitcnt_vscnt null, 0x0
	s_barrier
	buffer_gl0_inv
	s_clause 0x4
	scratch_load_b128 v[42:45], off, off offset:32
	scratch_load_b128 v[46:49], off, off offset:48
	;; [unrolled: 1-line block ×5, first 2 shown]
	ds_load_2addr_b64 v[62:65], v1 offset0:25 offset1:26
	ds_load_2addr_b64 v[66:69], v1 offset0:27 offset1:28
	scratch_load_b128 v[70:73], off, off offset:112
	s_mov_b32 s0, exec_lo
	s_waitcnt vmcnt(5) lgkmcnt(1)
	v_fma_f64 v[44:45], v[44:45], v[62:63], 0
	s_waitcnt vmcnt(4)
	s_delay_alu instid0(VALU_DEP_1) | instskip(SKIP_1) | instid1(VALU_DEP_1)
	v_fma_f64 v[44:45], v[46:47], v[64:65], v[44:45]
	s_waitcnt lgkmcnt(0)
	v_fma_f64 v[48:49], v[48:49], v[66:67], v[44:45]
	scratch_load_b128 v[44:47], off, off offset:128
	s_waitcnt vmcnt(4)
	v_fma_f64 v[66:67], v[50:51], v[68:69], v[48:49]
	ds_load_2addr_b64 v[48:51], v1 offset0:29 offset1:30
	ds_load_2addr_b64 v[62:65], v1 offset0:31 offset1:32
	s_waitcnt lgkmcnt(1)
	v_fma_f64 v[48:49], v[52:53], v[48:49], v[66:67]
	scratch_load_b64 v[66:67], off, off offset:144
	s_waitcnt vmcnt(4)
	v_fma_f64 v[48:49], v[54:55], v[50:51], v[48:49]
	s_waitcnt lgkmcnt(0)
	s_delay_alu instid0(VALU_DEP_1) | instskip(SKIP_1) | instid1(VALU_DEP_1)
	v_fma_f64 v[48:49], v[56:57], v[62:63], v[48:49]
	s_waitcnt vmcnt(3)
	v_fma_f64 v[56:57], v[58:59], v[64:65], v[48:49]
	ds_load_2addr_b64 v[48:51], v1 offset0:33 offset1:34
	ds_load_2addr_b64 v[52:55], v1 offset0:35 offset1:36
	s_waitcnt lgkmcnt(1)
	v_fma_f64 v[48:49], v[60:61], v[48:49], v[56:57]
	s_waitcnt vmcnt(2)
	s_delay_alu instid0(VALU_DEP_1) | instskip(SKIP_1) | instid1(VALU_DEP_1)
	v_fma_f64 v[48:49], v[70:71], v[50:51], v[48:49]
	s_waitcnt lgkmcnt(0)
	v_fma_f64 v[48:49], v[72:73], v[52:53], v[48:49]
	s_waitcnt vmcnt(1)
	s_delay_alu instid0(VALU_DEP_1) | instskip(SKIP_4) | instid1(VALU_DEP_1)
	v_fma_f64 v[44:45], v[44:45], v[54:55], v[48:49]
	ds_load_2addr_b64 v[48:51], v1 offset0:37 offset1:38
	s_waitcnt lgkmcnt(0)
	v_fma_f64 v[1:2], v[46:47], v[48:49], v[44:45]
	s_waitcnt vmcnt(0)
	v_fma_f64 v[1:2], v[66:67], v[50:51], v[1:2]
	s_delay_alu instid0(VALU_DEP_1)
	v_add_f64 v[1:2], v[42:43], -v[1:2]
	scratch_store_b64 off, v[1:2], off offset:32
	v_cmpx_lt_u32_e32 3, v0
	s_cbranch_execz .LBB82_117
; %bb.116:
	scratch_load_b64 v[1:2], off, off offset:24
	v_mov_b32_e32 v42, 0
	s_delay_alu instid0(VALU_DEP_1)
	v_mov_b32_e32 v43, v42
	scratch_store_b64 off, v[42:43], off offset:24
	s_waitcnt vmcnt(0)
	ds_store_b64 v3, v[1:2]
.LBB82_117:
	s_or_b32 exec_lo, exec_lo, s0
	s_waitcnt lgkmcnt(0)
	s_waitcnt_vscnt null, 0x0
	s_barrier
	buffer_gl0_inv
	s_clause 0x4
	scratch_load_b128 v[42:45], off, off offset:24
	scratch_load_b128 v[46:49], off, off offset:40
	;; [unrolled: 1-line block ×5, first 2 shown]
	v_mov_b32_e32 v1, 0
	ds_load_b128 v[62:65], v1 offset:192
	ds_load_b128 v[66:69], v1 offset:208
	scratch_load_b128 v[70:73], off, off offset:104
	s_mov_b32 s0, exec_lo
	s_waitcnt vmcnt(5) lgkmcnt(1)
	v_fma_f64 v[44:45], v[44:45], v[62:63], 0
	s_waitcnt vmcnt(4)
	s_delay_alu instid0(VALU_DEP_1) | instskip(SKIP_1) | instid1(VALU_DEP_1)
	v_fma_f64 v[44:45], v[46:47], v[64:65], v[44:45]
	s_waitcnt lgkmcnt(0)
	v_fma_f64 v[48:49], v[48:49], v[66:67], v[44:45]
	scratch_load_b128 v[44:47], off, off offset:120
	s_waitcnt vmcnt(4)
	v_fma_f64 v[66:67], v[50:51], v[68:69], v[48:49]
	ds_load_b128 v[48:51], v1 offset:224
	ds_load_b128 v[62:65], v1 offset:240
	s_waitcnt lgkmcnt(1)
	v_fma_f64 v[48:49], v[52:53], v[48:49], v[66:67]
	scratch_load_b128 v[66:69], off, off offset:136
	s_waitcnt vmcnt(4)
	v_fma_f64 v[48:49], v[54:55], v[50:51], v[48:49]
	s_waitcnt lgkmcnt(0)
	s_delay_alu instid0(VALU_DEP_1) | instskip(SKIP_1) | instid1(VALU_DEP_1)
	v_fma_f64 v[48:49], v[56:57], v[62:63], v[48:49]
	s_waitcnt vmcnt(3)
	v_fma_f64 v[56:57], v[58:59], v[64:65], v[48:49]
	ds_load_b128 v[48:51], v1 offset:256
	ds_load_b128 v[52:55], v1 offset:272
	s_waitcnt lgkmcnt(1)
	v_fma_f64 v[48:49], v[60:61], v[48:49], v[56:57]
	s_waitcnt vmcnt(2)
	s_delay_alu instid0(VALU_DEP_1) | instskip(SKIP_1) | instid1(VALU_DEP_1)
	v_fma_f64 v[48:49], v[70:71], v[50:51], v[48:49]
	s_waitcnt lgkmcnt(0)
	v_fma_f64 v[48:49], v[72:73], v[52:53], v[48:49]
	s_waitcnt vmcnt(1)
	s_delay_alu instid0(VALU_DEP_1)
	v_fma_f64 v[44:45], v[44:45], v[54:55], v[48:49]
	ds_load_b128 v[48:51], v1 offset:288
	ds_load_b64 v[52:53], v1 offset:304
	s_waitcnt lgkmcnt(1)
	v_fma_f64 v[44:45], v[46:47], v[48:49], v[44:45]
	s_waitcnt vmcnt(0)
	s_delay_alu instid0(VALU_DEP_1) | instskip(SKIP_1) | instid1(VALU_DEP_1)
	v_fma_f64 v[44:45], v[66:67], v[50:51], v[44:45]
	s_waitcnt lgkmcnt(0)
	v_fma_f64 v[44:45], v[68:69], v[52:53], v[44:45]
	s_delay_alu instid0(VALU_DEP_1)
	v_add_f64 v[42:43], v[42:43], -v[44:45]
	scratch_store_b64 off, v[42:43], off offset:24
	v_cmpx_lt_u32_e32 2, v0
	s_cbranch_execz .LBB82_119
; %bb.118:
	scratch_load_b64 v[42:43], off, off offset:16
	v_mov_b32_e32 v2, v1
	scratch_store_b64 off, v[1:2], off offset:16
	s_waitcnt vmcnt(0)
	ds_store_b64 v3, v[42:43]
.LBB82_119:
	s_or_b32 exec_lo, exec_lo, s0
	s_waitcnt lgkmcnt(0)
	s_waitcnt_vscnt null, 0x0
	s_barrier
	buffer_gl0_inv
	s_clause 0x4
	scratch_load_b128 v[42:45], off, off offset:16
	scratch_load_b128 v[46:49], off, off offset:32
	;; [unrolled: 1-line block ×5, first 2 shown]
	ds_load_2addr_b64 v[62:65], v1 offset0:23 offset1:24
	ds_load_2addr_b64 v[66:69], v1 offset0:25 offset1:26
	scratch_load_b128 v[70:73], off, off offset:96
	s_mov_b32 s0, exec_lo
	s_waitcnt vmcnt(5) lgkmcnt(1)
	v_fma_f64 v[44:45], v[44:45], v[62:63], 0
	s_waitcnt vmcnt(4)
	s_delay_alu instid0(VALU_DEP_1) | instskip(SKIP_1) | instid1(VALU_DEP_1)
	v_fma_f64 v[44:45], v[46:47], v[64:65], v[44:45]
	s_waitcnt lgkmcnt(0)
	v_fma_f64 v[48:49], v[48:49], v[66:67], v[44:45]
	scratch_load_b128 v[44:47], off, off offset:112
	s_waitcnt vmcnt(4)
	v_fma_f64 v[66:67], v[50:51], v[68:69], v[48:49]
	ds_load_2addr_b64 v[48:51], v1 offset0:27 offset1:28
	ds_load_2addr_b64 v[62:65], v1 offset0:29 offset1:30
	s_waitcnt lgkmcnt(1)
	v_fma_f64 v[48:49], v[52:53], v[48:49], v[66:67]
	scratch_load_b128 v[66:69], off, off offset:128
	s_waitcnt vmcnt(4)
	v_fma_f64 v[48:49], v[54:55], v[50:51], v[48:49]
	s_waitcnt lgkmcnt(0)
	s_delay_alu instid0(VALU_DEP_1)
	v_fma_f64 v[48:49], v[56:57], v[62:63], v[48:49]
	scratch_load_b64 v[56:57], off, off offset:144
	s_waitcnt vmcnt(4)
	v_fma_f64 v[58:59], v[58:59], v[64:65], v[48:49]
	ds_load_2addr_b64 v[48:51], v1 offset0:31 offset1:32
	ds_load_2addr_b64 v[52:55], v1 offset0:33 offset1:34
	s_waitcnt lgkmcnt(1)
	v_fma_f64 v[48:49], v[60:61], v[48:49], v[58:59]
	s_waitcnt vmcnt(3)
	s_delay_alu instid0(VALU_DEP_1) | instskip(SKIP_1) | instid1(VALU_DEP_1)
	v_fma_f64 v[48:49], v[70:71], v[50:51], v[48:49]
	s_waitcnt lgkmcnt(0)
	v_fma_f64 v[48:49], v[72:73], v[52:53], v[48:49]
	s_waitcnt vmcnt(2)
	s_delay_alu instid0(VALU_DEP_1)
	v_fma_f64 v[44:45], v[44:45], v[54:55], v[48:49]
	ds_load_2addr_b64 v[48:51], v1 offset0:35 offset1:36
	ds_load_2addr_b64 v[52:55], v1 offset0:37 offset1:38
	s_waitcnt lgkmcnt(1)
	v_fma_f64 v[1:2], v[46:47], v[48:49], v[44:45]
	s_waitcnt vmcnt(1)
	s_delay_alu instid0(VALU_DEP_1) | instskip(SKIP_1) | instid1(VALU_DEP_1)
	v_fma_f64 v[1:2], v[66:67], v[50:51], v[1:2]
	s_waitcnt lgkmcnt(0)
	v_fma_f64 v[1:2], v[68:69], v[52:53], v[1:2]
	s_waitcnt vmcnt(0)
	s_delay_alu instid0(VALU_DEP_1) | instskip(NEXT) | instid1(VALU_DEP_1)
	v_fma_f64 v[1:2], v[56:57], v[54:55], v[1:2]
	v_add_f64 v[1:2], v[42:43], -v[1:2]
	scratch_store_b64 off, v[1:2], off offset:16
	v_cmpx_lt_u32_e32 1, v0
	s_cbranch_execz .LBB82_121
; %bb.120:
	scratch_load_b64 v[1:2], off, off offset:8
	v_mov_b32_e32 v42, 0
	s_delay_alu instid0(VALU_DEP_1)
	v_mov_b32_e32 v43, v42
	scratch_store_b64 off, v[42:43], off offset:8
	s_waitcnt vmcnt(0)
	ds_store_b64 v3, v[1:2]
.LBB82_121:
	s_or_b32 exec_lo, exec_lo, s0
	s_waitcnt lgkmcnt(0)
	s_waitcnt_vscnt null, 0x0
	s_barrier
	buffer_gl0_inv
	s_clause 0x4
	scratch_load_b128 v[43:46], off, off offset:8
	scratch_load_b128 v[47:50], off, off offset:24
	;; [unrolled: 1-line block ×5, first 2 shown]
	v_mov_b32_e32 v42, 0
	ds_load_b128 v[63:66], v42 offset:176
	ds_load_b128 v[67:70], v42 offset:192
	scratch_load_b128 v[71:74], off, off offset:88
	s_mov_b32 s0, exec_lo
	s_waitcnt vmcnt(5) lgkmcnt(1)
	v_fma_f64 v[1:2], v[45:46], v[63:64], 0
	s_waitcnt vmcnt(4)
	s_delay_alu instid0(VALU_DEP_1) | instskip(SKIP_4) | instid1(VALU_DEP_1)
	v_fma_f64 v[1:2], v[47:48], v[65:66], v[1:2]
	scratch_load_b128 v[45:48], off, off offset:104
	s_waitcnt lgkmcnt(0)
	v_fma_f64 v[1:2], v[49:50], v[67:68], v[1:2]
	s_waitcnt vmcnt(4)
	v_fma_f64 v[1:2], v[51:52], v[69:70], v[1:2]
	ds_load_b128 v[49:52], v42 offset:208
	ds_load_b128 v[63:66], v42 offset:224
	scratch_load_b128 v[67:70], off, off offset:120
	s_waitcnt lgkmcnt(1)
	v_fma_f64 v[1:2], v[53:54], v[49:50], v[1:2]
	s_waitcnt vmcnt(4)
	s_delay_alu instid0(VALU_DEP_1) | instskip(SKIP_4) | instid1(VALU_DEP_1)
	v_fma_f64 v[1:2], v[55:56], v[51:52], v[1:2]
	scratch_load_b128 v[49:52], off, off offset:136
	s_waitcnt lgkmcnt(0)
	v_fma_f64 v[1:2], v[57:58], v[63:64], v[1:2]
	s_waitcnt vmcnt(4)
	v_fma_f64 v[1:2], v[59:60], v[65:66], v[1:2]
	ds_load_b128 v[53:56], v42 offset:240
	ds_load_b128 v[57:60], v42 offset:256
	s_waitcnt lgkmcnt(1)
	v_fma_f64 v[1:2], v[61:62], v[53:54], v[1:2]
	s_waitcnt vmcnt(3)
	s_delay_alu instid0(VALU_DEP_1) | instskip(SKIP_1) | instid1(VALU_DEP_1)
	v_fma_f64 v[1:2], v[71:72], v[55:56], v[1:2]
	s_waitcnt lgkmcnt(0)
	v_fma_f64 v[1:2], v[73:74], v[57:58], v[1:2]
	s_waitcnt vmcnt(2)
	s_delay_alu instid0(VALU_DEP_1)
	v_fma_f64 v[1:2], v[45:46], v[59:60], v[1:2]
	ds_load_b128 v[53:56], v42 offset:272
	ds_load_b128 v[57:60], v42 offset:288
	ds_load_b64 v[45:46], v42 offset:304
	s_waitcnt lgkmcnt(2)
	v_fma_f64 v[1:2], v[47:48], v[53:54], v[1:2]
	s_waitcnt vmcnt(1)
	s_delay_alu instid0(VALU_DEP_1) | instskip(SKIP_1) | instid1(VALU_DEP_1)
	v_fma_f64 v[1:2], v[67:68], v[55:56], v[1:2]
	s_waitcnt lgkmcnt(1)
	v_fma_f64 v[1:2], v[69:70], v[57:58], v[1:2]
	s_waitcnt vmcnt(0)
	s_delay_alu instid0(VALU_DEP_1) | instskip(SKIP_1) | instid1(VALU_DEP_1)
	v_fma_f64 v[1:2], v[49:50], v[59:60], v[1:2]
	s_waitcnt lgkmcnt(0)
	v_fma_f64 v[1:2], v[51:52], v[45:46], v[1:2]
	s_delay_alu instid0(VALU_DEP_1)
	v_add_f64 v[1:2], v[43:44], -v[1:2]
	scratch_store_b64 off, v[1:2], off offset:8
	v_cmpx_ne_u32_e32 0, v0
	s_cbranch_execz .LBB82_123
; %bb.122:
	scratch_load_b64 v[0:1], off, off
	v_mov_b32_e32 v43, v42
	scratch_store_b64 off, v[42:43], off
	s_waitcnt vmcnt(0)
	ds_store_b64 v3, v[0:1]
.LBB82_123:
	s_or_b32 exec_lo, exec_lo, s0
	s_waitcnt lgkmcnt(0)
	s_waitcnt_vscnt null, 0x0
	s_barrier
	buffer_gl0_inv
	s_clause 0x4
	scratch_load_b128 v[43:46], off, off
	scratch_load_b128 v[0:3], off, off offset:16
	scratch_load_b128 v[47:50], off, off offset:32
	scratch_load_b128 v[51:54], off, off offset:48
	scratch_load_b128 v[55:58], off, off offset:64
	ds_load_2addr_b64 v[59:62], v42 offset0:21 offset1:22
	ds_load_2addr_b64 v[63:66], v42 offset0:23 offset1:24
	scratch_load_b128 v[67:70], off, off offset:80
	s_and_b32 vcc_lo, exec_lo, s12
	s_waitcnt vmcnt(5) lgkmcnt(1)
	v_fma_f64 v[45:46], v[45:46], v[59:60], 0
	s_waitcnt vmcnt(4)
	s_delay_alu instid0(VALU_DEP_1) | instskip(SKIP_4) | instid1(VALU_DEP_1)
	v_fma_f64 v[0:1], v[0:1], v[61:62], v[45:46]
	scratch_load_b128 v[59:62], off, off offset:96
	s_waitcnt lgkmcnt(0)
	v_fma_f64 v[0:1], v[2:3], v[63:64], v[0:1]
	s_waitcnt vmcnt(4)
	v_fma_f64 v[63:64], v[47:48], v[65:66], v[0:1]
	ds_load_2addr_b64 v[0:3], v42 offset0:25 offset1:26
	ds_load_2addr_b64 v[45:48], v42 offset0:27 offset1:28
	s_waitcnt lgkmcnt(1)
	v_fma_f64 v[0:1], v[49:50], v[0:1], v[63:64]
	scratch_load_b128 v[63:66], off, off offset:112
	s_waitcnt vmcnt(4)
	v_fma_f64 v[0:1], v[51:52], v[2:3], v[0:1]
	s_waitcnt lgkmcnt(0)
	s_delay_alu instid0(VALU_DEP_1)
	v_fma_f64 v[45:46], v[53:54], v[45:46], v[0:1]
	scratch_load_b128 v[0:3], off, off offset:128
	s_waitcnt vmcnt(4)
	v_fma_f64 v[53:54], v[55:56], v[47:48], v[45:46]
	ds_load_2addr_b64 v[45:48], v42 offset0:29 offset1:30
	ds_load_2addr_b64 v[49:52], v42 offset0:31 offset1:32
	s_waitcnt lgkmcnt(1)
	v_fma_f64 v[45:46], v[57:58], v[45:46], v[53:54]
	scratch_load_b64 v[53:54], off, off offset:144
	s_waitcnt vmcnt(4)
	v_fma_f64 v[45:46], v[67:68], v[47:48], v[45:46]
	s_waitcnt lgkmcnt(0)
	s_delay_alu instid0(VALU_DEP_1) | instskip(SKIP_1) | instid1(VALU_DEP_1)
	v_fma_f64 v[45:46], v[69:70], v[49:50], v[45:46]
	s_waitcnt vmcnt(3)
	v_fma_f64 v[55:56], v[59:60], v[51:52], v[45:46]
	ds_load_2addr_b64 v[45:48], v42 offset0:33 offset1:34
	ds_load_2addr_b64 v[49:52], v42 offset0:35 offset1:36
	s_waitcnt lgkmcnt(1)
	v_fma_f64 v[45:46], v[61:62], v[45:46], v[55:56]
	s_waitcnt vmcnt(2)
	s_delay_alu instid0(VALU_DEP_1) | instskip(SKIP_1) | instid1(VALU_DEP_1)
	v_fma_f64 v[45:46], v[63:64], v[47:48], v[45:46]
	s_waitcnt lgkmcnt(0)
	v_fma_f64 v[45:46], v[65:66], v[49:50], v[45:46]
	s_waitcnt vmcnt(1)
	s_delay_alu instid0(VALU_DEP_1) | instskip(SKIP_4) | instid1(VALU_DEP_1)
	v_fma_f64 v[0:1], v[0:1], v[51:52], v[45:46]
	ds_load_2addr_b64 v[45:48], v42 offset0:37 offset1:38
	s_waitcnt lgkmcnt(0)
	v_fma_f64 v[0:1], v[2:3], v[45:46], v[0:1]
	s_waitcnt vmcnt(0)
	v_fma_f64 v[0:1], v[53:54], v[47:48], v[0:1]
	s_delay_alu instid0(VALU_DEP_1)
	v_add_f64 v[0:1], v[43:44], -v[0:1]
	scratch_store_b64 off, v[0:1], off
	s_cbranch_vccz .LBB82_161
; %bb.124:
	v_dual_mov_b32 v0, s2 :: v_dual_mov_b32 v1, s3
	s_mov_b32 s0, exec_lo
	flat_load_b32 v0, v[0:1] offset:68
	s_waitcnt vmcnt(0) lgkmcnt(0)
	v_cmpx_ne_u32_e32 18, v0
	s_cbranch_execz .LBB82_126
; %bb.125:
	v_lshl_add_u32 v42, v0, 3, 0
	scratch_load_b64 v[0:1], v42, off offset:-8
	s_waitcnt vmcnt(0)
	scratch_store_b64 off, v[0:1], off offset:136
	scratch_store_b64 v42, v[2:3], off offset:-8
.LBB82_126:
	s_or_b32 exec_lo, exec_lo, s0
	v_dual_mov_b32 v0, s2 :: v_dual_mov_b32 v1, s3
	s_mov_b32 s0, exec_lo
	flat_load_b32 v0, v[0:1] offset:64
	s_waitcnt vmcnt(0) lgkmcnt(0)
	v_cmpx_ne_u32_e32 17, v0
	s_cbranch_execz .LBB82_128
; %bb.127:
	v_lshl_add_u32 v42, v0, 3, 0
	scratch_load_b64 v[0:1], v42, off offset:-8
	scratch_load_b64 v[2:3], off, off offset:128
	s_waitcnt vmcnt(1)
	scratch_store_b64 off, v[0:1], off offset:128
	s_waitcnt vmcnt(0)
	scratch_store_b64 v42, v[2:3], off offset:-8
.LBB82_128:
	s_or_b32 exec_lo, exec_lo, s0
	v_dual_mov_b32 v0, s2 :: v_dual_mov_b32 v1, s3
	s_mov_b32 s0, exec_lo
	flat_load_b32 v0, v[0:1] offset:60
	s_waitcnt vmcnt(0) lgkmcnt(0)
	v_cmpx_ne_u32_e32 16, v0
	s_cbranch_execz .LBB82_130
; %bb.129:
	v_lshl_add_u32 v42, v0, 3, 0
	scratch_load_b64 v[0:1], v42, off offset:-8
	scratch_load_b64 v[2:3], off, off offset:120
	s_waitcnt vmcnt(1)
	scratch_store_b64 off, v[0:1], off offset:120
	s_waitcnt vmcnt(0)
	scratch_store_b64 v42, v[2:3], off offset:-8
.LBB82_130:
	;; [unrolled: 16-line block ×16, first 2 shown]
	s_or_b32 exec_lo, exec_lo, s0
	v_dual_mov_b32 v0, s2 :: v_dual_mov_b32 v1, s3
	s_mov_b32 s0, exec_lo
	flat_load_b32 v2, v[0:1]
	scratch_load_b64 v[0:1], off, off
	s_waitcnt vmcnt(1) lgkmcnt(0)
	v_cmpx_ne_u32_e32 1, v2
	s_cbranch_execz .LBB82_160
; %bb.159:
	v_lshl_add_u32 v42, v2, 3, 0
	scratch_load_b64 v[2:3], v42, off offset:-8
	s_waitcnt vmcnt(0)
	scratch_store_b64 off, v[2:3], off
	scratch_store_b64 v42, v[0:1], off offset:-8
	scratch_load_b64 v[0:1], off, off
.LBB82_160:
	s_or_b32 exec_lo, exec_lo, s0
.LBB82_161:
	s_clause 0x8
	scratch_load_b128 v[42:45], off, off offset:8
	scratch_load_b128 v[46:49], off, off offset:24
	;; [unrolled: 1-line block ×9, first 2 shown]
	s_waitcnt vmcnt(9)
	global_store_b64 v[4:5], v[0:1], off
	s_waitcnt vmcnt(8)
	s_clause 0x1
	global_store_b64 v[6:7], v[42:43], off
	global_store_b64 v[8:9], v[44:45], off
	s_waitcnt vmcnt(7)
	s_clause 0x1
	global_store_b64 v[10:11], v[46:47], off
	global_store_b64 v[12:13], v[48:49], off
	s_waitcnt vmcnt(6)
	s_clause 0x1
	global_store_b64 v[14:15], v[50:51], off
	global_store_b64 v[16:17], v[52:53], off
	s_waitcnt vmcnt(5)
	s_clause 0x1
	global_store_b64 v[18:19], v[54:55], off
	global_store_b64 v[20:21], v[56:57], off
	s_waitcnt vmcnt(4)
	s_clause 0x1
	global_store_b64 v[22:23], v[58:59], off
	global_store_b64 v[24:25], v[60:61], off
	s_waitcnt vmcnt(3)
	s_clause 0x1
	global_store_b64 v[26:27], v[62:63], off
	global_store_b64 v[28:29], v[64:65], off
	s_waitcnt vmcnt(2)
	s_clause 0x1
	global_store_b64 v[30:31], v[66:67], off
	global_store_b64 v[32:33], v[68:69], off
	s_waitcnt vmcnt(1)
	s_clause 0x1
	global_store_b64 v[36:37], v[70:71], off
	global_store_b64 v[40:41], v[72:73], off
	s_waitcnt vmcnt(0)
	s_clause 0x1
	global_store_b64 v[34:35], v[74:75], off
	global_store_b64 v[38:39], v[76:77], off
	s_endpgm
	.section	.rodata,"a",@progbits
	.p2align	6, 0x0
	.amdhsa_kernel _ZN9rocsolver6v33100L18getri_kernel_smallILi19EdPKPdEEvT1_iilPiilS6_bb
		.amdhsa_group_segment_fixed_size 312
		.amdhsa_private_segment_fixed_size 160
		.amdhsa_kernarg_size 60
		.amdhsa_user_sgpr_count 15
		.amdhsa_user_sgpr_dispatch_ptr 0
		.amdhsa_user_sgpr_queue_ptr 0
		.amdhsa_user_sgpr_kernarg_segment_ptr 1
		.amdhsa_user_sgpr_dispatch_id 0
		.amdhsa_user_sgpr_private_segment_size 0
		.amdhsa_wavefront_size32 1
		.amdhsa_uses_dynamic_stack 0
		.amdhsa_enable_private_segment 1
		.amdhsa_system_sgpr_workgroup_id_x 1
		.amdhsa_system_sgpr_workgroup_id_y 0
		.amdhsa_system_sgpr_workgroup_id_z 0
		.amdhsa_system_sgpr_workgroup_info 0
		.amdhsa_system_vgpr_workitem_id 0
		.amdhsa_next_free_vgpr 78
		.amdhsa_next_free_sgpr 17
		.amdhsa_reserve_vcc 1
		.amdhsa_float_round_mode_32 0
		.amdhsa_float_round_mode_16_64 0
		.amdhsa_float_denorm_mode_32 3
		.amdhsa_float_denorm_mode_16_64 3
		.amdhsa_dx10_clamp 1
		.amdhsa_ieee_mode 1
		.amdhsa_fp16_overflow 0
		.amdhsa_workgroup_processor_mode 1
		.amdhsa_memory_ordered 1
		.amdhsa_forward_progress 0
		.amdhsa_shared_vgpr_count 0
		.amdhsa_exception_fp_ieee_invalid_op 0
		.amdhsa_exception_fp_denorm_src 0
		.amdhsa_exception_fp_ieee_div_zero 0
		.amdhsa_exception_fp_ieee_overflow 0
		.amdhsa_exception_fp_ieee_underflow 0
		.amdhsa_exception_fp_ieee_inexact 0
		.amdhsa_exception_int_div_zero 0
	.end_amdhsa_kernel
	.section	.text._ZN9rocsolver6v33100L18getri_kernel_smallILi19EdPKPdEEvT1_iilPiilS6_bb,"axG",@progbits,_ZN9rocsolver6v33100L18getri_kernel_smallILi19EdPKPdEEvT1_iilPiilS6_bb,comdat
.Lfunc_end82:
	.size	_ZN9rocsolver6v33100L18getri_kernel_smallILi19EdPKPdEEvT1_iilPiilS6_bb, .Lfunc_end82-_ZN9rocsolver6v33100L18getri_kernel_smallILi19EdPKPdEEvT1_iilPiilS6_bb
                                        ; -- End function
	.section	.AMDGPU.csdata,"",@progbits
; Kernel info:
; codeLenInByte = 12272
; NumSgprs: 19
; NumVgprs: 78
; ScratchSize: 160
; MemoryBound: 0
; FloatMode: 240
; IeeeMode: 1
; LDSByteSize: 312 bytes/workgroup (compile time only)
; SGPRBlocks: 2
; VGPRBlocks: 9
; NumSGPRsForWavesPerEU: 19
; NumVGPRsForWavesPerEU: 78
; Occupancy: 16
; WaveLimiterHint : 1
; COMPUTE_PGM_RSRC2:SCRATCH_EN: 1
; COMPUTE_PGM_RSRC2:USER_SGPR: 15
; COMPUTE_PGM_RSRC2:TRAP_HANDLER: 0
; COMPUTE_PGM_RSRC2:TGID_X_EN: 1
; COMPUTE_PGM_RSRC2:TGID_Y_EN: 0
; COMPUTE_PGM_RSRC2:TGID_Z_EN: 0
; COMPUTE_PGM_RSRC2:TIDIG_COMP_CNT: 0
	.section	.text._ZN9rocsolver6v33100L18getri_kernel_smallILi20EdPKPdEEvT1_iilPiilS6_bb,"axG",@progbits,_ZN9rocsolver6v33100L18getri_kernel_smallILi20EdPKPdEEvT1_iilPiilS6_bb,comdat
	.globl	_ZN9rocsolver6v33100L18getri_kernel_smallILi20EdPKPdEEvT1_iilPiilS6_bb ; -- Begin function _ZN9rocsolver6v33100L18getri_kernel_smallILi20EdPKPdEEvT1_iilPiilS6_bb
	.p2align	8
	.type	_ZN9rocsolver6v33100L18getri_kernel_smallILi20EdPKPdEEvT1_iilPiilS6_bb,@function
_ZN9rocsolver6v33100L18getri_kernel_smallILi20EdPKPdEEvT1_iilPiilS6_bb: ; @_ZN9rocsolver6v33100L18getri_kernel_smallILi20EdPKPdEEvT1_iilPiilS6_bb
; %bb.0:
	s_mov_b32 s2, exec_lo
	v_cmpx_gt_u32_e32 20, v0
	s_cbranch_execz .LBB83_90
; %bb.1:
	s_clause 0x1
	s_load_b32 s13, s[0:1], 0x38
	s_load_b64 s[2:3], s[0:1], 0x0
	s_mov_b32 s8, s15
	s_load_b128 s[4:7], s[0:1], 0x28
	s_waitcnt lgkmcnt(0)
	s_bitcmp1_b32 s13, 8
	s_cselect_b32 s12, -1, 0
	s_ashr_i32 s9, s15, 31
	s_delay_alu instid0(SALU_CYCLE_1) | instskip(NEXT) | instid1(SALU_CYCLE_1)
	s_lshl_b64 s[10:11], s[8:9], 3
	s_add_u32 s2, s2, s10
	s_addc_u32 s3, s3, s11
	s_load_b64 s[10:11], s[2:3], 0x0
	s_bfe_u32 s2, s13, 0x10008
	s_delay_alu instid0(SALU_CYCLE_1)
	s_cmp_eq_u32 s2, 0
                                        ; implicit-def: $sgpr2_sgpr3
	s_cbranch_scc1 .LBB83_3
; %bb.2:
	s_clause 0x1
	s_load_b32 s2, s[0:1], 0x20
	s_load_b64 s[14:15], s[0:1], 0x18
	s_mul_i32 s3, s8, s5
	s_mul_hi_u32 s5, s8, s4
	s_mul_i32 s16, s9, s4
	s_add_i32 s3, s5, s3
	s_mul_i32 s4, s8, s4
	s_add_i32 s5, s3, s16
	s_delay_alu instid0(SALU_CYCLE_1)
	s_lshl_b64 s[4:5], s[4:5], 2
	s_waitcnt lgkmcnt(0)
	s_ashr_i32 s3, s2, 31
	s_add_u32 s4, s14, s4
	s_addc_u32 s5, s15, s5
	s_lshl_b64 s[2:3], s[2:3], 2
	s_delay_alu instid0(SALU_CYCLE_1)
	s_add_u32 s2, s4, s2
	s_addc_u32 s3, s5, s3
.LBB83_3:
	s_load_b64 s[0:1], s[0:1], 0x8
	v_lshlrev_b32_e32 v3, 3, v0
	s_waitcnt lgkmcnt(0)
	v_add3_u32 v1, s1, s1, v0
	s_ashr_i32 s5, s0, 31
	s_mov_b32 s4, s0
	s_mov_b32 s14, s1
	s_lshl_b64 s[4:5], s[4:5], 3
	v_add_nc_u32_e32 v8, s1, v1
	v_ashrrev_i32_e32 v2, 31, v1
	s_add_u32 s4, s10, s4
	s_addc_u32 s5, s11, s5
	v_add_co_u32 v4, s0, s4, v3
	v_add_nc_u32_e32 v10, s1, v8
	s_ashr_i32 s15, s1, 31
	v_add_co_ci_u32_e64 v5, null, s5, 0, s0
	v_lshlrev_b64 v[1:2], 3, v[1:2]
	s_delay_alu instid0(VALU_DEP_3)
	v_add_nc_u32_e32 v14, s1, v10
	v_ashrrev_i32_e32 v9, 31, v8
	s_lshl_b64 s[10:11], s[14:15], 3
	v_ashrrev_i32_e32 v11, 31, v10
	v_add_co_u32 v6, vcc_lo, v4, s10
	v_add_nc_u32_e32 v16, s1, v14
	v_add_co_ci_u32_e32 v7, vcc_lo, s11, v5, vcc_lo
	v_lshlrev_b64 v[12:13], 3, v[8:9]
	v_add_co_u32 v8, vcc_lo, s4, v1
	v_add_co_ci_u32_e32 v9, vcc_lo, s5, v2, vcc_lo
	v_lshlrev_b64 v[1:2], 3, v[10:11]
	v_ashrrev_i32_e32 v15, 31, v14
	v_add_nc_u32_e32 v18, s1, v16
	v_add_co_u32 v10, vcc_lo, s4, v12
	v_ashrrev_i32_e32 v17, 31, v16
	v_add_co_ci_u32_e32 v11, vcc_lo, s5, v13, vcc_lo
	v_lshlrev_b64 v[14:15], 3, v[14:15]
	v_add_nc_u32_e32 v20, s1, v18
	v_add_co_u32 v12, vcc_lo, s4, v1
	v_add_co_ci_u32_e32 v13, vcc_lo, s5, v2, vcc_lo
	v_lshlrev_b64 v[1:2], 3, v[16:17]
	v_ashrrev_i32_e32 v19, 31, v18
	v_add_nc_u32_e32 v22, s1, v20
	v_add_co_u32 v14, vcc_lo, s4, v14
	v_ashrrev_i32_e32 v21, 31, v20
	v_add_co_ci_u32_e32 v15, vcc_lo, s5, v15, vcc_lo
	v_lshlrev_b64 v[18:19], 3, v[18:19]
	v_add_co_u32 v16, vcc_lo, s4, v1
	v_add_nc_u32_e32 v24, s1, v22
	v_add_co_ci_u32_e32 v17, vcc_lo, s5, v2, vcc_lo
	v_lshlrev_b64 v[1:2], 3, v[20:21]
	v_add_co_u32 v18, vcc_lo, s4, v18
	v_ashrrev_i32_e32 v23, 31, v22
	v_add_nc_u32_e32 v26, s1, v24
	v_add_co_ci_u32_e32 v19, vcc_lo, s5, v19, vcc_lo
	v_add_co_u32 v20, vcc_lo, s4, v1
	v_add_co_ci_u32_e32 v21, vcc_lo, s5, v2, vcc_lo
	v_lshlrev_b64 v[1:2], 3, v[22:23]
	v_ashrrev_i32_e32 v25, 31, v24
	v_add_nc_u32_e32 v28, s1, v26
	v_ashrrev_i32_e32 v27, 31, v26
	s_clause 0x4
	global_load_b64 v[44:45], v3, s[4:5]
	global_load_b64 v[46:47], v[6:7], off
	global_load_b64 v[48:49], v[8:9], off
	;; [unrolled: 1-line block ×4, first 2 shown]
	v_lshlrev_b64 v[24:25], 3, v[24:25]
	v_add_co_u32 v22, vcc_lo, s4, v1
	v_ashrrev_i32_e32 v29, 31, v28
	v_add_co_ci_u32_e32 v23, vcc_lo, s5, v2, vcc_lo
	v_lshlrev_b64 v[1:2], 3, v[26:27]
	v_add_nc_u32_e32 v31, s1, v28
	v_add_co_u32 v24, vcc_lo, s4, v24
	v_lshlrev_b64 v[29:30], 3, v[28:29]
	v_add_co_ci_u32_e32 v25, vcc_lo, s5, v25, vcc_lo
	v_add_co_u32 v26, vcc_lo, s4, v1
	v_ashrrev_i32_e32 v32, 31, v31
	v_add_nc_u32_e32 v1, s1, v31
	v_add_co_ci_u32_e32 v27, vcc_lo, s5, v2, vcc_lo
	v_add_co_u32 v28, vcc_lo, s4, v29
	v_add_co_ci_u32_e32 v29, vcc_lo, s5, v30, vcc_lo
	v_lshlrev_b64 v[30:31], 3, v[31:32]
	v_add_nc_u32_e32 v32, s1, v1
	v_ashrrev_i32_e32 v2, 31, v1
	s_clause 0x7
	global_load_b64 v[54:55], v[14:15], off
	global_load_b64 v[56:57], v[16:17], off
	;; [unrolled: 1-line block ×8, first 2 shown]
	s_bitcmp0_b32 s13, 0
	v_add_nc_u32_e32 v34, s1, v32
	v_lshlrev_b64 v[1:2], 3, v[1:2]
	v_ashrrev_i32_e32 v33, 31, v32
	v_add_co_u32 v30, vcc_lo, s4, v30
	s_delay_alu instid0(VALU_DEP_4) | instskip(SKIP_3) | instid1(VALU_DEP_4)
	v_add_nc_u32_e32 v38, s1, v34
	v_ashrrev_i32_e32 v35, 31, v34
	v_add_co_ci_u32_e32 v31, vcc_lo, s5, v31, vcc_lo
	v_lshlrev_b64 v[36:37], 3, v[32:33]
	v_add_nc_u32_e32 v40, s1, v38
	v_add_co_u32 v32, vcc_lo, s4, v1
	v_add_co_ci_u32_e32 v33, vcc_lo, s5, v2, vcc_lo
	v_lshlrev_b64 v[1:2], 3, v[34:35]
	v_ashrrev_i32_e32 v39, 31, v38
	v_add_nc_u32_e32 v42, s1, v40
	v_add_co_u32 v34, vcc_lo, s4, v36
	v_ashrrev_i32_e32 v41, 31, v40
	v_add_co_ci_u32_e32 v35, vcc_lo, s5, v37, vcc_lo
	v_lshlrev_b64 v[38:39], 3, v[38:39]
	v_add_co_u32 v36, vcc_lo, s4, v1
	v_ashrrev_i32_e32 v43, 31, v42
	v_add_co_ci_u32_e32 v37, vcc_lo, s5, v2, vcc_lo
	v_lshlrev_b64 v[1:2], 3, v[40:41]
	v_add_co_u32 v38, vcc_lo, s4, v38
	s_delay_alu instid0(VALU_DEP_4) | instskip(SKIP_1) | instid1(VALU_DEP_4)
	v_lshlrev_b64 v[42:43], 3, v[42:43]
	v_add_co_ci_u32_e32 v39, vcc_lo, s5, v39, vcc_lo
	v_add_co_u32 v40, vcc_lo, s4, v1
	v_add_co_ci_u32_e32 v41, vcc_lo, s5, v2, vcc_lo
	s_delay_alu instid0(VALU_DEP_4)
	v_add_co_u32 v42, vcc_lo, s4, v42
	v_add_co_ci_u32_e32 v43, vcc_lo, s5, v43, vcc_lo
	s_clause 0x6
	global_load_b64 v[70:71], v[30:31], off
	global_load_b64 v[72:73], v[32:33], off
	;; [unrolled: 1-line block ×7, first 2 shown]
	s_mov_b32 s1, -1
	s_waitcnt vmcnt(18)
	scratch_store_b128 off, v[44:47], off
	s_waitcnt vmcnt(16)
	scratch_store_b128 off, v[48:51], off offset:16
	s_waitcnt vmcnt(14)
	scratch_store_b128 off, v[52:55], off offset:32
	;; [unrolled: 2-line block ×9, first 2 shown]
	s_cbranch_scc1 .LBB83_88
; %bb.4:
	v_cmp_eq_u32_e64 s0, 0, v0
	s_delay_alu instid0(VALU_DEP_1)
	s_and_saveexec_b32 s1, s0
	s_cbranch_execz .LBB83_6
; %bb.5:
	v_mov_b32_e32 v1, 0
	ds_store_b32 v1, v1 offset:320
.LBB83_6:
	s_or_b32 exec_lo, exec_lo, s1
	s_waitcnt lgkmcnt(0)
	s_waitcnt_vscnt null, 0x0
	s_barrier
	buffer_gl0_inv
	scratch_load_b64 v[1:2], v3, off
	s_mov_b32 s4, exec_lo
	s_waitcnt vmcnt(0)
	v_cmpx_eq_f64_e32 0, v[1:2]
	s_cbranch_execz .LBB83_10
; %bb.7:
	v_mov_b32_e32 v1, 0
	s_mov_b32 s5, 0
	ds_load_b32 v2, v1 offset:320
	s_waitcnt lgkmcnt(0)
	v_readfirstlane_b32 s1, v2
	v_add_nc_u32_e32 v2, 1, v0
	s_delay_alu instid0(VALU_DEP_2) | instskip(NEXT) | instid1(VALU_DEP_1)
	s_cmp_eq_u32 s1, 0
	v_cmp_gt_i32_e32 vcc_lo, s1, v2
	s_cselect_b32 s10, -1, 0
	s_delay_alu instid0(SALU_CYCLE_1) | instskip(NEXT) | instid1(SALU_CYCLE_1)
	s_or_b32 s10, s10, vcc_lo
	s_and_b32 exec_lo, exec_lo, s10
	s_cbranch_execz .LBB83_10
; %bb.8:
	v_mov_b32_e32 v44, s1
.LBB83_9:                               ; =>This Inner Loop Header: Depth=1
	ds_cmpstore_rtn_b32 v44, v1, v2, v44 offset:320
	s_waitcnt lgkmcnt(0)
	v_cmp_ne_u32_e32 vcc_lo, 0, v44
	v_cmp_le_i32_e64 s1, v44, v2
	s_delay_alu instid0(VALU_DEP_1) | instskip(NEXT) | instid1(SALU_CYCLE_1)
	s_and_b32 s1, vcc_lo, s1
	s_and_b32 s1, exec_lo, s1
	s_delay_alu instid0(SALU_CYCLE_1) | instskip(NEXT) | instid1(SALU_CYCLE_1)
	s_or_b32 s5, s1, s5
	s_and_not1_b32 exec_lo, exec_lo, s5
	s_cbranch_execnz .LBB83_9
.LBB83_10:
	s_or_b32 exec_lo, exec_lo, s4
	v_mov_b32_e32 v1, 0
	s_barrier
	buffer_gl0_inv
	ds_load_b32 v2, v1 offset:320
	s_and_saveexec_b32 s1, s0
	s_cbranch_execz .LBB83_12
; %bb.11:
	s_lshl_b64 s[4:5], s[8:9], 2
	s_delay_alu instid0(SALU_CYCLE_1)
	s_add_u32 s4, s6, s4
	s_addc_u32 s5, s7, s5
	s_waitcnt lgkmcnt(0)
	global_store_b32 v1, v2, s[4:5]
.LBB83_12:
	s_or_b32 exec_lo, exec_lo, s1
	s_waitcnt lgkmcnt(0)
	v_cmp_ne_u32_e32 vcc_lo, 0, v2
	s_mov_b32 s1, 0
	s_cbranch_vccnz .LBB83_88
; %bb.13:
	v_add_nc_u32_e32 v44, 0, v3
	scratch_load_b64 v[1:2], v44, off
	s_waitcnt vmcnt(0)
	v_div_scale_f64 v[45:46], null, v[1:2], v[1:2], 1.0
	v_div_scale_f64 v[51:52], vcc_lo, 1.0, v[1:2], 1.0
	s_delay_alu instid0(VALU_DEP_2) | instskip(SKIP_2) | instid1(VALU_DEP_1)
	v_rcp_f64_e32 v[47:48], v[45:46]
	s_waitcnt_depctr 0xfff
	v_fma_f64 v[49:50], -v[45:46], v[47:48], 1.0
	v_fma_f64 v[47:48], v[47:48], v[49:50], v[47:48]
	s_delay_alu instid0(VALU_DEP_1) | instskip(NEXT) | instid1(VALU_DEP_1)
	v_fma_f64 v[49:50], -v[45:46], v[47:48], 1.0
	v_fma_f64 v[47:48], v[47:48], v[49:50], v[47:48]
	s_delay_alu instid0(VALU_DEP_1) | instskip(NEXT) | instid1(VALU_DEP_1)
	v_mul_f64 v[49:50], v[51:52], v[47:48]
	v_fma_f64 v[45:46], -v[45:46], v[49:50], v[51:52]
	s_delay_alu instid0(VALU_DEP_1) | instskip(NEXT) | instid1(VALU_DEP_1)
	v_div_fmas_f64 v[45:46], v[45:46], v[47:48], v[49:50]
	v_div_fixup_f64 v[1:2], v[45:46], v[1:2], 1.0
	v_add_nc_u32_e32 v45, 0xa0, v3
	scratch_store_b64 v44, v[1:2], off
	scratch_load_b64 v[46:47], off, off offset:8
	v_xor_b32_e32 v2, 0x80000000, v2
	s_waitcnt vmcnt(0)
	ds_store_2addr_b64 v3, v[1:2], v[46:47] offset1:20
	s_waitcnt lgkmcnt(0)
	s_waitcnt_vscnt null, 0x0
	s_barrier
	buffer_gl0_inv
	s_and_saveexec_b32 s1, s0
	s_cbranch_execz .LBB83_15
; %bb.14:
	scratch_load_b64 v[1:2], v44, off
	ds_load_b64 v[46:47], v45
	s_waitcnt vmcnt(0) lgkmcnt(0)
	v_fma_f64 v[1:2], v[1:2], v[46:47], 0
	v_mov_b32_e32 v46, 0
	ds_load_b64 v[46:47], v46 offset:8
	s_waitcnt lgkmcnt(0)
	v_mul_f64 v[1:2], v[1:2], v[46:47]
	scratch_store_b64 off, v[1:2], off offset:8
.LBB83_15:
	s_or_b32 exec_lo, exec_lo, s1
	s_waitcnt_vscnt null, 0x0
	s_barrier
	buffer_gl0_inv
	scratch_load_b64 v[1:2], off, off offset:16
	s_mov_b32 s1, exec_lo
	s_waitcnt vmcnt(0)
	ds_store_b64 v45, v[1:2]
	s_waitcnt lgkmcnt(0)
	s_barrier
	buffer_gl0_inv
	v_cmpx_gt_u32_e32 2, v0
	s_cbranch_execz .LBB83_19
; %bb.16:
	scratch_load_b64 v[1:2], v44, off
	ds_load_b64 v[46:47], v45
	s_waitcnt vmcnt(0) lgkmcnt(0)
	v_fma_f64 v[1:2], v[1:2], v[46:47], 0
	s_and_saveexec_b32 s4, s0
	s_cbranch_execz .LBB83_18
; %bb.17:
	scratch_load_b64 v[46:47], off, off offset:8
	v_mov_b32_e32 v48, 0
	ds_load_b64 v[48:49], v48 offset:168
	s_waitcnt vmcnt(0) lgkmcnt(0)
	v_fma_f64 v[1:2], v[46:47], v[48:49], v[1:2]
.LBB83_18:
	s_or_b32 exec_lo, exec_lo, s4
	v_mov_b32_e32 v46, 0
	ds_load_b64 v[46:47], v46 offset:16
	s_waitcnt lgkmcnt(0)
	v_mul_f64 v[1:2], v[1:2], v[46:47]
	scratch_store_b64 off, v[1:2], off offset:16
.LBB83_19:
	s_or_b32 exec_lo, exec_lo, s1
	s_waitcnt_vscnt null, 0x0
	s_barrier
	buffer_gl0_inv
	scratch_load_b64 v[1:2], off, off offset:24
	v_add_nc_u32_e32 v46, -1, v0
	s_mov_b32 s0, exec_lo
	s_waitcnt vmcnt(0)
	ds_store_b64 v45, v[1:2]
	s_waitcnt lgkmcnt(0)
	s_barrier
	buffer_gl0_inv
	v_cmpx_gt_u32_e32 3, v0
	s_cbranch_execz .LBB83_23
; %bb.20:
	v_dual_mov_b32 v1, 0 :: v_dual_add_nc_u32 v48, 0xa0, v3
	v_dual_mov_b32 v2, 0 :: v_dual_add_nc_u32 v47, -1, v0
	v_add_nc_u32_e32 v49, 0, v3
	s_mov_b32 s1, 0
.LBB83_21:                              ; =>This Inner Loop Header: Depth=1
	scratch_load_b64 v[50:51], v49, off
	ds_load_b64 v[52:53], v48
	v_add_nc_u32_e32 v47, 1, v47
	v_add_nc_u32_e32 v48, 8, v48
	v_add_nc_u32_e32 v49, 8, v49
	s_delay_alu instid0(VALU_DEP_3)
	v_cmp_lt_u32_e32 vcc_lo, 1, v47
	s_or_b32 s1, vcc_lo, s1
	s_waitcnt vmcnt(0) lgkmcnt(0)
	v_fma_f64 v[1:2], v[50:51], v[52:53], v[1:2]
	s_and_not1_b32 exec_lo, exec_lo, s1
	s_cbranch_execnz .LBB83_21
; %bb.22:
	s_or_b32 exec_lo, exec_lo, s1
	v_mov_b32_e32 v47, 0
	ds_load_b64 v[47:48], v47 offset:24
	s_waitcnt lgkmcnt(0)
	v_mul_f64 v[1:2], v[1:2], v[47:48]
	scratch_store_b64 off, v[1:2], off offset:24
.LBB83_23:
	s_or_b32 exec_lo, exec_lo, s0
	s_waitcnt_vscnt null, 0x0
	s_barrier
	buffer_gl0_inv
	scratch_load_b64 v[1:2], off, off offset:32
	s_mov_b32 s0, exec_lo
	s_waitcnt vmcnt(0)
	ds_store_b64 v45, v[1:2]
	s_waitcnt lgkmcnt(0)
	s_barrier
	buffer_gl0_inv
	v_cmpx_gt_u32_e32 4, v0
	s_cbranch_execz .LBB83_27
; %bb.24:
	v_dual_mov_b32 v1, 0 :: v_dual_add_nc_u32 v48, 0xa0, v3
	v_dual_mov_b32 v2, 0 :: v_dual_add_nc_u32 v47, -1, v0
	v_add_nc_u32_e32 v49, 0, v3
	s_mov_b32 s1, 0
.LBB83_25:                              ; =>This Inner Loop Header: Depth=1
	scratch_load_b64 v[50:51], v49, off
	ds_load_b64 v[52:53], v48
	v_add_nc_u32_e32 v47, 1, v47
	v_add_nc_u32_e32 v48, 8, v48
	v_add_nc_u32_e32 v49, 8, v49
	s_delay_alu instid0(VALU_DEP_3)
	v_cmp_lt_u32_e32 vcc_lo, 2, v47
	s_or_b32 s1, vcc_lo, s1
	s_waitcnt vmcnt(0) lgkmcnt(0)
	v_fma_f64 v[1:2], v[50:51], v[52:53], v[1:2]
	s_and_not1_b32 exec_lo, exec_lo, s1
	s_cbranch_execnz .LBB83_25
; %bb.26:
	s_or_b32 exec_lo, exec_lo, s1
	v_mov_b32_e32 v47, 0
	ds_load_b64 v[47:48], v47 offset:32
	s_waitcnt lgkmcnt(0)
	v_mul_f64 v[1:2], v[1:2], v[47:48]
	scratch_store_b64 off, v[1:2], off offset:32
.LBB83_27:
	s_or_b32 exec_lo, exec_lo, s0
	s_waitcnt_vscnt null, 0x0
	s_barrier
	buffer_gl0_inv
	scratch_load_b64 v[1:2], off, off offset:40
	;; [unrolled: 39-line block ×16, first 2 shown]
	s_mov_b32 s0, exec_lo
	s_waitcnt vmcnt(0)
	ds_store_b64 v45, v[1:2]
	s_waitcnt lgkmcnt(0)
	s_barrier
	buffer_gl0_inv
	v_cmpx_ne_u32_e32 19, v0
	s_cbranch_execz .LBB83_87
; %bb.84:
	v_mov_b32_e32 v1, 0
	v_mov_b32_e32 v2, 0
	s_mov_b32 s1, 0
.LBB83_85:                              ; =>This Inner Loop Header: Depth=1
	scratch_load_b64 v[47:48], v44, off
	ds_load_b64 v[49:50], v45
	v_add_nc_u32_e32 v46, 1, v46
	v_add_nc_u32_e32 v45, 8, v45
	;; [unrolled: 1-line block ×3, first 2 shown]
	s_delay_alu instid0(VALU_DEP_3)
	v_cmp_lt_u32_e32 vcc_lo, 17, v46
	s_or_b32 s1, vcc_lo, s1
	s_waitcnt vmcnt(0) lgkmcnt(0)
	v_fma_f64 v[1:2], v[47:48], v[49:50], v[1:2]
	s_and_not1_b32 exec_lo, exec_lo, s1
	s_cbranch_execnz .LBB83_85
; %bb.86:
	s_or_b32 exec_lo, exec_lo, s1
	v_mov_b32_e32 v3, 0
	ds_load_b64 v[44:45], v3 offset:152
	s_waitcnt lgkmcnt(0)
	v_mul_f64 v[1:2], v[1:2], v[44:45]
	scratch_store_b64 off, v[1:2], off offset:152
.LBB83_87:
	s_or_b32 exec_lo, exec_lo, s0
	s_mov_b32 s1, -1
	s_waitcnt_vscnt null, 0x0
	s_barrier
	buffer_gl0_inv
.LBB83_88:
	s_and_b32 vcc_lo, exec_lo, s1
	s_cbranch_vccz .LBB83_90
; %bb.89:
	s_lshl_b64 s[0:1], s[8:9], 2
	v_mov_b32_e32 v1, 0
	s_add_u32 s0, s6, s0
	s_addc_u32 s1, s7, s1
	global_load_b32 v1, v1, s[0:1]
	s_waitcnt vmcnt(0)
	v_cmp_ne_u32_e32 vcc_lo, 0, v1
	s_cbranch_vccz .LBB83_91
.LBB83_90:
	s_endpgm
.LBB83_91:
	v_lshl_add_u32 v3, v0, 3, 0xa0
	s_mov_b32 s0, exec_lo
	v_cmpx_eq_u32_e32 19, v0
	s_cbranch_execz .LBB83_93
; %bb.92:
	scratch_load_b64 v[1:2], off, off offset:144
	v_mov_b32_e32 v44, 0
	s_delay_alu instid0(VALU_DEP_1)
	v_mov_b32_e32 v45, v44
	scratch_store_b64 off, v[44:45], off offset:144
	s_waitcnt vmcnt(0)
	ds_store_b64 v3, v[1:2]
.LBB83_93:
	s_or_b32 exec_lo, exec_lo, s0
	s_waitcnt lgkmcnt(0)
	s_waitcnt_vscnt null, 0x0
	s_barrier
	buffer_gl0_inv
	scratch_load_b128 v[44:47], off, off offset:144
	v_mov_b32_e32 v1, 0
	s_mov_b32 s0, exec_lo
	ds_load_b64 v[48:49], v1 offset:312
	s_waitcnt vmcnt(0) lgkmcnt(0)
	v_fma_f64 v[46:47], v[46:47], v[48:49], 0
	s_delay_alu instid0(VALU_DEP_1)
	v_add_f64 v[44:45], v[44:45], -v[46:47]
	scratch_store_b64 off, v[44:45], off offset:144
	v_cmpx_lt_u32_e32 17, v0
	s_cbranch_execz .LBB83_95
; %bb.94:
	scratch_load_b64 v[44:45], off, off offset:136
	v_mov_b32_e32 v2, v1
	scratch_store_b64 off, v[1:2], off offset:136
	s_waitcnt vmcnt(0)
	ds_store_b64 v3, v[44:45]
.LBB83_95:
	s_or_b32 exec_lo, exec_lo, s0
	s_waitcnt lgkmcnt(0)
	s_waitcnt_vscnt null, 0x0
	s_barrier
	buffer_gl0_inv
	s_clause 0x1
	scratch_load_b128 v[44:47], off, off offset:136
	scratch_load_b64 v[52:53], off, off offset:152
	ds_load_b128 v[48:51], v1 offset:304
	s_mov_b32 s0, exec_lo
	s_waitcnt vmcnt(1) lgkmcnt(0)
	v_fma_f64 v[1:2], v[46:47], v[48:49], 0
	s_waitcnt vmcnt(0)
	s_delay_alu instid0(VALU_DEP_1) | instskip(NEXT) | instid1(VALU_DEP_1)
	v_fma_f64 v[1:2], v[52:53], v[50:51], v[1:2]
	v_add_f64 v[1:2], v[44:45], -v[1:2]
	scratch_store_b64 off, v[1:2], off offset:136
	v_cmpx_lt_u32_e32 16, v0
	s_cbranch_execz .LBB83_97
; %bb.96:
	scratch_load_b64 v[1:2], off, off offset:128
	v_mov_b32_e32 v44, 0
	s_delay_alu instid0(VALU_DEP_1)
	v_mov_b32_e32 v45, v44
	scratch_store_b64 off, v[44:45], off offset:128
	s_waitcnt vmcnt(0)
	ds_store_b64 v3, v[1:2]
.LBB83_97:
	s_or_b32 exec_lo, exec_lo, s0
	s_waitcnt lgkmcnt(0)
	s_waitcnt_vscnt null, 0x0
	s_barrier
	buffer_gl0_inv
	s_clause 0x1
	scratch_load_b128 v[44:47], off, off offset:128
	scratch_load_b128 v[48:51], off, off offset:144
	v_mov_b32_e32 v1, 0
	ds_load_2addr_b64 v[52:55], v1 offset0:37 offset1:38
	ds_load_b64 v[56:57], v1 offset:312
	s_mov_b32 s0, exec_lo
	s_waitcnt vmcnt(1) lgkmcnt(1)
	v_fma_f64 v[46:47], v[46:47], v[52:53], 0
	s_waitcnt vmcnt(0)
	s_delay_alu instid0(VALU_DEP_1) | instskip(SKIP_1) | instid1(VALU_DEP_1)
	v_fma_f64 v[46:47], v[48:49], v[54:55], v[46:47]
	s_waitcnt lgkmcnt(0)
	v_fma_f64 v[46:47], v[50:51], v[56:57], v[46:47]
	s_delay_alu instid0(VALU_DEP_1)
	v_add_f64 v[44:45], v[44:45], -v[46:47]
	scratch_store_b64 off, v[44:45], off offset:128
	v_cmpx_lt_u32_e32 15, v0
	s_cbranch_execz .LBB83_99
; %bb.98:
	scratch_load_b64 v[44:45], off, off offset:120
	v_mov_b32_e32 v2, v1
	scratch_store_b64 off, v[1:2], off offset:120
	s_waitcnt vmcnt(0)
	ds_store_b64 v3, v[44:45]
.LBB83_99:
	s_or_b32 exec_lo, exec_lo, s0
	s_waitcnt lgkmcnt(0)
	s_waitcnt_vscnt null, 0x0
	s_barrier
	buffer_gl0_inv
	s_clause 0x2
	scratch_load_b128 v[44:47], off, off offset:120
	scratch_load_b128 v[48:51], off, off offset:136
	scratch_load_b64 v[60:61], off, off offset:152
	ds_load_b128 v[52:55], v1 offset:288
	ds_load_b128 v[56:59], v1 offset:304
	s_mov_b32 s0, exec_lo
	s_waitcnt vmcnt(2) lgkmcnt(1)
	v_fma_f64 v[1:2], v[46:47], v[52:53], 0
	s_waitcnt vmcnt(1)
	s_delay_alu instid0(VALU_DEP_1) | instskip(SKIP_1) | instid1(VALU_DEP_1)
	v_fma_f64 v[1:2], v[48:49], v[54:55], v[1:2]
	s_waitcnt lgkmcnt(0)
	v_fma_f64 v[1:2], v[50:51], v[56:57], v[1:2]
	s_waitcnt vmcnt(0)
	s_delay_alu instid0(VALU_DEP_1) | instskip(NEXT) | instid1(VALU_DEP_1)
	v_fma_f64 v[1:2], v[60:61], v[58:59], v[1:2]
	v_add_f64 v[1:2], v[44:45], -v[1:2]
	scratch_store_b64 off, v[1:2], off offset:120
	v_cmpx_lt_u32_e32 14, v0
	s_cbranch_execz .LBB83_101
; %bb.100:
	scratch_load_b64 v[1:2], off, off offset:112
	v_mov_b32_e32 v44, 0
	s_delay_alu instid0(VALU_DEP_1)
	v_mov_b32_e32 v45, v44
	scratch_store_b64 off, v[44:45], off offset:112
	s_waitcnt vmcnt(0)
	ds_store_b64 v3, v[1:2]
.LBB83_101:
	s_or_b32 exec_lo, exec_lo, s0
	s_waitcnt lgkmcnt(0)
	s_waitcnt_vscnt null, 0x0
	s_barrier
	buffer_gl0_inv
	s_clause 0x2
	scratch_load_b128 v[44:47], off, off offset:112
	scratch_load_b128 v[48:51], off, off offset:128
	;; [unrolled: 1-line block ×3, first 2 shown]
	v_mov_b32_e32 v1, 0
	ds_load_2addr_b64 v[56:59], v1 offset0:35 offset1:36
	ds_load_2addr_b64 v[60:63], v1 offset0:37 offset1:38
	s_mov_b32 s0, exec_lo
	s_waitcnt vmcnt(2) lgkmcnt(1)
	v_fma_f64 v[46:47], v[46:47], v[56:57], 0
	s_waitcnt vmcnt(1)
	s_delay_alu instid0(VALU_DEP_1) | instskip(SKIP_4) | instid1(VALU_DEP_1)
	v_fma_f64 v[46:47], v[48:49], v[58:59], v[46:47]
	ds_load_b64 v[48:49], v1 offset:312
	s_waitcnt lgkmcnt(1)
	v_fma_f64 v[46:47], v[50:51], v[60:61], v[46:47]
	s_waitcnt vmcnt(0)
	v_fma_f64 v[46:47], v[52:53], v[62:63], v[46:47]
	s_waitcnt lgkmcnt(0)
	s_delay_alu instid0(VALU_DEP_1) | instskip(NEXT) | instid1(VALU_DEP_1)
	v_fma_f64 v[46:47], v[54:55], v[48:49], v[46:47]
	v_add_f64 v[44:45], v[44:45], -v[46:47]
	scratch_store_b64 off, v[44:45], off offset:112
	v_cmpx_lt_u32_e32 13, v0
	s_cbranch_execz .LBB83_103
; %bb.102:
	scratch_load_b64 v[44:45], off, off offset:104
	v_mov_b32_e32 v2, v1
	scratch_store_b64 off, v[1:2], off offset:104
	s_waitcnt vmcnt(0)
	ds_store_b64 v3, v[44:45]
.LBB83_103:
	s_or_b32 exec_lo, exec_lo, s0
	s_waitcnt lgkmcnt(0)
	s_waitcnt_vscnt null, 0x0
	s_barrier
	buffer_gl0_inv
	s_clause 0x3
	scratch_load_b128 v[44:47], off, off offset:104
	scratch_load_b128 v[48:51], off, off offset:120
	scratch_load_b128 v[52:55], off, off offset:136
	scratch_load_b64 v[64:65], off, off offset:152
	ds_load_b128 v[56:59], v1 offset:272
	ds_load_b128 v[60:63], v1 offset:288
	s_mov_b32 s0, exec_lo
	s_waitcnt vmcnt(3) lgkmcnt(1)
	v_fma_f64 v[46:47], v[46:47], v[56:57], 0
	s_waitcnt vmcnt(2)
	s_delay_alu instid0(VALU_DEP_1) | instskip(SKIP_1) | instid1(VALU_DEP_1)
	v_fma_f64 v[46:47], v[48:49], v[58:59], v[46:47]
	s_waitcnt lgkmcnt(0)
	v_fma_f64 v[46:47], v[50:51], v[60:61], v[46:47]
	s_waitcnt vmcnt(1)
	s_delay_alu instid0(VALU_DEP_1) | instskip(SKIP_4) | instid1(VALU_DEP_1)
	v_fma_f64 v[50:51], v[52:53], v[62:63], v[46:47]
	ds_load_b128 v[46:49], v1 offset:304
	s_waitcnt lgkmcnt(0)
	v_fma_f64 v[1:2], v[54:55], v[46:47], v[50:51]
	s_waitcnt vmcnt(0)
	v_fma_f64 v[1:2], v[64:65], v[48:49], v[1:2]
	s_delay_alu instid0(VALU_DEP_1)
	v_add_f64 v[1:2], v[44:45], -v[1:2]
	scratch_store_b64 off, v[1:2], off offset:104
	v_cmpx_lt_u32_e32 12, v0
	s_cbranch_execz .LBB83_105
; %bb.104:
	scratch_load_b64 v[1:2], off, off offset:96
	v_mov_b32_e32 v44, 0
	s_delay_alu instid0(VALU_DEP_1)
	v_mov_b32_e32 v45, v44
	scratch_store_b64 off, v[44:45], off offset:96
	s_waitcnt vmcnt(0)
	ds_store_b64 v3, v[1:2]
.LBB83_105:
	s_or_b32 exec_lo, exec_lo, s0
	s_waitcnt lgkmcnt(0)
	s_waitcnt_vscnt null, 0x0
	s_barrier
	buffer_gl0_inv
	s_clause 0x3
	scratch_load_b128 v[44:47], off, off offset:96
	scratch_load_b128 v[48:51], off, off offset:112
	;; [unrolled: 1-line block ×4, first 2 shown]
	v_mov_b32_e32 v1, 0
	ds_load_2addr_b64 v[60:63], v1 offset0:33 offset1:34
	ds_load_2addr_b64 v[64:67], v1 offset0:35 offset1:36
	s_mov_b32 s0, exec_lo
	s_waitcnt vmcnt(3) lgkmcnt(1)
	v_fma_f64 v[46:47], v[46:47], v[60:61], 0
	s_waitcnt vmcnt(2)
	s_delay_alu instid0(VALU_DEP_1) | instskip(SKIP_1) | instid1(VALU_DEP_1)
	v_fma_f64 v[46:47], v[48:49], v[62:63], v[46:47]
	s_waitcnt lgkmcnt(0)
	v_fma_f64 v[46:47], v[50:51], v[64:65], v[46:47]
	s_waitcnt vmcnt(1)
	s_delay_alu instid0(VALU_DEP_1)
	v_fma_f64 v[50:51], v[52:53], v[66:67], v[46:47]
	ds_load_2addr_b64 v[46:49], v1 offset0:37 offset1:38
	ds_load_b64 v[52:53], v1 offset:312
	s_waitcnt lgkmcnt(1)
	v_fma_f64 v[46:47], v[54:55], v[46:47], v[50:51]
	s_waitcnt vmcnt(0)
	s_delay_alu instid0(VALU_DEP_1) | instskip(SKIP_1) | instid1(VALU_DEP_1)
	v_fma_f64 v[46:47], v[56:57], v[48:49], v[46:47]
	s_waitcnt lgkmcnt(0)
	v_fma_f64 v[46:47], v[58:59], v[52:53], v[46:47]
	s_delay_alu instid0(VALU_DEP_1)
	v_add_f64 v[44:45], v[44:45], -v[46:47]
	scratch_store_b64 off, v[44:45], off offset:96
	v_cmpx_lt_u32_e32 11, v0
	s_cbranch_execz .LBB83_107
; %bb.106:
	scratch_load_b64 v[44:45], off, off offset:88
	v_mov_b32_e32 v2, v1
	scratch_store_b64 off, v[1:2], off offset:88
	s_waitcnt vmcnt(0)
	ds_store_b64 v3, v[44:45]
.LBB83_107:
	s_or_b32 exec_lo, exec_lo, s0
	s_waitcnt lgkmcnt(0)
	s_waitcnt_vscnt null, 0x0
	s_barrier
	buffer_gl0_inv
	s_clause 0x4
	scratch_load_b128 v[44:47], off, off offset:88
	scratch_load_b128 v[48:51], off, off offset:104
	;; [unrolled: 1-line block ×4, first 2 shown]
	scratch_load_b64 v[68:69], off, off offset:152
	ds_load_b128 v[60:63], v1 offset:256
	ds_load_b128 v[64:67], v1 offset:272
	s_mov_b32 s0, exec_lo
	s_waitcnt vmcnt(4) lgkmcnt(1)
	v_fma_f64 v[46:47], v[46:47], v[60:61], 0
	s_waitcnt vmcnt(3)
	s_delay_alu instid0(VALU_DEP_1) | instskip(SKIP_1) | instid1(VALU_DEP_1)
	v_fma_f64 v[46:47], v[48:49], v[62:63], v[46:47]
	s_waitcnt lgkmcnt(0)
	v_fma_f64 v[46:47], v[50:51], v[64:65], v[46:47]
	s_waitcnt vmcnt(2)
	s_delay_alu instid0(VALU_DEP_1)
	v_fma_f64 v[60:61], v[52:53], v[66:67], v[46:47]
	ds_load_b128 v[46:49], v1 offset:288
	ds_load_b128 v[50:53], v1 offset:304
	s_waitcnt lgkmcnt(1)
	v_fma_f64 v[1:2], v[54:55], v[46:47], v[60:61]
	s_waitcnt vmcnt(1)
	s_delay_alu instid0(VALU_DEP_1) | instskip(SKIP_1) | instid1(VALU_DEP_1)
	v_fma_f64 v[1:2], v[56:57], v[48:49], v[1:2]
	s_waitcnt lgkmcnt(0)
	v_fma_f64 v[1:2], v[58:59], v[50:51], v[1:2]
	s_waitcnt vmcnt(0)
	s_delay_alu instid0(VALU_DEP_1) | instskip(NEXT) | instid1(VALU_DEP_1)
	v_fma_f64 v[1:2], v[68:69], v[52:53], v[1:2]
	v_add_f64 v[1:2], v[44:45], -v[1:2]
	scratch_store_b64 off, v[1:2], off offset:88
	v_cmpx_lt_u32_e32 10, v0
	s_cbranch_execz .LBB83_109
; %bb.108:
	scratch_load_b64 v[1:2], off, off offset:80
	v_mov_b32_e32 v44, 0
	s_delay_alu instid0(VALU_DEP_1)
	v_mov_b32_e32 v45, v44
	scratch_store_b64 off, v[44:45], off offset:80
	s_waitcnt vmcnt(0)
	ds_store_b64 v3, v[1:2]
.LBB83_109:
	s_or_b32 exec_lo, exec_lo, s0
	s_waitcnt lgkmcnt(0)
	s_waitcnt_vscnt null, 0x0
	s_barrier
	buffer_gl0_inv
	s_clause 0x4
	scratch_load_b128 v[44:47], off, off offset:80
	scratch_load_b128 v[48:51], off, off offset:96
	;; [unrolled: 1-line block ×5, first 2 shown]
	v_mov_b32_e32 v1, 0
	ds_load_2addr_b64 v[64:67], v1 offset0:31 offset1:32
	ds_load_2addr_b64 v[68:71], v1 offset0:33 offset1:34
	s_mov_b32 s0, exec_lo
	s_waitcnt vmcnt(4) lgkmcnt(1)
	v_fma_f64 v[46:47], v[46:47], v[64:65], 0
	s_waitcnt vmcnt(3)
	s_delay_alu instid0(VALU_DEP_1) | instskip(SKIP_1) | instid1(VALU_DEP_1)
	v_fma_f64 v[46:47], v[48:49], v[66:67], v[46:47]
	s_waitcnt lgkmcnt(0)
	v_fma_f64 v[46:47], v[50:51], v[68:69], v[46:47]
	s_waitcnt vmcnt(2)
	s_delay_alu instid0(VALU_DEP_1)
	v_fma_f64 v[64:65], v[52:53], v[70:71], v[46:47]
	ds_load_2addr_b64 v[46:49], v1 offset0:35 offset1:36
	ds_load_2addr_b64 v[50:53], v1 offset0:37 offset1:38
	s_waitcnt lgkmcnt(1)
	v_fma_f64 v[46:47], v[54:55], v[46:47], v[64:65]
	s_waitcnt vmcnt(1)
	s_delay_alu instid0(VALU_DEP_1) | instskip(SKIP_4) | instid1(VALU_DEP_1)
	v_fma_f64 v[46:47], v[56:57], v[48:49], v[46:47]
	ds_load_b64 v[48:49], v1 offset:312
	s_waitcnt lgkmcnt(1)
	v_fma_f64 v[46:47], v[58:59], v[50:51], v[46:47]
	s_waitcnt vmcnt(0)
	v_fma_f64 v[46:47], v[60:61], v[52:53], v[46:47]
	s_waitcnt lgkmcnt(0)
	s_delay_alu instid0(VALU_DEP_1) | instskip(NEXT) | instid1(VALU_DEP_1)
	v_fma_f64 v[46:47], v[62:63], v[48:49], v[46:47]
	v_add_f64 v[44:45], v[44:45], -v[46:47]
	scratch_store_b64 off, v[44:45], off offset:80
	v_cmpx_lt_u32_e32 9, v0
	s_cbranch_execz .LBB83_111
; %bb.110:
	scratch_load_b64 v[44:45], off, off offset:72
	v_mov_b32_e32 v2, v1
	scratch_store_b64 off, v[1:2], off offset:72
	s_waitcnt vmcnt(0)
	ds_store_b64 v3, v[44:45]
.LBB83_111:
	s_or_b32 exec_lo, exec_lo, s0
	s_waitcnt lgkmcnt(0)
	s_waitcnt_vscnt null, 0x0
	s_barrier
	buffer_gl0_inv
	s_clause 0x4
	scratch_load_b128 v[44:47], off, off offset:72
	scratch_load_b128 v[48:51], off, off offset:88
	;; [unrolled: 1-line block ×5, first 2 shown]
	ds_load_b128 v[64:67], v1 offset:240
	ds_load_b128 v[68:71], v1 offset:256
	s_mov_b32 s0, exec_lo
	s_waitcnt vmcnt(4) lgkmcnt(1)
	v_fma_f64 v[46:47], v[46:47], v[64:65], 0
	scratch_load_b64 v[64:65], off, off offset:152
	s_waitcnt vmcnt(4)
	v_fma_f64 v[46:47], v[48:49], v[66:67], v[46:47]
	s_waitcnt lgkmcnt(0)
	s_delay_alu instid0(VALU_DEP_1) | instskip(SKIP_1) | instid1(VALU_DEP_1)
	v_fma_f64 v[46:47], v[50:51], v[68:69], v[46:47]
	s_waitcnt vmcnt(3)
	v_fma_f64 v[66:67], v[52:53], v[70:71], v[46:47]
	ds_load_b128 v[46:49], v1 offset:272
	ds_load_b128 v[50:53], v1 offset:288
	s_waitcnt lgkmcnt(1)
	v_fma_f64 v[46:47], v[54:55], v[46:47], v[66:67]
	s_waitcnt vmcnt(2)
	s_delay_alu instid0(VALU_DEP_1) | instskip(SKIP_1) | instid1(VALU_DEP_1)
	v_fma_f64 v[46:47], v[56:57], v[48:49], v[46:47]
	s_waitcnt lgkmcnt(0)
	v_fma_f64 v[46:47], v[58:59], v[50:51], v[46:47]
	s_waitcnt vmcnt(1)
	s_delay_alu instid0(VALU_DEP_1) | instskip(SKIP_4) | instid1(VALU_DEP_1)
	v_fma_f64 v[50:51], v[60:61], v[52:53], v[46:47]
	ds_load_b128 v[46:49], v1 offset:304
	s_waitcnt lgkmcnt(0)
	v_fma_f64 v[1:2], v[62:63], v[46:47], v[50:51]
	s_waitcnt vmcnt(0)
	v_fma_f64 v[1:2], v[64:65], v[48:49], v[1:2]
	s_delay_alu instid0(VALU_DEP_1)
	v_add_f64 v[1:2], v[44:45], -v[1:2]
	scratch_store_b64 off, v[1:2], off offset:72
	v_cmpx_lt_u32_e32 8, v0
	s_cbranch_execz .LBB83_113
; %bb.112:
	scratch_load_b64 v[1:2], off, off offset:64
	v_mov_b32_e32 v44, 0
	s_delay_alu instid0(VALU_DEP_1)
	v_mov_b32_e32 v45, v44
	scratch_store_b64 off, v[44:45], off offset:64
	s_waitcnt vmcnt(0)
	ds_store_b64 v3, v[1:2]
.LBB83_113:
	s_or_b32 exec_lo, exec_lo, s0
	s_waitcnt lgkmcnt(0)
	s_waitcnt_vscnt null, 0x0
	s_barrier
	buffer_gl0_inv
	s_clause 0x4
	scratch_load_b128 v[44:47], off, off offset:64
	scratch_load_b128 v[48:51], off, off offset:80
	;; [unrolled: 1-line block ×5, first 2 shown]
	v_mov_b32_e32 v1, 0
	ds_load_2addr_b64 v[64:67], v1 offset0:29 offset1:30
	ds_load_2addr_b64 v[68:71], v1 offset0:31 offset1:32
	scratch_load_b128 v[72:75], off, off offset:144
	s_mov_b32 s0, exec_lo
	s_waitcnt vmcnt(5) lgkmcnt(1)
	v_fma_f64 v[46:47], v[46:47], v[64:65], 0
	s_waitcnt vmcnt(4)
	s_delay_alu instid0(VALU_DEP_1) | instskip(SKIP_1) | instid1(VALU_DEP_1)
	v_fma_f64 v[46:47], v[48:49], v[66:67], v[46:47]
	s_waitcnt lgkmcnt(0)
	v_fma_f64 v[46:47], v[50:51], v[68:69], v[46:47]
	s_waitcnt vmcnt(3)
	s_delay_alu instid0(VALU_DEP_1)
	v_fma_f64 v[64:65], v[52:53], v[70:71], v[46:47]
	ds_load_2addr_b64 v[46:49], v1 offset0:33 offset1:34
	ds_load_2addr_b64 v[50:53], v1 offset0:35 offset1:36
	s_waitcnt lgkmcnt(1)
	v_fma_f64 v[46:47], v[54:55], v[46:47], v[64:65]
	s_waitcnt vmcnt(2)
	s_delay_alu instid0(VALU_DEP_1) | instskip(SKIP_1) | instid1(VALU_DEP_1)
	v_fma_f64 v[46:47], v[56:57], v[48:49], v[46:47]
	s_waitcnt lgkmcnt(0)
	v_fma_f64 v[46:47], v[58:59], v[50:51], v[46:47]
	s_waitcnt vmcnt(1)
	s_delay_alu instid0(VALU_DEP_1)
	v_fma_f64 v[50:51], v[60:61], v[52:53], v[46:47]
	ds_load_2addr_b64 v[46:49], v1 offset0:37 offset1:38
	ds_load_b64 v[52:53], v1 offset:312
	s_waitcnt lgkmcnt(1)
	v_fma_f64 v[46:47], v[62:63], v[46:47], v[50:51]
	s_waitcnt vmcnt(0)
	s_delay_alu instid0(VALU_DEP_1) | instskip(SKIP_1) | instid1(VALU_DEP_1)
	v_fma_f64 v[46:47], v[72:73], v[48:49], v[46:47]
	s_waitcnt lgkmcnt(0)
	v_fma_f64 v[46:47], v[74:75], v[52:53], v[46:47]
	s_delay_alu instid0(VALU_DEP_1)
	v_add_f64 v[44:45], v[44:45], -v[46:47]
	scratch_store_b64 off, v[44:45], off offset:64
	v_cmpx_lt_u32_e32 7, v0
	s_cbranch_execz .LBB83_115
; %bb.114:
	scratch_load_b64 v[44:45], off, off offset:56
	v_mov_b32_e32 v2, v1
	scratch_store_b64 off, v[1:2], off offset:56
	s_waitcnt vmcnt(0)
	ds_store_b64 v3, v[44:45]
.LBB83_115:
	s_or_b32 exec_lo, exec_lo, s0
	s_waitcnt lgkmcnt(0)
	s_waitcnt_vscnt null, 0x0
	s_barrier
	buffer_gl0_inv
	s_clause 0x4
	scratch_load_b128 v[44:47], off, off offset:56
	scratch_load_b128 v[48:51], off, off offset:72
	;; [unrolled: 1-line block ×5, first 2 shown]
	ds_load_b128 v[64:67], v1 offset:224
	ds_load_b128 v[68:71], v1 offset:240
	scratch_load_b128 v[72:75], off, off offset:136
	s_mov_b32 s0, exec_lo
	s_waitcnt vmcnt(5) lgkmcnt(1)
	v_fma_f64 v[46:47], v[46:47], v[64:65], 0
	scratch_load_b64 v[64:65], off, off offset:152
	s_waitcnt vmcnt(5)
	v_fma_f64 v[46:47], v[48:49], v[66:67], v[46:47]
	s_waitcnt lgkmcnt(0)
	s_delay_alu instid0(VALU_DEP_1) | instskip(SKIP_1) | instid1(VALU_DEP_1)
	v_fma_f64 v[46:47], v[50:51], v[68:69], v[46:47]
	s_waitcnt vmcnt(4)
	v_fma_f64 v[66:67], v[52:53], v[70:71], v[46:47]
	ds_load_b128 v[46:49], v1 offset:256
	ds_load_b128 v[50:53], v1 offset:272
	s_waitcnt lgkmcnt(1)
	v_fma_f64 v[46:47], v[54:55], v[46:47], v[66:67]
	s_waitcnt vmcnt(3)
	s_delay_alu instid0(VALU_DEP_1) | instskip(SKIP_1) | instid1(VALU_DEP_1)
	v_fma_f64 v[46:47], v[56:57], v[48:49], v[46:47]
	s_waitcnt lgkmcnt(0)
	v_fma_f64 v[46:47], v[58:59], v[50:51], v[46:47]
	s_waitcnt vmcnt(2)
	s_delay_alu instid0(VALU_DEP_1)
	v_fma_f64 v[54:55], v[60:61], v[52:53], v[46:47]
	ds_load_b128 v[46:49], v1 offset:288
	ds_load_b128 v[50:53], v1 offset:304
	s_waitcnt lgkmcnt(1)
	v_fma_f64 v[1:2], v[62:63], v[46:47], v[54:55]
	s_waitcnt vmcnt(1)
	s_delay_alu instid0(VALU_DEP_1) | instskip(SKIP_1) | instid1(VALU_DEP_1)
	v_fma_f64 v[1:2], v[72:73], v[48:49], v[1:2]
	s_waitcnt lgkmcnt(0)
	v_fma_f64 v[1:2], v[74:75], v[50:51], v[1:2]
	s_waitcnt vmcnt(0)
	s_delay_alu instid0(VALU_DEP_1) | instskip(NEXT) | instid1(VALU_DEP_1)
	v_fma_f64 v[1:2], v[64:65], v[52:53], v[1:2]
	v_add_f64 v[1:2], v[44:45], -v[1:2]
	scratch_store_b64 off, v[1:2], off offset:56
	v_cmpx_lt_u32_e32 6, v0
	s_cbranch_execz .LBB83_117
; %bb.116:
	scratch_load_b64 v[1:2], off, off offset:48
	v_mov_b32_e32 v44, 0
	s_delay_alu instid0(VALU_DEP_1)
	v_mov_b32_e32 v45, v44
	scratch_store_b64 off, v[44:45], off offset:48
	s_waitcnt vmcnt(0)
	ds_store_b64 v3, v[1:2]
.LBB83_117:
	s_or_b32 exec_lo, exec_lo, s0
	s_waitcnt lgkmcnt(0)
	s_waitcnt_vscnt null, 0x0
	s_barrier
	buffer_gl0_inv
	s_clause 0x4
	scratch_load_b128 v[44:47], off, off offset:48
	scratch_load_b128 v[48:51], off, off offset:64
	;; [unrolled: 1-line block ×5, first 2 shown]
	v_mov_b32_e32 v1, 0
	ds_load_2addr_b64 v[64:67], v1 offset0:27 offset1:28
	ds_load_2addr_b64 v[68:71], v1 offset0:29 offset1:30
	scratch_load_b128 v[72:75], off, off offset:128
	s_mov_b32 s0, exec_lo
	s_waitcnt vmcnt(5) lgkmcnt(1)
	v_fma_f64 v[46:47], v[46:47], v[64:65], 0
	s_waitcnt vmcnt(4)
	s_delay_alu instid0(VALU_DEP_1) | instskip(SKIP_1) | instid1(VALU_DEP_1)
	v_fma_f64 v[46:47], v[48:49], v[66:67], v[46:47]
	s_waitcnt lgkmcnt(0)
	v_fma_f64 v[50:51], v[50:51], v[68:69], v[46:47]
	scratch_load_b128 v[46:49], off, off offset:144
	s_waitcnt vmcnt(4)
	v_fma_f64 v[68:69], v[52:53], v[70:71], v[50:51]
	ds_load_2addr_b64 v[50:53], v1 offset0:31 offset1:32
	ds_load_2addr_b64 v[64:67], v1 offset0:33 offset1:34
	s_waitcnt lgkmcnt(1)
	v_fma_f64 v[50:51], v[54:55], v[50:51], v[68:69]
	s_waitcnt vmcnt(3)
	s_delay_alu instid0(VALU_DEP_1) | instskip(SKIP_1) | instid1(VALU_DEP_1)
	v_fma_f64 v[50:51], v[56:57], v[52:53], v[50:51]
	s_waitcnt lgkmcnt(0)
	v_fma_f64 v[50:51], v[58:59], v[64:65], v[50:51]
	s_waitcnt vmcnt(2)
	s_delay_alu instid0(VALU_DEP_1)
	v_fma_f64 v[58:59], v[60:61], v[66:67], v[50:51]
	ds_load_2addr_b64 v[50:53], v1 offset0:35 offset1:36
	ds_load_2addr_b64 v[54:57], v1 offset0:37 offset1:38
	s_waitcnt lgkmcnt(1)
	v_fma_f64 v[50:51], v[62:63], v[50:51], v[58:59]
	s_waitcnt vmcnt(1)
	s_delay_alu instid0(VALU_DEP_1) | instskip(SKIP_1) | instid1(VALU_DEP_1)
	v_fma_f64 v[50:51], v[72:73], v[52:53], v[50:51]
	s_waitcnt lgkmcnt(0)
	v_fma_f64 v[50:51], v[74:75], v[54:55], v[50:51]
	s_waitcnt vmcnt(0)
	s_delay_alu instid0(VALU_DEP_1) | instskip(SKIP_3) | instid1(VALU_DEP_1)
	v_fma_f64 v[46:47], v[46:47], v[56:57], v[50:51]
	ds_load_b64 v[50:51], v1 offset:312
	s_waitcnt lgkmcnt(0)
	v_fma_f64 v[46:47], v[48:49], v[50:51], v[46:47]
	v_add_f64 v[44:45], v[44:45], -v[46:47]
	scratch_store_b64 off, v[44:45], off offset:48
	v_cmpx_lt_u32_e32 5, v0
	s_cbranch_execz .LBB83_119
; %bb.118:
	scratch_load_b64 v[44:45], off, off offset:40
	v_mov_b32_e32 v2, v1
	scratch_store_b64 off, v[1:2], off offset:40
	s_waitcnt vmcnt(0)
	ds_store_b64 v3, v[44:45]
.LBB83_119:
	s_or_b32 exec_lo, exec_lo, s0
	s_waitcnt lgkmcnt(0)
	s_waitcnt_vscnt null, 0x0
	s_barrier
	buffer_gl0_inv
	s_clause 0x4
	scratch_load_b128 v[44:47], off, off offset:40
	scratch_load_b128 v[48:51], off, off offset:56
	scratch_load_b128 v[52:55], off, off offset:72
	scratch_load_b128 v[56:59], off, off offset:88
	scratch_load_b128 v[60:63], off, off offset:104
	ds_load_b128 v[64:67], v1 offset:208
	ds_load_b128 v[68:71], v1 offset:224
	scratch_load_b128 v[72:75], off, off offset:120
	s_mov_b32 s0, exec_lo
	s_waitcnt vmcnt(5) lgkmcnt(1)
	v_fma_f64 v[46:47], v[46:47], v[64:65], 0
	s_waitcnt vmcnt(4)
	s_delay_alu instid0(VALU_DEP_1) | instskip(SKIP_1) | instid1(VALU_DEP_1)
	v_fma_f64 v[46:47], v[48:49], v[66:67], v[46:47]
	s_waitcnt lgkmcnt(0)
	v_fma_f64 v[50:51], v[50:51], v[68:69], v[46:47]
	scratch_load_b128 v[46:49], off, off offset:136
	s_waitcnt vmcnt(4)
	v_fma_f64 v[68:69], v[52:53], v[70:71], v[50:51]
	ds_load_b128 v[50:53], v1 offset:240
	ds_load_b128 v[64:67], v1 offset:256
	s_waitcnt lgkmcnt(1)
	v_fma_f64 v[50:51], v[54:55], v[50:51], v[68:69]
	scratch_load_b64 v[68:69], off, off offset:152
	s_waitcnt vmcnt(4)
	v_fma_f64 v[50:51], v[56:57], v[52:53], v[50:51]
	s_waitcnt lgkmcnt(0)
	s_delay_alu instid0(VALU_DEP_1) | instskip(SKIP_1) | instid1(VALU_DEP_1)
	v_fma_f64 v[50:51], v[58:59], v[64:65], v[50:51]
	s_waitcnt vmcnt(3)
	v_fma_f64 v[58:59], v[60:61], v[66:67], v[50:51]
	ds_load_b128 v[50:53], v1 offset:272
	ds_load_b128 v[54:57], v1 offset:288
	s_waitcnt lgkmcnt(1)
	v_fma_f64 v[50:51], v[62:63], v[50:51], v[58:59]
	s_waitcnt vmcnt(2)
	s_delay_alu instid0(VALU_DEP_1) | instskip(SKIP_1) | instid1(VALU_DEP_1)
	v_fma_f64 v[50:51], v[72:73], v[52:53], v[50:51]
	s_waitcnt lgkmcnt(0)
	v_fma_f64 v[50:51], v[74:75], v[54:55], v[50:51]
	s_waitcnt vmcnt(1)
	s_delay_alu instid0(VALU_DEP_1) | instskip(SKIP_4) | instid1(VALU_DEP_1)
	v_fma_f64 v[46:47], v[46:47], v[56:57], v[50:51]
	ds_load_b128 v[50:53], v1 offset:304
	s_waitcnt lgkmcnt(0)
	v_fma_f64 v[1:2], v[48:49], v[50:51], v[46:47]
	s_waitcnt vmcnt(0)
	v_fma_f64 v[1:2], v[68:69], v[52:53], v[1:2]
	s_delay_alu instid0(VALU_DEP_1)
	v_add_f64 v[1:2], v[44:45], -v[1:2]
	scratch_store_b64 off, v[1:2], off offset:40
	v_cmpx_lt_u32_e32 4, v0
	s_cbranch_execz .LBB83_121
; %bb.120:
	scratch_load_b64 v[1:2], off, off offset:32
	v_mov_b32_e32 v44, 0
	s_delay_alu instid0(VALU_DEP_1)
	v_mov_b32_e32 v45, v44
	scratch_store_b64 off, v[44:45], off offset:32
	s_waitcnt vmcnt(0)
	ds_store_b64 v3, v[1:2]
.LBB83_121:
	s_or_b32 exec_lo, exec_lo, s0
	s_waitcnt lgkmcnt(0)
	s_waitcnt_vscnt null, 0x0
	s_barrier
	buffer_gl0_inv
	s_clause 0x4
	scratch_load_b128 v[44:47], off, off offset:32
	scratch_load_b128 v[48:51], off, off offset:48
	;; [unrolled: 1-line block ×5, first 2 shown]
	v_mov_b32_e32 v1, 0
	ds_load_2addr_b64 v[64:67], v1 offset0:25 offset1:26
	ds_load_2addr_b64 v[68:71], v1 offset0:27 offset1:28
	scratch_load_b128 v[72:75], off, off offset:112
	s_mov_b32 s0, exec_lo
	s_waitcnt vmcnt(5) lgkmcnt(1)
	v_fma_f64 v[46:47], v[46:47], v[64:65], 0
	s_waitcnt vmcnt(4)
	s_delay_alu instid0(VALU_DEP_1) | instskip(SKIP_1) | instid1(VALU_DEP_1)
	v_fma_f64 v[46:47], v[48:49], v[66:67], v[46:47]
	s_waitcnt lgkmcnt(0)
	v_fma_f64 v[50:51], v[50:51], v[68:69], v[46:47]
	scratch_load_b128 v[46:49], off, off offset:128
	s_waitcnt vmcnt(4)
	v_fma_f64 v[68:69], v[52:53], v[70:71], v[50:51]
	ds_load_2addr_b64 v[50:53], v1 offset0:29 offset1:30
	ds_load_2addr_b64 v[64:67], v1 offset0:31 offset1:32
	s_waitcnt lgkmcnt(1)
	v_fma_f64 v[50:51], v[54:55], v[50:51], v[68:69]
	scratch_load_b128 v[68:71], off, off offset:144
	s_waitcnt vmcnt(4)
	v_fma_f64 v[50:51], v[56:57], v[52:53], v[50:51]
	s_waitcnt lgkmcnt(0)
	s_delay_alu instid0(VALU_DEP_1) | instskip(SKIP_1) | instid1(VALU_DEP_1)
	v_fma_f64 v[50:51], v[58:59], v[64:65], v[50:51]
	s_waitcnt vmcnt(3)
	v_fma_f64 v[58:59], v[60:61], v[66:67], v[50:51]
	ds_load_2addr_b64 v[50:53], v1 offset0:33 offset1:34
	ds_load_2addr_b64 v[54:57], v1 offset0:35 offset1:36
	s_waitcnt lgkmcnt(1)
	v_fma_f64 v[50:51], v[62:63], v[50:51], v[58:59]
	s_waitcnt vmcnt(2)
	s_delay_alu instid0(VALU_DEP_1) | instskip(SKIP_1) | instid1(VALU_DEP_1)
	v_fma_f64 v[50:51], v[72:73], v[52:53], v[50:51]
	s_waitcnt lgkmcnt(0)
	v_fma_f64 v[50:51], v[74:75], v[54:55], v[50:51]
	s_waitcnt vmcnt(1)
	s_delay_alu instid0(VALU_DEP_1)
	v_fma_f64 v[46:47], v[46:47], v[56:57], v[50:51]
	ds_load_2addr_b64 v[50:53], v1 offset0:37 offset1:38
	ds_load_b64 v[54:55], v1 offset:312
	s_waitcnt lgkmcnt(1)
	v_fma_f64 v[46:47], v[48:49], v[50:51], v[46:47]
	s_waitcnt vmcnt(0)
	s_delay_alu instid0(VALU_DEP_1) | instskip(SKIP_1) | instid1(VALU_DEP_1)
	v_fma_f64 v[46:47], v[68:69], v[52:53], v[46:47]
	s_waitcnt lgkmcnt(0)
	v_fma_f64 v[46:47], v[70:71], v[54:55], v[46:47]
	s_delay_alu instid0(VALU_DEP_1)
	v_add_f64 v[44:45], v[44:45], -v[46:47]
	scratch_store_b64 off, v[44:45], off offset:32
	v_cmpx_lt_u32_e32 3, v0
	s_cbranch_execz .LBB83_123
; %bb.122:
	scratch_load_b64 v[44:45], off, off offset:24
	v_mov_b32_e32 v2, v1
	scratch_store_b64 off, v[1:2], off offset:24
	s_waitcnt vmcnt(0)
	ds_store_b64 v3, v[44:45]
.LBB83_123:
	s_or_b32 exec_lo, exec_lo, s0
	s_waitcnt lgkmcnt(0)
	s_waitcnt_vscnt null, 0x0
	s_barrier
	buffer_gl0_inv
	s_clause 0x4
	scratch_load_b128 v[44:47], off, off offset:24
	scratch_load_b128 v[48:51], off, off offset:40
	;; [unrolled: 1-line block ×5, first 2 shown]
	ds_load_b128 v[64:67], v1 offset:192
	ds_load_b128 v[68:71], v1 offset:208
	scratch_load_b128 v[72:75], off, off offset:104
	s_mov_b32 s0, exec_lo
	s_waitcnt vmcnt(5) lgkmcnt(1)
	v_fma_f64 v[46:47], v[46:47], v[64:65], 0
	s_waitcnt vmcnt(4)
	s_delay_alu instid0(VALU_DEP_1) | instskip(SKIP_1) | instid1(VALU_DEP_1)
	v_fma_f64 v[46:47], v[48:49], v[66:67], v[46:47]
	s_waitcnt lgkmcnt(0)
	v_fma_f64 v[50:51], v[50:51], v[68:69], v[46:47]
	scratch_load_b128 v[46:49], off, off offset:120
	s_waitcnt vmcnt(4)
	v_fma_f64 v[68:69], v[52:53], v[70:71], v[50:51]
	ds_load_b128 v[50:53], v1 offset:224
	ds_load_b128 v[64:67], v1 offset:240
	s_waitcnt lgkmcnt(1)
	v_fma_f64 v[50:51], v[54:55], v[50:51], v[68:69]
	scratch_load_b128 v[68:71], off, off offset:136
	s_waitcnt vmcnt(4)
	v_fma_f64 v[50:51], v[56:57], v[52:53], v[50:51]
	s_waitcnt lgkmcnt(0)
	s_delay_alu instid0(VALU_DEP_1)
	v_fma_f64 v[50:51], v[58:59], v[64:65], v[50:51]
	scratch_load_b64 v[58:59], off, off offset:152
	s_waitcnt vmcnt(4)
	v_fma_f64 v[60:61], v[60:61], v[66:67], v[50:51]
	ds_load_b128 v[50:53], v1 offset:256
	ds_load_b128 v[54:57], v1 offset:272
	s_waitcnt lgkmcnt(1)
	v_fma_f64 v[50:51], v[62:63], v[50:51], v[60:61]
	s_waitcnt vmcnt(3)
	s_delay_alu instid0(VALU_DEP_1) | instskip(SKIP_1) | instid1(VALU_DEP_1)
	v_fma_f64 v[50:51], v[72:73], v[52:53], v[50:51]
	s_waitcnt lgkmcnt(0)
	v_fma_f64 v[50:51], v[74:75], v[54:55], v[50:51]
	s_waitcnt vmcnt(2)
	s_delay_alu instid0(VALU_DEP_1)
	v_fma_f64 v[46:47], v[46:47], v[56:57], v[50:51]
	ds_load_b128 v[50:53], v1 offset:288
	ds_load_b128 v[54:57], v1 offset:304
	s_waitcnt lgkmcnt(1)
	v_fma_f64 v[1:2], v[48:49], v[50:51], v[46:47]
	s_waitcnt vmcnt(1)
	s_delay_alu instid0(VALU_DEP_1) | instskip(SKIP_1) | instid1(VALU_DEP_1)
	v_fma_f64 v[1:2], v[68:69], v[52:53], v[1:2]
	s_waitcnt lgkmcnt(0)
	v_fma_f64 v[1:2], v[70:71], v[54:55], v[1:2]
	s_waitcnt vmcnt(0)
	s_delay_alu instid0(VALU_DEP_1) | instskip(NEXT) | instid1(VALU_DEP_1)
	v_fma_f64 v[1:2], v[58:59], v[56:57], v[1:2]
	v_add_f64 v[1:2], v[44:45], -v[1:2]
	scratch_store_b64 off, v[1:2], off offset:24
	v_cmpx_lt_u32_e32 2, v0
	s_cbranch_execz .LBB83_125
; %bb.124:
	scratch_load_b64 v[1:2], off, off offset:16
	v_mov_b32_e32 v44, 0
	s_delay_alu instid0(VALU_DEP_1)
	v_mov_b32_e32 v45, v44
	scratch_store_b64 off, v[44:45], off offset:16
	s_waitcnt vmcnt(0)
	ds_store_b64 v3, v[1:2]
.LBB83_125:
	s_or_b32 exec_lo, exec_lo, s0
	s_waitcnt lgkmcnt(0)
	s_waitcnt_vscnt null, 0x0
	s_barrier
	buffer_gl0_inv
	s_clause 0x4
	scratch_load_b128 v[44:47], off, off offset:16
	scratch_load_b128 v[48:51], off, off offset:32
	;; [unrolled: 1-line block ×5, first 2 shown]
	v_mov_b32_e32 v1, 0
	ds_load_2addr_b64 v[64:67], v1 offset0:23 offset1:24
	ds_load_2addr_b64 v[68:71], v1 offset0:25 offset1:26
	scratch_load_b128 v[72:75], off, off offset:96
	s_mov_b32 s0, exec_lo
	s_waitcnt vmcnt(5) lgkmcnt(1)
	v_fma_f64 v[46:47], v[46:47], v[64:65], 0
	s_waitcnt vmcnt(4)
	s_delay_alu instid0(VALU_DEP_1) | instskip(SKIP_1) | instid1(VALU_DEP_1)
	v_fma_f64 v[46:47], v[48:49], v[66:67], v[46:47]
	s_waitcnt lgkmcnt(0)
	v_fma_f64 v[50:51], v[50:51], v[68:69], v[46:47]
	scratch_load_b128 v[46:49], off, off offset:112
	s_waitcnt vmcnt(4)
	v_fma_f64 v[68:69], v[52:53], v[70:71], v[50:51]
	ds_load_2addr_b64 v[50:53], v1 offset0:27 offset1:28
	ds_load_2addr_b64 v[64:67], v1 offset0:29 offset1:30
	s_waitcnt lgkmcnt(1)
	v_fma_f64 v[50:51], v[54:55], v[50:51], v[68:69]
	scratch_load_b128 v[68:71], off, off offset:128
	s_waitcnt vmcnt(4)
	v_fma_f64 v[50:51], v[56:57], v[52:53], v[50:51]
	s_waitcnt lgkmcnt(0)
	s_delay_alu instid0(VALU_DEP_1)
	v_fma_f64 v[54:55], v[58:59], v[64:65], v[50:51]
	scratch_load_b128 v[50:53], off, off offset:144
	s_waitcnt vmcnt(4)
	v_fma_f64 v[64:65], v[60:61], v[66:67], v[54:55]
	ds_load_2addr_b64 v[54:57], v1 offset0:31 offset1:32
	ds_load_2addr_b64 v[58:61], v1 offset0:33 offset1:34
	s_waitcnt lgkmcnt(1)
	v_fma_f64 v[54:55], v[62:63], v[54:55], v[64:65]
	s_waitcnt vmcnt(3)
	s_delay_alu instid0(VALU_DEP_1) | instskip(SKIP_1) | instid1(VALU_DEP_1)
	v_fma_f64 v[54:55], v[72:73], v[56:57], v[54:55]
	s_waitcnt lgkmcnt(0)
	v_fma_f64 v[54:55], v[74:75], v[58:59], v[54:55]
	s_waitcnt vmcnt(2)
	s_delay_alu instid0(VALU_DEP_1)
	v_fma_f64 v[46:47], v[46:47], v[60:61], v[54:55]
	ds_load_2addr_b64 v[54:57], v1 offset0:35 offset1:36
	ds_load_2addr_b64 v[58:61], v1 offset0:37 offset1:38
	s_waitcnt lgkmcnt(1)
	v_fma_f64 v[46:47], v[48:49], v[54:55], v[46:47]
	ds_load_b64 v[48:49], v1 offset:312
	s_waitcnt vmcnt(1)
	v_fma_f64 v[46:47], v[68:69], v[56:57], v[46:47]
	s_waitcnt lgkmcnt(1)
	s_delay_alu instid0(VALU_DEP_1) | instskip(SKIP_1) | instid1(VALU_DEP_1)
	v_fma_f64 v[46:47], v[70:71], v[58:59], v[46:47]
	s_waitcnt vmcnt(0)
	v_fma_f64 v[46:47], v[50:51], v[60:61], v[46:47]
	s_waitcnt lgkmcnt(0)
	s_delay_alu instid0(VALU_DEP_1) | instskip(NEXT) | instid1(VALU_DEP_1)
	v_fma_f64 v[46:47], v[52:53], v[48:49], v[46:47]
	v_add_f64 v[44:45], v[44:45], -v[46:47]
	scratch_store_b64 off, v[44:45], off offset:16
	v_cmpx_lt_u32_e32 1, v0
	s_cbranch_execz .LBB83_127
; %bb.126:
	scratch_load_b64 v[44:45], off, off offset:8
	v_mov_b32_e32 v2, v1
	scratch_store_b64 off, v[1:2], off offset:8
	s_waitcnt vmcnt(0)
	ds_store_b64 v3, v[44:45]
.LBB83_127:
	s_or_b32 exec_lo, exec_lo, s0
	s_waitcnt lgkmcnt(0)
	s_waitcnt_vscnt null, 0x0
	s_barrier
	buffer_gl0_inv
	s_clause 0x4
	scratch_load_b128 v[44:47], off, off offset:8
	scratch_load_b128 v[48:51], off, off offset:24
	;; [unrolled: 1-line block ×5, first 2 shown]
	ds_load_b128 v[64:67], v1 offset:176
	ds_load_b128 v[68:71], v1 offset:192
	scratch_load_b128 v[72:75], off, off offset:88
	s_mov_b32 s0, exec_lo
	s_waitcnt vmcnt(5) lgkmcnt(1)
	v_fma_f64 v[46:47], v[46:47], v[64:65], 0
	s_waitcnt vmcnt(4)
	s_delay_alu instid0(VALU_DEP_1) | instskip(SKIP_1) | instid1(VALU_DEP_1)
	v_fma_f64 v[46:47], v[48:49], v[66:67], v[46:47]
	s_waitcnt lgkmcnt(0)
	v_fma_f64 v[50:51], v[50:51], v[68:69], v[46:47]
	scratch_load_b128 v[46:49], off, off offset:104
	s_waitcnt vmcnt(4)
	v_fma_f64 v[68:69], v[52:53], v[70:71], v[50:51]
	ds_load_b128 v[50:53], v1 offset:208
	ds_load_b128 v[64:67], v1 offset:224
	s_waitcnt lgkmcnt(1)
	v_fma_f64 v[50:51], v[54:55], v[50:51], v[68:69]
	scratch_load_b128 v[68:71], off, off offset:120
	s_waitcnt vmcnt(4)
	v_fma_f64 v[50:51], v[56:57], v[52:53], v[50:51]
	s_waitcnt lgkmcnt(0)
	s_delay_alu instid0(VALU_DEP_1)
	v_fma_f64 v[54:55], v[58:59], v[64:65], v[50:51]
	scratch_load_b128 v[50:53], off, off offset:136
	s_waitcnt vmcnt(4)
	v_fma_f64 v[64:65], v[60:61], v[66:67], v[54:55]
	ds_load_b128 v[54:57], v1 offset:240
	ds_load_b128 v[58:61], v1 offset:256
	s_waitcnt lgkmcnt(1)
	v_fma_f64 v[54:55], v[62:63], v[54:55], v[64:65]
	scratch_load_b64 v[62:63], off, off offset:152
	s_waitcnt vmcnt(4)
	v_fma_f64 v[54:55], v[72:73], v[56:57], v[54:55]
	s_waitcnt lgkmcnt(0)
	s_delay_alu instid0(VALU_DEP_1) | instskip(SKIP_1) | instid1(VALU_DEP_1)
	v_fma_f64 v[54:55], v[74:75], v[58:59], v[54:55]
	s_waitcnt vmcnt(3)
	v_fma_f64 v[46:47], v[46:47], v[60:61], v[54:55]
	ds_load_b128 v[54:57], v1 offset:272
	ds_load_b128 v[58:61], v1 offset:288
	s_waitcnt lgkmcnt(1)
	v_fma_f64 v[46:47], v[48:49], v[54:55], v[46:47]
	s_waitcnt vmcnt(2)
	s_delay_alu instid0(VALU_DEP_1) | instskip(SKIP_1) | instid1(VALU_DEP_1)
	v_fma_f64 v[46:47], v[68:69], v[56:57], v[46:47]
	s_waitcnt lgkmcnt(0)
	v_fma_f64 v[46:47], v[70:71], v[58:59], v[46:47]
	s_waitcnt vmcnt(1)
	s_delay_alu instid0(VALU_DEP_1) | instskip(SKIP_4) | instid1(VALU_DEP_1)
	v_fma_f64 v[50:51], v[50:51], v[60:61], v[46:47]
	ds_load_b128 v[46:49], v1 offset:304
	s_waitcnt lgkmcnt(0)
	v_fma_f64 v[1:2], v[52:53], v[46:47], v[50:51]
	s_waitcnt vmcnt(0)
	v_fma_f64 v[1:2], v[62:63], v[48:49], v[1:2]
	s_delay_alu instid0(VALU_DEP_1)
	v_add_f64 v[1:2], v[44:45], -v[1:2]
	scratch_store_b64 off, v[1:2], off offset:8
	v_cmpx_ne_u32_e32 0, v0
	s_cbranch_execz .LBB83_129
; %bb.128:
	scratch_load_b64 v[0:1], off, off
	v_mov_b32_e32 v44, 0
	s_delay_alu instid0(VALU_DEP_1)
	v_mov_b32_e32 v45, v44
	scratch_store_b64 off, v[44:45], off
	s_waitcnt vmcnt(0)
	ds_store_b64 v3, v[0:1]
.LBB83_129:
	s_or_b32 exec_lo, exec_lo, s0
	s_waitcnt lgkmcnt(0)
	s_waitcnt_vscnt null, 0x0
	s_barrier
	buffer_gl0_inv
	s_clause 0x4
	scratch_load_b128 v[44:47], off, off
	scratch_load_b128 v[0:3], off, off offset:16
	scratch_load_b128 v[48:51], off, off offset:32
	;; [unrolled: 1-line block ×4, first 2 shown]
	v_mov_b32_e32 v72, 0
	ds_load_2addr_b64 v[60:63], v72 offset0:21 offset1:22
	ds_load_2addr_b64 v[64:67], v72 offset0:23 offset1:24
	scratch_load_b128 v[68:71], off, off offset:80
	s_and_b32 vcc_lo, exec_lo, s12
	s_waitcnt vmcnt(5) lgkmcnt(1)
	v_fma_f64 v[46:47], v[46:47], v[60:61], 0
	s_waitcnt vmcnt(4)
	s_delay_alu instid0(VALU_DEP_1) | instskip(SKIP_4) | instid1(VALU_DEP_1)
	v_fma_f64 v[0:1], v[0:1], v[62:63], v[46:47]
	scratch_load_b128 v[60:63], off, off offset:96
	s_waitcnt lgkmcnt(0)
	v_fma_f64 v[0:1], v[2:3], v[64:65], v[0:1]
	s_waitcnt vmcnt(4)
	v_fma_f64 v[64:65], v[48:49], v[66:67], v[0:1]
	ds_load_2addr_b64 v[0:3], v72 offset0:25 offset1:26
	ds_load_2addr_b64 v[46:49], v72 offset0:27 offset1:28
	s_waitcnt lgkmcnt(1)
	v_fma_f64 v[0:1], v[50:51], v[0:1], v[64:65]
	scratch_load_b128 v[64:67], off, off offset:112
	s_waitcnt vmcnt(4)
	v_fma_f64 v[0:1], v[52:53], v[2:3], v[0:1]
	scratch_load_b128 v[50:53], off, off offset:128
	s_waitcnt lgkmcnt(0)
	v_fma_f64 v[0:1], v[54:55], v[46:47], v[0:1]
	s_waitcnt vmcnt(4)
	s_delay_alu instid0(VALU_DEP_1)
	v_fma_f64 v[0:1], v[56:57], v[48:49], v[0:1]
	ds_load_2addr_b64 v[46:49], v72 offset0:29 offset1:30
	ds_load_2addr_b64 v[54:57], v72 offset0:31 offset1:32
	s_waitcnt lgkmcnt(1)
	v_fma_f64 v[46:47], v[58:59], v[46:47], v[0:1]
	scratch_load_b128 v[0:3], off, off offset:144
	s_waitcnt vmcnt(4)
	v_fma_f64 v[46:47], v[68:69], v[48:49], v[46:47]
	s_waitcnt lgkmcnt(0)
	s_delay_alu instid0(VALU_DEP_1) | instskip(SKIP_1) | instid1(VALU_DEP_1)
	v_fma_f64 v[46:47], v[70:71], v[54:55], v[46:47]
	s_waitcnt vmcnt(3)
	v_fma_f64 v[58:59], v[60:61], v[56:57], v[46:47]
	ds_load_2addr_b64 v[46:49], v72 offset0:33 offset1:34
	ds_load_2addr_b64 v[54:57], v72 offset0:35 offset1:36
	s_waitcnt lgkmcnt(1)
	v_fma_f64 v[46:47], v[62:63], v[46:47], v[58:59]
	s_waitcnt vmcnt(2)
	s_delay_alu instid0(VALU_DEP_1) | instskip(SKIP_1) | instid1(VALU_DEP_1)
	v_fma_f64 v[46:47], v[64:65], v[48:49], v[46:47]
	s_waitcnt lgkmcnt(0)
	v_fma_f64 v[46:47], v[66:67], v[54:55], v[46:47]
	s_waitcnt vmcnt(1)
	s_delay_alu instid0(VALU_DEP_1)
	v_fma_f64 v[50:51], v[50:51], v[56:57], v[46:47]
	ds_load_2addr_b64 v[46:49], v72 offset0:37 offset1:38
	ds_load_b64 v[54:55], v72 offset:312
	s_waitcnt lgkmcnt(1)
	v_fma_f64 v[46:47], v[52:53], v[46:47], v[50:51]
	s_waitcnt vmcnt(0)
	s_delay_alu instid0(VALU_DEP_1) | instskip(SKIP_1) | instid1(VALU_DEP_1)
	v_fma_f64 v[46:47], v[0:1], v[48:49], v[46:47]
	s_waitcnt lgkmcnt(0)
	v_fma_f64 v[2:3], v[2:3], v[54:55], v[46:47]
	s_delay_alu instid0(VALU_DEP_1)
	v_add_f64 v[2:3], v[44:45], -v[2:3]
	scratch_store_b64 off, v[2:3], off
	s_cbranch_vccz .LBB83_169
; %bb.130:
	v_dual_mov_b32 v2, s2 :: v_dual_mov_b32 v3, s3
	s_mov_b32 s0, exec_lo
	flat_load_b32 v2, v[2:3] offset:72
	s_waitcnt vmcnt(0) lgkmcnt(0)
	v_cmpx_ne_u32_e32 19, v2
	s_cbranch_execz .LBB83_132
; %bb.131:
	v_lshl_add_u32 v44, v2, 3, 0
	scratch_load_b64 v[2:3], v44, off offset:-8
	s_waitcnt vmcnt(0)
	scratch_store_b64 off, v[2:3], off offset:144
	scratch_store_b64 v44, v[0:1], off offset:-8
.LBB83_132:
	s_or_b32 exec_lo, exec_lo, s0
	v_dual_mov_b32 v0, s2 :: v_dual_mov_b32 v1, s3
	s_mov_b32 s0, exec_lo
	flat_load_b32 v0, v[0:1] offset:68
	s_waitcnt vmcnt(0) lgkmcnt(0)
	v_cmpx_ne_u32_e32 18, v0
	s_cbranch_execz .LBB83_134
; %bb.133:
	v_lshl_add_u32 v44, v0, 3, 0
	scratch_load_b64 v[0:1], v44, off offset:-8
	scratch_load_b64 v[2:3], off, off offset:136
	s_waitcnt vmcnt(1)
	scratch_store_b64 off, v[0:1], off offset:136
	s_waitcnt vmcnt(0)
	scratch_store_b64 v44, v[2:3], off offset:-8
.LBB83_134:
	s_or_b32 exec_lo, exec_lo, s0
	v_dual_mov_b32 v0, s2 :: v_dual_mov_b32 v1, s3
	s_mov_b32 s0, exec_lo
	flat_load_b32 v0, v[0:1] offset:64
	s_waitcnt vmcnt(0) lgkmcnt(0)
	v_cmpx_ne_u32_e32 17, v0
	s_cbranch_execz .LBB83_136
; %bb.135:
	v_lshl_add_u32 v44, v0, 3, 0
	scratch_load_b64 v[0:1], v44, off offset:-8
	scratch_load_b64 v[2:3], off, off offset:128
	s_waitcnt vmcnt(1)
	scratch_store_b64 off, v[0:1], off offset:128
	s_waitcnt vmcnt(0)
	scratch_store_b64 v44, v[2:3], off offset:-8
.LBB83_136:
	;; [unrolled: 16-line block ×17, first 2 shown]
	s_or_b32 exec_lo, exec_lo, s0
	v_dual_mov_b32 v0, s2 :: v_dual_mov_b32 v1, s3
	s_mov_b32 s0, exec_lo
	flat_load_b32 v0, v[0:1]
	scratch_load_b64 v[2:3], off, off
	s_waitcnt vmcnt(1) lgkmcnt(0)
	v_cmpx_ne_u32_e32 1, v0
	s_cbranch_execz .LBB83_168
; %bb.167:
	v_lshl_add_u32 v44, v0, 3, 0
	scratch_load_b64 v[0:1], v44, off offset:-8
	s_waitcnt vmcnt(0)
	scratch_store_b64 off, v[0:1], off
	scratch_store_b64 v44, v[2:3], off offset:-8
	scratch_load_b64 v[2:3], off, off
.LBB83_168:
	s_or_b32 exec_lo, exec_lo, s0
.LBB83_169:
	s_clause 0x9
	scratch_load_b128 v[44:47], off, off offset:8
	scratch_load_b128 v[48:51], off, off offset:24
	;; [unrolled: 1-line block ×9, first 2 shown]
	scratch_load_b64 v[0:1], off, off offset:152
	s_waitcnt vmcnt(10)
	global_store_b64 v[4:5], v[2:3], off
	s_waitcnt vmcnt(9)
	s_clause 0x1
	global_store_b64 v[6:7], v[44:45], off
	global_store_b64 v[8:9], v[46:47], off
	s_waitcnt vmcnt(8)
	s_clause 0x1
	global_store_b64 v[10:11], v[48:49], off
	;; [unrolled: 4-line block ×9, first 2 shown]
	global_store_b64 v[40:41], v[78:79], off
	s_waitcnt vmcnt(0)
	global_store_b64 v[42:43], v[0:1], off
	s_endpgm
	.section	.rodata,"a",@progbits
	.p2align	6, 0x0
	.amdhsa_kernel _ZN9rocsolver6v33100L18getri_kernel_smallILi20EdPKPdEEvT1_iilPiilS6_bb
		.amdhsa_group_segment_fixed_size 328
		.amdhsa_private_segment_fixed_size 176
		.amdhsa_kernarg_size 60
		.amdhsa_user_sgpr_count 15
		.amdhsa_user_sgpr_dispatch_ptr 0
		.amdhsa_user_sgpr_queue_ptr 0
		.amdhsa_user_sgpr_kernarg_segment_ptr 1
		.amdhsa_user_sgpr_dispatch_id 0
		.amdhsa_user_sgpr_private_segment_size 0
		.amdhsa_wavefront_size32 1
		.amdhsa_uses_dynamic_stack 0
		.amdhsa_enable_private_segment 1
		.amdhsa_system_sgpr_workgroup_id_x 1
		.amdhsa_system_sgpr_workgroup_id_y 0
		.amdhsa_system_sgpr_workgroup_id_z 0
		.amdhsa_system_sgpr_workgroup_info 0
		.amdhsa_system_vgpr_workitem_id 0
		.amdhsa_next_free_vgpr 84
		.amdhsa_next_free_sgpr 17
		.amdhsa_reserve_vcc 1
		.amdhsa_float_round_mode_32 0
		.amdhsa_float_round_mode_16_64 0
		.amdhsa_float_denorm_mode_32 3
		.amdhsa_float_denorm_mode_16_64 3
		.amdhsa_dx10_clamp 1
		.amdhsa_ieee_mode 1
		.amdhsa_fp16_overflow 0
		.amdhsa_workgroup_processor_mode 1
		.amdhsa_memory_ordered 1
		.amdhsa_forward_progress 0
		.amdhsa_shared_vgpr_count 0
		.amdhsa_exception_fp_ieee_invalid_op 0
		.amdhsa_exception_fp_denorm_src 0
		.amdhsa_exception_fp_ieee_div_zero 0
		.amdhsa_exception_fp_ieee_overflow 0
		.amdhsa_exception_fp_ieee_underflow 0
		.amdhsa_exception_fp_ieee_inexact 0
		.amdhsa_exception_int_div_zero 0
	.end_amdhsa_kernel
	.section	.text._ZN9rocsolver6v33100L18getri_kernel_smallILi20EdPKPdEEvT1_iilPiilS6_bb,"axG",@progbits,_ZN9rocsolver6v33100L18getri_kernel_smallILi20EdPKPdEEvT1_iilPiilS6_bb,comdat
.Lfunc_end83:
	.size	_ZN9rocsolver6v33100L18getri_kernel_smallILi20EdPKPdEEvT1_iilPiilS6_bb, .Lfunc_end83-_ZN9rocsolver6v33100L18getri_kernel_smallILi20EdPKPdEEvT1_iilPiilS6_bb
                                        ; -- End function
	.section	.AMDGPU.csdata,"",@progbits
; Kernel info:
; codeLenInByte = 13112
; NumSgprs: 19
; NumVgprs: 84
; ScratchSize: 176
; MemoryBound: 0
; FloatMode: 240
; IeeeMode: 1
; LDSByteSize: 328 bytes/workgroup (compile time only)
; SGPRBlocks: 2
; VGPRBlocks: 10
; NumSGPRsForWavesPerEU: 19
; NumVGPRsForWavesPerEU: 84
; Occupancy: 16
; WaveLimiterHint : 1
; COMPUTE_PGM_RSRC2:SCRATCH_EN: 1
; COMPUTE_PGM_RSRC2:USER_SGPR: 15
; COMPUTE_PGM_RSRC2:TRAP_HANDLER: 0
; COMPUTE_PGM_RSRC2:TGID_X_EN: 1
; COMPUTE_PGM_RSRC2:TGID_Y_EN: 0
; COMPUTE_PGM_RSRC2:TGID_Z_EN: 0
; COMPUTE_PGM_RSRC2:TIDIG_COMP_CNT: 0
	.section	.text._ZN9rocsolver6v33100L18getri_kernel_smallILi21EdPKPdEEvT1_iilPiilS6_bb,"axG",@progbits,_ZN9rocsolver6v33100L18getri_kernel_smallILi21EdPKPdEEvT1_iilPiilS6_bb,comdat
	.globl	_ZN9rocsolver6v33100L18getri_kernel_smallILi21EdPKPdEEvT1_iilPiilS6_bb ; -- Begin function _ZN9rocsolver6v33100L18getri_kernel_smallILi21EdPKPdEEvT1_iilPiilS6_bb
	.p2align	8
	.type	_ZN9rocsolver6v33100L18getri_kernel_smallILi21EdPKPdEEvT1_iilPiilS6_bb,@function
_ZN9rocsolver6v33100L18getri_kernel_smallILi21EdPKPdEEvT1_iilPiilS6_bb: ; @_ZN9rocsolver6v33100L18getri_kernel_smallILi21EdPKPdEEvT1_iilPiilS6_bb
; %bb.0:
	s_mov_b32 s2, exec_lo
	v_cmpx_gt_u32_e32 21, v0
	s_cbranch_execz .LBB84_94
; %bb.1:
	s_clause 0x1
	s_load_b32 s13, s[0:1], 0x38
	s_load_b64 s[2:3], s[0:1], 0x0
	s_mov_b32 s8, s15
	s_load_b128 s[4:7], s[0:1], 0x28
	s_waitcnt lgkmcnt(0)
	s_bitcmp1_b32 s13, 8
	s_cselect_b32 s12, -1, 0
	s_ashr_i32 s9, s15, 31
	s_delay_alu instid0(SALU_CYCLE_1) | instskip(NEXT) | instid1(SALU_CYCLE_1)
	s_lshl_b64 s[10:11], s[8:9], 3
	s_add_u32 s2, s2, s10
	s_addc_u32 s3, s3, s11
	s_load_b64 s[10:11], s[2:3], 0x0
	s_bfe_u32 s2, s13, 0x10008
	s_delay_alu instid0(SALU_CYCLE_1)
	s_cmp_eq_u32 s2, 0
                                        ; implicit-def: $sgpr2_sgpr3
	s_cbranch_scc1 .LBB84_3
; %bb.2:
	s_clause 0x1
	s_load_b32 s2, s[0:1], 0x20
	s_load_b64 s[14:15], s[0:1], 0x18
	s_mul_i32 s3, s8, s5
	s_mul_hi_u32 s5, s8, s4
	s_mul_i32 s16, s9, s4
	s_add_i32 s3, s5, s3
	s_mul_i32 s4, s8, s4
	s_add_i32 s5, s3, s16
	s_delay_alu instid0(SALU_CYCLE_1)
	s_lshl_b64 s[4:5], s[4:5], 2
	s_waitcnt lgkmcnt(0)
	s_ashr_i32 s3, s2, 31
	s_add_u32 s4, s14, s4
	s_addc_u32 s5, s15, s5
	s_lshl_b64 s[2:3], s[2:3], 2
	s_delay_alu instid0(SALU_CYCLE_1)
	s_add_u32 s2, s4, s2
	s_addc_u32 s3, s5, s3
.LBB84_3:
	s_load_b64 s[0:1], s[0:1], 0x8
	v_lshlrev_b32_e32 v3, 3, v0
	s_waitcnt lgkmcnt(0)
	v_add3_u32 v1, s1, s1, v0
	s_ashr_i32 s5, s0, 31
	s_mov_b32 s4, s0
	s_mov_b32 s14, s1
	s_lshl_b64 s[4:5], s[4:5], 3
	v_add_nc_u32_e32 v8, s1, v1
	v_ashrrev_i32_e32 v2, 31, v1
	s_add_u32 s4, s10, s4
	s_addc_u32 s5, s11, s5
	v_add_co_u32 v4, s0, s4, v3
	v_add_nc_u32_e32 v10, s1, v8
	s_ashr_i32 s15, s1, 31
	v_add_co_ci_u32_e64 v5, null, s5, 0, s0
	v_lshlrev_b64 v[1:2], 3, v[1:2]
	s_delay_alu instid0(VALU_DEP_3)
	v_add_nc_u32_e32 v14, s1, v10
	v_ashrrev_i32_e32 v9, 31, v8
	s_lshl_b64 s[10:11], s[14:15], 3
	v_ashrrev_i32_e32 v11, 31, v10
	v_add_co_u32 v6, vcc_lo, v4, s10
	v_add_nc_u32_e32 v16, s1, v14
	v_add_co_ci_u32_e32 v7, vcc_lo, s11, v5, vcc_lo
	v_lshlrev_b64 v[12:13], 3, v[8:9]
	v_add_co_u32 v8, vcc_lo, s4, v1
	v_add_co_ci_u32_e32 v9, vcc_lo, s5, v2, vcc_lo
	v_lshlrev_b64 v[1:2], 3, v[10:11]
	v_ashrrev_i32_e32 v15, 31, v14
	v_add_nc_u32_e32 v18, s1, v16
	v_add_co_u32 v10, vcc_lo, s4, v12
	v_ashrrev_i32_e32 v17, 31, v16
	v_add_co_ci_u32_e32 v11, vcc_lo, s5, v13, vcc_lo
	v_lshlrev_b64 v[14:15], 3, v[14:15]
	v_add_nc_u32_e32 v20, s1, v18
	v_add_co_u32 v12, vcc_lo, s4, v1
	v_add_co_ci_u32_e32 v13, vcc_lo, s5, v2, vcc_lo
	v_lshlrev_b64 v[1:2], 3, v[16:17]
	v_ashrrev_i32_e32 v19, 31, v18
	v_add_nc_u32_e32 v22, s1, v20
	v_add_co_u32 v14, vcc_lo, s4, v14
	v_ashrrev_i32_e32 v21, 31, v20
	v_add_co_ci_u32_e32 v15, vcc_lo, s5, v15, vcc_lo
	v_lshlrev_b64 v[18:19], 3, v[18:19]
	v_add_co_u32 v16, vcc_lo, s4, v1
	v_add_nc_u32_e32 v24, s1, v22
	v_add_co_ci_u32_e32 v17, vcc_lo, s5, v2, vcc_lo
	v_lshlrev_b64 v[1:2], 3, v[20:21]
	v_add_co_u32 v18, vcc_lo, s4, v18
	v_ashrrev_i32_e32 v23, 31, v22
	v_add_nc_u32_e32 v26, s1, v24
	v_add_co_ci_u32_e32 v19, vcc_lo, s5, v19, vcc_lo
	v_add_co_u32 v20, vcc_lo, s4, v1
	v_add_co_ci_u32_e32 v21, vcc_lo, s5, v2, vcc_lo
	v_lshlrev_b64 v[1:2], 3, v[22:23]
	v_ashrrev_i32_e32 v25, 31, v24
	v_add_nc_u32_e32 v28, s1, v26
	v_ashrrev_i32_e32 v27, 31, v26
	s_clause 0x4
	global_load_b64 v[46:47], v3, s[4:5]
	global_load_b64 v[48:49], v[6:7], off
	global_load_b64 v[50:51], v[8:9], off
	;; [unrolled: 1-line block ×4, first 2 shown]
	v_lshlrev_b64 v[24:25], 3, v[24:25]
	v_add_co_u32 v22, vcc_lo, s4, v1
	v_ashrrev_i32_e32 v29, 31, v28
	v_add_co_ci_u32_e32 v23, vcc_lo, s5, v2, vcc_lo
	v_lshlrev_b64 v[1:2], 3, v[26:27]
	v_add_nc_u32_e32 v31, s1, v28
	v_add_co_u32 v24, vcc_lo, s4, v24
	v_lshlrev_b64 v[29:30], 3, v[28:29]
	v_add_co_ci_u32_e32 v25, vcc_lo, s5, v25, vcc_lo
	v_add_co_u32 v26, vcc_lo, s4, v1
	v_ashrrev_i32_e32 v32, 31, v31
	v_add_nc_u32_e32 v1, s1, v31
	v_add_co_ci_u32_e32 v27, vcc_lo, s5, v2, vcc_lo
	v_add_co_u32 v28, vcc_lo, s4, v29
	v_add_co_ci_u32_e32 v29, vcc_lo, s5, v30, vcc_lo
	v_lshlrev_b64 v[30:31], 3, v[31:32]
	v_add_nc_u32_e32 v32, s1, v1
	v_ashrrev_i32_e32 v2, 31, v1
	s_clause 0x7
	global_load_b64 v[56:57], v[14:15], off
	global_load_b64 v[58:59], v[16:17], off
	;; [unrolled: 1-line block ×8, first 2 shown]
	s_bitcmp0_b32 s13, 0
	v_add_nc_u32_e32 v34, s1, v32
	v_lshlrev_b64 v[1:2], 3, v[1:2]
	v_ashrrev_i32_e32 v33, 31, v32
	v_add_co_u32 v30, vcc_lo, s4, v30
	s_delay_alu instid0(VALU_DEP_4) | instskip(SKIP_1) | instid1(VALU_DEP_4)
	v_ashrrev_i32_e32 v35, 31, v34
	v_add_co_ci_u32_e32 v31, vcc_lo, s5, v31, vcc_lo
	v_lshlrev_b64 v[36:37], 3, v[32:33]
	v_add_co_u32 v32, vcc_lo, s4, v1
	v_add_nc_u32_e32 v38, s1, v34
	v_add_co_ci_u32_e32 v33, vcc_lo, s5, v2, vcc_lo
	v_lshlrev_b64 v[1:2], 3, v[34:35]
	v_add_co_u32 v34, vcc_lo, s4, v36
	s_delay_alu instid0(VALU_DEP_4)
	v_ashrrev_i32_e32 v39, 31, v38
	v_add_nc_u32_e32 v40, s1, v38
	v_add_co_ci_u32_e32 v35, vcc_lo, s5, v37, vcc_lo
	v_add_co_u32 v36, vcc_lo, s4, v1
	v_add_co_ci_u32_e32 v37, vcc_lo, s5, v2, vcc_lo
	v_lshlrev_b64 v[1:2], 3, v[38:39]
	v_add_nc_u32_e32 v38, s1, v40
	v_ashrrev_i32_e32 v41, 31, v40
	s_clause 0x3
	global_load_b64 v[72:73], v[30:31], off
	global_load_b64 v[74:75], v[32:33], off
	;; [unrolled: 1-line block ×4, first 2 shown]
	v_add_nc_u32_e32 v80, s1, v38
	v_lshlrev_b64 v[42:43], 3, v[40:41]
	v_ashrrev_i32_e32 v39, 31, v38
	v_add_co_u32 v40, vcc_lo, s4, v1
	s_delay_alu instid0(VALU_DEP_4) | instskip(SKIP_1) | instid1(VALU_DEP_4)
	v_ashrrev_i32_e32 v81, 31, v80
	v_add_co_ci_u32_e32 v41, vcc_lo, s5, v2, vcc_lo
	v_lshlrev_b64 v[1:2], 3, v[38:39]
	v_add_co_u32 v44, vcc_lo, s4, v42
	v_add_co_ci_u32_e32 v45, vcc_lo, s5, v43, vcc_lo
	v_lshlrev_b64 v[42:43], 3, v[80:81]
	s_delay_alu instid0(VALU_DEP_4) | instskip(SKIP_2) | instid1(VALU_DEP_3)
	v_add_co_u32 v38, vcc_lo, s4, v1
	v_add_co_ci_u32_e32 v39, vcc_lo, s5, v2, vcc_lo
	s_mov_b32 s1, -1
	v_add_co_u32 v42, vcc_lo, s4, v42
	s_delay_alu instid0(VALU_DEP_4)
	v_add_co_ci_u32_e32 v43, vcc_lo, s5, v43, vcc_lo
	s_clause 0x3
	global_load_b64 v[80:81], v[40:41], off
	global_load_b64 v[82:83], v[44:45], off
	;; [unrolled: 1-line block ×4, first 2 shown]
	s_waitcnt vmcnt(19)
	scratch_store_b128 off, v[46:49], off
	s_waitcnt vmcnt(17)
	scratch_store_b128 off, v[50:53], off offset:16
	s_waitcnt vmcnt(15)
	scratch_store_b128 off, v[54:57], off offset:32
	;; [unrolled: 2-line block ×9, first 2 shown]
	s_waitcnt vmcnt(0)
	scratch_store_b64 off, v[1:2], off offset:160
	s_cbranch_scc1 .LBB84_92
; %bb.4:
	v_cmp_eq_u32_e64 s0, 0, v0
	s_delay_alu instid0(VALU_DEP_1)
	s_and_saveexec_b32 s1, s0
	s_cbranch_execz .LBB84_6
; %bb.5:
	v_mov_b32_e32 v1, 0
	ds_store_b32 v1, v1 offset:168
.LBB84_6:
	s_or_b32 exec_lo, exec_lo, s1
	s_waitcnt lgkmcnt(0)
	s_waitcnt_vscnt null, 0x0
	s_barrier
	buffer_gl0_inv
	scratch_load_b64 v[1:2], v3, off
	s_mov_b32 s4, exec_lo
	s_waitcnt vmcnt(0)
	v_cmpx_eq_f64_e32 0, v[1:2]
	s_cbranch_execz .LBB84_10
; %bb.7:
	v_mov_b32_e32 v1, 0
	s_mov_b32 s5, 0
	ds_load_b32 v2, v1 offset:168
	s_waitcnt lgkmcnt(0)
	v_readfirstlane_b32 s1, v2
	v_add_nc_u32_e32 v2, 1, v0
	s_delay_alu instid0(VALU_DEP_2) | instskip(NEXT) | instid1(VALU_DEP_1)
	s_cmp_eq_u32 s1, 0
	v_cmp_gt_i32_e32 vcc_lo, s1, v2
	s_cselect_b32 s10, -1, 0
	s_delay_alu instid0(SALU_CYCLE_1) | instskip(NEXT) | instid1(SALU_CYCLE_1)
	s_or_b32 s10, s10, vcc_lo
	s_and_b32 exec_lo, exec_lo, s10
	s_cbranch_execz .LBB84_10
; %bb.8:
	v_mov_b32_e32 v46, s1
.LBB84_9:                               ; =>This Inner Loop Header: Depth=1
	ds_cmpstore_rtn_b32 v46, v1, v2, v46 offset:168
	s_waitcnt lgkmcnt(0)
	v_cmp_ne_u32_e32 vcc_lo, 0, v46
	v_cmp_le_i32_e64 s1, v46, v2
	s_delay_alu instid0(VALU_DEP_1) | instskip(NEXT) | instid1(SALU_CYCLE_1)
	s_and_b32 s1, vcc_lo, s1
	s_and_b32 s1, exec_lo, s1
	s_delay_alu instid0(SALU_CYCLE_1) | instskip(NEXT) | instid1(SALU_CYCLE_1)
	s_or_b32 s5, s1, s5
	s_and_not1_b32 exec_lo, exec_lo, s5
	s_cbranch_execnz .LBB84_9
.LBB84_10:
	s_or_b32 exec_lo, exec_lo, s4
	v_mov_b32_e32 v1, 0
	s_barrier
	buffer_gl0_inv
	ds_load_b32 v2, v1 offset:168
	s_and_saveexec_b32 s1, s0
	s_cbranch_execz .LBB84_12
; %bb.11:
	s_lshl_b64 s[4:5], s[8:9], 2
	s_delay_alu instid0(SALU_CYCLE_1)
	s_add_u32 s4, s6, s4
	s_addc_u32 s5, s7, s5
	s_waitcnt lgkmcnt(0)
	global_store_b32 v1, v2, s[4:5]
.LBB84_12:
	s_or_b32 exec_lo, exec_lo, s1
	s_waitcnt lgkmcnt(0)
	v_cmp_ne_u32_e32 vcc_lo, 0, v2
	s_mov_b32 s1, 0
	s_cbranch_vccnz .LBB84_92
; %bb.13:
	v_add_nc_u32_e32 v46, 0, v3
	scratch_load_b64 v[1:2], v46, off
	s_waitcnt vmcnt(0)
	v_div_scale_f64 v[47:48], null, v[1:2], v[1:2], 1.0
	v_div_scale_f64 v[53:54], vcc_lo, 1.0, v[1:2], 1.0
	s_delay_alu instid0(VALU_DEP_2) | instskip(SKIP_2) | instid1(VALU_DEP_1)
	v_rcp_f64_e32 v[49:50], v[47:48]
	s_waitcnt_depctr 0xfff
	v_fma_f64 v[51:52], -v[47:48], v[49:50], 1.0
	v_fma_f64 v[49:50], v[49:50], v[51:52], v[49:50]
	s_delay_alu instid0(VALU_DEP_1) | instskip(NEXT) | instid1(VALU_DEP_1)
	v_fma_f64 v[51:52], -v[47:48], v[49:50], 1.0
	v_fma_f64 v[49:50], v[49:50], v[51:52], v[49:50]
	s_delay_alu instid0(VALU_DEP_1) | instskip(NEXT) | instid1(VALU_DEP_1)
	v_mul_f64 v[51:52], v[53:54], v[49:50]
	v_fma_f64 v[47:48], -v[47:48], v[51:52], v[53:54]
	s_delay_alu instid0(VALU_DEP_1) | instskip(NEXT) | instid1(VALU_DEP_1)
	v_div_fmas_f64 v[47:48], v[47:48], v[49:50], v[51:52]
	v_div_fixup_f64 v[1:2], v[47:48], v[1:2], 1.0
	v_add_nc_u32_e32 v47, 0xb0, v3
	scratch_store_b64 v46, v[1:2], off
	scratch_load_b64 v[48:49], off, off offset:8
	v_xor_b32_e32 v2, 0x80000000, v2
	s_waitcnt vmcnt(0)
	ds_store_2addr_b64 v3, v[1:2], v[48:49] offset1:22
	s_waitcnt lgkmcnt(0)
	s_waitcnt_vscnt null, 0x0
	s_barrier
	buffer_gl0_inv
	s_and_saveexec_b32 s1, s0
	s_cbranch_execz .LBB84_15
; %bb.14:
	scratch_load_b64 v[1:2], v46, off
	ds_load_b64 v[48:49], v47
	s_waitcnt vmcnt(0) lgkmcnt(0)
	v_fma_f64 v[1:2], v[1:2], v[48:49], 0
	v_mov_b32_e32 v48, 0
	ds_load_b64 v[48:49], v48 offset:8
	s_waitcnt lgkmcnt(0)
	v_mul_f64 v[1:2], v[1:2], v[48:49]
	scratch_store_b64 off, v[1:2], off offset:8
.LBB84_15:
	s_or_b32 exec_lo, exec_lo, s1
	s_waitcnt_vscnt null, 0x0
	s_barrier
	buffer_gl0_inv
	scratch_load_b64 v[1:2], off, off offset:16
	s_mov_b32 s1, exec_lo
	s_waitcnt vmcnt(0)
	ds_store_b64 v47, v[1:2]
	s_waitcnt lgkmcnt(0)
	s_barrier
	buffer_gl0_inv
	v_cmpx_gt_u32_e32 2, v0
	s_cbranch_execz .LBB84_19
; %bb.16:
	scratch_load_b64 v[1:2], v46, off
	ds_load_b64 v[48:49], v47
	s_waitcnt vmcnt(0) lgkmcnt(0)
	v_fma_f64 v[1:2], v[1:2], v[48:49], 0
	s_and_saveexec_b32 s4, s0
	s_cbranch_execz .LBB84_18
; %bb.17:
	scratch_load_b64 v[48:49], off, off offset:8
	v_mov_b32_e32 v50, 0
	ds_load_b64 v[50:51], v50 offset:184
	s_waitcnt vmcnt(0) lgkmcnt(0)
	v_fma_f64 v[1:2], v[48:49], v[50:51], v[1:2]
.LBB84_18:
	s_or_b32 exec_lo, exec_lo, s4
	v_mov_b32_e32 v48, 0
	ds_load_b64 v[48:49], v48 offset:16
	s_waitcnt lgkmcnt(0)
	v_mul_f64 v[1:2], v[1:2], v[48:49]
	scratch_store_b64 off, v[1:2], off offset:16
.LBB84_19:
	s_or_b32 exec_lo, exec_lo, s1
	s_waitcnt_vscnt null, 0x0
	s_barrier
	buffer_gl0_inv
	scratch_load_b64 v[1:2], off, off offset:24
	v_add_nc_u32_e32 v48, -1, v0
	s_mov_b32 s0, exec_lo
	s_waitcnt vmcnt(0)
	ds_store_b64 v47, v[1:2]
	s_waitcnt lgkmcnt(0)
	s_barrier
	buffer_gl0_inv
	v_cmpx_gt_u32_e32 3, v0
	s_cbranch_execz .LBB84_23
; %bb.20:
	v_dual_mov_b32 v1, 0 :: v_dual_add_nc_u32 v50, 0xb0, v3
	v_dual_mov_b32 v2, 0 :: v_dual_add_nc_u32 v49, -1, v0
	v_add_nc_u32_e32 v51, 0, v3
	s_mov_b32 s1, 0
.LBB84_21:                              ; =>This Inner Loop Header: Depth=1
	scratch_load_b64 v[52:53], v51, off
	ds_load_b64 v[54:55], v50
	v_add_nc_u32_e32 v49, 1, v49
	v_add_nc_u32_e32 v50, 8, v50
	v_add_nc_u32_e32 v51, 8, v51
	s_delay_alu instid0(VALU_DEP_3)
	v_cmp_lt_u32_e32 vcc_lo, 1, v49
	s_or_b32 s1, vcc_lo, s1
	s_waitcnt vmcnt(0) lgkmcnt(0)
	v_fma_f64 v[1:2], v[52:53], v[54:55], v[1:2]
	s_and_not1_b32 exec_lo, exec_lo, s1
	s_cbranch_execnz .LBB84_21
; %bb.22:
	s_or_b32 exec_lo, exec_lo, s1
	v_mov_b32_e32 v49, 0
	ds_load_b64 v[49:50], v49 offset:24
	s_waitcnt lgkmcnt(0)
	v_mul_f64 v[1:2], v[1:2], v[49:50]
	scratch_store_b64 off, v[1:2], off offset:24
.LBB84_23:
	s_or_b32 exec_lo, exec_lo, s0
	s_waitcnt_vscnt null, 0x0
	s_barrier
	buffer_gl0_inv
	scratch_load_b64 v[1:2], off, off offset:32
	s_mov_b32 s0, exec_lo
	s_waitcnt vmcnt(0)
	ds_store_b64 v47, v[1:2]
	s_waitcnt lgkmcnt(0)
	s_barrier
	buffer_gl0_inv
	v_cmpx_gt_u32_e32 4, v0
	s_cbranch_execz .LBB84_27
; %bb.24:
	v_dual_mov_b32 v1, 0 :: v_dual_add_nc_u32 v50, 0xb0, v3
	v_dual_mov_b32 v2, 0 :: v_dual_add_nc_u32 v49, -1, v0
	v_add_nc_u32_e32 v51, 0, v3
	s_mov_b32 s1, 0
.LBB84_25:                              ; =>This Inner Loop Header: Depth=1
	scratch_load_b64 v[52:53], v51, off
	ds_load_b64 v[54:55], v50
	v_add_nc_u32_e32 v49, 1, v49
	v_add_nc_u32_e32 v50, 8, v50
	v_add_nc_u32_e32 v51, 8, v51
	s_delay_alu instid0(VALU_DEP_3)
	v_cmp_lt_u32_e32 vcc_lo, 2, v49
	s_or_b32 s1, vcc_lo, s1
	s_waitcnt vmcnt(0) lgkmcnt(0)
	v_fma_f64 v[1:2], v[52:53], v[54:55], v[1:2]
	s_and_not1_b32 exec_lo, exec_lo, s1
	s_cbranch_execnz .LBB84_25
; %bb.26:
	s_or_b32 exec_lo, exec_lo, s1
	v_mov_b32_e32 v49, 0
	ds_load_b64 v[49:50], v49 offset:32
	s_waitcnt lgkmcnt(0)
	v_mul_f64 v[1:2], v[1:2], v[49:50]
	scratch_store_b64 off, v[1:2], off offset:32
.LBB84_27:
	s_or_b32 exec_lo, exec_lo, s0
	s_waitcnt_vscnt null, 0x0
	s_barrier
	buffer_gl0_inv
	scratch_load_b64 v[1:2], off, off offset:40
	;; [unrolled: 39-line block ×17, first 2 shown]
	s_mov_b32 s0, exec_lo
	s_waitcnt vmcnt(0)
	ds_store_b64 v47, v[1:2]
	s_waitcnt lgkmcnt(0)
	s_barrier
	buffer_gl0_inv
	v_cmpx_ne_u32_e32 20, v0
	s_cbranch_execz .LBB84_91
; %bb.88:
	v_mov_b32_e32 v1, 0
	v_mov_b32_e32 v2, 0
	s_mov_b32 s1, 0
.LBB84_89:                              ; =>This Inner Loop Header: Depth=1
	scratch_load_b64 v[49:50], v46, off
	ds_load_b64 v[51:52], v47
	v_add_nc_u32_e32 v48, 1, v48
	v_add_nc_u32_e32 v47, 8, v47
	;; [unrolled: 1-line block ×3, first 2 shown]
	s_delay_alu instid0(VALU_DEP_3)
	v_cmp_lt_u32_e32 vcc_lo, 18, v48
	s_or_b32 s1, vcc_lo, s1
	s_waitcnt vmcnt(0) lgkmcnt(0)
	v_fma_f64 v[1:2], v[49:50], v[51:52], v[1:2]
	s_and_not1_b32 exec_lo, exec_lo, s1
	s_cbranch_execnz .LBB84_89
; %bb.90:
	s_or_b32 exec_lo, exec_lo, s1
	v_mov_b32_e32 v3, 0
	ds_load_b64 v[46:47], v3 offset:160
	s_waitcnt lgkmcnt(0)
	v_mul_f64 v[1:2], v[1:2], v[46:47]
	scratch_store_b64 off, v[1:2], off offset:160
.LBB84_91:
	s_or_b32 exec_lo, exec_lo, s0
	s_mov_b32 s1, -1
	s_waitcnt_vscnt null, 0x0
	s_barrier
	buffer_gl0_inv
.LBB84_92:
	s_and_b32 vcc_lo, exec_lo, s1
	s_cbranch_vccz .LBB84_94
; %bb.93:
	s_lshl_b64 s[0:1], s[8:9], 2
	v_mov_b32_e32 v1, 0
	s_add_u32 s0, s6, s0
	s_addc_u32 s1, s7, s1
	global_load_b32 v1, v1, s[0:1]
	s_waitcnt vmcnt(0)
	v_cmp_ne_u32_e32 vcc_lo, 0, v1
	s_cbranch_vccz .LBB84_95
.LBB84_94:
	s_endpgm
.LBB84_95:
	v_lshl_add_u32 v3, v0, 3, 0xb0
	s_mov_b32 s0, exec_lo
	v_cmpx_eq_u32_e32 20, v0
	s_cbranch_execz .LBB84_97
; %bb.96:
	scratch_load_b64 v[1:2], off, off offset:152
	v_mov_b32_e32 v46, 0
	s_delay_alu instid0(VALU_DEP_1)
	v_mov_b32_e32 v47, v46
	scratch_store_b64 off, v[46:47], off offset:152
	s_waitcnt vmcnt(0)
	ds_store_b64 v3, v[1:2]
.LBB84_97:
	s_or_b32 exec_lo, exec_lo, s0
	s_waitcnt lgkmcnt(0)
	s_waitcnt_vscnt null, 0x0
	s_barrier
	buffer_gl0_inv
	scratch_load_b128 v[46:49], off, off offset:152
	v_mov_b32_e32 v1, 0
	s_mov_b32 s0, exec_lo
	ds_load_b64 v[50:51], v1 offset:336
	s_waitcnt vmcnt(0) lgkmcnt(0)
	v_fma_f64 v[48:49], v[48:49], v[50:51], 0
	s_delay_alu instid0(VALU_DEP_1)
	v_add_f64 v[46:47], v[46:47], -v[48:49]
	scratch_store_b64 off, v[46:47], off offset:152
	v_cmpx_lt_u32_e32 18, v0
	s_cbranch_execz .LBB84_99
; %bb.98:
	scratch_load_b64 v[46:47], off, off offset:144
	v_mov_b32_e32 v2, v1
	scratch_store_b64 off, v[1:2], off offset:144
	s_waitcnt vmcnt(0)
	ds_store_b64 v3, v[46:47]
.LBB84_99:
	s_or_b32 exec_lo, exec_lo, s0
	s_waitcnt lgkmcnt(0)
	s_waitcnt_vscnt null, 0x0
	s_barrier
	buffer_gl0_inv
	s_clause 0x1
	scratch_load_b128 v[46:49], off, off offset:144
	scratch_load_b64 v[54:55], off, off offset:160
	ds_load_2addr_b64 v[50:53], v1 offset0:41 offset1:42
	s_mov_b32 s0, exec_lo
	s_waitcnt vmcnt(1) lgkmcnt(0)
	v_fma_f64 v[1:2], v[48:49], v[50:51], 0
	s_waitcnt vmcnt(0)
	s_delay_alu instid0(VALU_DEP_1) | instskip(NEXT) | instid1(VALU_DEP_1)
	v_fma_f64 v[1:2], v[54:55], v[52:53], v[1:2]
	v_add_f64 v[1:2], v[46:47], -v[1:2]
	scratch_store_b64 off, v[1:2], off offset:144
	v_cmpx_lt_u32_e32 17, v0
	s_cbranch_execz .LBB84_101
; %bb.100:
	scratch_load_b64 v[1:2], off, off offset:136
	v_mov_b32_e32 v46, 0
	s_delay_alu instid0(VALU_DEP_1)
	v_mov_b32_e32 v47, v46
	scratch_store_b64 off, v[46:47], off offset:136
	s_waitcnt vmcnt(0)
	ds_store_b64 v3, v[1:2]
.LBB84_101:
	s_or_b32 exec_lo, exec_lo, s0
	s_waitcnt lgkmcnt(0)
	s_waitcnt_vscnt null, 0x0
	s_barrier
	buffer_gl0_inv
	s_clause 0x1
	scratch_load_b128 v[46:49], off, off offset:136
	scratch_load_b128 v[50:53], off, off offset:152
	v_mov_b32_e32 v1, 0
	ds_load_b128 v[54:57], v1 offset:320
	ds_load_b64 v[58:59], v1 offset:336
	s_mov_b32 s0, exec_lo
	s_waitcnt vmcnt(1) lgkmcnt(1)
	v_fma_f64 v[48:49], v[48:49], v[54:55], 0
	s_waitcnt vmcnt(0)
	s_delay_alu instid0(VALU_DEP_1) | instskip(SKIP_1) | instid1(VALU_DEP_1)
	v_fma_f64 v[48:49], v[50:51], v[56:57], v[48:49]
	s_waitcnt lgkmcnt(0)
	v_fma_f64 v[48:49], v[52:53], v[58:59], v[48:49]
	s_delay_alu instid0(VALU_DEP_1)
	v_add_f64 v[46:47], v[46:47], -v[48:49]
	scratch_store_b64 off, v[46:47], off offset:136
	v_cmpx_lt_u32_e32 16, v0
	s_cbranch_execz .LBB84_103
; %bb.102:
	scratch_load_b64 v[46:47], off, off offset:128
	v_mov_b32_e32 v2, v1
	scratch_store_b64 off, v[1:2], off offset:128
	s_waitcnt vmcnt(0)
	ds_store_b64 v3, v[46:47]
.LBB84_103:
	s_or_b32 exec_lo, exec_lo, s0
	s_waitcnt lgkmcnt(0)
	s_waitcnt_vscnt null, 0x0
	s_barrier
	buffer_gl0_inv
	s_clause 0x2
	scratch_load_b128 v[46:49], off, off offset:128
	scratch_load_b128 v[50:53], off, off offset:144
	scratch_load_b64 v[62:63], off, off offset:160
	ds_load_2addr_b64 v[54:57], v1 offset0:39 offset1:40
	ds_load_2addr_b64 v[58:61], v1 offset0:41 offset1:42
	s_mov_b32 s0, exec_lo
	s_waitcnt vmcnt(2) lgkmcnt(1)
	v_fma_f64 v[1:2], v[48:49], v[54:55], 0
	s_waitcnt vmcnt(1)
	s_delay_alu instid0(VALU_DEP_1) | instskip(SKIP_1) | instid1(VALU_DEP_1)
	v_fma_f64 v[1:2], v[50:51], v[56:57], v[1:2]
	s_waitcnt lgkmcnt(0)
	v_fma_f64 v[1:2], v[52:53], v[58:59], v[1:2]
	s_waitcnt vmcnt(0)
	s_delay_alu instid0(VALU_DEP_1) | instskip(NEXT) | instid1(VALU_DEP_1)
	v_fma_f64 v[1:2], v[62:63], v[60:61], v[1:2]
	v_add_f64 v[1:2], v[46:47], -v[1:2]
	scratch_store_b64 off, v[1:2], off offset:128
	v_cmpx_lt_u32_e32 15, v0
	s_cbranch_execz .LBB84_105
; %bb.104:
	scratch_load_b64 v[1:2], off, off offset:120
	v_mov_b32_e32 v46, 0
	s_delay_alu instid0(VALU_DEP_1)
	v_mov_b32_e32 v47, v46
	scratch_store_b64 off, v[46:47], off offset:120
	s_waitcnt vmcnt(0)
	ds_store_b64 v3, v[1:2]
.LBB84_105:
	s_or_b32 exec_lo, exec_lo, s0
	s_waitcnt lgkmcnt(0)
	s_waitcnt_vscnt null, 0x0
	s_barrier
	buffer_gl0_inv
	s_clause 0x2
	scratch_load_b128 v[46:49], off, off offset:120
	scratch_load_b128 v[50:53], off, off offset:136
	;; [unrolled: 1-line block ×3, first 2 shown]
	v_mov_b32_e32 v1, 0
	ds_load_b128 v[58:61], v1 offset:304
	ds_load_b128 v[62:65], v1 offset:320
	s_mov_b32 s0, exec_lo
	s_waitcnt vmcnt(2) lgkmcnt(1)
	v_fma_f64 v[48:49], v[48:49], v[58:59], 0
	s_waitcnt vmcnt(1)
	s_delay_alu instid0(VALU_DEP_1) | instskip(SKIP_4) | instid1(VALU_DEP_1)
	v_fma_f64 v[48:49], v[50:51], v[60:61], v[48:49]
	ds_load_b64 v[50:51], v1 offset:336
	s_waitcnt lgkmcnt(1)
	v_fma_f64 v[48:49], v[52:53], v[62:63], v[48:49]
	s_waitcnt vmcnt(0)
	v_fma_f64 v[48:49], v[54:55], v[64:65], v[48:49]
	s_waitcnt lgkmcnt(0)
	s_delay_alu instid0(VALU_DEP_1) | instskip(NEXT) | instid1(VALU_DEP_1)
	v_fma_f64 v[48:49], v[56:57], v[50:51], v[48:49]
	v_add_f64 v[46:47], v[46:47], -v[48:49]
	scratch_store_b64 off, v[46:47], off offset:120
	v_cmpx_lt_u32_e32 14, v0
	s_cbranch_execz .LBB84_107
; %bb.106:
	scratch_load_b64 v[46:47], off, off offset:112
	v_mov_b32_e32 v2, v1
	scratch_store_b64 off, v[1:2], off offset:112
	s_waitcnt vmcnt(0)
	ds_store_b64 v3, v[46:47]
.LBB84_107:
	s_or_b32 exec_lo, exec_lo, s0
	s_waitcnt lgkmcnt(0)
	s_waitcnt_vscnt null, 0x0
	s_barrier
	buffer_gl0_inv
	s_clause 0x3
	scratch_load_b128 v[46:49], off, off offset:112
	scratch_load_b128 v[50:53], off, off offset:128
	;; [unrolled: 1-line block ×3, first 2 shown]
	scratch_load_b64 v[66:67], off, off offset:160
	ds_load_2addr_b64 v[58:61], v1 offset0:37 offset1:38
	ds_load_2addr_b64 v[62:65], v1 offset0:39 offset1:40
	s_mov_b32 s0, exec_lo
	s_waitcnt vmcnt(3) lgkmcnt(1)
	v_fma_f64 v[48:49], v[48:49], v[58:59], 0
	s_waitcnt vmcnt(2)
	s_delay_alu instid0(VALU_DEP_1) | instskip(SKIP_1) | instid1(VALU_DEP_1)
	v_fma_f64 v[48:49], v[50:51], v[60:61], v[48:49]
	s_waitcnt lgkmcnt(0)
	v_fma_f64 v[48:49], v[52:53], v[62:63], v[48:49]
	s_waitcnt vmcnt(1)
	s_delay_alu instid0(VALU_DEP_1) | instskip(SKIP_4) | instid1(VALU_DEP_1)
	v_fma_f64 v[52:53], v[54:55], v[64:65], v[48:49]
	ds_load_2addr_b64 v[48:51], v1 offset0:41 offset1:42
	s_waitcnt lgkmcnt(0)
	v_fma_f64 v[1:2], v[56:57], v[48:49], v[52:53]
	s_waitcnt vmcnt(0)
	v_fma_f64 v[1:2], v[66:67], v[50:51], v[1:2]
	s_delay_alu instid0(VALU_DEP_1)
	v_add_f64 v[1:2], v[46:47], -v[1:2]
	scratch_store_b64 off, v[1:2], off offset:112
	v_cmpx_lt_u32_e32 13, v0
	s_cbranch_execz .LBB84_109
; %bb.108:
	scratch_load_b64 v[1:2], off, off offset:104
	v_mov_b32_e32 v46, 0
	s_delay_alu instid0(VALU_DEP_1)
	v_mov_b32_e32 v47, v46
	scratch_store_b64 off, v[46:47], off offset:104
	s_waitcnt vmcnt(0)
	ds_store_b64 v3, v[1:2]
.LBB84_109:
	s_or_b32 exec_lo, exec_lo, s0
	s_waitcnt lgkmcnt(0)
	s_waitcnt_vscnt null, 0x0
	s_barrier
	buffer_gl0_inv
	s_clause 0x3
	scratch_load_b128 v[46:49], off, off offset:104
	scratch_load_b128 v[50:53], off, off offset:120
	;; [unrolled: 1-line block ×4, first 2 shown]
	v_mov_b32_e32 v1, 0
	ds_load_b128 v[62:65], v1 offset:288
	ds_load_b128 v[66:69], v1 offset:304
	s_mov_b32 s0, exec_lo
	s_waitcnt vmcnt(3) lgkmcnt(1)
	v_fma_f64 v[48:49], v[48:49], v[62:63], 0
	s_waitcnt vmcnt(2)
	s_delay_alu instid0(VALU_DEP_1) | instskip(SKIP_1) | instid1(VALU_DEP_1)
	v_fma_f64 v[48:49], v[50:51], v[64:65], v[48:49]
	s_waitcnt lgkmcnt(0)
	v_fma_f64 v[48:49], v[52:53], v[66:67], v[48:49]
	s_waitcnt vmcnt(1)
	s_delay_alu instid0(VALU_DEP_1)
	v_fma_f64 v[52:53], v[54:55], v[68:69], v[48:49]
	ds_load_b128 v[48:51], v1 offset:320
	ds_load_b64 v[54:55], v1 offset:336
	s_waitcnt lgkmcnt(1)
	v_fma_f64 v[48:49], v[56:57], v[48:49], v[52:53]
	s_waitcnt vmcnt(0)
	s_delay_alu instid0(VALU_DEP_1) | instskip(SKIP_1) | instid1(VALU_DEP_1)
	v_fma_f64 v[48:49], v[58:59], v[50:51], v[48:49]
	s_waitcnt lgkmcnt(0)
	v_fma_f64 v[48:49], v[60:61], v[54:55], v[48:49]
	s_delay_alu instid0(VALU_DEP_1)
	v_add_f64 v[46:47], v[46:47], -v[48:49]
	scratch_store_b64 off, v[46:47], off offset:104
	v_cmpx_lt_u32_e32 12, v0
	s_cbranch_execz .LBB84_111
; %bb.110:
	scratch_load_b64 v[46:47], off, off offset:96
	v_mov_b32_e32 v2, v1
	scratch_store_b64 off, v[1:2], off offset:96
	s_waitcnt vmcnt(0)
	ds_store_b64 v3, v[46:47]
.LBB84_111:
	s_or_b32 exec_lo, exec_lo, s0
	s_waitcnt lgkmcnt(0)
	s_waitcnt_vscnt null, 0x0
	s_barrier
	buffer_gl0_inv
	s_clause 0x4
	scratch_load_b128 v[46:49], off, off offset:96
	scratch_load_b128 v[50:53], off, off offset:112
	;; [unrolled: 1-line block ×4, first 2 shown]
	scratch_load_b64 v[70:71], off, off offset:160
	ds_load_2addr_b64 v[62:65], v1 offset0:35 offset1:36
	ds_load_2addr_b64 v[66:69], v1 offset0:37 offset1:38
	s_mov_b32 s0, exec_lo
	s_waitcnt vmcnt(4) lgkmcnt(1)
	v_fma_f64 v[48:49], v[48:49], v[62:63], 0
	s_waitcnt vmcnt(3)
	s_delay_alu instid0(VALU_DEP_1) | instskip(SKIP_1) | instid1(VALU_DEP_1)
	v_fma_f64 v[48:49], v[50:51], v[64:65], v[48:49]
	s_waitcnt lgkmcnt(0)
	v_fma_f64 v[48:49], v[52:53], v[66:67], v[48:49]
	s_waitcnt vmcnt(2)
	s_delay_alu instid0(VALU_DEP_1)
	v_fma_f64 v[62:63], v[54:55], v[68:69], v[48:49]
	ds_load_2addr_b64 v[48:51], v1 offset0:39 offset1:40
	ds_load_2addr_b64 v[52:55], v1 offset0:41 offset1:42
	s_waitcnt lgkmcnt(1)
	v_fma_f64 v[1:2], v[56:57], v[48:49], v[62:63]
	s_waitcnt vmcnt(1)
	s_delay_alu instid0(VALU_DEP_1) | instskip(SKIP_1) | instid1(VALU_DEP_1)
	v_fma_f64 v[1:2], v[58:59], v[50:51], v[1:2]
	s_waitcnt lgkmcnt(0)
	v_fma_f64 v[1:2], v[60:61], v[52:53], v[1:2]
	s_waitcnt vmcnt(0)
	s_delay_alu instid0(VALU_DEP_1) | instskip(NEXT) | instid1(VALU_DEP_1)
	v_fma_f64 v[1:2], v[70:71], v[54:55], v[1:2]
	v_add_f64 v[1:2], v[46:47], -v[1:2]
	scratch_store_b64 off, v[1:2], off offset:96
	v_cmpx_lt_u32_e32 11, v0
	s_cbranch_execz .LBB84_113
; %bb.112:
	scratch_load_b64 v[1:2], off, off offset:88
	v_mov_b32_e32 v46, 0
	s_delay_alu instid0(VALU_DEP_1)
	v_mov_b32_e32 v47, v46
	scratch_store_b64 off, v[46:47], off offset:88
	s_waitcnt vmcnt(0)
	ds_store_b64 v3, v[1:2]
.LBB84_113:
	s_or_b32 exec_lo, exec_lo, s0
	s_waitcnt lgkmcnt(0)
	s_waitcnt_vscnt null, 0x0
	s_barrier
	buffer_gl0_inv
	s_clause 0x4
	scratch_load_b128 v[46:49], off, off offset:88
	scratch_load_b128 v[50:53], off, off offset:104
	;; [unrolled: 1-line block ×5, first 2 shown]
	v_mov_b32_e32 v1, 0
	ds_load_b128 v[66:69], v1 offset:272
	ds_load_b128 v[70:73], v1 offset:288
	s_mov_b32 s0, exec_lo
	s_waitcnt vmcnt(4) lgkmcnt(1)
	v_fma_f64 v[48:49], v[48:49], v[66:67], 0
	s_waitcnt vmcnt(3)
	s_delay_alu instid0(VALU_DEP_1) | instskip(SKIP_1) | instid1(VALU_DEP_1)
	v_fma_f64 v[48:49], v[50:51], v[68:69], v[48:49]
	s_waitcnt lgkmcnt(0)
	v_fma_f64 v[48:49], v[52:53], v[70:71], v[48:49]
	s_waitcnt vmcnt(2)
	s_delay_alu instid0(VALU_DEP_1)
	v_fma_f64 v[66:67], v[54:55], v[72:73], v[48:49]
	ds_load_b128 v[48:51], v1 offset:304
	ds_load_b128 v[52:55], v1 offset:320
	s_waitcnt lgkmcnt(1)
	v_fma_f64 v[48:49], v[56:57], v[48:49], v[66:67]
	s_waitcnt vmcnt(1)
	s_delay_alu instid0(VALU_DEP_1) | instskip(SKIP_4) | instid1(VALU_DEP_1)
	v_fma_f64 v[48:49], v[58:59], v[50:51], v[48:49]
	ds_load_b64 v[50:51], v1 offset:336
	s_waitcnt lgkmcnt(1)
	v_fma_f64 v[48:49], v[60:61], v[52:53], v[48:49]
	s_waitcnt vmcnt(0)
	v_fma_f64 v[48:49], v[62:63], v[54:55], v[48:49]
	s_waitcnt lgkmcnt(0)
	s_delay_alu instid0(VALU_DEP_1) | instskip(NEXT) | instid1(VALU_DEP_1)
	v_fma_f64 v[48:49], v[64:65], v[50:51], v[48:49]
	v_add_f64 v[46:47], v[46:47], -v[48:49]
	scratch_store_b64 off, v[46:47], off offset:88
	v_cmpx_lt_u32_e32 10, v0
	s_cbranch_execz .LBB84_115
; %bb.114:
	scratch_load_b64 v[46:47], off, off offset:80
	v_mov_b32_e32 v2, v1
	scratch_store_b64 off, v[1:2], off offset:80
	s_waitcnt vmcnt(0)
	ds_store_b64 v3, v[46:47]
.LBB84_115:
	s_or_b32 exec_lo, exec_lo, s0
	s_waitcnt lgkmcnt(0)
	s_waitcnt_vscnt null, 0x0
	s_barrier
	buffer_gl0_inv
	s_clause 0x4
	scratch_load_b128 v[46:49], off, off offset:80
	scratch_load_b128 v[50:53], off, off offset:96
	;; [unrolled: 1-line block ×5, first 2 shown]
	ds_load_2addr_b64 v[66:69], v1 offset0:33 offset1:34
	ds_load_2addr_b64 v[70:73], v1 offset0:35 offset1:36
	s_mov_b32 s0, exec_lo
	s_waitcnt vmcnt(4) lgkmcnt(1)
	v_fma_f64 v[48:49], v[48:49], v[66:67], 0
	scratch_load_b64 v[66:67], off, off offset:160
	s_waitcnt vmcnt(4)
	v_fma_f64 v[48:49], v[50:51], v[68:69], v[48:49]
	s_waitcnt lgkmcnt(0)
	s_delay_alu instid0(VALU_DEP_1) | instskip(SKIP_1) | instid1(VALU_DEP_1)
	v_fma_f64 v[48:49], v[52:53], v[70:71], v[48:49]
	s_waitcnt vmcnt(3)
	v_fma_f64 v[68:69], v[54:55], v[72:73], v[48:49]
	ds_load_2addr_b64 v[48:51], v1 offset0:37 offset1:38
	ds_load_2addr_b64 v[52:55], v1 offset0:39 offset1:40
	s_waitcnt lgkmcnt(1)
	v_fma_f64 v[48:49], v[56:57], v[48:49], v[68:69]
	s_waitcnt vmcnt(2)
	s_delay_alu instid0(VALU_DEP_1) | instskip(SKIP_1) | instid1(VALU_DEP_1)
	v_fma_f64 v[48:49], v[58:59], v[50:51], v[48:49]
	s_waitcnt lgkmcnt(0)
	v_fma_f64 v[48:49], v[60:61], v[52:53], v[48:49]
	s_waitcnt vmcnt(1)
	s_delay_alu instid0(VALU_DEP_1) | instskip(SKIP_4) | instid1(VALU_DEP_1)
	v_fma_f64 v[52:53], v[62:63], v[54:55], v[48:49]
	ds_load_2addr_b64 v[48:51], v1 offset0:41 offset1:42
	s_waitcnt lgkmcnt(0)
	v_fma_f64 v[1:2], v[64:65], v[48:49], v[52:53]
	s_waitcnt vmcnt(0)
	v_fma_f64 v[1:2], v[66:67], v[50:51], v[1:2]
	s_delay_alu instid0(VALU_DEP_1)
	v_add_f64 v[1:2], v[46:47], -v[1:2]
	scratch_store_b64 off, v[1:2], off offset:80
	v_cmpx_lt_u32_e32 9, v0
	s_cbranch_execz .LBB84_117
; %bb.116:
	scratch_load_b64 v[1:2], off, off offset:72
	v_mov_b32_e32 v46, 0
	s_delay_alu instid0(VALU_DEP_1)
	v_mov_b32_e32 v47, v46
	scratch_store_b64 off, v[46:47], off offset:72
	s_waitcnt vmcnt(0)
	ds_store_b64 v3, v[1:2]
.LBB84_117:
	s_or_b32 exec_lo, exec_lo, s0
	s_waitcnt lgkmcnt(0)
	s_waitcnt_vscnt null, 0x0
	s_barrier
	buffer_gl0_inv
	s_clause 0x4
	scratch_load_b128 v[46:49], off, off offset:72
	scratch_load_b128 v[50:53], off, off offset:88
	;; [unrolled: 1-line block ×5, first 2 shown]
	v_mov_b32_e32 v1, 0
	ds_load_b128 v[66:69], v1 offset:256
	ds_load_b128 v[70:73], v1 offset:272
	scratch_load_b128 v[74:77], off, off offset:152
	s_mov_b32 s0, exec_lo
	s_waitcnt vmcnt(5) lgkmcnt(1)
	v_fma_f64 v[48:49], v[48:49], v[66:67], 0
	s_waitcnt vmcnt(4)
	s_delay_alu instid0(VALU_DEP_1) | instskip(SKIP_1) | instid1(VALU_DEP_1)
	v_fma_f64 v[48:49], v[50:51], v[68:69], v[48:49]
	s_waitcnt lgkmcnt(0)
	v_fma_f64 v[48:49], v[52:53], v[70:71], v[48:49]
	s_waitcnt vmcnt(3)
	s_delay_alu instid0(VALU_DEP_1)
	v_fma_f64 v[66:67], v[54:55], v[72:73], v[48:49]
	ds_load_b128 v[48:51], v1 offset:288
	ds_load_b128 v[52:55], v1 offset:304
	s_waitcnt lgkmcnt(1)
	v_fma_f64 v[48:49], v[56:57], v[48:49], v[66:67]
	s_waitcnt vmcnt(2)
	s_delay_alu instid0(VALU_DEP_1) | instskip(SKIP_1) | instid1(VALU_DEP_1)
	v_fma_f64 v[48:49], v[58:59], v[50:51], v[48:49]
	s_waitcnt lgkmcnt(0)
	v_fma_f64 v[48:49], v[60:61], v[52:53], v[48:49]
	s_waitcnt vmcnt(1)
	s_delay_alu instid0(VALU_DEP_1)
	v_fma_f64 v[52:53], v[62:63], v[54:55], v[48:49]
	ds_load_b128 v[48:51], v1 offset:320
	ds_load_b64 v[54:55], v1 offset:336
	s_waitcnt lgkmcnt(1)
	v_fma_f64 v[48:49], v[64:65], v[48:49], v[52:53]
	s_waitcnt vmcnt(0)
	s_delay_alu instid0(VALU_DEP_1) | instskip(SKIP_1) | instid1(VALU_DEP_1)
	v_fma_f64 v[48:49], v[74:75], v[50:51], v[48:49]
	s_waitcnt lgkmcnt(0)
	v_fma_f64 v[48:49], v[76:77], v[54:55], v[48:49]
	s_delay_alu instid0(VALU_DEP_1)
	v_add_f64 v[46:47], v[46:47], -v[48:49]
	scratch_store_b64 off, v[46:47], off offset:72
	v_cmpx_lt_u32_e32 8, v0
	s_cbranch_execz .LBB84_119
; %bb.118:
	scratch_load_b64 v[46:47], off, off offset:64
	v_mov_b32_e32 v2, v1
	scratch_store_b64 off, v[1:2], off offset:64
	s_waitcnt vmcnt(0)
	ds_store_b64 v3, v[46:47]
.LBB84_119:
	s_or_b32 exec_lo, exec_lo, s0
	s_waitcnt lgkmcnt(0)
	s_waitcnt_vscnt null, 0x0
	s_barrier
	buffer_gl0_inv
	s_clause 0x4
	scratch_load_b128 v[46:49], off, off offset:64
	scratch_load_b128 v[50:53], off, off offset:80
	scratch_load_b128 v[54:57], off, off offset:96
	scratch_load_b128 v[58:61], off, off offset:112
	scratch_load_b128 v[62:65], off, off offset:128
	ds_load_2addr_b64 v[66:69], v1 offset0:31 offset1:32
	ds_load_2addr_b64 v[70:73], v1 offset0:33 offset1:34
	scratch_load_b128 v[74:77], off, off offset:144
	s_mov_b32 s0, exec_lo
	s_waitcnt vmcnt(5) lgkmcnt(1)
	v_fma_f64 v[48:49], v[48:49], v[66:67], 0
	scratch_load_b64 v[66:67], off, off offset:160
	s_waitcnt vmcnt(5)
	v_fma_f64 v[48:49], v[50:51], v[68:69], v[48:49]
	s_waitcnt lgkmcnt(0)
	s_delay_alu instid0(VALU_DEP_1) | instskip(SKIP_1) | instid1(VALU_DEP_1)
	v_fma_f64 v[48:49], v[52:53], v[70:71], v[48:49]
	s_waitcnt vmcnt(4)
	v_fma_f64 v[68:69], v[54:55], v[72:73], v[48:49]
	ds_load_2addr_b64 v[48:51], v1 offset0:35 offset1:36
	ds_load_2addr_b64 v[52:55], v1 offset0:37 offset1:38
	s_waitcnt lgkmcnt(1)
	v_fma_f64 v[48:49], v[56:57], v[48:49], v[68:69]
	s_waitcnt vmcnt(3)
	s_delay_alu instid0(VALU_DEP_1) | instskip(SKIP_1) | instid1(VALU_DEP_1)
	v_fma_f64 v[48:49], v[58:59], v[50:51], v[48:49]
	s_waitcnt lgkmcnt(0)
	v_fma_f64 v[48:49], v[60:61], v[52:53], v[48:49]
	s_waitcnt vmcnt(2)
	s_delay_alu instid0(VALU_DEP_1)
	v_fma_f64 v[56:57], v[62:63], v[54:55], v[48:49]
	ds_load_2addr_b64 v[48:51], v1 offset0:39 offset1:40
	ds_load_2addr_b64 v[52:55], v1 offset0:41 offset1:42
	s_waitcnt lgkmcnt(1)
	v_fma_f64 v[1:2], v[64:65], v[48:49], v[56:57]
	s_waitcnt vmcnt(1)
	s_delay_alu instid0(VALU_DEP_1) | instskip(SKIP_1) | instid1(VALU_DEP_1)
	v_fma_f64 v[1:2], v[74:75], v[50:51], v[1:2]
	s_waitcnt lgkmcnt(0)
	v_fma_f64 v[1:2], v[76:77], v[52:53], v[1:2]
	s_waitcnt vmcnt(0)
	s_delay_alu instid0(VALU_DEP_1) | instskip(NEXT) | instid1(VALU_DEP_1)
	v_fma_f64 v[1:2], v[66:67], v[54:55], v[1:2]
	v_add_f64 v[1:2], v[46:47], -v[1:2]
	scratch_store_b64 off, v[1:2], off offset:64
	v_cmpx_lt_u32_e32 7, v0
	s_cbranch_execz .LBB84_121
; %bb.120:
	scratch_load_b64 v[1:2], off, off offset:56
	v_mov_b32_e32 v46, 0
	s_delay_alu instid0(VALU_DEP_1)
	v_mov_b32_e32 v47, v46
	scratch_store_b64 off, v[46:47], off offset:56
	s_waitcnt vmcnt(0)
	ds_store_b64 v3, v[1:2]
.LBB84_121:
	s_or_b32 exec_lo, exec_lo, s0
	s_waitcnt lgkmcnt(0)
	s_waitcnt_vscnt null, 0x0
	s_barrier
	buffer_gl0_inv
	s_clause 0x4
	scratch_load_b128 v[46:49], off, off offset:56
	scratch_load_b128 v[50:53], off, off offset:72
	;; [unrolled: 1-line block ×5, first 2 shown]
	v_mov_b32_e32 v1, 0
	ds_load_b128 v[66:69], v1 offset:240
	ds_load_b128 v[70:73], v1 offset:256
	scratch_load_b128 v[74:77], off, off offset:136
	s_mov_b32 s0, exec_lo
	s_waitcnt vmcnt(5) lgkmcnt(1)
	v_fma_f64 v[48:49], v[48:49], v[66:67], 0
	s_waitcnt vmcnt(4)
	s_delay_alu instid0(VALU_DEP_1) | instskip(SKIP_1) | instid1(VALU_DEP_1)
	v_fma_f64 v[48:49], v[50:51], v[68:69], v[48:49]
	s_waitcnt lgkmcnt(0)
	v_fma_f64 v[52:53], v[52:53], v[70:71], v[48:49]
	scratch_load_b128 v[48:51], off, off offset:152
	s_waitcnt vmcnt(4)
	v_fma_f64 v[70:71], v[54:55], v[72:73], v[52:53]
	ds_load_b128 v[52:55], v1 offset:272
	ds_load_b128 v[66:69], v1 offset:288
	s_waitcnt lgkmcnt(1)
	v_fma_f64 v[52:53], v[56:57], v[52:53], v[70:71]
	s_waitcnt vmcnt(3)
	s_delay_alu instid0(VALU_DEP_1) | instskip(SKIP_1) | instid1(VALU_DEP_1)
	v_fma_f64 v[52:53], v[58:59], v[54:55], v[52:53]
	s_waitcnt lgkmcnt(0)
	v_fma_f64 v[52:53], v[60:61], v[66:67], v[52:53]
	s_waitcnt vmcnt(2)
	s_delay_alu instid0(VALU_DEP_1)
	v_fma_f64 v[60:61], v[62:63], v[68:69], v[52:53]
	ds_load_b128 v[52:55], v1 offset:304
	ds_load_b128 v[56:59], v1 offset:320
	s_waitcnt lgkmcnt(1)
	v_fma_f64 v[52:53], v[64:65], v[52:53], v[60:61]
	s_waitcnt vmcnt(1)
	s_delay_alu instid0(VALU_DEP_1) | instskip(SKIP_1) | instid1(VALU_DEP_1)
	v_fma_f64 v[52:53], v[74:75], v[54:55], v[52:53]
	s_waitcnt lgkmcnt(0)
	v_fma_f64 v[52:53], v[76:77], v[56:57], v[52:53]
	s_waitcnt vmcnt(0)
	s_delay_alu instid0(VALU_DEP_1) | instskip(SKIP_3) | instid1(VALU_DEP_1)
	v_fma_f64 v[48:49], v[48:49], v[58:59], v[52:53]
	ds_load_b64 v[52:53], v1 offset:336
	s_waitcnt lgkmcnt(0)
	v_fma_f64 v[48:49], v[50:51], v[52:53], v[48:49]
	v_add_f64 v[46:47], v[46:47], -v[48:49]
	scratch_store_b64 off, v[46:47], off offset:56
	v_cmpx_lt_u32_e32 6, v0
	s_cbranch_execz .LBB84_123
; %bb.122:
	scratch_load_b64 v[46:47], off, off offset:48
	v_mov_b32_e32 v2, v1
	scratch_store_b64 off, v[1:2], off offset:48
	s_waitcnt vmcnt(0)
	ds_store_b64 v3, v[46:47]
.LBB84_123:
	s_or_b32 exec_lo, exec_lo, s0
	s_waitcnt lgkmcnt(0)
	s_waitcnt_vscnt null, 0x0
	s_barrier
	buffer_gl0_inv
	s_clause 0x4
	scratch_load_b128 v[46:49], off, off offset:48
	scratch_load_b128 v[50:53], off, off offset:64
	;; [unrolled: 1-line block ×5, first 2 shown]
	ds_load_2addr_b64 v[66:69], v1 offset0:29 offset1:30
	ds_load_2addr_b64 v[70:73], v1 offset0:31 offset1:32
	scratch_load_b128 v[74:77], off, off offset:128
	s_mov_b32 s0, exec_lo
	s_waitcnt vmcnt(5) lgkmcnt(1)
	v_fma_f64 v[48:49], v[48:49], v[66:67], 0
	s_waitcnt vmcnt(4)
	s_delay_alu instid0(VALU_DEP_1) | instskip(SKIP_1) | instid1(VALU_DEP_1)
	v_fma_f64 v[48:49], v[50:51], v[68:69], v[48:49]
	s_waitcnt lgkmcnt(0)
	v_fma_f64 v[52:53], v[52:53], v[70:71], v[48:49]
	scratch_load_b128 v[48:51], off, off offset:144
	s_waitcnt vmcnt(4)
	v_fma_f64 v[70:71], v[54:55], v[72:73], v[52:53]
	ds_load_2addr_b64 v[52:55], v1 offset0:33 offset1:34
	ds_load_2addr_b64 v[66:69], v1 offset0:35 offset1:36
	s_waitcnt lgkmcnt(1)
	v_fma_f64 v[52:53], v[56:57], v[52:53], v[70:71]
	scratch_load_b64 v[70:71], off, off offset:160
	s_waitcnt vmcnt(4)
	v_fma_f64 v[52:53], v[58:59], v[54:55], v[52:53]
	s_waitcnt lgkmcnt(0)
	s_delay_alu instid0(VALU_DEP_1) | instskip(SKIP_1) | instid1(VALU_DEP_1)
	v_fma_f64 v[52:53], v[60:61], v[66:67], v[52:53]
	s_waitcnt vmcnt(3)
	v_fma_f64 v[60:61], v[62:63], v[68:69], v[52:53]
	ds_load_2addr_b64 v[52:55], v1 offset0:37 offset1:38
	ds_load_2addr_b64 v[56:59], v1 offset0:39 offset1:40
	s_waitcnt lgkmcnt(1)
	v_fma_f64 v[52:53], v[64:65], v[52:53], v[60:61]
	s_waitcnt vmcnt(2)
	s_delay_alu instid0(VALU_DEP_1) | instskip(SKIP_1) | instid1(VALU_DEP_1)
	v_fma_f64 v[52:53], v[74:75], v[54:55], v[52:53]
	s_waitcnt lgkmcnt(0)
	v_fma_f64 v[52:53], v[76:77], v[56:57], v[52:53]
	s_waitcnt vmcnt(1)
	s_delay_alu instid0(VALU_DEP_1) | instskip(SKIP_4) | instid1(VALU_DEP_1)
	v_fma_f64 v[48:49], v[48:49], v[58:59], v[52:53]
	ds_load_2addr_b64 v[52:55], v1 offset0:41 offset1:42
	s_waitcnt lgkmcnt(0)
	v_fma_f64 v[1:2], v[50:51], v[52:53], v[48:49]
	s_waitcnt vmcnt(0)
	v_fma_f64 v[1:2], v[70:71], v[54:55], v[1:2]
	s_delay_alu instid0(VALU_DEP_1)
	v_add_f64 v[1:2], v[46:47], -v[1:2]
	scratch_store_b64 off, v[1:2], off offset:48
	v_cmpx_lt_u32_e32 5, v0
	s_cbranch_execz .LBB84_125
; %bb.124:
	scratch_load_b64 v[1:2], off, off offset:40
	v_mov_b32_e32 v46, 0
	s_delay_alu instid0(VALU_DEP_1)
	v_mov_b32_e32 v47, v46
	scratch_store_b64 off, v[46:47], off offset:40
	s_waitcnt vmcnt(0)
	ds_store_b64 v3, v[1:2]
.LBB84_125:
	s_or_b32 exec_lo, exec_lo, s0
	s_waitcnt lgkmcnt(0)
	s_waitcnt_vscnt null, 0x0
	s_barrier
	buffer_gl0_inv
	s_clause 0x4
	scratch_load_b128 v[46:49], off, off offset:40
	scratch_load_b128 v[50:53], off, off offset:56
	scratch_load_b128 v[54:57], off, off offset:72
	scratch_load_b128 v[58:61], off, off offset:88
	scratch_load_b128 v[62:65], off, off offset:104
	v_mov_b32_e32 v1, 0
	ds_load_b128 v[66:69], v1 offset:224
	ds_load_b128 v[70:73], v1 offset:240
	scratch_load_b128 v[74:77], off, off offset:120
	s_mov_b32 s0, exec_lo
	s_waitcnt vmcnt(5) lgkmcnt(1)
	v_fma_f64 v[48:49], v[48:49], v[66:67], 0
	s_waitcnt vmcnt(4)
	s_delay_alu instid0(VALU_DEP_1) | instskip(SKIP_1) | instid1(VALU_DEP_1)
	v_fma_f64 v[48:49], v[50:51], v[68:69], v[48:49]
	s_waitcnt lgkmcnt(0)
	v_fma_f64 v[52:53], v[52:53], v[70:71], v[48:49]
	scratch_load_b128 v[48:51], off, off offset:136
	s_waitcnt vmcnt(4)
	v_fma_f64 v[70:71], v[54:55], v[72:73], v[52:53]
	ds_load_b128 v[52:55], v1 offset:256
	ds_load_b128 v[66:69], v1 offset:272
	s_waitcnt lgkmcnt(1)
	v_fma_f64 v[52:53], v[56:57], v[52:53], v[70:71]
	scratch_load_b128 v[70:73], off, off offset:152
	s_waitcnt vmcnt(4)
	v_fma_f64 v[52:53], v[58:59], v[54:55], v[52:53]
	s_waitcnt lgkmcnt(0)
	s_delay_alu instid0(VALU_DEP_1) | instskip(SKIP_1) | instid1(VALU_DEP_1)
	v_fma_f64 v[52:53], v[60:61], v[66:67], v[52:53]
	s_waitcnt vmcnt(3)
	v_fma_f64 v[60:61], v[62:63], v[68:69], v[52:53]
	ds_load_b128 v[52:55], v1 offset:288
	ds_load_b128 v[56:59], v1 offset:304
	s_waitcnt lgkmcnt(1)
	v_fma_f64 v[52:53], v[64:65], v[52:53], v[60:61]
	s_waitcnt vmcnt(2)
	s_delay_alu instid0(VALU_DEP_1) | instskip(SKIP_1) | instid1(VALU_DEP_1)
	v_fma_f64 v[52:53], v[74:75], v[54:55], v[52:53]
	s_waitcnt lgkmcnt(0)
	v_fma_f64 v[52:53], v[76:77], v[56:57], v[52:53]
	s_waitcnt vmcnt(1)
	s_delay_alu instid0(VALU_DEP_1)
	v_fma_f64 v[48:49], v[48:49], v[58:59], v[52:53]
	ds_load_b128 v[52:55], v1 offset:320
	ds_load_b64 v[56:57], v1 offset:336
	s_waitcnt lgkmcnt(1)
	v_fma_f64 v[48:49], v[50:51], v[52:53], v[48:49]
	s_waitcnt vmcnt(0)
	s_delay_alu instid0(VALU_DEP_1) | instskip(SKIP_1) | instid1(VALU_DEP_1)
	v_fma_f64 v[48:49], v[70:71], v[54:55], v[48:49]
	s_waitcnt lgkmcnt(0)
	v_fma_f64 v[48:49], v[72:73], v[56:57], v[48:49]
	s_delay_alu instid0(VALU_DEP_1)
	v_add_f64 v[46:47], v[46:47], -v[48:49]
	scratch_store_b64 off, v[46:47], off offset:40
	v_cmpx_lt_u32_e32 4, v0
	s_cbranch_execz .LBB84_127
; %bb.126:
	scratch_load_b64 v[46:47], off, off offset:32
	v_mov_b32_e32 v2, v1
	scratch_store_b64 off, v[1:2], off offset:32
	s_waitcnt vmcnt(0)
	ds_store_b64 v3, v[46:47]
.LBB84_127:
	s_or_b32 exec_lo, exec_lo, s0
	s_waitcnt lgkmcnt(0)
	s_waitcnt_vscnt null, 0x0
	s_barrier
	buffer_gl0_inv
	s_clause 0x4
	scratch_load_b128 v[46:49], off, off offset:32
	scratch_load_b128 v[50:53], off, off offset:48
	;; [unrolled: 1-line block ×5, first 2 shown]
	ds_load_2addr_b64 v[66:69], v1 offset0:27 offset1:28
	ds_load_2addr_b64 v[70:73], v1 offset0:29 offset1:30
	scratch_load_b128 v[74:77], off, off offset:112
	s_mov_b32 s0, exec_lo
	s_waitcnt vmcnt(5) lgkmcnt(1)
	v_fma_f64 v[48:49], v[48:49], v[66:67], 0
	s_waitcnt vmcnt(4)
	s_delay_alu instid0(VALU_DEP_1) | instskip(SKIP_1) | instid1(VALU_DEP_1)
	v_fma_f64 v[48:49], v[50:51], v[68:69], v[48:49]
	s_waitcnt lgkmcnt(0)
	v_fma_f64 v[52:53], v[52:53], v[70:71], v[48:49]
	scratch_load_b128 v[48:51], off, off offset:128
	s_waitcnt vmcnt(4)
	v_fma_f64 v[70:71], v[54:55], v[72:73], v[52:53]
	ds_load_2addr_b64 v[52:55], v1 offset0:31 offset1:32
	ds_load_2addr_b64 v[66:69], v1 offset0:33 offset1:34
	s_waitcnt lgkmcnt(1)
	v_fma_f64 v[52:53], v[56:57], v[52:53], v[70:71]
	scratch_load_b128 v[70:73], off, off offset:144
	s_waitcnt vmcnt(4)
	v_fma_f64 v[52:53], v[58:59], v[54:55], v[52:53]
	s_waitcnt lgkmcnt(0)
	s_delay_alu instid0(VALU_DEP_1)
	v_fma_f64 v[52:53], v[60:61], v[66:67], v[52:53]
	scratch_load_b64 v[60:61], off, off offset:160
	s_waitcnt vmcnt(4)
	v_fma_f64 v[62:63], v[62:63], v[68:69], v[52:53]
	ds_load_2addr_b64 v[52:55], v1 offset0:35 offset1:36
	ds_load_2addr_b64 v[56:59], v1 offset0:37 offset1:38
	s_waitcnt lgkmcnt(1)
	v_fma_f64 v[52:53], v[64:65], v[52:53], v[62:63]
	s_waitcnt vmcnt(3)
	s_delay_alu instid0(VALU_DEP_1) | instskip(SKIP_1) | instid1(VALU_DEP_1)
	v_fma_f64 v[52:53], v[74:75], v[54:55], v[52:53]
	s_waitcnt lgkmcnt(0)
	v_fma_f64 v[52:53], v[76:77], v[56:57], v[52:53]
	s_waitcnt vmcnt(2)
	s_delay_alu instid0(VALU_DEP_1)
	v_fma_f64 v[48:49], v[48:49], v[58:59], v[52:53]
	ds_load_2addr_b64 v[52:55], v1 offset0:39 offset1:40
	ds_load_2addr_b64 v[56:59], v1 offset0:41 offset1:42
	s_waitcnt lgkmcnt(1)
	v_fma_f64 v[1:2], v[50:51], v[52:53], v[48:49]
	s_waitcnt vmcnt(1)
	s_delay_alu instid0(VALU_DEP_1) | instskip(SKIP_1) | instid1(VALU_DEP_1)
	v_fma_f64 v[1:2], v[70:71], v[54:55], v[1:2]
	s_waitcnt lgkmcnt(0)
	v_fma_f64 v[1:2], v[72:73], v[56:57], v[1:2]
	s_waitcnt vmcnt(0)
	s_delay_alu instid0(VALU_DEP_1) | instskip(NEXT) | instid1(VALU_DEP_1)
	v_fma_f64 v[1:2], v[60:61], v[58:59], v[1:2]
	v_add_f64 v[1:2], v[46:47], -v[1:2]
	scratch_store_b64 off, v[1:2], off offset:32
	v_cmpx_lt_u32_e32 3, v0
	s_cbranch_execz .LBB84_129
; %bb.128:
	scratch_load_b64 v[1:2], off, off offset:24
	v_mov_b32_e32 v46, 0
	s_delay_alu instid0(VALU_DEP_1)
	v_mov_b32_e32 v47, v46
	scratch_store_b64 off, v[46:47], off offset:24
	s_waitcnt vmcnt(0)
	ds_store_b64 v3, v[1:2]
.LBB84_129:
	s_or_b32 exec_lo, exec_lo, s0
	s_waitcnt lgkmcnt(0)
	s_waitcnt_vscnt null, 0x0
	s_barrier
	buffer_gl0_inv
	s_clause 0x4
	scratch_load_b128 v[46:49], off, off offset:24
	scratch_load_b128 v[50:53], off, off offset:40
	scratch_load_b128 v[54:57], off, off offset:56
	scratch_load_b128 v[58:61], off, off offset:72
	scratch_load_b128 v[62:65], off, off offset:88
	v_mov_b32_e32 v1, 0
	ds_load_b128 v[66:69], v1 offset:208
	ds_load_b128 v[70:73], v1 offset:224
	scratch_load_b128 v[74:77], off, off offset:104
	s_mov_b32 s0, exec_lo
	s_waitcnt vmcnt(5) lgkmcnt(1)
	v_fma_f64 v[48:49], v[48:49], v[66:67], 0
	s_waitcnt vmcnt(4)
	s_delay_alu instid0(VALU_DEP_1) | instskip(SKIP_1) | instid1(VALU_DEP_1)
	v_fma_f64 v[48:49], v[50:51], v[68:69], v[48:49]
	s_waitcnt lgkmcnt(0)
	v_fma_f64 v[52:53], v[52:53], v[70:71], v[48:49]
	scratch_load_b128 v[48:51], off, off offset:120
	s_waitcnt vmcnt(4)
	v_fma_f64 v[70:71], v[54:55], v[72:73], v[52:53]
	ds_load_b128 v[52:55], v1 offset:240
	ds_load_b128 v[66:69], v1 offset:256
	s_waitcnt lgkmcnt(1)
	v_fma_f64 v[52:53], v[56:57], v[52:53], v[70:71]
	scratch_load_b128 v[70:73], off, off offset:136
	s_waitcnt vmcnt(4)
	v_fma_f64 v[52:53], v[58:59], v[54:55], v[52:53]
	s_waitcnt lgkmcnt(0)
	s_delay_alu instid0(VALU_DEP_1)
	v_fma_f64 v[56:57], v[60:61], v[66:67], v[52:53]
	scratch_load_b128 v[52:55], off, off offset:152
	s_waitcnt vmcnt(4)
	v_fma_f64 v[66:67], v[62:63], v[68:69], v[56:57]
	ds_load_b128 v[56:59], v1 offset:272
	ds_load_b128 v[60:63], v1 offset:288
	s_waitcnt lgkmcnt(1)
	v_fma_f64 v[56:57], v[64:65], v[56:57], v[66:67]
	s_waitcnt vmcnt(3)
	s_delay_alu instid0(VALU_DEP_1) | instskip(SKIP_1) | instid1(VALU_DEP_1)
	v_fma_f64 v[56:57], v[74:75], v[58:59], v[56:57]
	s_waitcnt lgkmcnt(0)
	v_fma_f64 v[56:57], v[76:77], v[60:61], v[56:57]
	s_waitcnt vmcnt(2)
	s_delay_alu instid0(VALU_DEP_1)
	v_fma_f64 v[48:49], v[48:49], v[62:63], v[56:57]
	ds_load_b128 v[56:59], v1 offset:304
	ds_load_b128 v[60:63], v1 offset:320
	s_waitcnt lgkmcnt(1)
	v_fma_f64 v[48:49], v[50:51], v[56:57], v[48:49]
	ds_load_b64 v[50:51], v1 offset:336
	s_waitcnt vmcnt(1)
	v_fma_f64 v[48:49], v[70:71], v[58:59], v[48:49]
	s_waitcnt lgkmcnt(1)
	s_delay_alu instid0(VALU_DEP_1) | instskip(SKIP_1) | instid1(VALU_DEP_1)
	v_fma_f64 v[48:49], v[72:73], v[60:61], v[48:49]
	s_waitcnt vmcnt(0)
	v_fma_f64 v[48:49], v[52:53], v[62:63], v[48:49]
	s_waitcnt lgkmcnt(0)
	s_delay_alu instid0(VALU_DEP_1) | instskip(NEXT) | instid1(VALU_DEP_1)
	v_fma_f64 v[48:49], v[54:55], v[50:51], v[48:49]
	v_add_f64 v[46:47], v[46:47], -v[48:49]
	scratch_store_b64 off, v[46:47], off offset:24
	v_cmpx_lt_u32_e32 2, v0
	s_cbranch_execz .LBB84_131
; %bb.130:
	scratch_load_b64 v[46:47], off, off offset:16
	v_mov_b32_e32 v2, v1
	scratch_store_b64 off, v[1:2], off offset:16
	s_waitcnt vmcnt(0)
	ds_store_b64 v3, v[46:47]
.LBB84_131:
	s_or_b32 exec_lo, exec_lo, s0
	s_waitcnt lgkmcnt(0)
	s_waitcnt_vscnt null, 0x0
	s_barrier
	buffer_gl0_inv
	s_clause 0x4
	scratch_load_b128 v[46:49], off, off offset:16
	scratch_load_b128 v[50:53], off, off offset:32
	;; [unrolled: 1-line block ×5, first 2 shown]
	ds_load_2addr_b64 v[66:69], v1 offset0:25 offset1:26
	ds_load_2addr_b64 v[70:73], v1 offset0:27 offset1:28
	scratch_load_b128 v[74:77], off, off offset:96
	s_mov_b32 s0, exec_lo
	s_waitcnt vmcnt(5) lgkmcnt(1)
	v_fma_f64 v[48:49], v[48:49], v[66:67], 0
	s_waitcnt vmcnt(4)
	s_delay_alu instid0(VALU_DEP_1) | instskip(SKIP_1) | instid1(VALU_DEP_1)
	v_fma_f64 v[48:49], v[50:51], v[68:69], v[48:49]
	s_waitcnt lgkmcnt(0)
	v_fma_f64 v[52:53], v[52:53], v[70:71], v[48:49]
	scratch_load_b128 v[48:51], off, off offset:112
	s_waitcnt vmcnt(4)
	v_fma_f64 v[70:71], v[54:55], v[72:73], v[52:53]
	ds_load_2addr_b64 v[52:55], v1 offset0:29 offset1:30
	ds_load_2addr_b64 v[66:69], v1 offset0:31 offset1:32
	s_waitcnt lgkmcnt(1)
	v_fma_f64 v[52:53], v[56:57], v[52:53], v[70:71]
	scratch_load_b128 v[70:73], off, off offset:128
	s_waitcnt vmcnt(4)
	v_fma_f64 v[52:53], v[58:59], v[54:55], v[52:53]
	s_waitcnt lgkmcnt(0)
	s_delay_alu instid0(VALU_DEP_1)
	v_fma_f64 v[56:57], v[60:61], v[66:67], v[52:53]
	scratch_load_b128 v[52:55], off, off offset:144
	s_waitcnt vmcnt(4)
	v_fma_f64 v[66:67], v[62:63], v[68:69], v[56:57]
	ds_load_2addr_b64 v[56:59], v1 offset0:33 offset1:34
	ds_load_2addr_b64 v[60:63], v1 offset0:35 offset1:36
	s_waitcnt lgkmcnt(1)
	v_fma_f64 v[56:57], v[64:65], v[56:57], v[66:67]
	scratch_load_b64 v[64:65], off, off offset:160
	s_waitcnt vmcnt(4)
	v_fma_f64 v[56:57], v[74:75], v[58:59], v[56:57]
	s_waitcnt lgkmcnt(0)
	s_delay_alu instid0(VALU_DEP_1) | instskip(SKIP_1) | instid1(VALU_DEP_1)
	v_fma_f64 v[56:57], v[76:77], v[60:61], v[56:57]
	s_waitcnt vmcnt(3)
	v_fma_f64 v[48:49], v[48:49], v[62:63], v[56:57]
	ds_load_2addr_b64 v[56:59], v1 offset0:37 offset1:38
	ds_load_2addr_b64 v[60:63], v1 offset0:39 offset1:40
	s_waitcnt lgkmcnt(1)
	v_fma_f64 v[48:49], v[50:51], v[56:57], v[48:49]
	s_waitcnt vmcnt(2)
	s_delay_alu instid0(VALU_DEP_1) | instskip(SKIP_1) | instid1(VALU_DEP_1)
	v_fma_f64 v[48:49], v[70:71], v[58:59], v[48:49]
	s_waitcnt lgkmcnt(0)
	v_fma_f64 v[48:49], v[72:73], v[60:61], v[48:49]
	s_waitcnt vmcnt(1)
	s_delay_alu instid0(VALU_DEP_1) | instskip(SKIP_4) | instid1(VALU_DEP_1)
	v_fma_f64 v[52:53], v[52:53], v[62:63], v[48:49]
	ds_load_2addr_b64 v[48:51], v1 offset0:41 offset1:42
	s_waitcnt lgkmcnt(0)
	v_fma_f64 v[1:2], v[54:55], v[48:49], v[52:53]
	s_waitcnt vmcnt(0)
	v_fma_f64 v[1:2], v[64:65], v[50:51], v[1:2]
	s_delay_alu instid0(VALU_DEP_1)
	v_add_f64 v[1:2], v[46:47], -v[1:2]
	scratch_store_b64 off, v[1:2], off offset:16
	v_cmpx_lt_u32_e32 1, v0
	s_cbranch_execz .LBB84_133
; %bb.132:
	scratch_load_b64 v[1:2], off, off offset:8
	v_mov_b32_e32 v46, 0
	s_delay_alu instid0(VALU_DEP_1)
	v_mov_b32_e32 v47, v46
	scratch_store_b64 off, v[46:47], off offset:8
	s_waitcnt vmcnt(0)
	ds_store_b64 v3, v[1:2]
.LBB84_133:
	s_or_b32 exec_lo, exec_lo, s0
	s_waitcnt lgkmcnt(0)
	s_waitcnt_vscnt null, 0x0
	s_barrier
	buffer_gl0_inv
	s_clause 0x4
	scratch_load_b128 v[47:50], off, off offset:8
	scratch_load_b128 v[51:54], off, off offset:24
	;; [unrolled: 1-line block ×5, first 2 shown]
	v_mov_b32_e32 v46, 0
	ds_load_b128 v[67:70], v46 offset:192
	ds_load_b128 v[71:74], v46 offset:208
	scratch_load_b128 v[75:78], off, off offset:88
	s_mov_b32 s0, exec_lo
	s_waitcnt vmcnt(5) lgkmcnt(1)
	v_fma_f64 v[1:2], v[49:50], v[67:68], 0
	s_waitcnt vmcnt(4)
	s_delay_alu instid0(VALU_DEP_1) | instskip(SKIP_4) | instid1(VALU_DEP_1)
	v_fma_f64 v[1:2], v[51:52], v[69:70], v[1:2]
	scratch_load_b128 v[49:52], off, off offset:104
	s_waitcnt lgkmcnt(0)
	v_fma_f64 v[1:2], v[53:54], v[71:72], v[1:2]
	s_waitcnt vmcnt(4)
	v_fma_f64 v[1:2], v[55:56], v[73:74], v[1:2]
	ds_load_b128 v[53:56], v46 offset:224
	ds_load_b128 v[67:70], v46 offset:240
	scratch_load_b128 v[71:74], off, off offset:120
	s_waitcnt lgkmcnt(1)
	v_fma_f64 v[1:2], v[57:58], v[53:54], v[1:2]
	s_waitcnt vmcnt(4)
	s_delay_alu instid0(VALU_DEP_1) | instskip(SKIP_4) | instid1(VALU_DEP_1)
	v_fma_f64 v[1:2], v[59:60], v[55:56], v[1:2]
	scratch_load_b128 v[53:56], off, off offset:136
	s_waitcnt lgkmcnt(0)
	v_fma_f64 v[1:2], v[61:62], v[67:68], v[1:2]
	s_waitcnt vmcnt(4)
	v_fma_f64 v[1:2], v[63:64], v[69:70], v[1:2]
	ds_load_b128 v[57:60], v46 offset:256
	ds_load_b128 v[61:64], v46 offset:272
	s_waitcnt lgkmcnt(1)
	v_fma_f64 v[1:2], v[65:66], v[57:58], v[1:2]
	scratch_load_b128 v[65:68], off, off offset:152
	s_waitcnt vmcnt(4)
	v_fma_f64 v[1:2], v[75:76], v[59:60], v[1:2]
	s_waitcnt lgkmcnt(0)
	s_delay_alu instid0(VALU_DEP_1) | instskip(SKIP_1) | instid1(VALU_DEP_1)
	v_fma_f64 v[1:2], v[77:78], v[61:62], v[1:2]
	s_waitcnt vmcnt(3)
	v_fma_f64 v[1:2], v[49:50], v[63:64], v[1:2]
	ds_load_b128 v[57:60], v46 offset:288
	ds_load_b128 v[61:64], v46 offset:304
	s_waitcnt lgkmcnt(1)
	v_fma_f64 v[1:2], v[51:52], v[57:58], v[1:2]
	s_waitcnt vmcnt(2)
	s_delay_alu instid0(VALU_DEP_1) | instskip(SKIP_1) | instid1(VALU_DEP_1)
	v_fma_f64 v[1:2], v[71:72], v[59:60], v[1:2]
	s_waitcnt lgkmcnt(0)
	v_fma_f64 v[1:2], v[73:74], v[61:62], v[1:2]
	s_waitcnt vmcnt(1)
	s_delay_alu instid0(VALU_DEP_1)
	v_fma_f64 v[1:2], v[53:54], v[63:64], v[1:2]
	ds_load_b128 v[49:52], v46 offset:320
	ds_load_b64 v[53:54], v46 offset:336
	s_waitcnt lgkmcnt(1)
	v_fma_f64 v[1:2], v[55:56], v[49:50], v[1:2]
	s_waitcnt vmcnt(0)
	s_delay_alu instid0(VALU_DEP_1) | instskip(SKIP_1) | instid1(VALU_DEP_1)
	v_fma_f64 v[1:2], v[65:66], v[51:52], v[1:2]
	s_waitcnt lgkmcnt(0)
	v_fma_f64 v[1:2], v[67:68], v[53:54], v[1:2]
	s_delay_alu instid0(VALU_DEP_1)
	v_add_f64 v[1:2], v[47:48], -v[1:2]
	scratch_store_b64 off, v[1:2], off offset:8
	v_cmpx_ne_u32_e32 0, v0
	s_cbranch_execz .LBB84_135
; %bb.134:
	scratch_load_b64 v[0:1], off, off
	v_mov_b32_e32 v47, v46
	scratch_store_b64 off, v[46:47], off
	s_waitcnt vmcnt(0)
	ds_store_b64 v3, v[0:1]
.LBB84_135:
	s_or_b32 exec_lo, exec_lo, s0
	s_waitcnt lgkmcnt(0)
	s_waitcnt_vscnt null, 0x0
	s_barrier
	buffer_gl0_inv
	s_clause 0x4
	scratch_load_b128 v[47:50], off, off
	scratch_load_b128 v[0:3], off, off offset:16
	scratch_load_b128 v[51:54], off, off offset:32
	;; [unrolled: 1-line block ×4, first 2 shown]
	ds_load_2addr_b64 v[63:66], v46 offset0:23 offset1:24
	ds_load_2addr_b64 v[67:70], v46 offset0:25 offset1:26
	scratch_load_b128 v[71:74], off, off offset:80
	s_and_b32 vcc_lo, exec_lo, s12
	s_waitcnt vmcnt(5) lgkmcnt(1)
	v_fma_f64 v[49:50], v[49:50], v[63:64], 0
	s_waitcnt vmcnt(4)
	s_delay_alu instid0(VALU_DEP_1) | instskip(SKIP_4) | instid1(VALU_DEP_1)
	v_fma_f64 v[0:1], v[0:1], v[65:66], v[49:50]
	scratch_load_b128 v[63:66], off, off offset:96
	s_waitcnt lgkmcnt(0)
	v_fma_f64 v[0:1], v[2:3], v[67:68], v[0:1]
	s_waitcnt vmcnt(4)
	v_fma_f64 v[67:68], v[51:52], v[69:70], v[0:1]
	ds_load_2addr_b64 v[0:3], v46 offset0:27 offset1:28
	ds_load_2addr_b64 v[49:52], v46 offset0:29 offset1:30
	s_waitcnt lgkmcnt(1)
	v_fma_f64 v[0:1], v[53:54], v[0:1], v[67:68]
	scratch_load_b128 v[67:70], off, off offset:112
	s_waitcnt vmcnt(4)
	v_fma_f64 v[0:1], v[55:56], v[2:3], v[0:1]
	scratch_load_b128 v[53:56], off, off offset:128
	s_waitcnt lgkmcnt(0)
	v_fma_f64 v[0:1], v[57:58], v[49:50], v[0:1]
	s_waitcnt vmcnt(4)
	s_delay_alu instid0(VALU_DEP_1)
	v_fma_f64 v[0:1], v[59:60], v[51:52], v[0:1]
	ds_load_2addr_b64 v[49:52], v46 offset0:31 offset1:32
	ds_load_2addr_b64 v[57:60], v46 offset0:33 offset1:34
	s_waitcnt lgkmcnt(1)
	v_fma_f64 v[49:50], v[61:62], v[49:50], v[0:1]
	s_clause 0x1
	scratch_load_b128 v[0:3], off, off offset:144
	scratch_load_b64 v[61:62], off, off offset:160
	s_waitcnt vmcnt(5)
	v_fma_f64 v[49:50], v[71:72], v[51:52], v[49:50]
	s_waitcnt lgkmcnt(0)
	s_delay_alu instid0(VALU_DEP_1) | instskip(SKIP_1) | instid1(VALU_DEP_1)
	v_fma_f64 v[49:50], v[73:74], v[57:58], v[49:50]
	s_waitcnt vmcnt(4)
	v_fma_f64 v[63:64], v[63:64], v[59:60], v[49:50]
	ds_load_2addr_b64 v[49:52], v46 offset0:35 offset1:36
	ds_load_2addr_b64 v[57:60], v46 offset0:37 offset1:38
	s_waitcnt lgkmcnt(1)
	v_fma_f64 v[49:50], v[65:66], v[49:50], v[63:64]
	s_waitcnt vmcnt(3)
	s_delay_alu instid0(VALU_DEP_1) | instskip(SKIP_1) | instid1(VALU_DEP_1)
	v_fma_f64 v[49:50], v[67:68], v[51:52], v[49:50]
	s_waitcnt lgkmcnt(0)
	v_fma_f64 v[49:50], v[69:70], v[57:58], v[49:50]
	s_waitcnt vmcnt(2)
	s_delay_alu instid0(VALU_DEP_1)
	v_fma_f64 v[53:54], v[53:54], v[59:60], v[49:50]
	ds_load_2addr_b64 v[49:52], v46 offset0:39 offset1:40
	ds_load_2addr_b64 v[57:60], v46 offset0:41 offset1:42
	s_waitcnt lgkmcnt(1)
	v_fma_f64 v[49:50], v[55:56], v[49:50], v[53:54]
	s_waitcnt vmcnt(1)
	s_delay_alu instid0(VALU_DEP_1) | instskip(SKIP_1) | instid1(VALU_DEP_1)
	v_fma_f64 v[0:1], v[0:1], v[51:52], v[49:50]
	s_waitcnt lgkmcnt(0)
	v_fma_f64 v[0:1], v[2:3], v[57:58], v[0:1]
	s_waitcnt vmcnt(0)
	s_delay_alu instid0(VALU_DEP_1) | instskip(NEXT) | instid1(VALU_DEP_1)
	v_fma_f64 v[0:1], v[61:62], v[59:60], v[0:1]
	v_add_f64 v[0:1], v[47:48], -v[0:1]
	scratch_store_b64 off, v[0:1], off
	s_cbranch_vccz .LBB84_177
; %bb.136:
	v_dual_mov_b32 v0, s2 :: v_dual_mov_b32 v1, s3
	s_mov_b32 s0, exec_lo
	flat_load_b32 v0, v[0:1] offset:76
	s_waitcnt vmcnt(0) lgkmcnt(0)
	v_cmpx_ne_u32_e32 20, v0
	s_cbranch_execz .LBB84_138
; %bb.137:
	v_lshl_add_u32 v46, v0, 3, 0
	scratch_load_b64 v[0:1], v46, off offset:-8
	s_waitcnt vmcnt(0)
	scratch_store_b64 off, v[0:1], off offset:152
	scratch_store_b64 v46, v[2:3], off offset:-8
.LBB84_138:
	s_or_b32 exec_lo, exec_lo, s0
	v_dual_mov_b32 v0, s2 :: v_dual_mov_b32 v1, s3
	s_mov_b32 s0, exec_lo
	flat_load_b32 v0, v[0:1] offset:72
	s_waitcnt vmcnt(0) lgkmcnt(0)
	v_cmpx_ne_u32_e32 19, v0
	s_cbranch_execz .LBB84_140
; %bb.139:
	v_lshl_add_u32 v46, v0, 3, 0
	scratch_load_b64 v[0:1], v46, off offset:-8
	scratch_load_b64 v[2:3], off, off offset:144
	s_waitcnt vmcnt(1)
	scratch_store_b64 off, v[0:1], off offset:144
	s_waitcnt vmcnt(0)
	scratch_store_b64 v46, v[2:3], off offset:-8
.LBB84_140:
	s_or_b32 exec_lo, exec_lo, s0
	v_dual_mov_b32 v0, s2 :: v_dual_mov_b32 v1, s3
	s_mov_b32 s0, exec_lo
	flat_load_b32 v0, v[0:1] offset:68
	s_waitcnt vmcnt(0) lgkmcnt(0)
	v_cmpx_ne_u32_e32 18, v0
	s_cbranch_execz .LBB84_142
; %bb.141:
	v_lshl_add_u32 v46, v0, 3, 0
	scratch_load_b64 v[0:1], v46, off offset:-8
	scratch_load_b64 v[2:3], off, off offset:136
	s_waitcnt vmcnt(1)
	scratch_store_b64 off, v[0:1], off offset:136
	s_waitcnt vmcnt(0)
	scratch_store_b64 v46, v[2:3], off offset:-8
.LBB84_142:
	s_or_b32 exec_lo, exec_lo, s0
	v_dual_mov_b32 v0, s2 :: v_dual_mov_b32 v1, s3
	s_mov_b32 s0, exec_lo
	flat_load_b32 v0, v[0:1] offset:64
	s_waitcnt vmcnt(0) lgkmcnt(0)
	v_cmpx_ne_u32_e32 17, v0
	s_cbranch_execz .LBB84_144
; %bb.143:
	v_lshl_add_u32 v46, v0, 3, 0
	scratch_load_b64 v[0:1], v46, off offset:-8
	scratch_load_b64 v[2:3], off, off offset:128
	s_waitcnt vmcnt(1)
	scratch_store_b64 off, v[0:1], off offset:128
	s_waitcnt vmcnt(0)
	scratch_store_b64 v46, v[2:3], off offset:-8
.LBB84_144:
	s_or_b32 exec_lo, exec_lo, s0
	v_dual_mov_b32 v0, s2 :: v_dual_mov_b32 v1, s3
	s_mov_b32 s0, exec_lo
	flat_load_b32 v0, v[0:1] offset:60
	s_waitcnt vmcnt(0) lgkmcnt(0)
	v_cmpx_ne_u32_e32 16, v0
	s_cbranch_execz .LBB84_146
; %bb.145:
	v_lshl_add_u32 v46, v0, 3, 0
	scratch_load_b64 v[0:1], v46, off offset:-8
	scratch_load_b64 v[2:3], off, off offset:120
	s_waitcnt vmcnt(1)
	scratch_store_b64 off, v[0:1], off offset:120
	s_waitcnt vmcnt(0)
	scratch_store_b64 v46, v[2:3], off offset:-8
.LBB84_146:
	s_or_b32 exec_lo, exec_lo, s0
	v_dual_mov_b32 v0, s2 :: v_dual_mov_b32 v1, s3
	s_mov_b32 s0, exec_lo
	flat_load_b32 v0, v[0:1] offset:56
	s_waitcnt vmcnt(0) lgkmcnt(0)
	v_cmpx_ne_u32_e32 15, v0
	s_cbranch_execz .LBB84_148
; %bb.147:
	v_lshl_add_u32 v46, v0, 3, 0
	scratch_load_b64 v[0:1], v46, off offset:-8
	scratch_load_b64 v[2:3], off, off offset:112
	s_waitcnt vmcnt(1)
	scratch_store_b64 off, v[0:1], off offset:112
	s_waitcnt vmcnt(0)
	scratch_store_b64 v46, v[2:3], off offset:-8
.LBB84_148:
	s_or_b32 exec_lo, exec_lo, s0
	v_dual_mov_b32 v0, s2 :: v_dual_mov_b32 v1, s3
	s_mov_b32 s0, exec_lo
	flat_load_b32 v0, v[0:1] offset:52
	s_waitcnt vmcnt(0) lgkmcnt(0)
	v_cmpx_ne_u32_e32 14, v0
	s_cbranch_execz .LBB84_150
; %bb.149:
	v_lshl_add_u32 v46, v0, 3, 0
	scratch_load_b64 v[0:1], v46, off offset:-8
	scratch_load_b64 v[2:3], off, off offset:104
	s_waitcnt vmcnt(1)
	scratch_store_b64 off, v[0:1], off offset:104
	s_waitcnt vmcnt(0)
	scratch_store_b64 v46, v[2:3], off offset:-8
.LBB84_150:
	s_or_b32 exec_lo, exec_lo, s0
	v_dual_mov_b32 v0, s2 :: v_dual_mov_b32 v1, s3
	s_mov_b32 s0, exec_lo
	flat_load_b32 v0, v[0:1] offset:48
	s_waitcnt vmcnt(0) lgkmcnt(0)
	v_cmpx_ne_u32_e32 13, v0
	s_cbranch_execz .LBB84_152
; %bb.151:
	v_lshl_add_u32 v46, v0, 3, 0
	scratch_load_b64 v[0:1], v46, off offset:-8
	scratch_load_b64 v[2:3], off, off offset:96
	s_waitcnt vmcnt(1)
	scratch_store_b64 off, v[0:1], off offset:96
	s_waitcnt vmcnt(0)
	scratch_store_b64 v46, v[2:3], off offset:-8
.LBB84_152:
	s_or_b32 exec_lo, exec_lo, s0
	v_dual_mov_b32 v0, s2 :: v_dual_mov_b32 v1, s3
	s_mov_b32 s0, exec_lo
	flat_load_b32 v0, v[0:1] offset:44
	s_waitcnt vmcnt(0) lgkmcnt(0)
	v_cmpx_ne_u32_e32 12, v0
	s_cbranch_execz .LBB84_154
; %bb.153:
	v_lshl_add_u32 v46, v0, 3, 0
	scratch_load_b64 v[0:1], v46, off offset:-8
	scratch_load_b64 v[2:3], off, off offset:88
	s_waitcnt vmcnt(1)
	scratch_store_b64 off, v[0:1], off offset:88
	s_waitcnt vmcnt(0)
	scratch_store_b64 v46, v[2:3], off offset:-8
.LBB84_154:
	s_or_b32 exec_lo, exec_lo, s0
	v_dual_mov_b32 v0, s2 :: v_dual_mov_b32 v1, s3
	s_mov_b32 s0, exec_lo
	flat_load_b32 v0, v[0:1] offset:40
	s_waitcnt vmcnt(0) lgkmcnt(0)
	v_cmpx_ne_u32_e32 11, v0
	s_cbranch_execz .LBB84_156
; %bb.155:
	v_lshl_add_u32 v46, v0, 3, 0
	scratch_load_b64 v[0:1], v46, off offset:-8
	scratch_load_b64 v[2:3], off, off offset:80
	s_waitcnt vmcnt(1)
	scratch_store_b64 off, v[0:1], off offset:80
	s_waitcnt vmcnt(0)
	scratch_store_b64 v46, v[2:3], off offset:-8
.LBB84_156:
	s_or_b32 exec_lo, exec_lo, s0
	v_dual_mov_b32 v0, s2 :: v_dual_mov_b32 v1, s3
	s_mov_b32 s0, exec_lo
	flat_load_b32 v0, v[0:1] offset:36
	s_waitcnt vmcnt(0) lgkmcnt(0)
	v_cmpx_ne_u32_e32 10, v0
	s_cbranch_execz .LBB84_158
; %bb.157:
	v_lshl_add_u32 v46, v0, 3, 0
	scratch_load_b64 v[0:1], v46, off offset:-8
	scratch_load_b64 v[2:3], off, off offset:72
	s_waitcnt vmcnt(1)
	scratch_store_b64 off, v[0:1], off offset:72
	s_waitcnt vmcnt(0)
	scratch_store_b64 v46, v[2:3], off offset:-8
.LBB84_158:
	s_or_b32 exec_lo, exec_lo, s0
	v_dual_mov_b32 v0, s2 :: v_dual_mov_b32 v1, s3
	s_mov_b32 s0, exec_lo
	flat_load_b32 v0, v[0:1] offset:32
	s_waitcnt vmcnt(0) lgkmcnt(0)
	v_cmpx_ne_u32_e32 9, v0
	s_cbranch_execz .LBB84_160
; %bb.159:
	v_lshl_add_u32 v46, v0, 3, 0
	scratch_load_b64 v[0:1], v46, off offset:-8
	scratch_load_b64 v[2:3], off, off offset:64
	s_waitcnt vmcnt(1)
	scratch_store_b64 off, v[0:1], off offset:64
	s_waitcnt vmcnt(0)
	scratch_store_b64 v46, v[2:3], off offset:-8
.LBB84_160:
	s_or_b32 exec_lo, exec_lo, s0
	v_dual_mov_b32 v0, s2 :: v_dual_mov_b32 v1, s3
	s_mov_b32 s0, exec_lo
	flat_load_b32 v0, v[0:1] offset:28
	s_waitcnt vmcnt(0) lgkmcnt(0)
	v_cmpx_ne_u32_e32 8, v0
	s_cbranch_execz .LBB84_162
; %bb.161:
	v_lshl_add_u32 v46, v0, 3, 0
	scratch_load_b64 v[0:1], v46, off offset:-8
	scratch_load_b64 v[2:3], off, off offset:56
	s_waitcnt vmcnt(1)
	scratch_store_b64 off, v[0:1], off offset:56
	s_waitcnt vmcnt(0)
	scratch_store_b64 v46, v[2:3], off offset:-8
.LBB84_162:
	s_or_b32 exec_lo, exec_lo, s0
	v_dual_mov_b32 v0, s2 :: v_dual_mov_b32 v1, s3
	s_mov_b32 s0, exec_lo
	flat_load_b32 v0, v[0:1] offset:24
	s_waitcnt vmcnt(0) lgkmcnt(0)
	v_cmpx_ne_u32_e32 7, v0
	s_cbranch_execz .LBB84_164
; %bb.163:
	v_lshl_add_u32 v46, v0, 3, 0
	scratch_load_b64 v[0:1], v46, off offset:-8
	scratch_load_b64 v[2:3], off, off offset:48
	s_waitcnt vmcnt(1)
	scratch_store_b64 off, v[0:1], off offset:48
	s_waitcnt vmcnt(0)
	scratch_store_b64 v46, v[2:3], off offset:-8
.LBB84_164:
	s_or_b32 exec_lo, exec_lo, s0
	v_dual_mov_b32 v0, s2 :: v_dual_mov_b32 v1, s3
	s_mov_b32 s0, exec_lo
	flat_load_b32 v0, v[0:1] offset:20
	s_waitcnt vmcnt(0) lgkmcnt(0)
	v_cmpx_ne_u32_e32 6, v0
	s_cbranch_execz .LBB84_166
; %bb.165:
	v_lshl_add_u32 v46, v0, 3, 0
	scratch_load_b64 v[0:1], v46, off offset:-8
	scratch_load_b64 v[2:3], off, off offset:40
	s_waitcnt vmcnt(1)
	scratch_store_b64 off, v[0:1], off offset:40
	s_waitcnt vmcnt(0)
	scratch_store_b64 v46, v[2:3], off offset:-8
.LBB84_166:
	s_or_b32 exec_lo, exec_lo, s0
	v_dual_mov_b32 v0, s2 :: v_dual_mov_b32 v1, s3
	s_mov_b32 s0, exec_lo
	flat_load_b32 v0, v[0:1] offset:16
	s_waitcnt vmcnt(0) lgkmcnt(0)
	v_cmpx_ne_u32_e32 5, v0
	s_cbranch_execz .LBB84_168
; %bb.167:
	v_lshl_add_u32 v46, v0, 3, 0
	scratch_load_b64 v[0:1], v46, off offset:-8
	scratch_load_b64 v[2:3], off, off offset:32
	s_waitcnt vmcnt(1)
	scratch_store_b64 off, v[0:1], off offset:32
	s_waitcnt vmcnt(0)
	scratch_store_b64 v46, v[2:3], off offset:-8
.LBB84_168:
	s_or_b32 exec_lo, exec_lo, s0
	v_dual_mov_b32 v0, s2 :: v_dual_mov_b32 v1, s3
	s_mov_b32 s0, exec_lo
	flat_load_b32 v0, v[0:1] offset:12
	s_waitcnt vmcnt(0) lgkmcnt(0)
	v_cmpx_ne_u32_e32 4, v0
	s_cbranch_execz .LBB84_170
; %bb.169:
	v_lshl_add_u32 v46, v0, 3, 0
	scratch_load_b64 v[0:1], v46, off offset:-8
	scratch_load_b64 v[2:3], off, off offset:24
	s_waitcnt vmcnt(1)
	scratch_store_b64 off, v[0:1], off offset:24
	s_waitcnt vmcnt(0)
	scratch_store_b64 v46, v[2:3], off offset:-8
.LBB84_170:
	s_or_b32 exec_lo, exec_lo, s0
	v_dual_mov_b32 v0, s2 :: v_dual_mov_b32 v1, s3
	s_mov_b32 s0, exec_lo
	flat_load_b32 v0, v[0:1] offset:8
	s_waitcnt vmcnt(0) lgkmcnt(0)
	v_cmpx_ne_u32_e32 3, v0
	s_cbranch_execz .LBB84_172
; %bb.171:
	v_lshl_add_u32 v46, v0, 3, 0
	scratch_load_b64 v[0:1], v46, off offset:-8
	scratch_load_b64 v[2:3], off, off offset:16
	s_waitcnt vmcnt(1)
	scratch_store_b64 off, v[0:1], off offset:16
	s_waitcnt vmcnt(0)
	scratch_store_b64 v46, v[2:3], off offset:-8
.LBB84_172:
	s_or_b32 exec_lo, exec_lo, s0
	v_dual_mov_b32 v0, s2 :: v_dual_mov_b32 v1, s3
	s_mov_b32 s0, exec_lo
	flat_load_b32 v0, v[0:1] offset:4
	s_waitcnt vmcnt(0) lgkmcnt(0)
	v_cmpx_ne_u32_e32 2, v0
	s_cbranch_execz .LBB84_174
; %bb.173:
	v_lshl_add_u32 v46, v0, 3, 0
	scratch_load_b64 v[0:1], v46, off offset:-8
	scratch_load_b64 v[2:3], off, off offset:8
	s_waitcnt vmcnt(1)
	scratch_store_b64 off, v[0:1], off offset:8
	s_waitcnt vmcnt(0)
	scratch_store_b64 v46, v[2:3], off offset:-8
.LBB84_174:
	s_or_b32 exec_lo, exec_lo, s0
	v_dual_mov_b32 v0, s2 :: v_dual_mov_b32 v1, s3
	s_mov_b32 s0, exec_lo
	flat_load_b32 v2, v[0:1]
	scratch_load_b64 v[0:1], off, off
	s_waitcnt vmcnt(1) lgkmcnt(0)
	v_cmpx_ne_u32_e32 1, v2
	s_cbranch_execz .LBB84_176
; %bb.175:
	v_lshl_add_u32 v46, v2, 3, 0
	scratch_load_b64 v[2:3], v46, off offset:-8
	s_waitcnt vmcnt(0)
	scratch_store_b64 off, v[2:3], off
	scratch_store_b64 v46, v[0:1], off offset:-8
	scratch_load_b64 v[0:1], off, off
.LBB84_176:
	s_or_b32 exec_lo, exec_lo, s0
.LBB84_177:
	s_clause 0x9
	scratch_load_b128 v[46:49], off, off offset:8
	scratch_load_b128 v[50:53], off, off offset:24
	;; [unrolled: 1-line block ×10, first 2 shown]
	s_waitcnt vmcnt(10)
	global_store_b64 v[4:5], v[0:1], off
	s_waitcnt vmcnt(9)
	s_clause 0x1
	global_store_b64 v[6:7], v[46:47], off
	global_store_b64 v[8:9], v[48:49], off
	s_waitcnt vmcnt(8)
	s_clause 0x1
	global_store_b64 v[10:11], v[50:51], off
	;; [unrolled: 4-line block ×10, first 2 shown]
	global_store_b64 v[42:43], v[84:85], off
	s_endpgm
	.section	.rodata,"a",@progbits
	.p2align	6, 0x0
	.amdhsa_kernel _ZN9rocsolver6v33100L18getri_kernel_smallILi21EdPKPdEEvT1_iilPiilS6_bb
		.amdhsa_group_segment_fixed_size 344
		.amdhsa_private_segment_fixed_size 176
		.amdhsa_kernarg_size 60
		.amdhsa_user_sgpr_count 15
		.amdhsa_user_sgpr_dispatch_ptr 0
		.amdhsa_user_sgpr_queue_ptr 0
		.amdhsa_user_sgpr_kernarg_segment_ptr 1
		.amdhsa_user_sgpr_dispatch_id 0
		.amdhsa_user_sgpr_private_segment_size 0
		.amdhsa_wavefront_size32 1
		.amdhsa_uses_dynamic_stack 0
		.amdhsa_enable_private_segment 1
		.amdhsa_system_sgpr_workgroup_id_x 1
		.amdhsa_system_sgpr_workgroup_id_y 0
		.amdhsa_system_sgpr_workgroup_id_z 0
		.amdhsa_system_sgpr_workgroup_info 0
		.amdhsa_system_vgpr_workitem_id 0
		.amdhsa_next_free_vgpr 86
		.amdhsa_next_free_sgpr 17
		.amdhsa_reserve_vcc 1
		.amdhsa_float_round_mode_32 0
		.amdhsa_float_round_mode_16_64 0
		.amdhsa_float_denorm_mode_32 3
		.amdhsa_float_denorm_mode_16_64 3
		.amdhsa_dx10_clamp 1
		.amdhsa_ieee_mode 1
		.amdhsa_fp16_overflow 0
		.amdhsa_workgroup_processor_mode 1
		.amdhsa_memory_ordered 1
		.amdhsa_forward_progress 0
		.amdhsa_shared_vgpr_count 0
		.amdhsa_exception_fp_ieee_invalid_op 0
		.amdhsa_exception_fp_denorm_src 0
		.amdhsa_exception_fp_ieee_div_zero 0
		.amdhsa_exception_fp_ieee_overflow 0
		.amdhsa_exception_fp_ieee_underflow 0
		.amdhsa_exception_fp_ieee_inexact 0
		.amdhsa_exception_int_div_zero 0
	.end_amdhsa_kernel
	.section	.text._ZN9rocsolver6v33100L18getri_kernel_smallILi21EdPKPdEEvT1_iilPiilS6_bb,"axG",@progbits,_ZN9rocsolver6v33100L18getri_kernel_smallILi21EdPKPdEEvT1_iilPiilS6_bb,comdat
.Lfunc_end84:
	.size	_ZN9rocsolver6v33100L18getri_kernel_smallILi21EdPKPdEEvT1_iilPiilS6_bb, .Lfunc_end84-_ZN9rocsolver6v33100L18getri_kernel_smallILi21EdPKPdEEvT1_iilPiilS6_bb
                                        ; -- End function
	.section	.AMDGPU.csdata,"",@progbits
; Kernel info:
; codeLenInByte = 13988
; NumSgprs: 19
; NumVgprs: 86
; ScratchSize: 176
; MemoryBound: 0
; FloatMode: 240
; IeeeMode: 1
; LDSByteSize: 344 bytes/workgroup (compile time only)
; SGPRBlocks: 2
; VGPRBlocks: 10
; NumSGPRsForWavesPerEU: 19
; NumVGPRsForWavesPerEU: 86
; Occupancy: 16
; WaveLimiterHint : 1
; COMPUTE_PGM_RSRC2:SCRATCH_EN: 1
; COMPUTE_PGM_RSRC2:USER_SGPR: 15
; COMPUTE_PGM_RSRC2:TRAP_HANDLER: 0
; COMPUTE_PGM_RSRC2:TGID_X_EN: 1
; COMPUTE_PGM_RSRC2:TGID_Y_EN: 0
; COMPUTE_PGM_RSRC2:TGID_Z_EN: 0
; COMPUTE_PGM_RSRC2:TIDIG_COMP_CNT: 0
	.section	.text._ZN9rocsolver6v33100L18getri_kernel_smallILi22EdPKPdEEvT1_iilPiilS6_bb,"axG",@progbits,_ZN9rocsolver6v33100L18getri_kernel_smallILi22EdPKPdEEvT1_iilPiilS6_bb,comdat
	.globl	_ZN9rocsolver6v33100L18getri_kernel_smallILi22EdPKPdEEvT1_iilPiilS6_bb ; -- Begin function _ZN9rocsolver6v33100L18getri_kernel_smallILi22EdPKPdEEvT1_iilPiilS6_bb
	.p2align	8
	.type	_ZN9rocsolver6v33100L18getri_kernel_smallILi22EdPKPdEEvT1_iilPiilS6_bb,@function
_ZN9rocsolver6v33100L18getri_kernel_smallILi22EdPKPdEEvT1_iilPiilS6_bb: ; @_ZN9rocsolver6v33100L18getri_kernel_smallILi22EdPKPdEEvT1_iilPiilS6_bb
; %bb.0:
	s_mov_b32 s2, exec_lo
	v_cmpx_gt_u32_e32 22, v0
	s_cbranch_execz .LBB85_98
; %bb.1:
	s_clause 0x1
	s_load_b32 s13, s[0:1], 0x38
	s_load_b64 s[2:3], s[0:1], 0x0
	s_mov_b32 s8, s15
	s_load_b128 s[4:7], s[0:1], 0x28
	s_waitcnt lgkmcnt(0)
	s_bitcmp1_b32 s13, 8
	s_cselect_b32 s12, -1, 0
	s_ashr_i32 s9, s15, 31
	s_delay_alu instid0(SALU_CYCLE_1) | instskip(NEXT) | instid1(SALU_CYCLE_1)
	s_lshl_b64 s[10:11], s[8:9], 3
	s_add_u32 s2, s2, s10
	s_addc_u32 s3, s3, s11
	s_load_b64 s[10:11], s[2:3], 0x0
	s_bfe_u32 s2, s13, 0x10008
	s_delay_alu instid0(SALU_CYCLE_1)
	s_cmp_eq_u32 s2, 0
                                        ; implicit-def: $sgpr2_sgpr3
	s_cbranch_scc1 .LBB85_3
; %bb.2:
	s_clause 0x1
	s_load_b32 s2, s[0:1], 0x20
	s_load_b64 s[14:15], s[0:1], 0x18
	s_mul_i32 s3, s8, s5
	s_mul_hi_u32 s5, s8, s4
	s_mul_i32 s16, s9, s4
	s_add_i32 s3, s5, s3
	s_mul_i32 s4, s8, s4
	s_add_i32 s5, s3, s16
	s_delay_alu instid0(SALU_CYCLE_1)
	s_lshl_b64 s[4:5], s[4:5], 2
	s_waitcnt lgkmcnt(0)
	s_ashr_i32 s3, s2, 31
	s_add_u32 s4, s14, s4
	s_addc_u32 s5, s15, s5
	s_lshl_b64 s[2:3], s[2:3], 2
	s_delay_alu instid0(SALU_CYCLE_1)
	s_add_u32 s2, s4, s2
	s_addc_u32 s3, s5, s3
.LBB85_3:
	s_load_b64 s[0:1], s[0:1], 0x8
	v_lshlrev_b32_e32 v3, 3, v0
	s_waitcnt lgkmcnt(0)
	v_add3_u32 v1, s1, s1, v0
	s_ashr_i32 s5, s0, 31
	s_mov_b32 s4, s0
	s_mov_b32 s14, s1
	s_lshl_b64 s[4:5], s[4:5], 3
	v_add_nc_u32_e32 v8, s1, v1
	v_ashrrev_i32_e32 v2, 31, v1
	s_add_u32 s4, s10, s4
	s_addc_u32 s5, s11, s5
	v_add_co_u32 v4, s0, s4, v3
	v_add_nc_u32_e32 v10, s1, v8
	s_ashr_i32 s15, s1, 31
	v_add_co_ci_u32_e64 v5, null, s5, 0, s0
	v_lshlrev_b64 v[1:2], 3, v[1:2]
	s_delay_alu instid0(VALU_DEP_3)
	v_add_nc_u32_e32 v14, s1, v10
	v_ashrrev_i32_e32 v9, 31, v8
	s_lshl_b64 s[10:11], s[14:15], 3
	v_ashrrev_i32_e32 v11, 31, v10
	v_add_co_u32 v6, vcc_lo, v4, s10
	v_add_nc_u32_e32 v16, s1, v14
	v_add_co_ci_u32_e32 v7, vcc_lo, s11, v5, vcc_lo
	v_lshlrev_b64 v[12:13], 3, v[8:9]
	v_add_co_u32 v8, vcc_lo, s4, v1
	v_add_co_ci_u32_e32 v9, vcc_lo, s5, v2, vcc_lo
	v_lshlrev_b64 v[1:2], 3, v[10:11]
	v_ashrrev_i32_e32 v15, 31, v14
	v_add_nc_u32_e32 v18, s1, v16
	v_add_co_u32 v10, vcc_lo, s4, v12
	v_ashrrev_i32_e32 v17, 31, v16
	v_add_co_ci_u32_e32 v11, vcc_lo, s5, v13, vcc_lo
	v_lshlrev_b64 v[14:15], 3, v[14:15]
	v_add_nc_u32_e32 v20, s1, v18
	v_add_co_u32 v12, vcc_lo, s4, v1
	v_add_co_ci_u32_e32 v13, vcc_lo, s5, v2, vcc_lo
	v_lshlrev_b64 v[1:2], 3, v[16:17]
	v_ashrrev_i32_e32 v19, 31, v18
	v_add_nc_u32_e32 v22, s1, v20
	v_add_co_u32 v14, vcc_lo, s4, v14
	v_ashrrev_i32_e32 v21, 31, v20
	v_add_co_ci_u32_e32 v15, vcc_lo, s5, v15, vcc_lo
	v_lshlrev_b64 v[18:19], 3, v[18:19]
	v_add_co_u32 v16, vcc_lo, s4, v1
	v_add_nc_u32_e32 v24, s1, v22
	v_add_co_ci_u32_e32 v17, vcc_lo, s5, v2, vcc_lo
	v_lshlrev_b64 v[1:2], 3, v[20:21]
	v_add_co_u32 v18, vcc_lo, s4, v18
	v_ashrrev_i32_e32 v23, 31, v22
	v_add_nc_u32_e32 v26, s1, v24
	v_add_co_ci_u32_e32 v19, vcc_lo, s5, v19, vcc_lo
	v_add_co_u32 v20, vcc_lo, s4, v1
	v_add_co_ci_u32_e32 v21, vcc_lo, s5, v2, vcc_lo
	v_lshlrev_b64 v[1:2], 3, v[22:23]
	v_ashrrev_i32_e32 v25, 31, v24
	v_add_nc_u32_e32 v28, s1, v26
	v_ashrrev_i32_e32 v27, 31, v26
	s_clause 0x4
	global_load_b64 v[48:49], v3, s[4:5]
	global_load_b64 v[50:51], v[6:7], off
	global_load_b64 v[52:53], v[8:9], off
	;; [unrolled: 1-line block ×4, first 2 shown]
	v_lshlrev_b64 v[24:25], 3, v[24:25]
	v_add_co_u32 v22, vcc_lo, s4, v1
	v_ashrrev_i32_e32 v29, 31, v28
	v_add_co_ci_u32_e32 v23, vcc_lo, s5, v2, vcc_lo
	v_lshlrev_b64 v[1:2], 3, v[26:27]
	v_add_nc_u32_e32 v31, s1, v28
	v_add_co_u32 v24, vcc_lo, s4, v24
	v_lshlrev_b64 v[29:30], 3, v[28:29]
	v_add_co_ci_u32_e32 v25, vcc_lo, s5, v25, vcc_lo
	v_add_co_u32 v26, vcc_lo, s4, v1
	v_ashrrev_i32_e32 v32, 31, v31
	v_add_nc_u32_e32 v1, s1, v31
	v_add_co_ci_u32_e32 v27, vcc_lo, s5, v2, vcc_lo
	v_add_co_u32 v28, vcc_lo, s4, v29
	v_add_co_ci_u32_e32 v29, vcc_lo, s5, v30, vcc_lo
	v_lshlrev_b64 v[30:31], 3, v[31:32]
	v_add_nc_u32_e32 v32, s1, v1
	v_ashrrev_i32_e32 v2, 31, v1
	s_clause 0x7
	global_load_b64 v[58:59], v[14:15], off
	global_load_b64 v[60:61], v[16:17], off
	;; [unrolled: 1-line block ×8, first 2 shown]
	s_bitcmp0_b32 s13, 0
	v_add_nc_u32_e32 v34, s1, v32
	v_lshlrev_b64 v[1:2], 3, v[1:2]
	v_ashrrev_i32_e32 v33, 31, v32
	v_add_co_u32 v30, vcc_lo, s4, v30
	s_delay_alu instid0(VALU_DEP_4)
	v_add_nc_u32_e32 v38, s1, v34
	v_ashrrev_i32_e32 v35, 31, v34
	v_add_co_ci_u32_e32 v31, vcc_lo, s5, v31, vcc_lo
	v_lshlrev_b64 v[36:37], 3, v[32:33]
	v_add_co_u32 v32, vcc_lo, s4, v1
	v_add_nc_u32_e32 v40, s1, v38
	v_add_co_ci_u32_e32 v33, vcc_lo, s5, v2, vcc_lo
	v_lshlrev_b64 v[1:2], 3, v[34:35]
	v_add_co_u32 v34, vcc_lo, s4, v36
	v_ashrrev_i32_e32 v39, 31, v38
	v_add_nc_u32_e32 v42, s1, v40
	v_add_co_ci_u32_e32 v35, vcc_lo, s5, v37, vcc_lo
	v_add_co_u32 v36, vcc_lo, s4, v1
	v_add_co_ci_u32_e32 v37, vcc_lo, s5, v2, vcc_lo
	v_lshlrev_b64 v[1:2], 3, v[38:39]
	v_ashrrev_i32_e32 v41, 31, v40
	v_add_nc_u32_e32 v44, s1, v42
	v_ashrrev_i32_e32 v43, 31, v42
	s_clause 0x3
	global_load_b64 v[74:75], v[30:31], off
	global_load_b64 v[76:77], v[32:33], off
	;; [unrolled: 1-line block ×4, first 2 shown]
	v_lshlrev_b64 v[40:41], 3, v[40:41]
	v_add_co_u32 v38, vcc_lo, s4, v1
	v_add_nc_u32_e32 v46, s1, v44
	v_add_co_ci_u32_e32 v39, vcc_lo, s5, v2, vcc_lo
	v_lshlrev_b64 v[1:2], 3, v[42:43]
	v_ashrrev_i32_e32 v45, 31, v44
	v_add_co_u32 v40, vcc_lo, s4, v40
	v_ashrrev_i32_e32 v47, 31, v46
	v_add_co_ci_u32_e32 v41, vcc_lo, s5, v41, vcc_lo
	s_delay_alu instid0(VALU_DEP_4) | instskip(SKIP_3) | instid1(VALU_DEP_4)
	v_lshlrev_b64 v[44:45], 3, v[44:45]
	v_add_co_u32 v42, vcc_lo, s4, v1
	v_add_co_ci_u32_e32 v43, vcc_lo, s5, v2, vcc_lo
	v_lshlrev_b64 v[1:2], 3, v[46:47]
	v_add_co_u32 v44, vcc_lo, s4, v44
	v_add_co_ci_u32_e32 v45, vcc_lo, s5, v45, vcc_lo
	s_mov_b32 s1, -1
	s_delay_alu instid0(VALU_DEP_3) | instskip(NEXT) | instid1(VALU_DEP_4)
	v_add_co_u32 v46, vcc_lo, s4, v1
	v_add_co_ci_u32_e32 v47, vcc_lo, s5, v2, vcc_lo
	s_clause 0x4
	global_load_b64 v[82:83], v[38:39], off
	global_load_b64 v[84:85], v[40:41], off
	;; [unrolled: 1-line block ×5, first 2 shown]
	s_waitcnt vmcnt(20)
	scratch_store_b128 off, v[48:51], off
	s_waitcnt vmcnt(18)
	scratch_store_b128 off, v[52:55], off offset:16
	s_waitcnt vmcnt(16)
	scratch_store_b128 off, v[56:59], off offset:32
	;; [unrolled: 2-line block ×10, first 2 shown]
	s_cbranch_scc1 .LBB85_96
; %bb.4:
	v_cmp_eq_u32_e64 s0, 0, v0
	s_delay_alu instid0(VALU_DEP_1)
	s_and_saveexec_b32 s1, s0
	s_cbranch_execz .LBB85_6
; %bb.5:
	v_mov_b32_e32 v1, 0
	ds_store_b32 v1, v1 offset:352
.LBB85_6:
	s_or_b32 exec_lo, exec_lo, s1
	s_waitcnt lgkmcnt(0)
	s_waitcnt_vscnt null, 0x0
	s_barrier
	buffer_gl0_inv
	scratch_load_b64 v[1:2], v3, off
	s_mov_b32 s4, exec_lo
	s_waitcnt vmcnt(0)
	v_cmpx_eq_f64_e32 0, v[1:2]
	s_cbranch_execz .LBB85_10
; %bb.7:
	v_mov_b32_e32 v1, 0
	s_mov_b32 s5, 0
	ds_load_b32 v2, v1 offset:352
	s_waitcnt lgkmcnt(0)
	v_readfirstlane_b32 s1, v2
	v_add_nc_u32_e32 v2, 1, v0
	s_delay_alu instid0(VALU_DEP_2) | instskip(NEXT) | instid1(VALU_DEP_1)
	s_cmp_eq_u32 s1, 0
	v_cmp_gt_i32_e32 vcc_lo, s1, v2
	s_cselect_b32 s10, -1, 0
	s_delay_alu instid0(SALU_CYCLE_1) | instskip(NEXT) | instid1(SALU_CYCLE_1)
	s_or_b32 s10, s10, vcc_lo
	s_and_b32 exec_lo, exec_lo, s10
	s_cbranch_execz .LBB85_10
; %bb.8:
	v_mov_b32_e32 v48, s1
.LBB85_9:                               ; =>This Inner Loop Header: Depth=1
	ds_cmpstore_rtn_b32 v48, v1, v2, v48 offset:352
	s_waitcnt lgkmcnt(0)
	v_cmp_ne_u32_e32 vcc_lo, 0, v48
	v_cmp_le_i32_e64 s1, v48, v2
	s_delay_alu instid0(VALU_DEP_1) | instskip(NEXT) | instid1(SALU_CYCLE_1)
	s_and_b32 s1, vcc_lo, s1
	s_and_b32 s1, exec_lo, s1
	s_delay_alu instid0(SALU_CYCLE_1) | instskip(NEXT) | instid1(SALU_CYCLE_1)
	s_or_b32 s5, s1, s5
	s_and_not1_b32 exec_lo, exec_lo, s5
	s_cbranch_execnz .LBB85_9
.LBB85_10:
	s_or_b32 exec_lo, exec_lo, s4
	v_mov_b32_e32 v1, 0
	s_barrier
	buffer_gl0_inv
	ds_load_b32 v2, v1 offset:352
	s_and_saveexec_b32 s1, s0
	s_cbranch_execz .LBB85_12
; %bb.11:
	s_lshl_b64 s[4:5], s[8:9], 2
	s_delay_alu instid0(SALU_CYCLE_1)
	s_add_u32 s4, s6, s4
	s_addc_u32 s5, s7, s5
	s_waitcnt lgkmcnt(0)
	global_store_b32 v1, v2, s[4:5]
.LBB85_12:
	s_or_b32 exec_lo, exec_lo, s1
	s_waitcnt lgkmcnt(0)
	v_cmp_ne_u32_e32 vcc_lo, 0, v2
	s_mov_b32 s1, 0
	s_cbranch_vccnz .LBB85_96
; %bb.13:
	v_add_nc_u32_e32 v48, 0, v3
	scratch_load_b64 v[1:2], v48, off
	s_waitcnt vmcnt(0)
	v_div_scale_f64 v[49:50], null, v[1:2], v[1:2], 1.0
	v_div_scale_f64 v[55:56], vcc_lo, 1.0, v[1:2], 1.0
	s_delay_alu instid0(VALU_DEP_2) | instskip(SKIP_2) | instid1(VALU_DEP_1)
	v_rcp_f64_e32 v[51:52], v[49:50]
	s_waitcnt_depctr 0xfff
	v_fma_f64 v[53:54], -v[49:50], v[51:52], 1.0
	v_fma_f64 v[51:52], v[51:52], v[53:54], v[51:52]
	s_delay_alu instid0(VALU_DEP_1) | instskip(NEXT) | instid1(VALU_DEP_1)
	v_fma_f64 v[53:54], -v[49:50], v[51:52], 1.0
	v_fma_f64 v[51:52], v[51:52], v[53:54], v[51:52]
	s_delay_alu instid0(VALU_DEP_1) | instskip(NEXT) | instid1(VALU_DEP_1)
	v_mul_f64 v[53:54], v[55:56], v[51:52]
	v_fma_f64 v[49:50], -v[49:50], v[53:54], v[55:56]
	s_delay_alu instid0(VALU_DEP_1) | instskip(NEXT) | instid1(VALU_DEP_1)
	v_div_fmas_f64 v[49:50], v[49:50], v[51:52], v[53:54]
	v_div_fixup_f64 v[1:2], v[49:50], v[1:2], 1.0
	v_add_nc_u32_e32 v49, 0xb0, v3
	scratch_store_b64 v48, v[1:2], off
	scratch_load_b64 v[50:51], off, off offset:8
	v_xor_b32_e32 v2, 0x80000000, v2
	s_waitcnt vmcnt(0)
	ds_store_2addr_b64 v3, v[1:2], v[50:51] offset1:22
	s_waitcnt lgkmcnt(0)
	s_waitcnt_vscnt null, 0x0
	s_barrier
	buffer_gl0_inv
	s_and_saveexec_b32 s1, s0
	s_cbranch_execz .LBB85_15
; %bb.14:
	scratch_load_b64 v[1:2], v48, off
	ds_load_b64 v[50:51], v49
	s_waitcnt vmcnt(0) lgkmcnt(0)
	v_fma_f64 v[1:2], v[1:2], v[50:51], 0
	v_mov_b32_e32 v50, 0
	ds_load_b64 v[50:51], v50 offset:8
	s_waitcnt lgkmcnt(0)
	v_mul_f64 v[1:2], v[1:2], v[50:51]
	scratch_store_b64 off, v[1:2], off offset:8
.LBB85_15:
	s_or_b32 exec_lo, exec_lo, s1
	s_waitcnt_vscnt null, 0x0
	s_barrier
	buffer_gl0_inv
	scratch_load_b64 v[1:2], off, off offset:16
	s_mov_b32 s1, exec_lo
	s_waitcnt vmcnt(0)
	ds_store_b64 v49, v[1:2]
	s_waitcnt lgkmcnt(0)
	s_barrier
	buffer_gl0_inv
	v_cmpx_gt_u32_e32 2, v0
	s_cbranch_execz .LBB85_19
; %bb.16:
	scratch_load_b64 v[1:2], v48, off
	ds_load_b64 v[50:51], v49
	s_waitcnt vmcnt(0) lgkmcnt(0)
	v_fma_f64 v[1:2], v[1:2], v[50:51], 0
	s_and_saveexec_b32 s4, s0
	s_cbranch_execz .LBB85_18
; %bb.17:
	scratch_load_b64 v[50:51], off, off offset:8
	v_mov_b32_e32 v52, 0
	ds_load_b64 v[52:53], v52 offset:184
	s_waitcnt vmcnt(0) lgkmcnt(0)
	v_fma_f64 v[1:2], v[50:51], v[52:53], v[1:2]
.LBB85_18:
	s_or_b32 exec_lo, exec_lo, s4
	v_mov_b32_e32 v50, 0
	ds_load_b64 v[50:51], v50 offset:16
	s_waitcnt lgkmcnt(0)
	v_mul_f64 v[1:2], v[1:2], v[50:51]
	scratch_store_b64 off, v[1:2], off offset:16
.LBB85_19:
	s_or_b32 exec_lo, exec_lo, s1
	s_waitcnt_vscnt null, 0x0
	s_barrier
	buffer_gl0_inv
	scratch_load_b64 v[1:2], off, off offset:24
	v_add_nc_u32_e32 v50, -1, v0
	s_mov_b32 s0, exec_lo
	s_waitcnt vmcnt(0)
	ds_store_b64 v49, v[1:2]
	s_waitcnt lgkmcnt(0)
	s_barrier
	buffer_gl0_inv
	v_cmpx_gt_u32_e32 3, v0
	s_cbranch_execz .LBB85_23
; %bb.20:
	v_dual_mov_b32 v1, 0 :: v_dual_add_nc_u32 v52, 0xb0, v3
	v_dual_mov_b32 v2, 0 :: v_dual_add_nc_u32 v51, -1, v0
	v_add_nc_u32_e32 v53, 0, v3
	s_mov_b32 s1, 0
.LBB85_21:                              ; =>This Inner Loop Header: Depth=1
	scratch_load_b64 v[54:55], v53, off
	ds_load_b64 v[56:57], v52
	v_add_nc_u32_e32 v51, 1, v51
	v_add_nc_u32_e32 v52, 8, v52
	v_add_nc_u32_e32 v53, 8, v53
	s_delay_alu instid0(VALU_DEP_3)
	v_cmp_lt_u32_e32 vcc_lo, 1, v51
	s_or_b32 s1, vcc_lo, s1
	s_waitcnt vmcnt(0) lgkmcnt(0)
	v_fma_f64 v[1:2], v[54:55], v[56:57], v[1:2]
	s_and_not1_b32 exec_lo, exec_lo, s1
	s_cbranch_execnz .LBB85_21
; %bb.22:
	s_or_b32 exec_lo, exec_lo, s1
	v_mov_b32_e32 v51, 0
	ds_load_b64 v[51:52], v51 offset:24
	s_waitcnt lgkmcnt(0)
	v_mul_f64 v[1:2], v[1:2], v[51:52]
	scratch_store_b64 off, v[1:2], off offset:24
.LBB85_23:
	s_or_b32 exec_lo, exec_lo, s0
	s_waitcnt_vscnt null, 0x0
	s_barrier
	buffer_gl0_inv
	scratch_load_b64 v[1:2], off, off offset:32
	s_mov_b32 s0, exec_lo
	s_waitcnt vmcnt(0)
	ds_store_b64 v49, v[1:2]
	s_waitcnt lgkmcnt(0)
	s_barrier
	buffer_gl0_inv
	v_cmpx_gt_u32_e32 4, v0
	s_cbranch_execz .LBB85_27
; %bb.24:
	v_dual_mov_b32 v1, 0 :: v_dual_add_nc_u32 v52, 0xb0, v3
	v_dual_mov_b32 v2, 0 :: v_dual_add_nc_u32 v51, -1, v0
	v_add_nc_u32_e32 v53, 0, v3
	s_mov_b32 s1, 0
.LBB85_25:                              ; =>This Inner Loop Header: Depth=1
	scratch_load_b64 v[54:55], v53, off
	ds_load_b64 v[56:57], v52
	v_add_nc_u32_e32 v51, 1, v51
	v_add_nc_u32_e32 v52, 8, v52
	v_add_nc_u32_e32 v53, 8, v53
	s_delay_alu instid0(VALU_DEP_3)
	v_cmp_lt_u32_e32 vcc_lo, 2, v51
	s_or_b32 s1, vcc_lo, s1
	s_waitcnt vmcnt(0) lgkmcnt(0)
	v_fma_f64 v[1:2], v[54:55], v[56:57], v[1:2]
	s_and_not1_b32 exec_lo, exec_lo, s1
	s_cbranch_execnz .LBB85_25
; %bb.26:
	s_or_b32 exec_lo, exec_lo, s1
	v_mov_b32_e32 v51, 0
	ds_load_b64 v[51:52], v51 offset:32
	s_waitcnt lgkmcnt(0)
	v_mul_f64 v[1:2], v[1:2], v[51:52]
	scratch_store_b64 off, v[1:2], off offset:32
.LBB85_27:
	s_or_b32 exec_lo, exec_lo, s0
	s_waitcnt_vscnt null, 0x0
	s_barrier
	buffer_gl0_inv
	scratch_load_b64 v[1:2], off, off offset:40
	;; [unrolled: 39-line block ×18, first 2 shown]
	s_mov_b32 s0, exec_lo
	s_waitcnt vmcnt(0)
	ds_store_b64 v49, v[1:2]
	s_waitcnt lgkmcnt(0)
	s_barrier
	buffer_gl0_inv
	v_cmpx_ne_u32_e32 21, v0
	s_cbranch_execz .LBB85_95
; %bb.92:
	v_mov_b32_e32 v1, 0
	v_mov_b32_e32 v2, 0
	s_mov_b32 s1, 0
.LBB85_93:                              ; =>This Inner Loop Header: Depth=1
	scratch_load_b64 v[51:52], v48, off
	ds_load_b64 v[53:54], v49
	v_add_nc_u32_e32 v50, 1, v50
	v_add_nc_u32_e32 v49, 8, v49
	;; [unrolled: 1-line block ×3, first 2 shown]
	s_delay_alu instid0(VALU_DEP_3)
	v_cmp_lt_u32_e32 vcc_lo, 19, v50
	s_or_b32 s1, vcc_lo, s1
	s_waitcnt vmcnt(0) lgkmcnt(0)
	v_fma_f64 v[1:2], v[51:52], v[53:54], v[1:2]
	s_and_not1_b32 exec_lo, exec_lo, s1
	s_cbranch_execnz .LBB85_93
; %bb.94:
	s_or_b32 exec_lo, exec_lo, s1
	v_mov_b32_e32 v3, 0
	ds_load_b64 v[48:49], v3 offset:168
	s_waitcnt lgkmcnt(0)
	v_mul_f64 v[1:2], v[1:2], v[48:49]
	scratch_store_b64 off, v[1:2], off offset:168
.LBB85_95:
	s_or_b32 exec_lo, exec_lo, s0
	s_mov_b32 s1, -1
	s_waitcnt_vscnt null, 0x0
	s_barrier
	buffer_gl0_inv
.LBB85_96:
	s_and_b32 vcc_lo, exec_lo, s1
	s_cbranch_vccz .LBB85_98
; %bb.97:
	s_lshl_b64 s[0:1], s[8:9], 2
	v_mov_b32_e32 v1, 0
	s_add_u32 s0, s6, s0
	s_addc_u32 s1, s7, s1
	global_load_b32 v1, v1, s[0:1]
	s_waitcnt vmcnt(0)
	v_cmp_ne_u32_e32 vcc_lo, 0, v1
	s_cbranch_vccz .LBB85_99
.LBB85_98:
	s_endpgm
.LBB85_99:
	v_lshl_add_u32 v3, v0, 3, 0xb0
	s_mov_b32 s0, exec_lo
	v_cmpx_eq_u32_e32 21, v0
	s_cbranch_execz .LBB85_101
; %bb.100:
	scratch_load_b64 v[1:2], off, off offset:160
	v_mov_b32_e32 v48, 0
	s_delay_alu instid0(VALU_DEP_1)
	v_mov_b32_e32 v49, v48
	scratch_store_b64 off, v[48:49], off offset:160
	s_waitcnt vmcnt(0)
	ds_store_b64 v3, v[1:2]
.LBB85_101:
	s_or_b32 exec_lo, exec_lo, s0
	s_waitcnt lgkmcnt(0)
	s_waitcnt_vscnt null, 0x0
	s_barrier
	buffer_gl0_inv
	scratch_load_b128 v[48:51], off, off offset:160
	v_mov_b32_e32 v1, 0
	s_mov_b32 s0, exec_lo
	ds_load_b64 v[52:53], v1 offset:344
	s_waitcnt vmcnt(0) lgkmcnt(0)
	v_fma_f64 v[50:51], v[50:51], v[52:53], 0
	s_delay_alu instid0(VALU_DEP_1)
	v_add_f64 v[48:49], v[48:49], -v[50:51]
	scratch_store_b64 off, v[48:49], off offset:160
	v_cmpx_lt_u32_e32 19, v0
	s_cbranch_execz .LBB85_103
; %bb.102:
	scratch_load_b64 v[48:49], off, off offset:152
	v_mov_b32_e32 v2, v1
	scratch_store_b64 off, v[1:2], off offset:152
	s_waitcnt vmcnt(0)
	ds_store_b64 v3, v[48:49]
.LBB85_103:
	s_or_b32 exec_lo, exec_lo, s0
	s_waitcnt lgkmcnt(0)
	s_waitcnt_vscnt null, 0x0
	s_barrier
	buffer_gl0_inv
	s_clause 0x1
	scratch_load_b128 v[48:51], off, off offset:152
	scratch_load_b64 v[56:57], off, off offset:168
	ds_load_b128 v[52:55], v1 offset:336
	s_mov_b32 s0, exec_lo
	s_waitcnt vmcnt(1) lgkmcnt(0)
	v_fma_f64 v[1:2], v[50:51], v[52:53], 0
	s_waitcnt vmcnt(0)
	s_delay_alu instid0(VALU_DEP_1) | instskip(NEXT) | instid1(VALU_DEP_1)
	v_fma_f64 v[1:2], v[56:57], v[54:55], v[1:2]
	v_add_f64 v[1:2], v[48:49], -v[1:2]
	scratch_store_b64 off, v[1:2], off offset:152
	v_cmpx_lt_u32_e32 18, v0
	s_cbranch_execz .LBB85_105
; %bb.104:
	scratch_load_b64 v[1:2], off, off offset:144
	v_mov_b32_e32 v48, 0
	s_delay_alu instid0(VALU_DEP_1)
	v_mov_b32_e32 v49, v48
	scratch_store_b64 off, v[48:49], off offset:144
	s_waitcnt vmcnt(0)
	ds_store_b64 v3, v[1:2]
.LBB85_105:
	s_or_b32 exec_lo, exec_lo, s0
	s_waitcnt lgkmcnt(0)
	s_waitcnt_vscnt null, 0x0
	s_barrier
	buffer_gl0_inv
	s_clause 0x1
	scratch_load_b128 v[48:51], off, off offset:144
	scratch_load_b128 v[52:55], off, off offset:160
	v_mov_b32_e32 v1, 0
	ds_load_2addr_b64 v[56:59], v1 offset0:41 offset1:42
	ds_load_b64 v[60:61], v1 offset:344
	s_mov_b32 s0, exec_lo
	s_waitcnt vmcnt(1) lgkmcnt(1)
	v_fma_f64 v[50:51], v[50:51], v[56:57], 0
	s_waitcnt vmcnt(0)
	s_delay_alu instid0(VALU_DEP_1) | instskip(SKIP_1) | instid1(VALU_DEP_1)
	v_fma_f64 v[50:51], v[52:53], v[58:59], v[50:51]
	s_waitcnt lgkmcnt(0)
	v_fma_f64 v[50:51], v[54:55], v[60:61], v[50:51]
	s_delay_alu instid0(VALU_DEP_1)
	v_add_f64 v[48:49], v[48:49], -v[50:51]
	scratch_store_b64 off, v[48:49], off offset:144
	v_cmpx_lt_u32_e32 17, v0
	s_cbranch_execz .LBB85_107
; %bb.106:
	scratch_load_b64 v[48:49], off, off offset:136
	v_mov_b32_e32 v2, v1
	scratch_store_b64 off, v[1:2], off offset:136
	s_waitcnt vmcnt(0)
	ds_store_b64 v3, v[48:49]
.LBB85_107:
	s_or_b32 exec_lo, exec_lo, s0
	s_waitcnt lgkmcnt(0)
	s_waitcnt_vscnt null, 0x0
	s_barrier
	buffer_gl0_inv
	s_clause 0x2
	scratch_load_b128 v[48:51], off, off offset:136
	scratch_load_b128 v[52:55], off, off offset:152
	scratch_load_b64 v[64:65], off, off offset:168
	ds_load_b128 v[56:59], v1 offset:320
	ds_load_b128 v[60:63], v1 offset:336
	s_mov_b32 s0, exec_lo
	s_waitcnt vmcnt(2) lgkmcnt(1)
	v_fma_f64 v[1:2], v[50:51], v[56:57], 0
	s_waitcnt vmcnt(1)
	s_delay_alu instid0(VALU_DEP_1) | instskip(SKIP_1) | instid1(VALU_DEP_1)
	v_fma_f64 v[1:2], v[52:53], v[58:59], v[1:2]
	s_waitcnt lgkmcnt(0)
	v_fma_f64 v[1:2], v[54:55], v[60:61], v[1:2]
	s_waitcnt vmcnt(0)
	s_delay_alu instid0(VALU_DEP_1) | instskip(NEXT) | instid1(VALU_DEP_1)
	v_fma_f64 v[1:2], v[64:65], v[62:63], v[1:2]
	v_add_f64 v[1:2], v[48:49], -v[1:2]
	scratch_store_b64 off, v[1:2], off offset:136
	v_cmpx_lt_u32_e32 16, v0
	s_cbranch_execz .LBB85_109
; %bb.108:
	scratch_load_b64 v[1:2], off, off offset:128
	v_mov_b32_e32 v48, 0
	s_delay_alu instid0(VALU_DEP_1)
	v_mov_b32_e32 v49, v48
	scratch_store_b64 off, v[48:49], off offset:128
	s_waitcnt vmcnt(0)
	ds_store_b64 v3, v[1:2]
.LBB85_109:
	s_or_b32 exec_lo, exec_lo, s0
	s_waitcnt lgkmcnt(0)
	s_waitcnt_vscnt null, 0x0
	s_barrier
	buffer_gl0_inv
	s_clause 0x2
	scratch_load_b128 v[48:51], off, off offset:128
	scratch_load_b128 v[52:55], off, off offset:144
	;; [unrolled: 1-line block ×3, first 2 shown]
	v_mov_b32_e32 v1, 0
	ds_load_2addr_b64 v[60:63], v1 offset0:39 offset1:40
	ds_load_2addr_b64 v[64:67], v1 offset0:41 offset1:42
	s_mov_b32 s0, exec_lo
	s_waitcnt vmcnt(2) lgkmcnt(1)
	v_fma_f64 v[50:51], v[50:51], v[60:61], 0
	s_waitcnt vmcnt(1)
	s_delay_alu instid0(VALU_DEP_1) | instskip(SKIP_4) | instid1(VALU_DEP_1)
	v_fma_f64 v[50:51], v[52:53], v[62:63], v[50:51]
	ds_load_b64 v[52:53], v1 offset:344
	s_waitcnt lgkmcnt(1)
	v_fma_f64 v[50:51], v[54:55], v[64:65], v[50:51]
	s_waitcnt vmcnt(0)
	v_fma_f64 v[50:51], v[56:57], v[66:67], v[50:51]
	s_waitcnt lgkmcnt(0)
	s_delay_alu instid0(VALU_DEP_1) | instskip(NEXT) | instid1(VALU_DEP_1)
	v_fma_f64 v[50:51], v[58:59], v[52:53], v[50:51]
	v_add_f64 v[48:49], v[48:49], -v[50:51]
	scratch_store_b64 off, v[48:49], off offset:128
	v_cmpx_lt_u32_e32 15, v0
	s_cbranch_execz .LBB85_111
; %bb.110:
	scratch_load_b64 v[48:49], off, off offset:120
	v_mov_b32_e32 v2, v1
	scratch_store_b64 off, v[1:2], off offset:120
	s_waitcnt vmcnt(0)
	ds_store_b64 v3, v[48:49]
.LBB85_111:
	s_or_b32 exec_lo, exec_lo, s0
	s_waitcnt lgkmcnt(0)
	s_waitcnt_vscnt null, 0x0
	s_barrier
	buffer_gl0_inv
	s_clause 0x3
	scratch_load_b128 v[48:51], off, off offset:120
	scratch_load_b128 v[52:55], off, off offset:136
	scratch_load_b128 v[56:59], off, off offset:152
	scratch_load_b64 v[68:69], off, off offset:168
	ds_load_b128 v[60:63], v1 offset:304
	ds_load_b128 v[64:67], v1 offset:320
	s_mov_b32 s0, exec_lo
	s_waitcnt vmcnt(3) lgkmcnt(1)
	v_fma_f64 v[50:51], v[50:51], v[60:61], 0
	s_waitcnt vmcnt(2)
	s_delay_alu instid0(VALU_DEP_1) | instskip(SKIP_1) | instid1(VALU_DEP_1)
	v_fma_f64 v[50:51], v[52:53], v[62:63], v[50:51]
	s_waitcnt lgkmcnt(0)
	v_fma_f64 v[50:51], v[54:55], v[64:65], v[50:51]
	s_waitcnt vmcnt(1)
	s_delay_alu instid0(VALU_DEP_1) | instskip(SKIP_4) | instid1(VALU_DEP_1)
	v_fma_f64 v[54:55], v[56:57], v[66:67], v[50:51]
	ds_load_b128 v[50:53], v1 offset:336
	s_waitcnt lgkmcnt(0)
	v_fma_f64 v[1:2], v[58:59], v[50:51], v[54:55]
	s_waitcnt vmcnt(0)
	v_fma_f64 v[1:2], v[68:69], v[52:53], v[1:2]
	s_delay_alu instid0(VALU_DEP_1)
	v_add_f64 v[1:2], v[48:49], -v[1:2]
	scratch_store_b64 off, v[1:2], off offset:120
	v_cmpx_lt_u32_e32 14, v0
	s_cbranch_execz .LBB85_113
; %bb.112:
	scratch_load_b64 v[1:2], off, off offset:112
	v_mov_b32_e32 v48, 0
	s_delay_alu instid0(VALU_DEP_1)
	v_mov_b32_e32 v49, v48
	scratch_store_b64 off, v[48:49], off offset:112
	s_waitcnt vmcnt(0)
	ds_store_b64 v3, v[1:2]
.LBB85_113:
	s_or_b32 exec_lo, exec_lo, s0
	s_waitcnt lgkmcnt(0)
	s_waitcnt_vscnt null, 0x0
	s_barrier
	buffer_gl0_inv
	s_clause 0x3
	scratch_load_b128 v[48:51], off, off offset:112
	scratch_load_b128 v[52:55], off, off offset:128
	scratch_load_b128 v[56:59], off, off offset:144
	scratch_load_b128 v[60:63], off, off offset:160
	v_mov_b32_e32 v1, 0
	ds_load_2addr_b64 v[64:67], v1 offset0:37 offset1:38
	ds_load_2addr_b64 v[68:71], v1 offset0:39 offset1:40
	s_mov_b32 s0, exec_lo
	s_waitcnt vmcnt(3) lgkmcnt(1)
	v_fma_f64 v[50:51], v[50:51], v[64:65], 0
	s_waitcnt vmcnt(2)
	s_delay_alu instid0(VALU_DEP_1) | instskip(SKIP_1) | instid1(VALU_DEP_1)
	v_fma_f64 v[50:51], v[52:53], v[66:67], v[50:51]
	s_waitcnt lgkmcnt(0)
	v_fma_f64 v[50:51], v[54:55], v[68:69], v[50:51]
	s_waitcnt vmcnt(1)
	s_delay_alu instid0(VALU_DEP_1)
	v_fma_f64 v[54:55], v[56:57], v[70:71], v[50:51]
	ds_load_2addr_b64 v[50:53], v1 offset0:41 offset1:42
	ds_load_b64 v[56:57], v1 offset:344
	s_waitcnt lgkmcnt(1)
	v_fma_f64 v[50:51], v[58:59], v[50:51], v[54:55]
	s_waitcnt vmcnt(0)
	s_delay_alu instid0(VALU_DEP_1) | instskip(SKIP_1) | instid1(VALU_DEP_1)
	v_fma_f64 v[50:51], v[60:61], v[52:53], v[50:51]
	s_waitcnt lgkmcnt(0)
	v_fma_f64 v[50:51], v[62:63], v[56:57], v[50:51]
	s_delay_alu instid0(VALU_DEP_1)
	v_add_f64 v[48:49], v[48:49], -v[50:51]
	scratch_store_b64 off, v[48:49], off offset:112
	v_cmpx_lt_u32_e32 13, v0
	s_cbranch_execz .LBB85_115
; %bb.114:
	scratch_load_b64 v[48:49], off, off offset:104
	v_mov_b32_e32 v2, v1
	scratch_store_b64 off, v[1:2], off offset:104
	s_waitcnt vmcnt(0)
	ds_store_b64 v3, v[48:49]
.LBB85_115:
	s_or_b32 exec_lo, exec_lo, s0
	s_waitcnt lgkmcnt(0)
	s_waitcnt_vscnt null, 0x0
	s_barrier
	buffer_gl0_inv
	s_clause 0x4
	scratch_load_b128 v[48:51], off, off offset:104
	scratch_load_b128 v[52:55], off, off offset:120
	;; [unrolled: 1-line block ×4, first 2 shown]
	scratch_load_b64 v[72:73], off, off offset:168
	ds_load_b128 v[64:67], v1 offset:288
	ds_load_b128 v[68:71], v1 offset:304
	s_mov_b32 s0, exec_lo
	s_waitcnt vmcnt(4) lgkmcnt(1)
	v_fma_f64 v[50:51], v[50:51], v[64:65], 0
	s_waitcnt vmcnt(3)
	s_delay_alu instid0(VALU_DEP_1) | instskip(SKIP_1) | instid1(VALU_DEP_1)
	v_fma_f64 v[50:51], v[52:53], v[66:67], v[50:51]
	s_waitcnt lgkmcnt(0)
	v_fma_f64 v[50:51], v[54:55], v[68:69], v[50:51]
	s_waitcnt vmcnt(2)
	s_delay_alu instid0(VALU_DEP_1)
	v_fma_f64 v[64:65], v[56:57], v[70:71], v[50:51]
	ds_load_b128 v[50:53], v1 offset:320
	ds_load_b128 v[54:57], v1 offset:336
	s_waitcnt lgkmcnt(1)
	v_fma_f64 v[1:2], v[58:59], v[50:51], v[64:65]
	s_waitcnt vmcnt(1)
	s_delay_alu instid0(VALU_DEP_1) | instskip(SKIP_1) | instid1(VALU_DEP_1)
	v_fma_f64 v[1:2], v[60:61], v[52:53], v[1:2]
	s_waitcnt lgkmcnt(0)
	v_fma_f64 v[1:2], v[62:63], v[54:55], v[1:2]
	s_waitcnt vmcnt(0)
	s_delay_alu instid0(VALU_DEP_1) | instskip(NEXT) | instid1(VALU_DEP_1)
	v_fma_f64 v[1:2], v[72:73], v[56:57], v[1:2]
	v_add_f64 v[1:2], v[48:49], -v[1:2]
	scratch_store_b64 off, v[1:2], off offset:104
	v_cmpx_lt_u32_e32 12, v0
	s_cbranch_execz .LBB85_117
; %bb.116:
	scratch_load_b64 v[1:2], off, off offset:96
	v_mov_b32_e32 v48, 0
	s_delay_alu instid0(VALU_DEP_1)
	v_mov_b32_e32 v49, v48
	scratch_store_b64 off, v[48:49], off offset:96
	s_waitcnt vmcnt(0)
	ds_store_b64 v3, v[1:2]
.LBB85_117:
	s_or_b32 exec_lo, exec_lo, s0
	s_waitcnt lgkmcnt(0)
	s_waitcnt_vscnt null, 0x0
	s_barrier
	buffer_gl0_inv
	s_clause 0x4
	scratch_load_b128 v[48:51], off, off offset:96
	scratch_load_b128 v[52:55], off, off offset:112
	;; [unrolled: 1-line block ×5, first 2 shown]
	v_mov_b32_e32 v1, 0
	ds_load_2addr_b64 v[68:71], v1 offset0:35 offset1:36
	ds_load_2addr_b64 v[72:75], v1 offset0:37 offset1:38
	s_mov_b32 s0, exec_lo
	s_waitcnt vmcnt(4) lgkmcnt(1)
	v_fma_f64 v[50:51], v[50:51], v[68:69], 0
	s_waitcnt vmcnt(3)
	s_delay_alu instid0(VALU_DEP_1) | instskip(SKIP_1) | instid1(VALU_DEP_1)
	v_fma_f64 v[50:51], v[52:53], v[70:71], v[50:51]
	s_waitcnt lgkmcnt(0)
	v_fma_f64 v[50:51], v[54:55], v[72:73], v[50:51]
	s_waitcnt vmcnt(2)
	s_delay_alu instid0(VALU_DEP_1)
	v_fma_f64 v[68:69], v[56:57], v[74:75], v[50:51]
	ds_load_2addr_b64 v[50:53], v1 offset0:39 offset1:40
	ds_load_2addr_b64 v[54:57], v1 offset0:41 offset1:42
	s_waitcnt lgkmcnt(1)
	v_fma_f64 v[50:51], v[58:59], v[50:51], v[68:69]
	s_waitcnt vmcnt(1)
	s_delay_alu instid0(VALU_DEP_1) | instskip(SKIP_4) | instid1(VALU_DEP_1)
	v_fma_f64 v[50:51], v[60:61], v[52:53], v[50:51]
	ds_load_b64 v[52:53], v1 offset:344
	s_waitcnt lgkmcnt(1)
	v_fma_f64 v[50:51], v[62:63], v[54:55], v[50:51]
	s_waitcnt vmcnt(0)
	v_fma_f64 v[50:51], v[64:65], v[56:57], v[50:51]
	s_waitcnt lgkmcnt(0)
	s_delay_alu instid0(VALU_DEP_1) | instskip(NEXT) | instid1(VALU_DEP_1)
	v_fma_f64 v[50:51], v[66:67], v[52:53], v[50:51]
	v_add_f64 v[48:49], v[48:49], -v[50:51]
	scratch_store_b64 off, v[48:49], off offset:96
	v_cmpx_lt_u32_e32 11, v0
	s_cbranch_execz .LBB85_119
; %bb.118:
	scratch_load_b64 v[48:49], off, off offset:88
	v_mov_b32_e32 v2, v1
	scratch_store_b64 off, v[1:2], off offset:88
	s_waitcnt vmcnt(0)
	ds_store_b64 v3, v[48:49]
.LBB85_119:
	s_or_b32 exec_lo, exec_lo, s0
	s_waitcnt lgkmcnt(0)
	s_waitcnt_vscnt null, 0x0
	s_barrier
	buffer_gl0_inv
	s_clause 0x4
	scratch_load_b128 v[48:51], off, off offset:88
	scratch_load_b128 v[52:55], off, off offset:104
	;; [unrolled: 1-line block ×5, first 2 shown]
	ds_load_b128 v[68:71], v1 offset:272
	ds_load_b128 v[72:75], v1 offset:288
	s_mov_b32 s0, exec_lo
	s_waitcnt vmcnt(4) lgkmcnt(1)
	v_fma_f64 v[50:51], v[50:51], v[68:69], 0
	scratch_load_b64 v[68:69], off, off offset:168
	s_waitcnt vmcnt(4)
	v_fma_f64 v[50:51], v[52:53], v[70:71], v[50:51]
	s_waitcnt lgkmcnt(0)
	s_delay_alu instid0(VALU_DEP_1) | instskip(SKIP_1) | instid1(VALU_DEP_1)
	v_fma_f64 v[50:51], v[54:55], v[72:73], v[50:51]
	s_waitcnt vmcnt(3)
	v_fma_f64 v[70:71], v[56:57], v[74:75], v[50:51]
	ds_load_b128 v[50:53], v1 offset:304
	ds_load_b128 v[54:57], v1 offset:320
	s_waitcnt lgkmcnt(1)
	v_fma_f64 v[50:51], v[58:59], v[50:51], v[70:71]
	s_waitcnt vmcnt(2)
	s_delay_alu instid0(VALU_DEP_1) | instskip(SKIP_1) | instid1(VALU_DEP_1)
	v_fma_f64 v[50:51], v[60:61], v[52:53], v[50:51]
	s_waitcnt lgkmcnt(0)
	v_fma_f64 v[50:51], v[62:63], v[54:55], v[50:51]
	s_waitcnt vmcnt(1)
	s_delay_alu instid0(VALU_DEP_1) | instskip(SKIP_4) | instid1(VALU_DEP_1)
	v_fma_f64 v[54:55], v[64:65], v[56:57], v[50:51]
	ds_load_b128 v[50:53], v1 offset:336
	s_waitcnt lgkmcnt(0)
	v_fma_f64 v[1:2], v[66:67], v[50:51], v[54:55]
	s_waitcnt vmcnt(0)
	v_fma_f64 v[1:2], v[68:69], v[52:53], v[1:2]
	s_delay_alu instid0(VALU_DEP_1)
	v_add_f64 v[1:2], v[48:49], -v[1:2]
	scratch_store_b64 off, v[1:2], off offset:88
	v_cmpx_lt_u32_e32 10, v0
	s_cbranch_execz .LBB85_121
; %bb.120:
	scratch_load_b64 v[1:2], off, off offset:80
	v_mov_b32_e32 v48, 0
	s_delay_alu instid0(VALU_DEP_1)
	v_mov_b32_e32 v49, v48
	scratch_store_b64 off, v[48:49], off offset:80
	s_waitcnt vmcnt(0)
	ds_store_b64 v3, v[1:2]
.LBB85_121:
	s_or_b32 exec_lo, exec_lo, s0
	s_waitcnt lgkmcnt(0)
	s_waitcnt_vscnt null, 0x0
	s_barrier
	buffer_gl0_inv
	s_clause 0x4
	scratch_load_b128 v[48:51], off, off offset:80
	scratch_load_b128 v[52:55], off, off offset:96
	;; [unrolled: 1-line block ×5, first 2 shown]
	v_mov_b32_e32 v1, 0
	ds_load_2addr_b64 v[68:71], v1 offset0:33 offset1:34
	ds_load_2addr_b64 v[72:75], v1 offset0:35 offset1:36
	scratch_load_b128 v[76:79], off, off offset:160
	s_mov_b32 s0, exec_lo
	s_waitcnt vmcnt(5) lgkmcnt(1)
	v_fma_f64 v[50:51], v[50:51], v[68:69], 0
	s_waitcnt vmcnt(4)
	s_delay_alu instid0(VALU_DEP_1) | instskip(SKIP_1) | instid1(VALU_DEP_1)
	v_fma_f64 v[50:51], v[52:53], v[70:71], v[50:51]
	s_waitcnt lgkmcnt(0)
	v_fma_f64 v[50:51], v[54:55], v[72:73], v[50:51]
	s_waitcnt vmcnt(3)
	s_delay_alu instid0(VALU_DEP_1)
	v_fma_f64 v[68:69], v[56:57], v[74:75], v[50:51]
	ds_load_2addr_b64 v[50:53], v1 offset0:37 offset1:38
	ds_load_2addr_b64 v[54:57], v1 offset0:39 offset1:40
	s_waitcnt lgkmcnt(1)
	v_fma_f64 v[50:51], v[58:59], v[50:51], v[68:69]
	s_waitcnt vmcnt(2)
	s_delay_alu instid0(VALU_DEP_1) | instskip(SKIP_1) | instid1(VALU_DEP_1)
	v_fma_f64 v[50:51], v[60:61], v[52:53], v[50:51]
	s_waitcnt lgkmcnt(0)
	v_fma_f64 v[50:51], v[62:63], v[54:55], v[50:51]
	s_waitcnt vmcnt(1)
	s_delay_alu instid0(VALU_DEP_1)
	v_fma_f64 v[54:55], v[64:65], v[56:57], v[50:51]
	ds_load_2addr_b64 v[50:53], v1 offset0:41 offset1:42
	ds_load_b64 v[56:57], v1 offset:344
	s_waitcnt lgkmcnt(1)
	v_fma_f64 v[50:51], v[66:67], v[50:51], v[54:55]
	s_waitcnt vmcnt(0)
	s_delay_alu instid0(VALU_DEP_1) | instskip(SKIP_1) | instid1(VALU_DEP_1)
	v_fma_f64 v[50:51], v[76:77], v[52:53], v[50:51]
	s_waitcnt lgkmcnt(0)
	v_fma_f64 v[50:51], v[78:79], v[56:57], v[50:51]
	s_delay_alu instid0(VALU_DEP_1)
	v_add_f64 v[48:49], v[48:49], -v[50:51]
	scratch_store_b64 off, v[48:49], off offset:80
	v_cmpx_lt_u32_e32 9, v0
	s_cbranch_execz .LBB85_123
; %bb.122:
	scratch_load_b64 v[48:49], off, off offset:72
	v_mov_b32_e32 v2, v1
	scratch_store_b64 off, v[1:2], off offset:72
	s_waitcnt vmcnt(0)
	ds_store_b64 v3, v[48:49]
.LBB85_123:
	s_or_b32 exec_lo, exec_lo, s0
	s_waitcnt lgkmcnt(0)
	s_waitcnt_vscnt null, 0x0
	s_barrier
	buffer_gl0_inv
	s_clause 0x4
	scratch_load_b128 v[48:51], off, off offset:72
	scratch_load_b128 v[52:55], off, off offset:88
	;; [unrolled: 1-line block ×5, first 2 shown]
	ds_load_b128 v[68:71], v1 offset:256
	ds_load_b128 v[72:75], v1 offset:272
	scratch_load_b128 v[76:79], off, off offset:152
	s_mov_b32 s0, exec_lo
	s_waitcnt vmcnt(5) lgkmcnt(1)
	v_fma_f64 v[50:51], v[50:51], v[68:69], 0
	scratch_load_b64 v[68:69], off, off offset:168
	s_waitcnt vmcnt(5)
	v_fma_f64 v[50:51], v[52:53], v[70:71], v[50:51]
	s_waitcnt lgkmcnt(0)
	s_delay_alu instid0(VALU_DEP_1) | instskip(SKIP_1) | instid1(VALU_DEP_1)
	v_fma_f64 v[50:51], v[54:55], v[72:73], v[50:51]
	s_waitcnt vmcnt(4)
	v_fma_f64 v[70:71], v[56:57], v[74:75], v[50:51]
	ds_load_b128 v[50:53], v1 offset:288
	ds_load_b128 v[54:57], v1 offset:304
	s_waitcnt lgkmcnt(1)
	v_fma_f64 v[50:51], v[58:59], v[50:51], v[70:71]
	s_waitcnt vmcnt(3)
	s_delay_alu instid0(VALU_DEP_1) | instskip(SKIP_1) | instid1(VALU_DEP_1)
	v_fma_f64 v[50:51], v[60:61], v[52:53], v[50:51]
	s_waitcnt lgkmcnt(0)
	v_fma_f64 v[50:51], v[62:63], v[54:55], v[50:51]
	s_waitcnt vmcnt(2)
	s_delay_alu instid0(VALU_DEP_1)
	v_fma_f64 v[58:59], v[64:65], v[56:57], v[50:51]
	ds_load_b128 v[50:53], v1 offset:320
	ds_load_b128 v[54:57], v1 offset:336
	s_waitcnt lgkmcnt(1)
	v_fma_f64 v[1:2], v[66:67], v[50:51], v[58:59]
	s_waitcnt vmcnt(1)
	s_delay_alu instid0(VALU_DEP_1) | instskip(SKIP_1) | instid1(VALU_DEP_1)
	v_fma_f64 v[1:2], v[76:77], v[52:53], v[1:2]
	s_waitcnt lgkmcnt(0)
	v_fma_f64 v[1:2], v[78:79], v[54:55], v[1:2]
	s_waitcnt vmcnt(0)
	s_delay_alu instid0(VALU_DEP_1) | instskip(NEXT) | instid1(VALU_DEP_1)
	v_fma_f64 v[1:2], v[68:69], v[56:57], v[1:2]
	v_add_f64 v[1:2], v[48:49], -v[1:2]
	scratch_store_b64 off, v[1:2], off offset:72
	v_cmpx_lt_u32_e32 8, v0
	s_cbranch_execz .LBB85_125
; %bb.124:
	scratch_load_b64 v[1:2], off, off offset:64
	v_mov_b32_e32 v48, 0
	s_delay_alu instid0(VALU_DEP_1)
	v_mov_b32_e32 v49, v48
	scratch_store_b64 off, v[48:49], off offset:64
	s_waitcnt vmcnt(0)
	ds_store_b64 v3, v[1:2]
.LBB85_125:
	s_or_b32 exec_lo, exec_lo, s0
	s_waitcnt lgkmcnt(0)
	s_waitcnt_vscnt null, 0x0
	s_barrier
	buffer_gl0_inv
	s_clause 0x4
	scratch_load_b128 v[48:51], off, off offset:64
	scratch_load_b128 v[52:55], off, off offset:80
	;; [unrolled: 1-line block ×5, first 2 shown]
	v_mov_b32_e32 v1, 0
	ds_load_2addr_b64 v[68:71], v1 offset0:31 offset1:32
	ds_load_2addr_b64 v[72:75], v1 offset0:33 offset1:34
	scratch_load_b128 v[76:79], off, off offset:144
	s_mov_b32 s0, exec_lo
	s_waitcnt vmcnt(5) lgkmcnt(1)
	v_fma_f64 v[50:51], v[50:51], v[68:69], 0
	s_waitcnt vmcnt(4)
	s_delay_alu instid0(VALU_DEP_1) | instskip(SKIP_1) | instid1(VALU_DEP_1)
	v_fma_f64 v[50:51], v[52:53], v[70:71], v[50:51]
	s_waitcnt lgkmcnt(0)
	v_fma_f64 v[54:55], v[54:55], v[72:73], v[50:51]
	scratch_load_b128 v[50:53], off, off offset:160
	s_waitcnt vmcnt(4)
	v_fma_f64 v[72:73], v[56:57], v[74:75], v[54:55]
	ds_load_2addr_b64 v[54:57], v1 offset0:35 offset1:36
	ds_load_2addr_b64 v[68:71], v1 offset0:37 offset1:38
	s_waitcnt lgkmcnt(1)
	v_fma_f64 v[54:55], v[58:59], v[54:55], v[72:73]
	s_waitcnt vmcnt(3)
	s_delay_alu instid0(VALU_DEP_1) | instskip(SKIP_1) | instid1(VALU_DEP_1)
	v_fma_f64 v[54:55], v[60:61], v[56:57], v[54:55]
	s_waitcnt lgkmcnt(0)
	v_fma_f64 v[54:55], v[62:63], v[68:69], v[54:55]
	s_waitcnt vmcnt(2)
	s_delay_alu instid0(VALU_DEP_1)
	v_fma_f64 v[62:63], v[64:65], v[70:71], v[54:55]
	ds_load_2addr_b64 v[54:57], v1 offset0:39 offset1:40
	ds_load_2addr_b64 v[58:61], v1 offset0:41 offset1:42
	s_waitcnt lgkmcnt(1)
	v_fma_f64 v[54:55], v[66:67], v[54:55], v[62:63]
	s_waitcnt vmcnt(1)
	s_delay_alu instid0(VALU_DEP_1) | instskip(SKIP_1) | instid1(VALU_DEP_1)
	v_fma_f64 v[54:55], v[76:77], v[56:57], v[54:55]
	s_waitcnt lgkmcnt(0)
	v_fma_f64 v[54:55], v[78:79], v[58:59], v[54:55]
	s_waitcnt vmcnt(0)
	s_delay_alu instid0(VALU_DEP_1) | instskip(SKIP_3) | instid1(VALU_DEP_1)
	v_fma_f64 v[50:51], v[50:51], v[60:61], v[54:55]
	ds_load_b64 v[54:55], v1 offset:344
	s_waitcnt lgkmcnt(0)
	v_fma_f64 v[50:51], v[52:53], v[54:55], v[50:51]
	v_add_f64 v[48:49], v[48:49], -v[50:51]
	scratch_store_b64 off, v[48:49], off offset:64
	v_cmpx_lt_u32_e32 7, v0
	s_cbranch_execz .LBB85_127
; %bb.126:
	scratch_load_b64 v[48:49], off, off offset:56
	v_mov_b32_e32 v2, v1
	scratch_store_b64 off, v[1:2], off offset:56
	s_waitcnt vmcnt(0)
	ds_store_b64 v3, v[48:49]
.LBB85_127:
	s_or_b32 exec_lo, exec_lo, s0
	s_waitcnt lgkmcnt(0)
	s_waitcnt_vscnt null, 0x0
	s_barrier
	buffer_gl0_inv
	s_clause 0x4
	scratch_load_b128 v[48:51], off, off offset:56
	scratch_load_b128 v[52:55], off, off offset:72
	;; [unrolled: 1-line block ×5, first 2 shown]
	ds_load_b128 v[68:71], v1 offset:240
	ds_load_b128 v[72:75], v1 offset:256
	scratch_load_b128 v[76:79], off, off offset:136
	s_mov_b32 s0, exec_lo
	s_waitcnt vmcnt(5) lgkmcnt(1)
	v_fma_f64 v[50:51], v[50:51], v[68:69], 0
	s_waitcnt vmcnt(4)
	s_delay_alu instid0(VALU_DEP_1) | instskip(SKIP_1) | instid1(VALU_DEP_1)
	v_fma_f64 v[50:51], v[52:53], v[70:71], v[50:51]
	s_waitcnt lgkmcnt(0)
	v_fma_f64 v[54:55], v[54:55], v[72:73], v[50:51]
	scratch_load_b128 v[50:53], off, off offset:152
	s_waitcnt vmcnt(4)
	v_fma_f64 v[72:73], v[56:57], v[74:75], v[54:55]
	ds_load_b128 v[54:57], v1 offset:272
	ds_load_b128 v[68:71], v1 offset:288
	s_waitcnt lgkmcnt(1)
	v_fma_f64 v[54:55], v[58:59], v[54:55], v[72:73]
	scratch_load_b64 v[72:73], off, off offset:168
	s_waitcnt vmcnt(4)
	v_fma_f64 v[54:55], v[60:61], v[56:57], v[54:55]
	s_waitcnt lgkmcnt(0)
	s_delay_alu instid0(VALU_DEP_1) | instskip(SKIP_1) | instid1(VALU_DEP_1)
	v_fma_f64 v[54:55], v[62:63], v[68:69], v[54:55]
	s_waitcnt vmcnt(3)
	v_fma_f64 v[62:63], v[64:65], v[70:71], v[54:55]
	ds_load_b128 v[54:57], v1 offset:304
	ds_load_b128 v[58:61], v1 offset:320
	s_waitcnt lgkmcnt(1)
	v_fma_f64 v[54:55], v[66:67], v[54:55], v[62:63]
	s_waitcnt vmcnt(2)
	s_delay_alu instid0(VALU_DEP_1) | instskip(SKIP_1) | instid1(VALU_DEP_1)
	v_fma_f64 v[54:55], v[76:77], v[56:57], v[54:55]
	s_waitcnt lgkmcnt(0)
	v_fma_f64 v[54:55], v[78:79], v[58:59], v[54:55]
	s_waitcnt vmcnt(1)
	s_delay_alu instid0(VALU_DEP_1) | instskip(SKIP_4) | instid1(VALU_DEP_1)
	v_fma_f64 v[50:51], v[50:51], v[60:61], v[54:55]
	ds_load_b128 v[54:57], v1 offset:336
	s_waitcnt lgkmcnt(0)
	v_fma_f64 v[1:2], v[52:53], v[54:55], v[50:51]
	s_waitcnt vmcnt(0)
	v_fma_f64 v[1:2], v[72:73], v[56:57], v[1:2]
	s_delay_alu instid0(VALU_DEP_1)
	v_add_f64 v[1:2], v[48:49], -v[1:2]
	scratch_store_b64 off, v[1:2], off offset:56
	v_cmpx_lt_u32_e32 6, v0
	s_cbranch_execz .LBB85_129
; %bb.128:
	scratch_load_b64 v[1:2], off, off offset:48
	v_mov_b32_e32 v48, 0
	s_delay_alu instid0(VALU_DEP_1)
	v_mov_b32_e32 v49, v48
	scratch_store_b64 off, v[48:49], off offset:48
	s_waitcnt vmcnt(0)
	ds_store_b64 v3, v[1:2]
.LBB85_129:
	s_or_b32 exec_lo, exec_lo, s0
	s_waitcnt lgkmcnt(0)
	s_waitcnt_vscnt null, 0x0
	s_barrier
	buffer_gl0_inv
	s_clause 0x4
	scratch_load_b128 v[48:51], off, off offset:48
	scratch_load_b128 v[52:55], off, off offset:64
	;; [unrolled: 1-line block ×5, first 2 shown]
	v_mov_b32_e32 v1, 0
	ds_load_2addr_b64 v[68:71], v1 offset0:29 offset1:30
	ds_load_2addr_b64 v[72:75], v1 offset0:31 offset1:32
	scratch_load_b128 v[76:79], off, off offset:128
	s_mov_b32 s0, exec_lo
	s_waitcnt vmcnt(5) lgkmcnt(1)
	v_fma_f64 v[50:51], v[50:51], v[68:69], 0
	s_waitcnt vmcnt(4)
	s_delay_alu instid0(VALU_DEP_1) | instskip(SKIP_1) | instid1(VALU_DEP_1)
	v_fma_f64 v[50:51], v[52:53], v[70:71], v[50:51]
	s_waitcnt lgkmcnt(0)
	v_fma_f64 v[54:55], v[54:55], v[72:73], v[50:51]
	scratch_load_b128 v[50:53], off, off offset:144
	s_waitcnt vmcnt(4)
	v_fma_f64 v[72:73], v[56:57], v[74:75], v[54:55]
	ds_load_2addr_b64 v[54:57], v1 offset0:33 offset1:34
	ds_load_2addr_b64 v[68:71], v1 offset0:35 offset1:36
	s_waitcnt lgkmcnt(1)
	v_fma_f64 v[54:55], v[58:59], v[54:55], v[72:73]
	scratch_load_b128 v[72:75], off, off offset:160
	s_waitcnt vmcnt(4)
	v_fma_f64 v[54:55], v[60:61], v[56:57], v[54:55]
	s_waitcnt lgkmcnt(0)
	s_delay_alu instid0(VALU_DEP_1) | instskip(SKIP_1) | instid1(VALU_DEP_1)
	v_fma_f64 v[54:55], v[62:63], v[68:69], v[54:55]
	s_waitcnt vmcnt(3)
	v_fma_f64 v[62:63], v[64:65], v[70:71], v[54:55]
	ds_load_2addr_b64 v[54:57], v1 offset0:37 offset1:38
	ds_load_2addr_b64 v[58:61], v1 offset0:39 offset1:40
	s_waitcnt lgkmcnt(1)
	v_fma_f64 v[54:55], v[66:67], v[54:55], v[62:63]
	s_waitcnt vmcnt(2)
	s_delay_alu instid0(VALU_DEP_1) | instskip(SKIP_1) | instid1(VALU_DEP_1)
	v_fma_f64 v[54:55], v[76:77], v[56:57], v[54:55]
	s_waitcnt lgkmcnt(0)
	v_fma_f64 v[54:55], v[78:79], v[58:59], v[54:55]
	s_waitcnt vmcnt(1)
	s_delay_alu instid0(VALU_DEP_1)
	v_fma_f64 v[50:51], v[50:51], v[60:61], v[54:55]
	ds_load_2addr_b64 v[54:57], v1 offset0:41 offset1:42
	ds_load_b64 v[58:59], v1 offset:344
	s_waitcnt lgkmcnt(1)
	v_fma_f64 v[50:51], v[52:53], v[54:55], v[50:51]
	s_waitcnt vmcnt(0)
	s_delay_alu instid0(VALU_DEP_1) | instskip(SKIP_1) | instid1(VALU_DEP_1)
	v_fma_f64 v[50:51], v[72:73], v[56:57], v[50:51]
	s_waitcnt lgkmcnt(0)
	v_fma_f64 v[50:51], v[74:75], v[58:59], v[50:51]
	s_delay_alu instid0(VALU_DEP_1)
	v_add_f64 v[48:49], v[48:49], -v[50:51]
	scratch_store_b64 off, v[48:49], off offset:48
	v_cmpx_lt_u32_e32 5, v0
	s_cbranch_execz .LBB85_131
; %bb.130:
	scratch_load_b64 v[48:49], off, off offset:40
	v_mov_b32_e32 v2, v1
	scratch_store_b64 off, v[1:2], off offset:40
	s_waitcnt vmcnt(0)
	ds_store_b64 v3, v[48:49]
.LBB85_131:
	s_or_b32 exec_lo, exec_lo, s0
	s_waitcnt lgkmcnt(0)
	s_waitcnt_vscnt null, 0x0
	s_barrier
	buffer_gl0_inv
	s_clause 0x4
	scratch_load_b128 v[48:51], off, off offset:40
	scratch_load_b128 v[52:55], off, off offset:56
	;; [unrolled: 1-line block ×5, first 2 shown]
	ds_load_b128 v[68:71], v1 offset:224
	ds_load_b128 v[72:75], v1 offset:240
	scratch_load_b128 v[76:79], off, off offset:120
	s_mov_b32 s0, exec_lo
	s_waitcnt vmcnt(5) lgkmcnt(1)
	v_fma_f64 v[50:51], v[50:51], v[68:69], 0
	s_waitcnt vmcnt(4)
	s_delay_alu instid0(VALU_DEP_1) | instskip(SKIP_1) | instid1(VALU_DEP_1)
	v_fma_f64 v[50:51], v[52:53], v[70:71], v[50:51]
	s_waitcnt lgkmcnt(0)
	v_fma_f64 v[54:55], v[54:55], v[72:73], v[50:51]
	scratch_load_b128 v[50:53], off, off offset:136
	s_waitcnt vmcnt(4)
	v_fma_f64 v[72:73], v[56:57], v[74:75], v[54:55]
	ds_load_b128 v[54:57], v1 offset:256
	ds_load_b128 v[68:71], v1 offset:272
	s_waitcnt lgkmcnt(1)
	v_fma_f64 v[54:55], v[58:59], v[54:55], v[72:73]
	scratch_load_b128 v[72:75], off, off offset:152
	s_waitcnt vmcnt(4)
	v_fma_f64 v[54:55], v[60:61], v[56:57], v[54:55]
	s_waitcnt lgkmcnt(0)
	s_delay_alu instid0(VALU_DEP_1)
	v_fma_f64 v[54:55], v[62:63], v[68:69], v[54:55]
	scratch_load_b64 v[62:63], off, off offset:168
	s_waitcnt vmcnt(4)
	v_fma_f64 v[64:65], v[64:65], v[70:71], v[54:55]
	ds_load_b128 v[54:57], v1 offset:288
	ds_load_b128 v[58:61], v1 offset:304
	s_waitcnt lgkmcnt(1)
	v_fma_f64 v[54:55], v[66:67], v[54:55], v[64:65]
	s_waitcnt vmcnt(3)
	s_delay_alu instid0(VALU_DEP_1) | instskip(SKIP_1) | instid1(VALU_DEP_1)
	v_fma_f64 v[54:55], v[76:77], v[56:57], v[54:55]
	s_waitcnt lgkmcnt(0)
	v_fma_f64 v[54:55], v[78:79], v[58:59], v[54:55]
	s_waitcnt vmcnt(2)
	s_delay_alu instid0(VALU_DEP_1)
	v_fma_f64 v[50:51], v[50:51], v[60:61], v[54:55]
	ds_load_b128 v[54:57], v1 offset:320
	ds_load_b128 v[58:61], v1 offset:336
	s_waitcnt lgkmcnt(1)
	v_fma_f64 v[1:2], v[52:53], v[54:55], v[50:51]
	s_waitcnt vmcnt(1)
	s_delay_alu instid0(VALU_DEP_1) | instskip(SKIP_1) | instid1(VALU_DEP_1)
	v_fma_f64 v[1:2], v[72:73], v[56:57], v[1:2]
	s_waitcnt lgkmcnt(0)
	v_fma_f64 v[1:2], v[74:75], v[58:59], v[1:2]
	s_waitcnt vmcnt(0)
	s_delay_alu instid0(VALU_DEP_1) | instskip(NEXT) | instid1(VALU_DEP_1)
	v_fma_f64 v[1:2], v[62:63], v[60:61], v[1:2]
	v_add_f64 v[1:2], v[48:49], -v[1:2]
	scratch_store_b64 off, v[1:2], off offset:40
	v_cmpx_lt_u32_e32 4, v0
	s_cbranch_execz .LBB85_133
; %bb.132:
	scratch_load_b64 v[1:2], off, off offset:32
	v_mov_b32_e32 v48, 0
	s_delay_alu instid0(VALU_DEP_1)
	v_mov_b32_e32 v49, v48
	scratch_store_b64 off, v[48:49], off offset:32
	s_waitcnt vmcnt(0)
	ds_store_b64 v3, v[1:2]
.LBB85_133:
	s_or_b32 exec_lo, exec_lo, s0
	s_waitcnt lgkmcnt(0)
	s_waitcnt_vscnt null, 0x0
	s_barrier
	buffer_gl0_inv
	s_clause 0x4
	scratch_load_b128 v[48:51], off, off offset:32
	scratch_load_b128 v[52:55], off, off offset:48
	;; [unrolled: 1-line block ×5, first 2 shown]
	v_mov_b32_e32 v1, 0
	ds_load_2addr_b64 v[68:71], v1 offset0:27 offset1:28
	ds_load_2addr_b64 v[72:75], v1 offset0:29 offset1:30
	scratch_load_b128 v[76:79], off, off offset:112
	s_mov_b32 s0, exec_lo
	s_waitcnt vmcnt(5) lgkmcnt(1)
	v_fma_f64 v[50:51], v[50:51], v[68:69], 0
	s_waitcnt vmcnt(4)
	s_delay_alu instid0(VALU_DEP_1) | instskip(SKIP_1) | instid1(VALU_DEP_1)
	v_fma_f64 v[50:51], v[52:53], v[70:71], v[50:51]
	s_waitcnt lgkmcnt(0)
	v_fma_f64 v[54:55], v[54:55], v[72:73], v[50:51]
	scratch_load_b128 v[50:53], off, off offset:128
	s_waitcnt vmcnt(4)
	v_fma_f64 v[72:73], v[56:57], v[74:75], v[54:55]
	ds_load_2addr_b64 v[54:57], v1 offset0:31 offset1:32
	ds_load_2addr_b64 v[68:71], v1 offset0:33 offset1:34
	s_waitcnt lgkmcnt(1)
	v_fma_f64 v[54:55], v[58:59], v[54:55], v[72:73]
	scratch_load_b128 v[72:75], off, off offset:144
	s_waitcnt vmcnt(4)
	v_fma_f64 v[54:55], v[60:61], v[56:57], v[54:55]
	s_waitcnt lgkmcnt(0)
	s_delay_alu instid0(VALU_DEP_1)
	v_fma_f64 v[58:59], v[62:63], v[68:69], v[54:55]
	scratch_load_b128 v[54:57], off, off offset:160
	s_waitcnt vmcnt(4)
	v_fma_f64 v[68:69], v[64:65], v[70:71], v[58:59]
	ds_load_2addr_b64 v[58:61], v1 offset0:35 offset1:36
	ds_load_2addr_b64 v[62:65], v1 offset0:37 offset1:38
	s_waitcnt lgkmcnt(1)
	v_fma_f64 v[58:59], v[66:67], v[58:59], v[68:69]
	s_waitcnt vmcnt(3)
	s_delay_alu instid0(VALU_DEP_1) | instskip(SKIP_1) | instid1(VALU_DEP_1)
	v_fma_f64 v[58:59], v[76:77], v[60:61], v[58:59]
	s_waitcnt lgkmcnt(0)
	v_fma_f64 v[58:59], v[78:79], v[62:63], v[58:59]
	s_waitcnt vmcnt(2)
	s_delay_alu instid0(VALU_DEP_1)
	v_fma_f64 v[50:51], v[50:51], v[64:65], v[58:59]
	ds_load_2addr_b64 v[58:61], v1 offset0:39 offset1:40
	ds_load_2addr_b64 v[62:65], v1 offset0:41 offset1:42
	s_waitcnt lgkmcnt(1)
	v_fma_f64 v[50:51], v[52:53], v[58:59], v[50:51]
	ds_load_b64 v[52:53], v1 offset:344
	s_waitcnt vmcnt(1)
	v_fma_f64 v[50:51], v[72:73], v[60:61], v[50:51]
	s_waitcnt lgkmcnt(1)
	s_delay_alu instid0(VALU_DEP_1) | instskip(SKIP_1) | instid1(VALU_DEP_1)
	v_fma_f64 v[50:51], v[74:75], v[62:63], v[50:51]
	s_waitcnt vmcnt(0)
	v_fma_f64 v[50:51], v[54:55], v[64:65], v[50:51]
	s_waitcnt lgkmcnt(0)
	s_delay_alu instid0(VALU_DEP_1) | instskip(NEXT) | instid1(VALU_DEP_1)
	v_fma_f64 v[50:51], v[56:57], v[52:53], v[50:51]
	v_add_f64 v[48:49], v[48:49], -v[50:51]
	scratch_store_b64 off, v[48:49], off offset:32
	v_cmpx_lt_u32_e32 3, v0
	s_cbranch_execz .LBB85_135
; %bb.134:
	scratch_load_b64 v[48:49], off, off offset:24
	v_mov_b32_e32 v2, v1
	scratch_store_b64 off, v[1:2], off offset:24
	s_waitcnt vmcnt(0)
	ds_store_b64 v3, v[48:49]
.LBB85_135:
	s_or_b32 exec_lo, exec_lo, s0
	s_waitcnt lgkmcnt(0)
	s_waitcnt_vscnt null, 0x0
	s_barrier
	buffer_gl0_inv
	s_clause 0x4
	scratch_load_b128 v[48:51], off, off offset:24
	scratch_load_b128 v[52:55], off, off offset:40
	;; [unrolled: 1-line block ×5, first 2 shown]
	ds_load_b128 v[68:71], v1 offset:208
	ds_load_b128 v[72:75], v1 offset:224
	scratch_load_b128 v[76:79], off, off offset:104
	s_mov_b32 s0, exec_lo
	s_waitcnt vmcnt(5) lgkmcnt(1)
	v_fma_f64 v[50:51], v[50:51], v[68:69], 0
	s_waitcnt vmcnt(4)
	s_delay_alu instid0(VALU_DEP_1) | instskip(SKIP_1) | instid1(VALU_DEP_1)
	v_fma_f64 v[50:51], v[52:53], v[70:71], v[50:51]
	s_waitcnt lgkmcnt(0)
	v_fma_f64 v[54:55], v[54:55], v[72:73], v[50:51]
	scratch_load_b128 v[50:53], off, off offset:120
	s_waitcnt vmcnt(4)
	v_fma_f64 v[72:73], v[56:57], v[74:75], v[54:55]
	ds_load_b128 v[54:57], v1 offset:240
	ds_load_b128 v[68:71], v1 offset:256
	s_waitcnt lgkmcnt(1)
	v_fma_f64 v[54:55], v[58:59], v[54:55], v[72:73]
	scratch_load_b128 v[72:75], off, off offset:136
	s_waitcnt vmcnt(4)
	v_fma_f64 v[54:55], v[60:61], v[56:57], v[54:55]
	s_waitcnt lgkmcnt(0)
	s_delay_alu instid0(VALU_DEP_1)
	v_fma_f64 v[58:59], v[62:63], v[68:69], v[54:55]
	scratch_load_b128 v[54:57], off, off offset:152
	s_waitcnt vmcnt(4)
	v_fma_f64 v[68:69], v[64:65], v[70:71], v[58:59]
	ds_load_b128 v[58:61], v1 offset:272
	ds_load_b128 v[62:65], v1 offset:288
	s_waitcnt lgkmcnt(1)
	v_fma_f64 v[58:59], v[66:67], v[58:59], v[68:69]
	scratch_load_b64 v[66:67], off, off offset:168
	s_waitcnt vmcnt(4)
	v_fma_f64 v[58:59], v[76:77], v[60:61], v[58:59]
	s_waitcnt lgkmcnt(0)
	s_delay_alu instid0(VALU_DEP_1) | instskip(SKIP_1) | instid1(VALU_DEP_1)
	v_fma_f64 v[58:59], v[78:79], v[62:63], v[58:59]
	s_waitcnt vmcnt(3)
	v_fma_f64 v[50:51], v[50:51], v[64:65], v[58:59]
	ds_load_b128 v[58:61], v1 offset:304
	ds_load_b128 v[62:65], v1 offset:320
	s_waitcnt lgkmcnt(1)
	v_fma_f64 v[50:51], v[52:53], v[58:59], v[50:51]
	s_waitcnt vmcnt(2)
	s_delay_alu instid0(VALU_DEP_1) | instskip(SKIP_1) | instid1(VALU_DEP_1)
	v_fma_f64 v[50:51], v[72:73], v[60:61], v[50:51]
	s_waitcnt lgkmcnt(0)
	v_fma_f64 v[50:51], v[74:75], v[62:63], v[50:51]
	s_waitcnt vmcnt(1)
	s_delay_alu instid0(VALU_DEP_1) | instskip(SKIP_4) | instid1(VALU_DEP_1)
	v_fma_f64 v[54:55], v[54:55], v[64:65], v[50:51]
	ds_load_b128 v[50:53], v1 offset:336
	s_waitcnt lgkmcnt(0)
	v_fma_f64 v[1:2], v[56:57], v[50:51], v[54:55]
	s_waitcnt vmcnt(0)
	v_fma_f64 v[1:2], v[66:67], v[52:53], v[1:2]
	s_delay_alu instid0(VALU_DEP_1)
	v_add_f64 v[1:2], v[48:49], -v[1:2]
	scratch_store_b64 off, v[1:2], off offset:24
	v_cmpx_lt_u32_e32 2, v0
	s_cbranch_execz .LBB85_137
; %bb.136:
	scratch_load_b64 v[1:2], off, off offset:16
	v_mov_b32_e32 v48, 0
	s_delay_alu instid0(VALU_DEP_1)
	v_mov_b32_e32 v49, v48
	scratch_store_b64 off, v[48:49], off offset:16
	s_waitcnt vmcnt(0)
	ds_store_b64 v3, v[1:2]
.LBB85_137:
	s_or_b32 exec_lo, exec_lo, s0
	s_waitcnt lgkmcnt(0)
	s_waitcnt_vscnt null, 0x0
	s_barrier
	buffer_gl0_inv
	s_clause 0x4
	scratch_load_b128 v[48:51], off, off offset:16
	scratch_load_b128 v[52:55], off, off offset:32
	;; [unrolled: 1-line block ×5, first 2 shown]
	v_mov_b32_e32 v1, 0
	ds_load_2addr_b64 v[68:71], v1 offset0:25 offset1:26
	ds_load_2addr_b64 v[72:75], v1 offset0:27 offset1:28
	scratch_load_b128 v[76:79], off, off offset:96
	s_mov_b32 s0, exec_lo
	s_waitcnt vmcnt(5) lgkmcnt(1)
	v_fma_f64 v[50:51], v[50:51], v[68:69], 0
	s_waitcnt vmcnt(4)
	s_delay_alu instid0(VALU_DEP_1) | instskip(SKIP_1) | instid1(VALU_DEP_1)
	v_fma_f64 v[50:51], v[52:53], v[70:71], v[50:51]
	s_waitcnt lgkmcnt(0)
	v_fma_f64 v[54:55], v[54:55], v[72:73], v[50:51]
	scratch_load_b128 v[50:53], off, off offset:112
	s_waitcnt vmcnt(4)
	v_fma_f64 v[72:73], v[56:57], v[74:75], v[54:55]
	ds_load_2addr_b64 v[54:57], v1 offset0:29 offset1:30
	ds_load_2addr_b64 v[68:71], v1 offset0:31 offset1:32
	s_waitcnt lgkmcnt(1)
	v_fma_f64 v[54:55], v[58:59], v[54:55], v[72:73]
	scratch_load_b128 v[72:75], off, off offset:128
	s_waitcnt vmcnt(4)
	v_fma_f64 v[54:55], v[60:61], v[56:57], v[54:55]
	s_waitcnt lgkmcnt(0)
	s_delay_alu instid0(VALU_DEP_1)
	v_fma_f64 v[58:59], v[62:63], v[68:69], v[54:55]
	scratch_load_b128 v[54:57], off, off offset:144
	s_waitcnt vmcnt(4)
	v_fma_f64 v[68:69], v[64:65], v[70:71], v[58:59]
	ds_load_2addr_b64 v[58:61], v1 offset0:33 offset1:34
	ds_load_2addr_b64 v[62:65], v1 offset0:35 offset1:36
	s_waitcnt lgkmcnt(1)
	v_fma_f64 v[58:59], v[66:67], v[58:59], v[68:69]
	scratch_load_b128 v[66:69], off, off offset:160
	s_waitcnt vmcnt(4)
	v_fma_f64 v[58:59], v[76:77], v[60:61], v[58:59]
	s_waitcnt lgkmcnt(0)
	s_delay_alu instid0(VALU_DEP_1) | instskip(SKIP_1) | instid1(VALU_DEP_1)
	v_fma_f64 v[58:59], v[78:79], v[62:63], v[58:59]
	s_waitcnt vmcnt(3)
	v_fma_f64 v[50:51], v[50:51], v[64:65], v[58:59]
	ds_load_2addr_b64 v[58:61], v1 offset0:37 offset1:38
	ds_load_2addr_b64 v[62:65], v1 offset0:39 offset1:40
	s_waitcnt lgkmcnt(1)
	v_fma_f64 v[50:51], v[52:53], v[58:59], v[50:51]
	s_waitcnt vmcnt(2)
	s_delay_alu instid0(VALU_DEP_1) | instskip(SKIP_1) | instid1(VALU_DEP_1)
	v_fma_f64 v[50:51], v[72:73], v[60:61], v[50:51]
	s_waitcnt lgkmcnt(0)
	v_fma_f64 v[50:51], v[74:75], v[62:63], v[50:51]
	s_waitcnt vmcnt(1)
	s_delay_alu instid0(VALU_DEP_1)
	v_fma_f64 v[54:55], v[54:55], v[64:65], v[50:51]
	ds_load_2addr_b64 v[50:53], v1 offset0:41 offset1:42
	ds_load_b64 v[58:59], v1 offset:344
	s_waitcnt lgkmcnt(1)
	v_fma_f64 v[50:51], v[56:57], v[50:51], v[54:55]
	s_waitcnt vmcnt(0)
	s_delay_alu instid0(VALU_DEP_1) | instskip(SKIP_1) | instid1(VALU_DEP_1)
	v_fma_f64 v[50:51], v[66:67], v[52:53], v[50:51]
	s_waitcnt lgkmcnt(0)
	v_fma_f64 v[50:51], v[68:69], v[58:59], v[50:51]
	s_delay_alu instid0(VALU_DEP_1)
	v_add_f64 v[48:49], v[48:49], -v[50:51]
	scratch_store_b64 off, v[48:49], off offset:16
	v_cmpx_lt_u32_e32 1, v0
	s_cbranch_execz .LBB85_139
; %bb.138:
	scratch_load_b64 v[48:49], off, off offset:8
	v_mov_b32_e32 v2, v1
	scratch_store_b64 off, v[1:2], off offset:8
	s_waitcnt vmcnt(0)
	ds_store_b64 v3, v[48:49]
.LBB85_139:
	s_or_b32 exec_lo, exec_lo, s0
	s_waitcnt lgkmcnt(0)
	s_waitcnt_vscnt null, 0x0
	s_barrier
	buffer_gl0_inv
	s_clause 0x4
	scratch_load_b128 v[48:51], off, off offset:8
	scratch_load_b128 v[52:55], off, off offset:24
	scratch_load_b128 v[56:59], off, off offset:40
	scratch_load_b128 v[60:63], off, off offset:56
	scratch_load_b128 v[64:67], off, off offset:72
	ds_load_b128 v[68:71], v1 offset:192
	ds_load_b128 v[72:75], v1 offset:208
	scratch_load_b128 v[76:79], off, off offset:88
	s_mov_b32 s0, exec_lo
	s_waitcnt vmcnt(5) lgkmcnt(1)
	v_fma_f64 v[50:51], v[50:51], v[68:69], 0
	s_waitcnt vmcnt(4)
	s_delay_alu instid0(VALU_DEP_1) | instskip(SKIP_1) | instid1(VALU_DEP_1)
	v_fma_f64 v[50:51], v[52:53], v[70:71], v[50:51]
	s_waitcnt lgkmcnt(0)
	v_fma_f64 v[54:55], v[54:55], v[72:73], v[50:51]
	scratch_load_b128 v[50:53], off, off offset:104
	s_waitcnt vmcnt(4)
	v_fma_f64 v[72:73], v[56:57], v[74:75], v[54:55]
	ds_load_b128 v[54:57], v1 offset:224
	ds_load_b128 v[68:71], v1 offset:240
	s_waitcnt lgkmcnt(1)
	v_fma_f64 v[54:55], v[58:59], v[54:55], v[72:73]
	scratch_load_b128 v[72:75], off, off offset:120
	s_waitcnt vmcnt(4)
	v_fma_f64 v[54:55], v[60:61], v[56:57], v[54:55]
	s_waitcnt lgkmcnt(0)
	s_delay_alu instid0(VALU_DEP_1)
	v_fma_f64 v[58:59], v[62:63], v[68:69], v[54:55]
	scratch_load_b128 v[54:57], off, off offset:136
	s_waitcnt vmcnt(4)
	v_fma_f64 v[68:69], v[64:65], v[70:71], v[58:59]
	ds_load_b128 v[58:61], v1 offset:256
	ds_load_b128 v[62:65], v1 offset:272
	scratch_load_b64 v[70:71], off, off offset:168
	s_waitcnt lgkmcnt(1)
	v_fma_f64 v[58:59], v[66:67], v[58:59], v[68:69]
	scratch_load_b128 v[66:69], off, off offset:152
	s_waitcnt vmcnt(5)
	v_fma_f64 v[58:59], v[76:77], v[60:61], v[58:59]
	s_waitcnt lgkmcnt(0)
	s_delay_alu instid0(VALU_DEP_1) | instskip(SKIP_1) | instid1(VALU_DEP_1)
	v_fma_f64 v[58:59], v[78:79], v[62:63], v[58:59]
	s_waitcnt vmcnt(4)
	v_fma_f64 v[50:51], v[50:51], v[64:65], v[58:59]
	ds_load_b128 v[58:61], v1 offset:288
	ds_load_b128 v[62:65], v1 offset:304
	s_waitcnt lgkmcnt(1)
	v_fma_f64 v[50:51], v[52:53], v[58:59], v[50:51]
	s_waitcnt vmcnt(3)
	s_delay_alu instid0(VALU_DEP_1) | instskip(SKIP_1) | instid1(VALU_DEP_1)
	v_fma_f64 v[50:51], v[72:73], v[60:61], v[50:51]
	s_waitcnt lgkmcnt(0)
	v_fma_f64 v[50:51], v[74:75], v[62:63], v[50:51]
	s_waitcnt vmcnt(2)
	s_delay_alu instid0(VALU_DEP_1)
	v_fma_f64 v[54:55], v[54:55], v[64:65], v[50:51]
	ds_load_b128 v[50:53], v1 offset:320
	ds_load_b128 v[58:61], v1 offset:336
	s_waitcnt lgkmcnt(1)
	v_fma_f64 v[1:2], v[56:57], v[50:51], v[54:55]
	s_waitcnt vmcnt(0)
	s_delay_alu instid0(VALU_DEP_1) | instskip(SKIP_1) | instid1(VALU_DEP_1)
	v_fma_f64 v[1:2], v[66:67], v[52:53], v[1:2]
	s_waitcnt lgkmcnt(0)
	v_fma_f64 v[1:2], v[68:69], v[58:59], v[1:2]
	s_delay_alu instid0(VALU_DEP_1) | instskip(NEXT) | instid1(VALU_DEP_1)
	v_fma_f64 v[1:2], v[70:71], v[60:61], v[1:2]
	v_add_f64 v[1:2], v[48:49], -v[1:2]
	scratch_store_b64 off, v[1:2], off offset:8
	v_cmpx_ne_u32_e32 0, v0
	s_cbranch_execz .LBB85_141
; %bb.140:
	scratch_load_b64 v[0:1], off, off
	v_mov_b32_e32 v48, 0
	s_delay_alu instid0(VALU_DEP_1)
	v_mov_b32_e32 v49, v48
	scratch_store_b64 off, v[48:49], off
	s_waitcnt vmcnt(0)
	ds_store_b64 v3, v[0:1]
.LBB85_141:
	s_or_b32 exec_lo, exec_lo, s0
	s_waitcnt lgkmcnt(0)
	s_waitcnt_vscnt null, 0x0
	s_barrier
	buffer_gl0_inv
	s_clause 0x4
	scratch_load_b128 v[48:51], off, off
	scratch_load_b128 v[0:3], off, off offset:16
	scratch_load_b128 v[52:55], off, off offset:32
	;; [unrolled: 1-line block ×4, first 2 shown]
	v_mov_b32_e32 v76, 0
	ds_load_2addr_b64 v[64:67], v76 offset0:23 offset1:24
	ds_load_2addr_b64 v[68:71], v76 offset0:25 offset1:26
	scratch_load_b128 v[72:75], off, off offset:80
	s_and_b32 vcc_lo, exec_lo, s12
	s_waitcnt vmcnt(5) lgkmcnt(1)
	v_fma_f64 v[50:51], v[50:51], v[64:65], 0
	s_waitcnt vmcnt(4)
	s_delay_alu instid0(VALU_DEP_1) | instskip(SKIP_4) | instid1(VALU_DEP_1)
	v_fma_f64 v[0:1], v[0:1], v[66:67], v[50:51]
	scratch_load_b128 v[64:67], off, off offset:96
	s_waitcnt lgkmcnt(0)
	v_fma_f64 v[0:1], v[2:3], v[68:69], v[0:1]
	s_waitcnt vmcnt(4)
	v_fma_f64 v[68:69], v[52:53], v[70:71], v[0:1]
	ds_load_2addr_b64 v[0:3], v76 offset0:27 offset1:28
	ds_load_2addr_b64 v[50:53], v76 offset0:29 offset1:30
	s_waitcnt lgkmcnt(1)
	v_fma_f64 v[0:1], v[54:55], v[0:1], v[68:69]
	scratch_load_b128 v[68:71], off, off offset:112
	s_waitcnt vmcnt(4)
	v_fma_f64 v[0:1], v[56:57], v[2:3], v[0:1]
	scratch_load_b128 v[54:57], off, off offset:128
	s_waitcnt lgkmcnt(0)
	v_fma_f64 v[0:1], v[58:59], v[50:51], v[0:1]
	s_waitcnt vmcnt(4)
	s_delay_alu instid0(VALU_DEP_1)
	v_fma_f64 v[58:59], v[60:61], v[52:53], v[0:1]
	ds_load_2addr_b64 v[0:3], v76 offset0:31 offset1:32
	ds_load_2addr_b64 v[50:53], v76 offset0:33 offset1:34
	s_waitcnt lgkmcnt(1)
	v_fma_f64 v[0:1], v[62:63], v[0:1], v[58:59]
	scratch_load_b128 v[58:61], off, off offset:144
	s_waitcnt vmcnt(4)
	v_fma_f64 v[0:1], v[72:73], v[2:3], v[0:1]
	s_waitcnt lgkmcnt(0)
	s_delay_alu instid0(VALU_DEP_1)
	v_fma_f64 v[50:51], v[74:75], v[50:51], v[0:1]
	scratch_load_b128 v[0:3], off, off offset:160
	s_waitcnt vmcnt(4)
	v_fma_f64 v[72:73], v[64:65], v[52:53], v[50:51]
	ds_load_2addr_b64 v[50:53], v76 offset0:35 offset1:36
	ds_load_2addr_b64 v[62:65], v76 offset0:37 offset1:38
	s_waitcnt lgkmcnt(1)
	v_fma_f64 v[50:51], v[66:67], v[50:51], v[72:73]
	s_waitcnt vmcnt(3)
	s_delay_alu instid0(VALU_DEP_1) | instskip(SKIP_1) | instid1(VALU_DEP_1)
	v_fma_f64 v[50:51], v[68:69], v[52:53], v[50:51]
	s_waitcnt lgkmcnt(0)
	v_fma_f64 v[50:51], v[70:71], v[62:63], v[50:51]
	s_waitcnt vmcnt(2)
	s_delay_alu instid0(VALU_DEP_1)
	v_fma_f64 v[54:55], v[54:55], v[64:65], v[50:51]
	ds_load_2addr_b64 v[50:53], v76 offset0:39 offset1:40
	ds_load_2addr_b64 v[62:65], v76 offset0:41 offset1:42
	s_waitcnt lgkmcnt(1)
	v_fma_f64 v[50:51], v[56:57], v[50:51], v[54:55]
	s_waitcnt vmcnt(1)
	s_delay_alu instid0(VALU_DEP_1) | instskip(SKIP_4) | instid1(VALU_DEP_1)
	v_fma_f64 v[50:51], v[58:59], v[52:53], v[50:51]
	ds_load_b64 v[52:53], v76 offset:344
	s_waitcnt lgkmcnt(1)
	v_fma_f64 v[50:51], v[60:61], v[62:63], v[50:51]
	s_waitcnt vmcnt(0)
	v_fma_f64 v[50:51], v[0:1], v[64:65], v[50:51]
	s_waitcnt lgkmcnt(0)
	s_delay_alu instid0(VALU_DEP_1) | instskip(NEXT) | instid1(VALU_DEP_1)
	v_fma_f64 v[2:3], v[2:3], v[52:53], v[50:51]
	v_add_f64 v[2:3], v[48:49], -v[2:3]
	scratch_store_b64 off, v[2:3], off
	s_cbranch_vccz .LBB85_185
; %bb.142:
	v_dual_mov_b32 v2, s2 :: v_dual_mov_b32 v3, s3
	s_mov_b32 s0, exec_lo
	flat_load_b32 v2, v[2:3] offset:80
	s_waitcnt vmcnt(0) lgkmcnt(0)
	v_cmpx_ne_u32_e32 21, v2
	s_cbranch_execz .LBB85_144
; %bb.143:
	v_lshl_add_u32 v48, v2, 3, 0
	scratch_load_b64 v[2:3], v48, off offset:-8
	s_waitcnt vmcnt(0)
	scratch_store_b64 off, v[2:3], off offset:160
	scratch_store_b64 v48, v[0:1], off offset:-8
.LBB85_144:
	s_or_b32 exec_lo, exec_lo, s0
	v_dual_mov_b32 v0, s2 :: v_dual_mov_b32 v1, s3
	s_mov_b32 s0, exec_lo
	flat_load_b32 v0, v[0:1] offset:76
	s_waitcnt vmcnt(0) lgkmcnt(0)
	v_cmpx_ne_u32_e32 20, v0
	s_cbranch_execz .LBB85_146
; %bb.145:
	v_lshl_add_u32 v48, v0, 3, 0
	scratch_load_b64 v[0:1], v48, off offset:-8
	scratch_load_b64 v[2:3], off, off offset:152
	s_waitcnt vmcnt(1)
	scratch_store_b64 off, v[0:1], off offset:152
	s_waitcnt vmcnt(0)
	scratch_store_b64 v48, v[2:3], off offset:-8
.LBB85_146:
	s_or_b32 exec_lo, exec_lo, s0
	v_dual_mov_b32 v0, s2 :: v_dual_mov_b32 v1, s3
	s_mov_b32 s0, exec_lo
	flat_load_b32 v0, v[0:1] offset:72
	s_waitcnt vmcnt(0) lgkmcnt(0)
	v_cmpx_ne_u32_e32 19, v0
	s_cbranch_execz .LBB85_148
; %bb.147:
	v_lshl_add_u32 v48, v0, 3, 0
	scratch_load_b64 v[0:1], v48, off offset:-8
	scratch_load_b64 v[2:3], off, off offset:144
	s_waitcnt vmcnt(1)
	scratch_store_b64 off, v[0:1], off offset:144
	s_waitcnt vmcnt(0)
	scratch_store_b64 v48, v[2:3], off offset:-8
.LBB85_148:
	s_or_b32 exec_lo, exec_lo, s0
	v_dual_mov_b32 v0, s2 :: v_dual_mov_b32 v1, s3
	s_mov_b32 s0, exec_lo
	flat_load_b32 v0, v[0:1] offset:68
	s_waitcnt vmcnt(0) lgkmcnt(0)
	v_cmpx_ne_u32_e32 18, v0
	s_cbranch_execz .LBB85_150
; %bb.149:
	v_lshl_add_u32 v48, v0, 3, 0
	scratch_load_b64 v[0:1], v48, off offset:-8
	scratch_load_b64 v[2:3], off, off offset:136
	s_waitcnt vmcnt(1)
	scratch_store_b64 off, v[0:1], off offset:136
	s_waitcnt vmcnt(0)
	scratch_store_b64 v48, v[2:3], off offset:-8
.LBB85_150:
	s_or_b32 exec_lo, exec_lo, s0
	v_dual_mov_b32 v0, s2 :: v_dual_mov_b32 v1, s3
	s_mov_b32 s0, exec_lo
	flat_load_b32 v0, v[0:1] offset:64
	s_waitcnt vmcnt(0) lgkmcnt(0)
	v_cmpx_ne_u32_e32 17, v0
	s_cbranch_execz .LBB85_152
; %bb.151:
	v_lshl_add_u32 v48, v0, 3, 0
	scratch_load_b64 v[0:1], v48, off offset:-8
	scratch_load_b64 v[2:3], off, off offset:128
	s_waitcnt vmcnt(1)
	scratch_store_b64 off, v[0:1], off offset:128
	s_waitcnt vmcnt(0)
	scratch_store_b64 v48, v[2:3], off offset:-8
.LBB85_152:
	s_or_b32 exec_lo, exec_lo, s0
	v_dual_mov_b32 v0, s2 :: v_dual_mov_b32 v1, s3
	s_mov_b32 s0, exec_lo
	flat_load_b32 v0, v[0:1] offset:60
	s_waitcnt vmcnt(0) lgkmcnt(0)
	v_cmpx_ne_u32_e32 16, v0
	s_cbranch_execz .LBB85_154
; %bb.153:
	v_lshl_add_u32 v48, v0, 3, 0
	scratch_load_b64 v[0:1], v48, off offset:-8
	scratch_load_b64 v[2:3], off, off offset:120
	s_waitcnt vmcnt(1)
	scratch_store_b64 off, v[0:1], off offset:120
	s_waitcnt vmcnt(0)
	scratch_store_b64 v48, v[2:3], off offset:-8
.LBB85_154:
	s_or_b32 exec_lo, exec_lo, s0
	v_dual_mov_b32 v0, s2 :: v_dual_mov_b32 v1, s3
	s_mov_b32 s0, exec_lo
	flat_load_b32 v0, v[0:1] offset:56
	s_waitcnt vmcnt(0) lgkmcnt(0)
	v_cmpx_ne_u32_e32 15, v0
	s_cbranch_execz .LBB85_156
; %bb.155:
	v_lshl_add_u32 v48, v0, 3, 0
	scratch_load_b64 v[0:1], v48, off offset:-8
	scratch_load_b64 v[2:3], off, off offset:112
	s_waitcnt vmcnt(1)
	scratch_store_b64 off, v[0:1], off offset:112
	s_waitcnt vmcnt(0)
	scratch_store_b64 v48, v[2:3], off offset:-8
.LBB85_156:
	s_or_b32 exec_lo, exec_lo, s0
	v_dual_mov_b32 v0, s2 :: v_dual_mov_b32 v1, s3
	s_mov_b32 s0, exec_lo
	flat_load_b32 v0, v[0:1] offset:52
	s_waitcnt vmcnt(0) lgkmcnt(0)
	v_cmpx_ne_u32_e32 14, v0
	s_cbranch_execz .LBB85_158
; %bb.157:
	v_lshl_add_u32 v48, v0, 3, 0
	scratch_load_b64 v[0:1], v48, off offset:-8
	scratch_load_b64 v[2:3], off, off offset:104
	s_waitcnt vmcnt(1)
	scratch_store_b64 off, v[0:1], off offset:104
	s_waitcnt vmcnt(0)
	scratch_store_b64 v48, v[2:3], off offset:-8
.LBB85_158:
	s_or_b32 exec_lo, exec_lo, s0
	v_dual_mov_b32 v0, s2 :: v_dual_mov_b32 v1, s3
	s_mov_b32 s0, exec_lo
	flat_load_b32 v0, v[0:1] offset:48
	s_waitcnt vmcnt(0) lgkmcnt(0)
	v_cmpx_ne_u32_e32 13, v0
	s_cbranch_execz .LBB85_160
; %bb.159:
	v_lshl_add_u32 v48, v0, 3, 0
	scratch_load_b64 v[0:1], v48, off offset:-8
	scratch_load_b64 v[2:3], off, off offset:96
	s_waitcnt vmcnt(1)
	scratch_store_b64 off, v[0:1], off offset:96
	s_waitcnt vmcnt(0)
	scratch_store_b64 v48, v[2:3], off offset:-8
.LBB85_160:
	s_or_b32 exec_lo, exec_lo, s0
	v_dual_mov_b32 v0, s2 :: v_dual_mov_b32 v1, s3
	s_mov_b32 s0, exec_lo
	flat_load_b32 v0, v[0:1] offset:44
	s_waitcnt vmcnt(0) lgkmcnt(0)
	v_cmpx_ne_u32_e32 12, v0
	s_cbranch_execz .LBB85_162
; %bb.161:
	v_lshl_add_u32 v48, v0, 3, 0
	scratch_load_b64 v[0:1], v48, off offset:-8
	scratch_load_b64 v[2:3], off, off offset:88
	s_waitcnt vmcnt(1)
	scratch_store_b64 off, v[0:1], off offset:88
	s_waitcnt vmcnt(0)
	scratch_store_b64 v48, v[2:3], off offset:-8
.LBB85_162:
	s_or_b32 exec_lo, exec_lo, s0
	v_dual_mov_b32 v0, s2 :: v_dual_mov_b32 v1, s3
	s_mov_b32 s0, exec_lo
	flat_load_b32 v0, v[0:1] offset:40
	s_waitcnt vmcnt(0) lgkmcnt(0)
	v_cmpx_ne_u32_e32 11, v0
	s_cbranch_execz .LBB85_164
; %bb.163:
	v_lshl_add_u32 v48, v0, 3, 0
	scratch_load_b64 v[0:1], v48, off offset:-8
	scratch_load_b64 v[2:3], off, off offset:80
	s_waitcnt vmcnt(1)
	scratch_store_b64 off, v[0:1], off offset:80
	s_waitcnt vmcnt(0)
	scratch_store_b64 v48, v[2:3], off offset:-8
.LBB85_164:
	s_or_b32 exec_lo, exec_lo, s0
	v_dual_mov_b32 v0, s2 :: v_dual_mov_b32 v1, s3
	s_mov_b32 s0, exec_lo
	flat_load_b32 v0, v[0:1] offset:36
	s_waitcnt vmcnt(0) lgkmcnt(0)
	v_cmpx_ne_u32_e32 10, v0
	s_cbranch_execz .LBB85_166
; %bb.165:
	v_lshl_add_u32 v48, v0, 3, 0
	scratch_load_b64 v[0:1], v48, off offset:-8
	scratch_load_b64 v[2:3], off, off offset:72
	s_waitcnt vmcnt(1)
	scratch_store_b64 off, v[0:1], off offset:72
	s_waitcnt vmcnt(0)
	scratch_store_b64 v48, v[2:3], off offset:-8
.LBB85_166:
	s_or_b32 exec_lo, exec_lo, s0
	v_dual_mov_b32 v0, s2 :: v_dual_mov_b32 v1, s3
	s_mov_b32 s0, exec_lo
	flat_load_b32 v0, v[0:1] offset:32
	s_waitcnt vmcnt(0) lgkmcnt(0)
	v_cmpx_ne_u32_e32 9, v0
	s_cbranch_execz .LBB85_168
; %bb.167:
	v_lshl_add_u32 v48, v0, 3, 0
	scratch_load_b64 v[0:1], v48, off offset:-8
	scratch_load_b64 v[2:3], off, off offset:64
	s_waitcnt vmcnt(1)
	scratch_store_b64 off, v[0:1], off offset:64
	s_waitcnt vmcnt(0)
	scratch_store_b64 v48, v[2:3], off offset:-8
.LBB85_168:
	s_or_b32 exec_lo, exec_lo, s0
	v_dual_mov_b32 v0, s2 :: v_dual_mov_b32 v1, s3
	s_mov_b32 s0, exec_lo
	flat_load_b32 v0, v[0:1] offset:28
	s_waitcnt vmcnt(0) lgkmcnt(0)
	v_cmpx_ne_u32_e32 8, v0
	s_cbranch_execz .LBB85_170
; %bb.169:
	v_lshl_add_u32 v48, v0, 3, 0
	scratch_load_b64 v[0:1], v48, off offset:-8
	scratch_load_b64 v[2:3], off, off offset:56
	s_waitcnt vmcnt(1)
	scratch_store_b64 off, v[0:1], off offset:56
	s_waitcnt vmcnt(0)
	scratch_store_b64 v48, v[2:3], off offset:-8
.LBB85_170:
	s_or_b32 exec_lo, exec_lo, s0
	v_dual_mov_b32 v0, s2 :: v_dual_mov_b32 v1, s3
	s_mov_b32 s0, exec_lo
	flat_load_b32 v0, v[0:1] offset:24
	s_waitcnt vmcnt(0) lgkmcnt(0)
	v_cmpx_ne_u32_e32 7, v0
	s_cbranch_execz .LBB85_172
; %bb.171:
	v_lshl_add_u32 v48, v0, 3, 0
	scratch_load_b64 v[0:1], v48, off offset:-8
	scratch_load_b64 v[2:3], off, off offset:48
	s_waitcnt vmcnt(1)
	scratch_store_b64 off, v[0:1], off offset:48
	s_waitcnt vmcnt(0)
	scratch_store_b64 v48, v[2:3], off offset:-8
.LBB85_172:
	s_or_b32 exec_lo, exec_lo, s0
	v_dual_mov_b32 v0, s2 :: v_dual_mov_b32 v1, s3
	s_mov_b32 s0, exec_lo
	flat_load_b32 v0, v[0:1] offset:20
	s_waitcnt vmcnt(0) lgkmcnt(0)
	v_cmpx_ne_u32_e32 6, v0
	s_cbranch_execz .LBB85_174
; %bb.173:
	v_lshl_add_u32 v48, v0, 3, 0
	scratch_load_b64 v[0:1], v48, off offset:-8
	scratch_load_b64 v[2:3], off, off offset:40
	s_waitcnt vmcnt(1)
	scratch_store_b64 off, v[0:1], off offset:40
	s_waitcnt vmcnt(0)
	scratch_store_b64 v48, v[2:3], off offset:-8
.LBB85_174:
	s_or_b32 exec_lo, exec_lo, s0
	v_dual_mov_b32 v0, s2 :: v_dual_mov_b32 v1, s3
	s_mov_b32 s0, exec_lo
	flat_load_b32 v0, v[0:1] offset:16
	s_waitcnt vmcnt(0) lgkmcnt(0)
	v_cmpx_ne_u32_e32 5, v0
	s_cbranch_execz .LBB85_176
; %bb.175:
	v_lshl_add_u32 v48, v0, 3, 0
	scratch_load_b64 v[0:1], v48, off offset:-8
	scratch_load_b64 v[2:3], off, off offset:32
	s_waitcnt vmcnt(1)
	scratch_store_b64 off, v[0:1], off offset:32
	s_waitcnt vmcnt(0)
	scratch_store_b64 v48, v[2:3], off offset:-8
.LBB85_176:
	s_or_b32 exec_lo, exec_lo, s0
	v_dual_mov_b32 v0, s2 :: v_dual_mov_b32 v1, s3
	s_mov_b32 s0, exec_lo
	flat_load_b32 v0, v[0:1] offset:12
	s_waitcnt vmcnt(0) lgkmcnt(0)
	v_cmpx_ne_u32_e32 4, v0
	s_cbranch_execz .LBB85_178
; %bb.177:
	v_lshl_add_u32 v48, v0, 3, 0
	scratch_load_b64 v[0:1], v48, off offset:-8
	scratch_load_b64 v[2:3], off, off offset:24
	s_waitcnt vmcnt(1)
	scratch_store_b64 off, v[0:1], off offset:24
	s_waitcnt vmcnt(0)
	scratch_store_b64 v48, v[2:3], off offset:-8
.LBB85_178:
	s_or_b32 exec_lo, exec_lo, s0
	v_dual_mov_b32 v0, s2 :: v_dual_mov_b32 v1, s3
	s_mov_b32 s0, exec_lo
	flat_load_b32 v0, v[0:1] offset:8
	s_waitcnt vmcnt(0) lgkmcnt(0)
	v_cmpx_ne_u32_e32 3, v0
	s_cbranch_execz .LBB85_180
; %bb.179:
	v_lshl_add_u32 v48, v0, 3, 0
	scratch_load_b64 v[0:1], v48, off offset:-8
	scratch_load_b64 v[2:3], off, off offset:16
	s_waitcnt vmcnt(1)
	scratch_store_b64 off, v[0:1], off offset:16
	s_waitcnt vmcnt(0)
	scratch_store_b64 v48, v[2:3], off offset:-8
.LBB85_180:
	s_or_b32 exec_lo, exec_lo, s0
	v_dual_mov_b32 v0, s2 :: v_dual_mov_b32 v1, s3
	s_mov_b32 s0, exec_lo
	flat_load_b32 v0, v[0:1] offset:4
	s_waitcnt vmcnt(0) lgkmcnt(0)
	v_cmpx_ne_u32_e32 2, v0
	s_cbranch_execz .LBB85_182
; %bb.181:
	v_lshl_add_u32 v48, v0, 3, 0
	scratch_load_b64 v[0:1], v48, off offset:-8
	scratch_load_b64 v[2:3], off, off offset:8
	s_waitcnt vmcnt(1)
	scratch_store_b64 off, v[0:1], off offset:8
	s_waitcnt vmcnt(0)
	scratch_store_b64 v48, v[2:3], off offset:-8
.LBB85_182:
	s_or_b32 exec_lo, exec_lo, s0
	v_dual_mov_b32 v0, s2 :: v_dual_mov_b32 v1, s3
	s_mov_b32 s0, exec_lo
	flat_load_b32 v0, v[0:1]
	scratch_load_b64 v[2:3], off, off
	s_waitcnt vmcnt(1) lgkmcnt(0)
	v_cmpx_ne_u32_e32 1, v0
	s_cbranch_execz .LBB85_184
; %bb.183:
	v_lshl_add_u32 v48, v0, 3, 0
	scratch_load_b64 v[0:1], v48, off offset:-8
	s_waitcnt vmcnt(0)
	scratch_store_b64 off, v[0:1], off
	scratch_store_b64 v48, v[2:3], off offset:-8
	scratch_load_b64 v[2:3], off, off
.LBB85_184:
	s_or_b32 exec_lo, exec_lo, s0
.LBB85_185:
	s_clause 0xa
	scratch_load_b128 v[48:51], off, off offset:8
	scratch_load_b128 v[52:55], off, off offset:24
	;; [unrolled: 1-line block ×10, first 2 shown]
	scratch_load_b64 v[0:1], off, off offset:168
	s_waitcnt vmcnt(11)
	global_store_b64 v[4:5], v[2:3], off
	s_waitcnt vmcnt(10)
	s_clause 0x1
	global_store_b64 v[6:7], v[48:49], off
	global_store_b64 v[8:9], v[50:51], off
	s_waitcnt vmcnt(9)
	s_clause 0x1
	global_store_b64 v[10:11], v[52:53], off
	;; [unrolled: 4-line block ×10, first 2 shown]
	global_store_b64 v[44:45], v[86:87], off
	s_waitcnt vmcnt(0)
	global_store_b64 v[46:47], v[0:1], off
	s_endpgm
	.section	.rodata,"a",@progbits
	.p2align	6, 0x0
	.amdhsa_kernel _ZN9rocsolver6v33100L18getri_kernel_smallILi22EdPKPdEEvT1_iilPiilS6_bb
		.amdhsa_group_segment_fixed_size 360
		.amdhsa_private_segment_fixed_size 192
		.amdhsa_kernarg_size 60
		.amdhsa_user_sgpr_count 15
		.amdhsa_user_sgpr_dispatch_ptr 0
		.amdhsa_user_sgpr_queue_ptr 0
		.amdhsa_user_sgpr_kernarg_segment_ptr 1
		.amdhsa_user_sgpr_dispatch_id 0
		.amdhsa_user_sgpr_private_segment_size 0
		.amdhsa_wavefront_size32 1
		.amdhsa_uses_dynamic_stack 0
		.amdhsa_enable_private_segment 1
		.amdhsa_system_sgpr_workgroup_id_x 1
		.amdhsa_system_sgpr_workgroup_id_y 0
		.amdhsa_system_sgpr_workgroup_id_z 0
		.amdhsa_system_sgpr_workgroup_info 0
		.amdhsa_system_vgpr_workitem_id 0
		.amdhsa_next_free_vgpr 92
		.amdhsa_next_free_sgpr 17
		.amdhsa_reserve_vcc 1
		.amdhsa_float_round_mode_32 0
		.amdhsa_float_round_mode_16_64 0
		.amdhsa_float_denorm_mode_32 3
		.amdhsa_float_denorm_mode_16_64 3
		.amdhsa_dx10_clamp 1
		.amdhsa_ieee_mode 1
		.amdhsa_fp16_overflow 0
		.amdhsa_workgroup_processor_mode 1
		.amdhsa_memory_ordered 1
		.amdhsa_forward_progress 0
		.amdhsa_shared_vgpr_count 0
		.amdhsa_exception_fp_ieee_invalid_op 0
		.amdhsa_exception_fp_denorm_src 0
		.amdhsa_exception_fp_ieee_div_zero 0
		.amdhsa_exception_fp_ieee_overflow 0
		.amdhsa_exception_fp_ieee_underflow 0
		.amdhsa_exception_fp_ieee_inexact 0
		.amdhsa_exception_int_div_zero 0
	.end_amdhsa_kernel
	.section	.text._ZN9rocsolver6v33100L18getri_kernel_smallILi22EdPKPdEEvT1_iilPiilS6_bb,"axG",@progbits,_ZN9rocsolver6v33100L18getri_kernel_smallILi22EdPKPdEEvT1_iilPiilS6_bb,comdat
.Lfunc_end85:
	.size	_ZN9rocsolver6v33100L18getri_kernel_smallILi22EdPKPdEEvT1_iilPiilS6_bb, .Lfunc_end85-_ZN9rocsolver6v33100L18getri_kernel_smallILi22EdPKPdEEvT1_iilPiilS6_bb
                                        ; -- End function
	.section	.AMDGPU.csdata,"",@progbits
; Kernel info:
; codeLenInByte = 14860
; NumSgprs: 19
; NumVgprs: 92
; ScratchSize: 192
; MemoryBound: 0
; FloatMode: 240
; IeeeMode: 1
; LDSByteSize: 360 bytes/workgroup (compile time only)
; SGPRBlocks: 2
; VGPRBlocks: 11
; NumSGPRsForWavesPerEU: 19
; NumVGPRsForWavesPerEU: 92
; Occupancy: 16
; WaveLimiterHint : 1
; COMPUTE_PGM_RSRC2:SCRATCH_EN: 1
; COMPUTE_PGM_RSRC2:USER_SGPR: 15
; COMPUTE_PGM_RSRC2:TRAP_HANDLER: 0
; COMPUTE_PGM_RSRC2:TGID_X_EN: 1
; COMPUTE_PGM_RSRC2:TGID_Y_EN: 0
; COMPUTE_PGM_RSRC2:TGID_Z_EN: 0
; COMPUTE_PGM_RSRC2:TIDIG_COMP_CNT: 0
	.section	.text._ZN9rocsolver6v33100L18getri_kernel_smallILi23EdPKPdEEvT1_iilPiilS6_bb,"axG",@progbits,_ZN9rocsolver6v33100L18getri_kernel_smallILi23EdPKPdEEvT1_iilPiilS6_bb,comdat
	.globl	_ZN9rocsolver6v33100L18getri_kernel_smallILi23EdPKPdEEvT1_iilPiilS6_bb ; -- Begin function _ZN9rocsolver6v33100L18getri_kernel_smallILi23EdPKPdEEvT1_iilPiilS6_bb
	.p2align	8
	.type	_ZN9rocsolver6v33100L18getri_kernel_smallILi23EdPKPdEEvT1_iilPiilS6_bb,@function
_ZN9rocsolver6v33100L18getri_kernel_smallILi23EdPKPdEEvT1_iilPiilS6_bb: ; @_ZN9rocsolver6v33100L18getri_kernel_smallILi23EdPKPdEEvT1_iilPiilS6_bb
; %bb.0:
	s_mov_b32 s2, exec_lo
	v_cmpx_gt_u32_e32 23, v0
	s_cbranch_execz .LBB86_102
; %bb.1:
	s_clause 0x1
	s_load_b32 s13, s[0:1], 0x38
	s_load_b64 s[2:3], s[0:1], 0x0
	s_mov_b32 s8, s15
	s_load_b128 s[4:7], s[0:1], 0x28
	s_waitcnt lgkmcnt(0)
	s_bitcmp1_b32 s13, 8
	s_cselect_b32 s12, -1, 0
	s_ashr_i32 s9, s15, 31
	s_delay_alu instid0(SALU_CYCLE_1) | instskip(NEXT) | instid1(SALU_CYCLE_1)
	s_lshl_b64 s[10:11], s[8:9], 3
	s_add_u32 s2, s2, s10
	s_addc_u32 s3, s3, s11
	s_load_b64 s[10:11], s[2:3], 0x0
	s_bfe_u32 s2, s13, 0x10008
	s_delay_alu instid0(SALU_CYCLE_1)
	s_cmp_eq_u32 s2, 0
                                        ; implicit-def: $sgpr2_sgpr3
	s_cbranch_scc1 .LBB86_3
; %bb.2:
	s_clause 0x1
	s_load_b32 s2, s[0:1], 0x20
	s_load_b64 s[14:15], s[0:1], 0x18
	s_mul_i32 s3, s8, s5
	s_mul_hi_u32 s5, s8, s4
	s_mul_i32 s16, s9, s4
	s_add_i32 s3, s5, s3
	s_mul_i32 s4, s8, s4
	s_add_i32 s5, s3, s16
	s_delay_alu instid0(SALU_CYCLE_1)
	s_lshl_b64 s[4:5], s[4:5], 2
	s_waitcnt lgkmcnt(0)
	s_ashr_i32 s3, s2, 31
	s_add_u32 s4, s14, s4
	s_addc_u32 s5, s15, s5
	s_lshl_b64 s[2:3], s[2:3], 2
	s_delay_alu instid0(SALU_CYCLE_1)
	s_add_u32 s2, s4, s2
	s_addc_u32 s3, s5, s3
.LBB86_3:
	s_load_b64 s[0:1], s[0:1], 0x8
	v_lshlrev_b32_e32 v3, 3, v0
	s_waitcnt lgkmcnt(0)
	s_ashr_i32 s5, s0, 31
	s_mov_b32 s4, s0
	s_mov_b32 s14, s1
	s_lshl_b64 s[4:5], s[4:5], 3
	v_add3_u32 v1, s1, s1, v0
	s_add_u32 s4, s10, s4
	s_addc_u32 s5, s11, s5
	v_add_co_u32 v4, s0, s4, v3
	s_ashr_i32 s15, s1, 31
	v_add_co_ci_u32_e64 v5, null, s5, 0, s0
	s_lshl_b64 s[10:11], s[14:15], 3
	v_add_nc_u32_e32 v8, s1, v1
	v_add_co_u32 v6, vcc_lo, v4, s10
	s_delay_alu instid0(VALU_DEP_3)
	v_add_co_ci_u32_e32 v7, vcc_lo, s11, v5, vcc_lo
	s_clause 0x1
	global_load_b64 v[50:51], v3, s[4:5]
	global_load_b64 v[52:53], v[6:7], off
	v_add_nc_u32_e32 v10, s1, v8
	v_ashrrev_i32_e32 v2, 31, v1
	v_ashrrev_i32_e32 v9, 31, v8
	s_bitcmp0_b32 s13, 0
	s_delay_alu instid0(VALU_DEP_3) | instskip(NEXT) | instid1(VALU_DEP_3)
	v_add_nc_u32_e32 v14, s1, v10
	v_lshlrev_b64 v[1:2], 3, v[1:2]
	v_ashrrev_i32_e32 v11, 31, v10
	v_lshlrev_b64 v[12:13], 3, v[8:9]
	s_delay_alu instid0(VALU_DEP_4) | instskip(SKIP_3) | instid1(VALU_DEP_4)
	v_add_nc_u32_e32 v16, s1, v14
	v_ashrrev_i32_e32 v15, 31, v14
	v_add_co_u32 v8, vcc_lo, s4, v1
	v_add_co_ci_u32_e32 v9, vcc_lo, s5, v2, vcc_lo
	v_add_nc_u32_e32 v18, s1, v16
	v_lshlrev_b64 v[1:2], 3, v[10:11]
	v_add_co_u32 v10, vcc_lo, s4, v12
	v_ashrrev_i32_e32 v17, 31, v16
	s_delay_alu instid0(VALU_DEP_4) | instskip(SKIP_3) | instid1(VALU_DEP_4)
	v_add_nc_u32_e32 v20, s1, v18
	v_add_co_ci_u32_e32 v11, vcc_lo, s5, v13, vcc_lo
	v_lshlrev_b64 v[14:15], 3, v[14:15]
	v_add_co_u32 v12, vcc_lo, s4, v1
	v_add_nc_u32_e32 v22, s1, v20
	v_add_co_ci_u32_e32 v13, vcc_lo, s5, v2, vcc_lo
	v_lshlrev_b64 v[1:2], 3, v[16:17]
	v_ashrrev_i32_e32 v19, 31, v18
	s_delay_alu instid0(VALU_DEP_4) | instskip(SKIP_3) | instid1(VALU_DEP_4)
	v_add_nc_u32_e32 v24, s1, v22
	v_add_co_u32 v14, vcc_lo, s4, v14
	v_ashrrev_i32_e32 v21, 31, v20
	v_add_co_ci_u32_e32 v15, vcc_lo, s5, v15, vcc_lo
	v_add_nc_u32_e32 v26, s1, v24
	v_lshlrev_b64 v[18:19], 3, v[18:19]
	v_add_co_u32 v16, vcc_lo, s4, v1
	v_add_co_ci_u32_e32 v17, vcc_lo, s5, v2, vcc_lo
	s_delay_alu instid0(VALU_DEP_4) | instskip(SKIP_3) | instid1(VALU_DEP_4)
	v_add_nc_u32_e32 v28, s1, v26
	v_lshlrev_b64 v[1:2], 3, v[20:21]
	v_ashrrev_i32_e32 v23, 31, v22
	v_add_co_u32 v18, vcc_lo, s4, v18
	v_add_nc_u32_e32 v30, s1, v28
	v_ashrrev_i32_e32 v25, 31, v24
	v_add_co_ci_u32_e32 v19, vcc_lo, s5, v19, vcc_lo
	v_lshlrev_b64 v[22:23], 3, v[22:23]
	s_delay_alu instid0(VALU_DEP_4) | instskip(SKIP_2) | instid1(VALU_DEP_3)
	v_add_nc_u32_e32 v32, s1, v30
	v_add_co_u32 v20, vcc_lo, s4, v1
	v_add_co_ci_u32_e32 v21, vcc_lo, s5, v2, vcc_lo
	v_add_nc_u32_e32 v34, s1, v32
	v_lshlrev_b64 v[1:2], 3, v[24:25]
	v_ashrrev_i32_e32 v27, 31, v26
	v_add_co_u32 v22, vcc_lo, s4, v22
	v_ashrrev_i32_e32 v29, 31, v28
	v_add_nc_u32_e32 v36, s1, v34
	v_add_co_ci_u32_e32 v23, vcc_lo, s5, v23, vcc_lo
	v_lshlrev_b64 v[26:27], 3, v[26:27]
	v_add_co_u32 v24, vcc_lo, s4, v1
	v_add_co_ci_u32_e32 v25, vcc_lo, s5, v2, vcc_lo
	v_lshlrev_b64 v[1:2], 3, v[28:29]
	v_ashrrev_i32_e32 v31, 31, v30
	v_add_nc_u32_e32 v38, s1, v36
	v_add_co_u32 v26, vcc_lo, s4, v26
	v_ashrrev_i32_e32 v33, 31, v32
	v_add_co_ci_u32_e32 v27, vcc_lo, s5, v27, vcc_lo
	v_lshlrev_b64 v[30:31], 3, v[30:31]
	v_add_nc_u32_e32 v40, s1, v38
	v_add_co_u32 v28, vcc_lo, s4, v1
	v_add_co_ci_u32_e32 v29, vcc_lo, s5, v2, vcc_lo
	v_lshlrev_b64 v[1:2], 3, v[32:33]
	v_ashrrev_i32_e32 v35, 31, v34
	v_add_nc_u32_e32 v42, s1, v40
	v_add_co_u32 v30, vcc_lo, s4, v30
	v_ashrrev_i32_e32 v37, 31, v36
	v_add_co_ci_u32_e32 v31, vcc_lo, s5, v31, vcc_lo
	v_lshlrev_b64 v[34:35], 3, v[34:35]
	v_add_co_u32 v32, vcc_lo, s4, v1
	v_add_nc_u32_e32 v44, s1, v42
	v_add_co_ci_u32_e32 v33, vcc_lo, s5, v2, vcc_lo
	v_lshlrev_b64 v[1:2], 3, v[36:37]
	v_ashrrev_i32_e32 v39, 31, v38
	v_add_co_u32 v34, vcc_lo, s4, v34
	v_ashrrev_i32_e32 v41, 31, v40
	v_add_nc_u32_e32 v46, s1, v44
	v_add_co_ci_u32_e32 v35, vcc_lo, s5, v35, vcc_lo
	v_lshlrev_b64 v[38:39], 3, v[38:39]
	v_add_co_u32 v36, vcc_lo, s4, v1
	v_ashrrev_i32_e32 v43, 31, v42
	v_add_co_ci_u32_e32 v37, vcc_lo, s5, v2, vcc_lo
	v_lshlrev_b64 v[1:2], 3, v[40:41]
	v_add_nc_u32_e32 v48, s1, v46
	v_add_co_u32 v38, vcc_lo, s4, v38
	v_lshlrev_b64 v[42:43], 3, v[42:43]
	v_ashrrev_i32_e32 v45, 31, v44
	v_add_co_ci_u32_e32 v39, vcc_lo, s5, v39, vcc_lo
	v_add_co_u32 v40, vcc_lo, s4, v1
	v_ashrrev_i32_e32 v49, 31, v48
	v_add_co_ci_u32_e32 v41, vcc_lo, s5, v2, vcc_lo
	v_lshlrev_b64 v[1:2], 3, v[44:45]
	v_ashrrev_i32_e32 v47, 31, v46
	v_add_co_u32 v44, vcc_lo, s4, v42
	v_add_co_ci_u32_e32 v45, vcc_lo, s5, v43, vcc_lo
	v_lshlrev_b64 v[42:43], 3, v[48:49]
	s_delay_alu instid0(VALU_DEP_4) | instskip(SKIP_2) | instid1(VALU_DEP_4)
	v_lshlrev_b64 v[46:47], 3, v[46:47]
	v_add_co_u32 v48, vcc_lo, s4, v1
	v_add_co_ci_u32_e32 v49, vcc_lo, s5, v2, vcc_lo
	v_add_co_u32 v42, vcc_lo, s4, v42
	v_add_co_ci_u32_e32 v43, vcc_lo, s5, v43, vcc_lo
	v_add_co_u32 v46, vcc_lo, s4, v46
	v_add_co_ci_u32_e32 v47, vcc_lo, s5, v47, vcc_lo
	s_clause 0x12
	global_load_b64 v[54:55], v[8:9], off
	global_load_b64 v[56:57], v[10:11], off
	global_load_b64 v[58:59], v[12:13], off
	global_load_b64 v[60:61], v[14:15], off
	global_load_b64 v[62:63], v[16:17], off
	global_load_b64 v[64:65], v[18:19], off
	global_load_b64 v[66:67], v[20:21], off
	global_load_b64 v[68:69], v[22:23], off
	global_load_b64 v[70:71], v[24:25], off
	global_load_b64 v[72:73], v[26:27], off
	global_load_b64 v[74:75], v[28:29], off
	global_load_b64 v[76:77], v[30:31], off
	global_load_b64 v[78:79], v[32:33], off
	global_load_b64 v[80:81], v[34:35], off
	global_load_b64 v[82:83], v[36:37], off
	global_load_b64 v[1:2], v[42:43], off
	global_load_b64 v[84:85], v[38:39], off
	global_load_b64 v[86:87], v[40:41], off
	global_load_b64 v[88:89], v[44:45], off
	s_mov_b32 s1, -1
	s_waitcnt vmcnt(19)
	scratch_store_b128 off, v[50:53], off
	s_clause 0x1
	global_load_b64 v[52:53], v[46:47], off
	global_load_b64 v[50:51], v[48:49], off
	s_waitcnt vmcnt(19)
	scratch_store_b128 off, v[54:57], off offset:16
	s_waitcnt vmcnt(17)
	scratch_store_b128 off, v[58:61], off offset:32
	;; [unrolled: 2-line block ×9, first 2 shown]
	s_waitcnt vmcnt(0)
	s_clause 0x1
	scratch_store_b128 off, v[50:53], off offset:160
	scratch_store_b64 off, v[1:2], off offset:176
	s_cbranch_scc1 .LBB86_100
; %bb.4:
	v_cmp_eq_u32_e64 s0, 0, v0
	s_delay_alu instid0(VALU_DEP_1)
	s_and_saveexec_b32 s1, s0
	s_cbranch_execz .LBB86_6
; %bb.5:
	v_mov_b32_e32 v1, 0
	ds_store_b32 v1, v1 offset:184
.LBB86_6:
	s_or_b32 exec_lo, exec_lo, s1
	s_waitcnt lgkmcnt(0)
	s_waitcnt_vscnt null, 0x0
	s_barrier
	buffer_gl0_inv
	scratch_load_b64 v[1:2], v3, off
	s_mov_b32 s4, exec_lo
	s_waitcnt vmcnt(0)
	v_cmpx_eq_f64_e32 0, v[1:2]
	s_cbranch_execz .LBB86_10
; %bb.7:
	v_mov_b32_e32 v1, 0
	s_mov_b32 s5, 0
	ds_load_b32 v2, v1 offset:184
	s_waitcnt lgkmcnt(0)
	v_readfirstlane_b32 s1, v2
	v_add_nc_u32_e32 v2, 1, v0
	s_delay_alu instid0(VALU_DEP_2) | instskip(NEXT) | instid1(VALU_DEP_1)
	s_cmp_eq_u32 s1, 0
	v_cmp_gt_i32_e32 vcc_lo, s1, v2
	s_cselect_b32 s10, -1, 0
	s_delay_alu instid0(SALU_CYCLE_1) | instskip(NEXT) | instid1(SALU_CYCLE_1)
	s_or_b32 s10, s10, vcc_lo
	s_and_b32 exec_lo, exec_lo, s10
	s_cbranch_execz .LBB86_10
; %bb.8:
	v_mov_b32_e32 v50, s1
.LBB86_9:                               ; =>This Inner Loop Header: Depth=1
	ds_cmpstore_rtn_b32 v50, v1, v2, v50 offset:184
	s_waitcnt lgkmcnt(0)
	v_cmp_ne_u32_e32 vcc_lo, 0, v50
	v_cmp_le_i32_e64 s1, v50, v2
	s_delay_alu instid0(VALU_DEP_1) | instskip(NEXT) | instid1(SALU_CYCLE_1)
	s_and_b32 s1, vcc_lo, s1
	s_and_b32 s1, exec_lo, s1
	s_delay_alu instid0(SALU_CYCLE_1) | instskip(NEXT) | instid1(SALU_CYCLE_1)
	s_or_b32 s5, s1, s5
	s_and_not1_b32 exec_lo, exec_lo, s5
	s_cbranch_execnz .LBB86_9
.LBB86_10:
	s_or_b32 exec_lo, exec_lo, s4
	v_mov_b32_e32 v1, 0
	s_barrier
	buffer_gl0_inv
	ds_load_b32 v2, v1 offset:184
	s_and_saveexec_b32 s1, s0
	s_cbranch_execz .LBB86_12
; %bb.11:
	s_lshl_b64 s[4:5], s[8:9], 2
	s_delay_alu instid0(SALU_CYCLE_1)
	s_add_u32 s4, s6, s4
	s_addc_u32 s5, s7, s5
	s_waitcnt lgkmcnt(0)
	global_store_b32 v1, v2, s[4:5]
.LBB86_12:
	s_or_b32 exec_lo, exec_lo, s1
	s_waitcnt lgkmcnt(0)
	v_cmp_ne_u32_e32 vcc_lo, 0, v2
	s_mov_b32 s1, 0
	s_cbranch_vccnz .LBB86_100
; %bb.13:
	v_add_nc_u32_e32 v50, 0, v3
	scratch_load_b64 v[1:2], v50, off
	s_waitcnt vmcnt(0)
	v_div_scale_f64 v[51:52], null, v[1:2], v[1:2], 1.0
	v_div_scale_f64 v[57:58], vcc_lo, 1.0, v[1:2], 1.0
	s_delay_alu instid0(VALU_DEP_2) | instskip(SKIP_2) | instid1(VALU_DEP_1)
	v_rcp_f64_e32 v[53:54], v[51:52]
	s_waitcnt_depctr 0xfff
	v_fma_f64 v[55:56], -v[51:52], v[53:54], 1.0
	v_fma_f64 v[53:54], v[53:54], v[55:56], v[53:54]
	s_delay_alu instid0(VALU_DEP_1) | instskip(NEXT) | instid1(VALU_DEP_1)
	v_fma_f64 v[55:56], -v[51:52], v[53:54], 1.0
	v_fma_f64 v[53:54], v[53:54], v[55:56], v[53:54]
	s_delay_alu instid0(VALU_DEP_1) | instskip(NEXT) | instid1(VALU_DEP_1)
	v_mul_f64 v[55:56], v[57:58], v[53:54]
	v_fma_f64 v[51:52], -v[51:52], v[55:56], v[57:58]
	s_delay_alu instid0(VALU_DEP_1) | instskip(NEXT) | instid1(VALU_DEP_1)
	v_div_fmas_f64 v[51:52], v[51:52], v[53:54], v[55:56]
	v_div_fixup_f64 v[1:2], v[51:52], v[1:2], 1.0
	v_add_nc_u32_e32 v51, 0xc0, v3
	scratch_store_b64 v50, v[1:2], off
	scratch_load_b64 v[52:53], off, off offset:8
	v_xor_b32_e32 v2, 0x80000000, v2
	s_waitcnt vmcnt(0)
	ds_store_2addr_b64 v3, v[1:2], v[52:53] offset1:24
	s_waitcnt lgkmcnt(0)
	s_waitcnt_vscnt null, 0x0
	s_barrier
	buffer_gl0_inv
	s_and_saveexec_b32 s1, s0
	s_cbranch_execz .LBB86_15
; %bb.14:
	scratch_load_b64 v[1:2], v50, off
	ds_load_b64 v[52:53], v51
	s_waitcnt vmcnt(0) lgkmcnt(0)
	v_fma_f64 v[1:2], v[1:2], v[52:53], 0
	v_mov_b32_e32 v52, 0
	ds_load_b64 v[52:53], v52 offset:8
	s_waitcnt lgkmcnt(0)
	v_mul_f64 v[1:2], v[1:2], v[52:53]
	scratch_store_b64 off, v[1:2], off offset:8
.LBB86_15:
	s_or_b32 exec_lo, exec_lo, s1
	s_waitcnt_vscnt null, 0x0
	s_barrier
	buffer_gl0_inv
	scratch_load_b64 v[1:2], off, off offset:16
	s_mov_b32 s1, exec_lo
	s_waitcnt vmcnt(0)
	ds_store_b64 v51, v[1:2]
	s_waitcnt lgkmcnt(0)
	s_barrier
	buffer_gl0_inv
	v_cmpx_gt_u32_e32 2, v0
	s_cbranch_execz .LBB86_19
; %bb.16:
	scratch_load_b64 v[1:2], v50, off
	ds_load_b64 v[52:53], v51
	s_waitcnt vmcnt(0) lgkmcnt(0)
	v_fma_f64 v[1:2], v[1:2], v[52:53], 0
	s_and_saveexec_b32 s4, s0
	s_cbranch_execz .LBB86_18
; %bb.17:
	scratch_load_b64 v[52:53], off, off offset:8
	v_mov_b32_e32 v54, 0
	ds_load_b64 v[54:55], v54 offset:200
	s_waitcnt vmcnt(0) lgkmcnt(0)
	v_fma_f64 v[1:2], v[52:53], v[54:55], v[1:2]
.LBB86_18:
	s_or_b32 exec_lo, exec_lo, s4
	v_mov_b32_e32 v52, 0
	ds_load_b64 v[52:53], v52 offset:16
	s_waitcnt lgkmcnt(0)
	v_mul_f64 v[1:2], v[1:2], v[52:53]
	scratch_store_b64 off, v[1:2], off offset:16
.LBB86_19:
	s_or_b32 exec_lo, exec_lo, s1
	s_waitcnt_vscnt null, 0x0
	s_barrier
	buffer_gl0_inv
	scratch_load_b64 v[1:2], off, off offset:24
	v_add_nc_u32_e32 v52, -1, v0
	s_mov_b32 s0, exec_lo
	s_waitcnt vmcnt(0)
	ds_store_b64 v51, v[1:2]
	s_waitcnt lgkmcnt(0)
	s_barrier
	buffer_gl0_inv
	v_cmpx_gt_u32_e32 3, v0
	s_cbranch_execz .LBB86_23
; %bb.20:
	v_dual_mov_b32 v1, 0 :: v_dual_add_nc_u32 v54, 0xc0, v3
	v_dual_mov_b32 v2, 0 :: v_dual_add_nc_u32 v53, -1, v0
	v_add_nc_u32_e32 v55, 0, v3
	s_mov_b32 s1, 0
.LBB86_21:                              ; =>This Inner Loop Header: Depth=1
	scratch_load_b64 v[56:57], v55, off
	ds_load_b64 v[58:59], v54
	v_add_nc_u32_e32 v53, 1, v53
	v_add_nc_u32_e32 v54, 8, v54
	v_add_nc_u32_e32 v55, 8, v55
	s_delay_alu instid0(VALU_DEP_3)
	v_cmp_lt_u32_e32 vcc_lo, 1, v53
	s_or_b32 s1, vcc_lo, s1
	s_waitcnt vmcnt(0) lgkmcnt(0)
	v_fma_f64 v[1:2], v[56:57], v[58:59], v[1:2]
	s_and_not1_b32 exec_lo, exec_lo, s1
	s_cbranch_execnz .LBB86_21
; %bb.22:
	s_or_b32 exec_lo, exec_lo, s1
	v_mov_b32_e32 v53, 0
	ds_load_b64 v[53:54], v53 offset:24
	s_waitcnt lgkmcnt(0)
	v_mul_f64 v[1:2], v[1:2], v[53:54]
	scratch_store_b64 off, v[1:2], off offset:24
.LBB86_23:
	s_or_b32 exec_lo, exec_lo, s0
	s_waitcnt_vscnt null, 0x0
	s_barrier
	buffer_gl0_inv
	scratch_load_b64 v[1:2], off, off offset:32
	s_mov_b32 s0, exec_lo
	s_waitcnt vmcnt(0)
	ds_store_b64 v51, v[1:2]
	s_waitcnt lgkmcnt(0)
	s_barrier
	buffer_gl0_inv
	v_cmpx_gt_u32_e32 4, v0
	s_cbranch_execz .LBB86_27
; %bb.24:
	v_dual_mov_b32 v1, 0 :: v_dual_add_nc_u32 v54, 0xc0, v3
	v_dual_mov_b32 v2, 0 :: v_dual_add_nc_u32 v53, -1, v0
	v_add_nc_u32_e32 v55, 0, v3
	s_mov_b32 s1, 0
.LBB86_25:                              ; =>This Inner Loop Header: Depth=1
	scratch_load_b64 v[56:57], v55, off
	ds_load_b64 v[58:59], v54
	v_add_nc_u32_e32 v53, 1, v53
	v_add_nc_u32_e32 v54, 8, v54
	v_add_nc_u32_e32 v55, 8, v55
	s_delay_alu instid0(VALU_DEP_3)
	v_cmp_lt_u32_e32 vcc_lo, 2, v53
	s_or_b32 s1, vcc_lo, s1
	s_waitcnt vmcnt(0) lgkmcnt(0)
	v_fma_f64 v[1:2], v[56:57], v[58:59], v[1:2]
	s_and_not1_b32 exec_lo, exec_lo, s1
	s_cbranch_execnz .LBB86_25
; %bb.26:
	s_or_b32 exec_lo, exec_lo, s1
	v_mov_b32_e32 v53, 0
	ds_load_b64 v[53:54], v53 offset:32
	s_waitcnt lgkmcnt(0)
	v_mul_f64 v[1:2], v[1:2], v[53:54]
	scratch_store_b64 off, v[1:2], off offset:32
.LBB86_27:
	s_or_b32 exec_lo, exec_lo, s0
	s_waitcnt_vscnt null, 0x0
	s_barrier
	buffer_gl0_inv
	scratch_load_b64 v[1:2], off, off offset:40
	;; [unrolled: 39-line block ×19, first 2 shown]
	s_mov_b32 s0, exec_lo
	s_waitcnt vmcnt(0)
	ds_store_b64 v51, v[1:2]
	s_waitcnt lgkmcnt(0)
	s_barrier
	buffer_gl0_inv
	v_cmpx_ne_u32_e32 22, v0
	s_cbranch_execz .LBB86_99
; %bb.96:
	v_mov_b32_e32 v1, 0
	v_mov_b32_e32 v2, 0
	s_mov_b32 s1, 0
.LBB86_97:                              ; =>This Inner Loop Header: Depth=1
	scratch_load_b64 v[53:54], v50, off
	ds_load_b64 v[55:56], v51
	v_add_nc_u32_e32 v52, 1, v52
	v_add_nc_u32_e32 v51, 8, v51
	;; [unrolled: 1-line block ×3, first 2 shown]
	s_delay_alu instid0(VALU_DEP_3)
	v_cmp_lt_u32_e32 vcc_lo, 20, v52
	s_or_b32 s1, vcc_lo, s1
	s_waitcnt vmcnt(0) lgkmcnt(0)
	v_fma_f64 v[1:2], v[53:54], v[55:56], v[1:2]
	s_and_not1_b32 exec_lo, exec_lo, s1
	s_cbranch_execnz .LBB86_97
; %bb.98:
	s_or_b32 exec_lo, exec_lo, s1
	v_mov_b32_e32 v3, 0
	ds_load_b64 v[50:51], v3 offset:176
	s_waitcnt lgkmcnt(0)
	v_mul_f64 v[1:2], v[1:2], v[50:51]
	scratch_store_b64 off, v[1:2], off offset:176
.LBB86_99:
	s_or_b32 exec_lo, exec_lo, s0
	s_mov_b32 s1, -1
	s_waitcnt_vscnt null, 0x0
	s_barrier
	buffer_gl0_inv
.LBB86_100:
	s_and_b32 vcc_lo, exec_lo, s1
	s_cbranch_vccz .LBB86_102
; %bb.101:
	s_lshl_b64 s[0:1], s[8:9], 2
	v_mov_b32_e32 v1, 0
	s_add_u32 s0, s6, s0
	s_addc_u32 s1, s7, s1
	global_load_b32 v1, v1, s[0:1]
	s_waitcnt vmcnt(0)
	v_cmp_ne_u32_e32 vcc_lo, 0, v1
	s_cbranch_vccz .LBB86_103
.LBB86_102:
	s_endpgm
.LBB86_103:
	v_lshl_add_u32 v3, v0, 3, 0xc0
	s_mov_b32 s0, exec_lo
	v_cmpx_eq_u32_e32 22, v0
	s_cbranch_execz .LBB86_105
; %bb.104:
	scratch_load_b64 v[1:2], off, off offset:168
	v_mov_b32_e32 v50, 0
	s_delay_alu instid0(VALU_DEP_1)
	v_mov_b32_e32 v51, v50
	scratch_store_b64 off, v[50:51], off offset:168
	s_waitcnt vmcnt(0)
	ds_store_b64 v3, v[1:2]
.LBB86_105:
	s_or_b32 exec_lo, exec_lo, s0
	s_waitcnt lgkmcnt(0)
	s_waitcnt_vscnt null, 0x0
	s_barrier
	buffer_gl0_inv
	scratch_load_b128 v[50:53], off, off offset:168
	v_mov_b32_e32 v1, 0
	s_mov_b32 s0, exec_lo
	ds_load_b64 v[54:55], v1 offset:368
	s_waitcnt vmcnt(0) lgkmcnt(0)
	v_fma_f64 v[52:53], v[52:53], v[54:55], 0
	s_delay_alu instid0(VALU_DEP_1)
	v_add_f64 v[50:51], v[50:51], -v[52:53]
	scratch_store_b64 off, v[50:51], off offset:168
	v_cmpx_lt_u32_e32 20, v0
	s_cbranch_execz .LBB86_107
; %bb.106:
	scratch_load_b64 v[50:51], off, off offset:160
	v_mov_b32_e32 v2, v1
	scratch_store_b64 off, v[1:2], off offset:160
	s_waitcnt vmcnt(0)
	ds_store_b64 v3, v[50:51]
.LBB86_107:
	s_or_b32 exec_lo, exec_lo, s0
	s_waitcnt lgkmcnt(0)
	s_waitcnt_vscnt null, 0x0
	s_barrier
	buffer_gl0_inv
	s_clause 0x1
	scratch_load_b128 v[50:53], off, off offset:160
	scratch_load_b64 v[58:59], off, off offset:176
	ds_load_2addr_b64 v[54:57], v1 offset0:45 offset1:46
	s_mov_b32 s0, exec_lo
	s_waitcnt vmcnt(1) lgkmcnt(0)
	v_fma_f64 v[1:2], v[52:53], v[54:55], 0
	s_waitcnt vmcnt(0)
	s_delay_alu instid0(VALU_DEP_1) | instskip(NEXT) | instid1(VALU_DEP_1)
	v_fma_f64 v[1:2], v[58:59], v[56:57], v[1:2]
	v_add_f64 v[1:2], v[50:51], -v[1:2]
	scratch_store_b64 off, v[1:2], off offset:160
	v_cmpx_lt_u32_e32 19, v0
	s_cbranch_execz .LBB86_109
; %bb.108:
	scratch_load_b64 v[1:2], off, off offset:152
	v_mov_b32_e32 v50, 0
	s_delay_alu instid0(VALU_DEP_1)
	v_mov_b32_e32 v51, v50
	scratch_store_b64 off, v[50:51], off offset:152
	s_waitcnt vmcnt(0)
	ds_store_b64 v3, v[1:2]
.LBB86_109:
	s_or_b32 exec_lo, exec_lo, s0
	s_waitcnt lgkmcnt(0)
	s_waitcnt_vscnt null, 0x0
	s_barrier
	buffer_gl0_inv
	s_clause 0x1
	scratch_load_b128 v[50:53], off, off offset:152
	scratch_load_b128 v[54:57], off, off offset:168
	v_mov_b32_e32 v1, 0
	ds_load_b128 v[58:61], v1 offset:352
	ds_load_b64 v[62:63], v1 offset:368
	s_mov_b32 s0, exec_lo
	s_waitcnt vmcnt(1) lgkmcnt(1)
	v_fma_f64 v[52:53], v[52:53], v[58:59], 0
	s_waitcnt vmcnt(0)
	s_delay_alu instid0(VALU_DEP_1) | instskip(SKIP_1) | instid1(VALU_DEP_1)
	v_fma_f64 v[52:53], v[54:55], v[60:61], v[52:53]
	s_waitcnt lgkmcnt(0)
	v_fma_f64 v[52:53], v[56:57], v[62:63], v[52:53]
	s_delay_alu instid0(VALU_DEP_1)
	v_add_f64 v[50:51], v[50:51], -v[52:53]
	scratch_store_b64 off, v[50:51], off offset:152
	v_cmpx_lt_u32_e32 18, v0
	s_cbranch_execz .LBB86_111
; %bb.110:
	scratch_load_b64 v[50:51], off, off offset:144
	v_mov_b32_e32 v2, v1
	scratch_store_b64 off, v[1:2], off offset:144
	s_waitcnt vmcnt(0)
	ds_store_b64 v3, v[50:51]
.LBB86_111:
	s_or_b32 exec_lo, exec_lo, s0
	s_waitcnt lgkmcnt(0)
	s_waitcnt_vscnt null, 0x0
	s_barrier
	buffer_gl0_inv
	s_clause 0x2
	scratch_load_b128 v[50:53], off, off offset:144
	scratch_load_b128 v[54:57], off, off offset:160
	scratch_load_b64 v[66:67], off, off offset:176
	ds_load_2addr_b64 v[58:61], v1 offset0:43 offset1:44
	ds_load_2addr_b64 v[62:65], v1 offset0:45 offset1:46
	s_mov_b32 s0, exec_lo
	s_waitcnt vmcnt(2) lgkmcnt(1)
	v_fma_f64 v[1:2], v[52:53], v[58:59], 0
	s_waitcnt vmcnt(1)
	s_delay_alu instid0(VALU_DEP_1) | instskip(SKIP_1) | instid1(VALU_DEP_1)
	v_fma_f64 v[1:2], v[54:55], v[60:61], v[1:2]
	s_waitcnt lgkmcnt(0)
	v_fma_f64 v[1:2], v[56:57], v[62:63], v[1:2]
	s_waitcnt vmcnt(0)
	s_delay_alu instid0(VALU_DEP_1) | instskip(NEXT) | instid1(VALU_DEP_1)
	v_fma_f64 v[1:2], v[66:67], v[64:65], v[1:2]
	v_add_f64 v[1:2], v[50:51], -v[1:2]
	scratch_store_b64 off, v[1:2], off offset:144
	v_cmpx_lt_u32_e32 17, v0
	s_cbranch_execz .LBB86_113
; %bb.112:
	scratch_load_b64 v[1:2], off, off offset:136
	v_mov_b32_e32 v50, 0
	s_delay_alu instid0(VALU_DEP_1)
	v_mov_b32_e32 v51, v50
	scratch_store_b64 off, v[50:51], off offset:136
	s_waitcnt vmcnt(0)
	ds_store_b64 v3, v[1:2]
.LBB86_113:
	s_or_b32 exec_lo, exec_lo, s0
	s_waitcnt lgkmcnt(0)
	s_waitcnt_vscnt null, 0x0
	s_barrier
	buffer_gl0_inv
	s_clause 0x2
	scratch_load_b128 v[50:53], off, off offset:136
	scratch_load_b128 v[54:57], off, off offset:152
	;; [unrolled: 1-line block ×3, first 2 shown]
	v_mov_b32_e32 v1, 0
	ds_load_b128 v[62:65], v1 offset:336
	ds_load_b128 v[66:69], v1 offset:352
	s_mov_b32 s0, exec_lo
	s_waitcnt vmcnt(2) lgkmcnt(1)
	v_fma_f64 v[52:53], v[52:53], v[62:63], 0
	s_waitcnt vmcnt(1)
	s_delay_alu instid0(VALU_DEP_1) | instskip(SKIP_4) | instid1(VALU_DEP_1)
	v_fma_f64 v[52:53], v[54:55], v[64:65], v[52:53]
	ds_load_b64 v[54:55], v1 offset:368
	s_waitcnt lgkmcnt(1)
	v_fma_f64 v[52:53], v[56:57], v[66:67], v[52:53]
	s_waitcnt vmcnt(0)
	v_fma_f64 v[52:53], v[58:59], v[68:69], v[52:53]
	s_waitcnt lgkmcnt(0)
	s_delay_alu instid0(VALU_DEP_1) | instskip(NEXT) | instid1(VALU_DEP_1)
	v_fma_f64 v[52:53], v[60:61], v[54:55], v[52:53]
	v_add_f64 v[50:51], v[50:51], -v[52:53]
	scratch_store_b64 off, v[50:51], off offset:136
	v_cmpx_lt_u32_e32 16, v0
	s_cbranch_execz .LBB86_115
; %bb.114:
	scratch_load_b64 v[50:51], off, off offset:128
	v_mov_b32_e32 v2, v1
	scratch_store_b64 off, v[1:2], off offset:128
	s_waitcnt vmcnt(0)
	ds_store_b64 v3, v[50:51]
.LBB86_115:
	s_or_b32 exec_lo, exec_lo, s0
	s_waitcnt lgkmcnt(0)
	s_waitcnt_vscnt null, 0x0
	s_barrier
	buffer_gl0_inv
	s_clause 0x3
	scratch_load_b128 v[50:53], off, off offset:128
	scratch_load_b128 v[54:57], off, off offset:144
	;; [unrolled: 1-line block ×3, first 2 shown]
	scratch_load_b64 v[70:71], off, off offset:176
	ds_load_2addr_b64 v[62:65], v1 offset0:41 offset1:42
	ds_load_2addr_b64 v[66:69], v1 offset0:43 offset1:44
	s_mov_b32 s0, exec_lo
	s_waitcnt vmcnt(3) lgkmcnt(1)
	v_fma_f64 v[52:53], v[52:53], v[62:63], 0
	s_waitcnt vmcnt(2)
	s_delay_alu instid0(VALU_DEP_1) | instskip(SKIP_1) | instid1(VALU_DEP_1)
	v_fma_f64 v[52:53], v[54:55], v[64:65], v[52:53]
	s_waitcnt lgkmcnt(0)
	v_fma_f64 v[52:53], v[56:57], v[66:67], v[52:53]
	s_waitcnt vmcnt(1)
	s_delay_alu instid0(VALU_DEP_1) | instskip(SKIP_4) | instid1(VALU_DEP_1)
	v_fma_f64 v[56:57], v[58:59], v[68:69], v[52:53]
	ds_load_2addr_b64 v[52:55], v1 offset0:45 offset1:46
	s_waitcnt lgkmcnt(0)
	v_fma_f64 v[1:2], v[60:61], v[52:53], v[56:57]
	s_waitcnt vmcnt(0)
	v_fma_f64 v[1:2], v[70:71], v[54:55], v[1:2]
	s_delay_alu instid0(VALU_DEP_1)
	v_add_f64 v[1:2], v[50:51], -v[1:2]
	scratch_store_b64 off, v[1:2], off offset:128
	v_cmpx_lt_u32_e32 15, v0
	s_cbranch_execz .LBB86_117
; %bb.116:
	scratch_load_b64 v[1:2], off, off offset:120
	v_mov_b32_e32 v50, 0
	s_delay_alu instid0(VALU_DEP_1)
	v_mov_b32_e32 v51, v50
	scratch_store_b64 off, v[50:51], off offset:120
	s_waitcnt vmcnt(0)
	ds_store_b64 v3, v[1:2]
.LBB86_117:
	s_or_b32 exec_lo, exec_lo, s0
	s_waitcnt lgkmcnt(0)
	s_waitcnt_vscnt null, 0x0
	s_barrier
	buffer_gl0_inv
	s_clause 0x3
	scratch_load_b128 v[50:53], off, off offset:120
	scratch_load_b128 v[54:57], off, off offset:136
	;; [unrolled: 1-line block ×4, first 2 shown]
	v_mov_b32_e32 v1, 0
	ds_load_b128 v[66:69], v1 offset:320
	ds_load_b128 v[70:73], v1 offset:336
	s_mov_b32 s0, exec_lo
	s_waitcnt vmcnt(3) lgkmcnt(1)
	v_fma_f64 v[52:53], v[52:53], v[66:67], 0
	s_waitcnt vmcnt(2)
	s_delay_alu instid0(VALU_DEP_1) | instskip(SKIP_1) | instid1(VALU_DEP_1)
	v_fma_f64 v[52:53], v[54:55], v[68:69], v[52:53]
	s_waitcnt lgkmcnt(0)
	v_fma_f64 v[52:53], v[56:57], v[70:71], v[52:53]
	s_waitcnt vmcnt(1)
	s_delay_alu instid0(VALU_DEP_1)
	v_fma_f64 v[56:57], v[58:59], v[72:73], v[52:53]
	ds_load_b128 v[52:55], v1 offset:352
	ds_load_b64 v[58:59], v1 offset:368
	s_waitcnt lgkmcnt(1)
	v_fma_f64 v[52:53], v[60:61], v[52:53], v[56:57]
	s_waitcnt vmcnt(0)
	s_delay_alu instid0(VALU_DEP_1) | instskip(SKIP_1) | instid1(VALU_DEP_1)
	v_fma_f64 v[52:53], v[62:63], v[54:55], v[52:53]
	s_waitcnt lgkmcnt(0)
	v_fma_f64 v[52:53], v[64:65], v[58:59], v[52:53]
	s_delay_alu instid0(VALU_DEP_1)
	v_add_f64 v[50:51], v[50:51], -v[52:53]
	scratch_store_b64 off, v[50:51], off offset:120
	v_cmpx_lt_u32_e32 14, v0
	s_cbranch_execz .LBB86_119
; %bb.118:
	scratch_load_b64 v[50:51], off, off offset:112
	v_mov_b32_e32 v2, v1
	scratch_store_b64 off, v[1:2], off offset:112
	s_waitcnt vmcnt(0)
	ds_store_b64 v3, v[50:51]
.LBB86_119:
	s_or_b32 exec_lo, exec_lo, s0
	s_waitcnt lgkmcnt(0)
	s_waitcnt_vscnt null, 0x0
	s_barrier
	buffer_gl0_inv
	s_clause 0x4
	scratch_load_b128 v[50:53], off, off offset:112
	scratch_load_b128 v[54:57], off, off offset:128
	scratch_load_b128 v[58:61], off, off offset:144
	scratch_load_b128 v[62:65], off, off offset:160
	scratch_load_b64 v[74:75], off, off offset:176
	ds_load_2addr_b64 v[66:69], v1 offset0:39 offset1:40
	ds_load_2addr_b64 v[70:73], v1 offset0:41 offset1:42
	s_mov_b32 s0, exec_lo
	s_waitcnt vmcnt(4) lgkmcnt(1)
	v_fma_f64 v[52:53], v[52:53], v[66:67], 0
	s_waitcnt vmcnt(3)
	s_delay_alu instid0(VALU_DEP_1) | instskip(SKIP_1) | instid1(VALU_DEP_1)
	v_fma_f64 v[52:53], v[54:55], v[68:69], v[52:53]
	s_waitcnt lgkmcnt(0)
	v_fma_f64 v[52:53], v[56:57], v[70:71], v[52:53]
	s_waitcnt vmcnt(2)
	s_delay_alu instid0(VALU_DEP_1)
	v_fma_f64 v[66:67], v[58:59], v[72:73], v[52:53]
	ds_load_2addr_b64 v[52:55], v1 offset0:43 offset1:44
	ds_load_2addr_b64 v[56:59], v1 offset0:45 offset1:46
	s_waitcnt lgkmcnt(1)
	v_fma_f64 v[1:2], v[60:61], v[52:53], v[66:67]
	s_waitcnt vmcnt(1)
	s_delay_alu instid0(VALU_DEP_1) | instskip(SKIP_1) | instid1(VALU_DEP_1)
	v_fma_f64 v[1:2], v[62:63], v[54:55], v[1:2]
	s_waitcnt lgkmcnt(0)
	v_fma_f64 v[1:2], v[64:65], v[56:57], v[1:2]
	s_waitcnt vmcnt(0)
	s_delay_alu instid0(VALU_DEP_1) | instskip(NEXT) | instid1(VALU_DEP_1)
	v_fma_f64 v[1:2], v[74:75], v[58:59], v[1:2]
	v_add_f64 v[1:2], v[50:51], -v[1:2]
	scratch_store_b64 off, v[1:2], off offset:112
	v_cmpx_lt_u32_e32 13, v0
	s_cbranch_execz .LBB86_121
; %bb.120:
	scratch_load_b64 v[1:2], off, off offset:104
	v_mov_b32_e32 v50, 0
	s_delay_alu instid0(VALU_DEP_1)
	v_mov_b32_e32 v51, v50
	scratch_store_b64 off, v[50:51], off offset:104
	s_waitcnt vmcnt(0)
	ds_store_b64 v3, v[1:2]
.LBB86_121:
	s_or_b32 exec_lo, exec_lo, s0
	s_waitcnt lgkmcnt(0)
	s_waitcnt_vscnt null, 0x0
	s_barrier
	buffer_gl0_inv
	s_clause 0x4
	scratch_load_b128 v[50:53], off, off offset:104
	scratch_load_b128 v[54:57], off, off offset:120
	;; [unrolled: 1-line block ×5, first 2 shown]
	v_mov_b32_e32 v1, 0
	ds_load_b128 v[70:73], v1 offset:304
	ds_load_b128 v[74:77], v1 offset:320
	s_mov_b32 s0, exec_lo
	s_waitcnt vmcnt(4) lgkmcnt(1)
	v_fma_f64 v[52:53], v[52:53], v[70:71], 0
	s_waitcnt vmcnt(3)
	s_delay_alu instid0(VALU_DEP_1) | instskip(SKIP_1) | instid1(VALU_DEP_1)
	v_fma_f64 v[52:53], v[54:55], v[72:73], v[52:53]
	s_waitcnt lgkmcnt(0)
	v_fma_f64 v[52:53], v[56:57], v[74:75], v[52:53]
	s_waitcnt vmcnt(2)
	s_delay_alu instid0(VALU_DEP_1)
	v_fma_f64 v[70:71], v[58:59], v[76:77], v[52:53]
	ds_load_b128 v[52:55], v1 offset:336
	ds_load_b128 v[56:59], v1 offset:352
	s_waitcnt lgkmcnt(1)
	v_fma_f64 v[52:53], v[60:61], v[52:53], v[70:71]
	s_waitcnt vmcnt(1)
	s_delay_alu instid0(VALU_DEP_1) | instskip(SKIP_4) | instid1(VALU_DEP_1)
	v_fma_f64 v[52:53], v[62:63], v[54:55], v[52:53]
	ds_load_b64 v[54:55], v1 offset:368
	s_waitcnt lgkmcnt(1)
	v_fma_f64 v[52:53], v[64:65], v[56:57], v[52:53]
	s_waitcnt vmcnt(0)
	v_fma_f64 v[52:53], v[66:67], v[58:59], v[52:53]
	s_waitcnt lgkmcnt(0)
	s_delay_alu instid0(VALU_DEP_1) | instskip(NEXT) | instid1(VALU_DEP_1)
	v_fma_f64 v[52:53], v[68:69], v[54:55], v[52:53]
	v_add_f64 v[50:51], v[50:51], -v[52:53]
	scratch_store_b64 off, v[50:51], off offset:104
	v_cmpx_lt_u32_e32 12, v0
	s_cbranch_execz .LBB86_123
; %bb.122:
	scratch_load_b64 v[50:51], off, off offset:96
	v_mov_b32_e32 v2, v1
	scratch_store_b64 off, v[1:2], off offset:96
	s_waitcnt vmcnt(0)
	ds_store_b64 v3, v[50:51]
.LBB86_123:
	s_or_b32 exec_lo, exec_lo, s0
	s_waitcnt lgkmcnt(0)
	s_waitcnt_vscnt null, 0x0
	s_barrier
	buffer_gl0_inv
	s_clause 0x4
	scratch_load_b128 v[50:53], off, off offset:96
	scratch_load_b128 v[54:57], off, off offset:112
	;; [unrolled: 1-line block ×5, first 2 shown]
	ds_load_2addr_b64 v[70:73], v1 offset0:37 offset1:38
	ds_load_2addr_b64 v[74:77], v1 offset0:39 offset1:40
	s_mov_b32 s0, exec_lo
	s_waitcnt vmcnt(4) lgkmcnt(1)
	v_fma_f64 v[52:53], v[52:53], v[70:71], 0
	scratch_load_b64 v[70:71], off, off offset:176
	s_waitcnt vmcnt(4)
	v_fma_f64 v[52:53], v[54:55], v[72:73], v[52:53]
	s_waitcnt lgkmcnt(0)
	s_delay_alu instid0(VALU_DEP_1) | instskip(SKIP_1) | instid1(VALU_DEP_1)
	v_fma_f64 v[52:53], v[56:57], v[74:75], v[52:53]
	s_waitcnt vmcnt(3)
	v_fma_f64 v[72:73], v[58:59], v[76:77], v[52:53]
	ds_load_2addr_b64 v[52:55], v1 offset0:41 offset1:42
	ds_load_2addr_b64 v[56:59], v1 offset0:43 offset1:44
	s_waitcnt lgkmcnt(1)
	v_fma_f64 v[52:53], v[60:61], v[52:53], v[72:73]
	s_waitcnt vmcnt(2)
	s_delay_alu instid0(VALU_DEP_1) | instskip(SKIP_1) | instid1(VALU_DEP_1)
	v_fma_f64 v[52:53], v[62:63], v[54:55], v[52:53]
	s_waitcnt lgkmcnt(0)
	v_fma_f64 v[52:53], v[64:65], v[56:57], v[52:53]
	s_waitcnt vmcnt(1)
	s_delay_alu instid0(VALU_DEP_1) | instskip(SKIP_4) | instid1(VALU_DEP_1)
	v_fma_f64 v[56:57], v[66:67], v[58:59], v[52:53]
	ds_load_2addr_b64 v[52:55], v1 offset0:45 offset1:46
	s_waitcnt lgkmcnt(0)
	v_fma_f64 v[1:2], v[68:69], v[52:53], v[56:57]
	s_waitcnt vmcnt(0)
	v_fma_f64 v[1:2], v[70:71], v[54:55], v[1:2]
	s_delay_alu instid0(VALU_DEP_1)
	v_add_f64 v[1:2], v[50:51], -v[1:2]
	scratch_store_b64 off, v[1:2], off offset:96
	v_cmpx_lt_u32_e32 11, v0
	s_cbranch_execz .LBB86_125
; %bb.124:
	scratch_load_b64 v[1:2], off, off offset:88
	v_mov_b32_e32 v50, 0
	s_delay_alu instid0(VALU_DEP_1)
	v_mov_b32_e32 v51, v50
	scratch_store_b64 off, v[50:51], off offset:88
	s_waitcnt vmcnt(0)
	ds_store_b64 v3, v[1:2]
.LBB86_125:
	s_or_b32 exec_lo, exec_lo, s0
	s_waitcnt lgkmcnt(0)
	s_waitcnt_vscnt null, 0x0
	s_barrier
	buffer_gl0_inv
	s_clause 0x4
	scratch_load_b128 v[50:53], off, off offset:88
	scratch_load_b128 v[54:57], off, off offset:104
	;; [unrolled: 1-line block ×5, first 2 shown]
	v_mov_b32_e32 v1, 0
	ds_load_b128 v[70:73], v1 offset:288
	ds_load_b128 v[74:77], v1 offset:304
	scratch_load_b128 v[78:81], off, off offset:168
	s_mov_b32 s0, exec_lo
	s_waitcnt vmcnt(5) lgkmcnt(1)
	v_fma_f64 v[52:53], v[52:53], v[70:71], 0
	s_waitcnt vmcnt(4)
	s_delay_alu instid0(VALU_DEP_1) | instskip(SKIP_1) | instid1(VALU_DEP_1)
	v_fma_f64 v[52:53], v[54:55], v[72:73], v[52:53]
	s_waitcnt lgkmcnt(0)
	v_fma_f64 v[52:53], v[56:57], v[74:75], v[52:53]
	s_waitcnt vmcnt(3)
	s_delay_alu instid0(VALU_DEP_1)
	v_fma_f64 v[70:71], v[58:59], v[76:77], v[52:53]
	ds_load_b128 v[52:55], v1 offset:320
	ds_load_b128 v[56:59], v1 offset:336
	s_waitcnt lgkmcnt(1)
	v_fma_f64 v[52:53], v[60:61], v[52:53], v[70:71]
	s_waitcnt vmcnt(2)
	s_delay_alu instid0(VALU_DEP_1) | instskip(SKIP_1) | instid1(VALU_DEP_1)
	v_fma_f64 v[52:53], v[62:63], v[54:55], v[52:53]
	s_waitcnt lgkmcnt(0)
	v_fma_f64 v[52:53], v[64:65], v[56:57], v[52:53]
	s_waitcnt vmcnt(1)
	s_delay_alu instid0(VALU_DEP_1)
	v_fma_f64 v[56:57], v[66:67], v[58:59], v[52:53]
	ds_load_b128 v[52:55], v1 offset:352
	ds_load_b64 v[58:59], v1 offset:368
	s_waitcnt lgkmcnt(1)
	v_fma_f64 v[52:53], v[68:69], v[52:53], v[56:57]
	s_waitcnt vmcnt(0)
	s_delay_alu instid0(VALU_DEP_1) | instskip(SKIP_1) | instid1(VALU_DEP_1)
	v_fma_f64 v[52:53], v[78:79], v[54:55], v[52:53]
	s_waitcnt lgkmcnt(0)
	v_fma_f64 v[52:53], v[80:81], v[58:59], v[52:53]
	s_delay_alu instid0(VALU_DEP_1)
	v_add_f64 v[50:51], v[50:51], -v[52:53]
	scratch_store_b64 off, v[50:51], off offset:88
	v_cmpx_lt_u32_e32 10, v0
	s_cbranch_execz .LBB86_127
; %bb.126:
	scratch_load_b64 v[50:51], off, off offset:80
	v_mov_b32_e32 v2, v1
	scratch_store_b64 off, v[1:2], off offset:80
	s_waitcnt vmcnt(0)
	ds_store_b64 v3, v[50:51]
.LBB86_127:
	s_or_b32 exec_lo, exec_lo, s0
	s_waitcnt lgkmcnt(0)
	s_waitcnt_vscnt null, 0x0
	s_barrier
	buffer_gl0_inv
	s_clause 0x4
	scratch_load_b128 v[50:53], off, off offset:80
	scratch_load_b128 v[54:57], off, off offset:96
	;; [unrolled: 1-line block ×5, first 2 shown]
	ds_load_2addr_b64 v[70:73], v1 offset0:35 offset1:36
	ds_load_2addr_b64 v[74:77], v1 offset0:37 offset1:38
	scratch_load_b128 v[78:81], off, off offset:160
	s_mov_b32 s0, exec_lo
	s_waitcnt vmcnt(5) lgkmcnt(1)
	v_fma_f64 v[52:53], v[52:53], v[70:71], 0
	scratch_load_b64 v[70:71], off, off offset:176
	s_waitcnt vmcnt(5)
	v_fma_f64 v[52:53], v[54:55], v[72:73], v[52:53]
	s_waitcnt lgkmcnt(0)
	s_delay_alu instid0(VALU_DEP_1) | instskip(SKIP_1) | instid1(VALU_DEP_1)
	v_fma_f64 v[52:53], v[56:57], v[74:75], v[52:53]
	s_waitcnt vmcnt(4)
	v_fma_f64 v[72:73], v[58:59], v[76:77], v[52:53]
	ds_load_2addr_b64 v[52:55], v1 offset0:39 offset1:40
	ds_load_2addr_b64 v[56:59], v1 offset0:41 offset1:42
	s_waitcnt lgkmcnt(1)
	v_fma_f64 v[52:53], v[60:61], v[52:53], v[72:73]
	s_waitcnt vmcnt(3)
	s_delay_alu instid0(VALU_DEP_1) | instskip(SKIP_1) | instid1(VALU_DEP_1)
	v_fma_f64 v[52:53], v[62:63], v[54:55], v[52:53]
	s_waitcnt lgkmcnt(0)
	v_fma_f64 v[52:53], v[64:65], v[56:57], v[52:53]
	s_waitcnt vmcnt(2)
	s_delay_alu instid0(VALU_DEP_1)
	v_fma_f64 v[60:61], v[66:67], v[58:59], v[52:53]
	ds_load_2addr_b64 v[52:55], v1 offset0:43 offset1:44
	ds_load_2addr_b64 v[56:59], v1 offset0:45 offset1:46
	s_waitcnt lgkmcnt(1)
	v_fma_f64 v[1:2], v[68:69], v[52:53], v[60:61]
	s_waitcnt vmcnt(1)
	s_delay_alu instid0(VALU_DEP_1) | instskip(SKIP_1) | instid1(VALU_DEP_1)
	v_fma_f64 v[1:2], v[78:79], v[54:55], v[1:2]
	s_waitcnt lgkmcnt(0)
	v_fma_f64 v[1:2], v[80:81], v[56:57], v[1:2]
	s_waitcnt vmcnt(0)
	s_delay_alu instid0(VALU_DEP_1) | instskip(NEXT) | instid1(VALU_DEP_1)
	v_fma_f64 v[1:2], v[70:71], v[58:59], v[1:2]
	v_add_f64 v[1:2], v[50:51], -v[1:2]
	scratch_store_b64 off, v[1:2], off offset:80
	v_cmpx_lt_u32_e32 9, v0
	s_cbranch_execz .LBB86_129
; %bb.128:
	scratch_load_b64 v[1:2], off, off offset:72
	v_mov_b32_e32 v50, 0
	s_delay_alu instid0(VALU_DEP_1)
	v_mov_b32_e32 v51, v50
	scratch_store_b64 off, v[50:51], off offset:72
	s_waitcnt vmcnt(0)
	ds_store_b64 v3, v[1:2]
.LBB86_129:
	s_or_b32 exec_lo, exec_lo, s0
	s_waitcnt lgkmcnt(0)
	s_waitcnt_vscnt null, 0x0
	s_barrier
	buffer_gl0_inv
	s_clause 0x4
	scratch_load_b128 v[50:53], off, off offset:72
	scratch_load_b128 v[54:57], off, off offset:88
	;; [unrolled: 1-line block ×5, first 2 shown]
	v_mov_b32_e32 v1, 0
	ds_load_b128 v[70:73], v1 offset:272
	ds_load_b128 v[74:77], v1 offset:288
	scratch_load_b128 v[78:81], off, off offset:152
	s_mov_b32 s0, exec_lo
	s_waitcnt vmcnt(5) lgkmcnt(1)
	v_fma_f64 v[52:53], v[52:53], v[70:71], 0
	s_waitcnt vmcnt(4)
	s_delay_alu instid0(VALU_DEP_1) | instskip(SKIP_1) | instid1(VALU_DEP_1)
	v_fma_f64 v[52:53], v[54:55], v[72:73], v[52:53]
	s_waitcnt lgkmcnt(0)
	v_fma_f64 v[56:57], v[56:57], v[74:75], v[52:53]
	scratch_load_b128 v[52:55], off, off offset:168
	s_waitcnt vmcnt(4)
	v_fma_f64 v[74:75], v[58:59], v[76:77], v[56:57]
	ds_load_b128 v[56:59], v1 offset:304
	ds_load_b128 v[70:73], v1 offset:320
	s_waitcnt lgkmcnt(1)
	v_fma_f64 v[56:57], v[60:61], v[56:57], v[74:75]
	s_waitcnt vmcnt(3)
	s_delay_alu instid0(VALU_DEP_1) | instskip(SKIP_1) | instid1(VALU_DEP_1)
	v_fma_f64 v[56:57], v[62:63], v[58:59], v[56:57]
	s_waitcnt lgkmcnt(0)
	v_fma_f64 v[56:57], v[64:65], v[70:71], v[56:57]
	s_waitcnt vmcnt(2)
	s_delay_alu instid0(VALU_DEP_1)
	v_fma_f64 v[64:65], v[66:67], v[72:73], v[56:57]
	ds_load_b128 v[56:59], v1 offset:336
	ds_load_b128 v[60:63], v1 offset:352
	s_waitcnt lgkmcnt(1)
	v_fma_f64 v[56:57], v[68:69], v[56:57], v[64:65]
	s_waitcnt vmcnt(1)
	s_delay_alu instid0(VALU_DEP_1) | instskip(SKIP_1) | instid1(VALU_DEP_1)
	v_fma_f64 v[56:57], v[78:79], v[58:59], v[56:57]
	s_waitcnt lgkmcnt(0)
	v_fma_f64 v[56:57], v[80:81], v[60:61], v[56:57]
	s_waitcnt vmcnt(0)
	s_delay_alu instid0(VALU_DEP_1) | instskip(SKIP_3) | instid1(VALU_DEP_1)
	v_fma_f64 v[52:53], v[52:53], v[62:63], v[56:57]
	ds_load_b64 v[56:57], v1 offset:368
	s_waitcnt lgkmcnt(0)
	v_fma_f64 v[52:53], v[54:55], v[56:57], v[52:53]
	v_add_f64 v[50:51], v[50:51], -v[52:53]
	scratch_store_b64 off, v[50:51], off offset:72
	v_cmpx_lt_u32_e32 8, v0
	s_cbranch_execz .LBB86_131
; %bb.130:
	scratch_load_b64 v[50:51], off, off offset:64
	v_mov_b32_e32 v2, v1
	scratch_store_b64 off, v[1:2], off offset:64
	s_waitcnt vmcnt(0)
	ds_store_b64 v3, v[50:51]
.LBB86_131:
	s_or_b32 exec_lo, exec_lo, s0
	s_waitcnt lgkmcnt(0)
	s_waitcnt_vscnt null, 0x0
	s_barrier
	buffer_gl0_inv
	s_clause 0x4
	scratch_load_b128 v[50:53], off, off offset:64
	scratch_load_b128 v[54:57], off, off offset:80
	;; [unrolled: 1-line block ×5, first 2 shown]
	ds_load_2addr_b64 v[70:73], v1 offset0:33 offset1:34
	ds_load_2addr_b64 v[74:77], v1 offset0:35 offset1:36
	scratch_load_b128 v[78:81], off, off offset:144
	s_mov_b32 s0, exec_lo
	s_waitcnt vmcnt(5) lgkmcnt(1)
	v_fma_f64 v[52:53], v[52:53], v[70:71], 0
	s_waitcnt vmcnt(4)
	s_delay_alu instid0(VALU_DEP_1) | instskip(SKIP_1) | instid1(VALU_DEP_1)
	v_fma_f64 v[52:53], v[54:55], v[72:73], v[52:53]
	s_waitcnt lgkmcnt(0)
	v_fma_f64 v[56:57], v[56:57], v[74:75], v[52:53]
	scratch_load_b128 v[52:55], off, off offset:160
	s_waitcnt vmcnt(4)
	v_fma_f64 v[74:75], v[58:59], v[76:77], v[56:57]
	ds_load_2addr_b64 v[56:59], v1 offset0:37 offset1:38
	ds_load_2addr_b64 v[70:73], v1 offset0:39 offset1:40
	s_waitcnt lgkmcnt(1)
	v_fma_f64 v[56:57], v[60:61], v[56:57], v[74:75]
	scratch_load_b64 v[74:75], off, off offset:176
	s_waitcnt vmcnt(4)
	v_fma_f64 v[56:57], v[62:63], v[58:59], v[56:57]
	s_waitcnt lgkmcnt(0)
	s_delay_alu instid0(VALU_DEP_1) | instskip(SKIP_1) | instid1(VALU_DEP_1)
	v_fma_f64 v[56:57], v[64:65], v[70:71], v[56:57]
	s_waitcnt vmcnt(3)
	v_fma_f64 v[64:65], v[66:67], v[72:73], v[56:57]
	ds_load_2addr_b64 v[56:59], v1 offset0:41 offset1:42
	ds_load_2addr_b64 v[60:63], v1 offset0:43 offset1:44
	s_waitcnt lgkmcnt(1)
	v_fma_f64 v[56:57], v[68:69], v[56:57], v[64:65]
	s_waitcnt vmcnt(2)
	s_delay_alu instid0(VALU_DEP_1) | instskip(SKIP_1) | instid1(VALU_DEP_1)
	v_fma_f64 v[56:57], v[78:79], v[58:59], v[56:57]
	s_waitcnt lgkmcnt(0)
	v_fma_f64 v[56:57], v[80:81], v[60:61], v[56:57]
	s_waitcnt vmcnt(1)
	s_delay_alu instid0(VALU_DEP_1) | instskip(SKIP_4) | instid1(VALU_DEP_1)
	v_fma_f64 v[52:53], v[52:53], v[62:63], v[56:57]
	ds_load_2addr_b64 v[56:59], v1 offset0:45 offset1:46
	s_waitcnt lgkmcnt(0)
	v_fma_f64 v[1:2], v[54:55], v[56:57], v[52:53]
	s_waitcnt vmcnt(0)
	v_fma_f64 v[1:2], v[74:75], v[58:59], v[1:2]
	s_delay_alu instid0(VALU_DEP_1)
	v_add_f64 v[1:2], v[50:51], -v[1:2]
	scratch_store_b64 off, v[1:2], off offset:64
	v_cmpx_lt_u32_e32 7, v0
	s_cbranch_execz .LBB86_133
; %bb.132:
	scratch_load_b64 v[1:2], off, off offset:56
	v_mov_b32_e32 v50, 0
	s_delay_alu instid0(VALU_DEP_1)
	v_mov_b32_e32 v51, v50
	scratch_store_b64 off, v[50:51], off offset:56
	s_waitcnt vmcnt(0)
	ds_store_b64 v3, v[1:2]
.LBB86_133:
	s_or_b32 exec_lo, exec_lo, s0
	s_waitcnt lgkmcnt(0)
	s_waitcnt_vscnt null, 0x0
	s_barrier
	buffer_gl0_inv
	s_clause 0x4
	scratch_load_b128 v[50:53], off, off offset:56
	scratch_load_b128 v[54:57], off, off offset:72
	;; [unrolled: 1-line block ×5, first 2 shown]
	v_mov_b32_e32 v1, 0
	ds_load_b128 v[70:73], v1 offset:256
	ds_load_b128 v[74:77], v1 offset:272
	scratch_load_b128 v[78:81], off, off offset:136
	s_mov_b32 s0, exec_lo
	s_waitcnt vmcnt(5) lgkmcnt(1)
	v_fma_f64 v[52:53], v[52:53], v[70:71], 0
	s_waitcnt vmcnt(4)
	s_delay_alu instid0(VALU_DEP_1) | instskip(SKIP_1) | instid1(VALU_DEP_1)
	v_fma_f64 v[52:53], v[54:55], v[72:73], v[52:53]
	s_waitcnt lgkmcnt(0)
	v_fma_f64 v[56:57], v[56:57], v[74:75], v[52:53]
	scratch_load_b128 v[52:55], off, off offset:152
	s_waitcnt vmcnt(4)
	v_fma_f64 v[74:75], v[58:59], v[76:77], v[56:57]
	ds_load_b128 v[56:59], v1 offset:288
	ds_load_b128 v[70:73], v1 offset:304
	s_waitcnt lgkmcnt(1)
	v_fma_f64 v[56:57], v[60:61], v[56:57], v[74:75]
	scratch_load_b128 v[74:77], off, off offset:168
	s_waitcnt vmcnt(4)
	v_fma_f64 v[56:57], v[62:63], v[58:59], v[56:57]
	s_waitcnt lgkmcnt(0)
	s_delay_alu instid0(VALU_DEP_1) | instskip(SKIP_1) | instid1(VALU_DEP_1)
	v_fma_f64 v[56:57], v[64:65], v[70:71], v[56:57]
	s_waitcnt vmcnt(3)
	v_fma_f64 v[64:65], v[66:67], v[72:73], v[56:57]
	ds_load_b128 v[56:59], v1 offset:320
	ds_load_b128 v[60:63], v1 offset:336
	s_waitcnt lgkmcnt(1)
	v_fma_f64 v[56:57], v[68:69], v[56:57], v[64:65]
	s_waitcnt vmcnt(2)
	s_delay_alu instid0(VALU_DEP_1) | instskip(SKIP_1) | instid1(VALU_DEP_1)
	v_fma_f64 v[56:57], v[78:79], v[58:59], v[56:57]
	s_waitcnt lgkmcnt(0)
	v_fma_f64 v[56:57], v[80:81], v[60:61], v[56:57]
	s_waitcnt vmcnt(1)
	s_delay_alu instid0(VALU_DEP_1)
	v_fma_f64 v[52:53], v[52:53], v[62:63], v[56:57]
	ds_load_b128 v[56:59], v1 offset:352
	ds_load_b64 v[60:61], v1 offset:368
	s_waitcnt lgkmcnt(1)
	v_fma_f64 v[52:53], v[54:55], v[56:57], v[52:53]
	s_waitcnt vmcnt(0)
	s_delay_alu instid0(VALU_DEP_1) | instskip(SKIP_1) | instid1(VALU_DEP_1)
	v_fma_f64 v[52:53], v[74:75], v[58:59], v[52:53]
	s_waitcnt lgkmcnt(0)
	v_fma_f64 v[52:53], v[76:77], v[60:61], v[52:53]
	s_delay_alu instid0(VALU_DEP_1)
	v_add_f64 v[50:51], v[50:51], -v[52:53]
	scratch_store_b64 off, v[50:51], off offset:56
	v_cmpx_lt_u32_e32 6, v0
	s_cbranch_execz .LBB86_135
; %bb.134:
	scratch_load_b64 v[50:51], off, off offset:48
	v_mov_b32_e32 v2, v1
	scratch_store_b64 off, v[1:2], off offset:48
	s_waitcnt vmcnt(0)
	ds_store_b64 v3, v[50:51]
.LBB86_135:
	s_or_b32 exec_lo, exec_lo, s0
	s_waitcnt lgkmcnt(0)
	s_waitcnt_vscnt null, 0x0
	s_barrier
	buffer_gl0_inv
	s_clause 0x4
	scratch_load_b128 v[50:53], off, off offset:48
	scratch_load_b128 v[54:57], off, off offset:64
	scratch_load_b128 v[58:61], off, off offset:80
	scratch_load_b128 v[62:65], off, off offset:96
	scratch_load_b128 v[66:69], off, off offset:112
	ds_load_2addr_b64 v[70:73], v1 offset0:31 offset1:32
	ds_load_2addr_b64 v[74:77], v1 offset0:33 offset1:34
	scratch_load_b128 v[78:81], off, off offset:128
	s_mov_b32 s0, exec_lo
	s_waitcnt vmcnt(5) lgkmcnt(1)
	v_fma_f64 v[52:53], v[52:53], v[70:71], 0
	s_waitcnt vmcnt(4)
	s_delay_alu instid0(VALU_DEP_1) | instskip(SKIP_1) | instid1(VALU_DEP_1)
	v_fma_f64 v[52:53], v[54:55], v[72:73], v[52:53]
	s_waitcnt lgkmcnt(0)
	v_fma_f64 v[56:57], v[56:57], v[74:75], v[52:53]
	scratch_load_b128 v[52:55], off, off offset:144
	s_waitcnt vmcnt(4)
	v_fma_f64 v[74:75], v[58:59], v[76:77], v[56:57]
	ds_load_2addr_b64 v[56:59], v1 offset0:35 offset1:36
	ds_load_2addr_b64 v[70:73], v1 offset0:37 offset1:38
	s_waitcnt lgkmcnt(1)
	v_fma_f64 v[56:57], v[60:61], v[56:57], v[74:75]
	scratch_load_b128 v[74:77], off, off offset:160
	s_waitcnt vmcnt(4)
	v_fma_f64 v[56:57], v[62:63], v[58:59], v[56:57]
	s_waitcnt lgkmcnt(0)
	s_delay_alu instid0(VALU_DEP_1)
	v_fma_f64 v[56:57], v[64:65], v[70:71], v[56:57]
	scratch_load_b64 v[64:65], off, off offset:176
	s_waitcnt vmcnt(4)
	v_fma_f64 v[66:67], v[66:67], v[72:73], v[56:57]
	ds_load_2addr_b64 v[56:59], v1 offset0:39 offset1:40
	ds_load_2addr_b64 v[60:63], v1 offset0:41 offset1:42
	s_waitcnt lgkmcnt(1)
	v_fma_f64 v[56:57], v[68:69], v[56:57], v[66:67]
	s_waitcnt vmcnt(3)
	s_delay_alu instid0(VALU_DEP_1) | instskip(SKIP_1) | instid1(VALU_DEP_1)
	v_fma_f64 v[56:57], v[78:79], v[58:59], v[56:57]
	s_waitcnt lgkmcnt(0)
	v_fma_f64 v[56:57], v[80:81], v[60:61], v[56:57]
	s_waitcnt vmcnt(2)
	s_delay_alu instid0(VALU_DEP_1)
	v_fma_f64 v[52:53], v[52:53], v[62:63], v[56:57]
	ds_load_2addr_b64 v[56:59], v1 offset0:43 offset1:44
	ds_load_2addr_b64 v[60:63], v1 offset0:45 offset1:46
	s_waitcnt lgkmcnt(1)
	v_fma_f64 v[1:2], v[54:55], v[56:57], v[52:53]
	s_waitcnt vmcnt(1)
	s_delay_alu instid0(VALU_DEP_1) | instskip(SKIP_1) | instid1(VALU_DEP_1)
	v_fma_f64 v[1:2], v[74:75], v[58:59], v[1:2]
	s_waitcnt lgkmcnt(0)
	v_fma_f64 v[1:2], v[76:77], v[60:61], v[1:2]
	s_waitcnt vmcnt(0)
	s_delay_alu instid0(VALU_DEP_1) | instskip(NEXT) | instid1(VALU_DEP_1)
	v_fma_f64 v[1:2], v[64:65], v[62:63], v[1:2]
	v_add_f64 v[1:2], v[50:51], -v[1:2]
	scratch_store_b64 off, v[1:2], off offset:48
	v_cmpx_lt_u32_e32 5, v0
	s_cbranch_execz .LBB86_137
; %bb.136:
	scratch_load_b64 v[1:2], off, off offset:40
	v_mov_b32_e32 v50, 0
	s_delay_alu instid0(VALU_DEP_1)
	v_mov_b32_e32 v51, v50
	scratch_store_b64 off, v[50:51], off offset:40
	s_waitcnt vmcnt(0)
	ds_store_b64 v3, v[1:2]
.LBB86_137:
	s_or_b32 exec_lo, exec_lo, s0
	s_waitcnt lgkmcnt(0)
	s_waitcnt_vscnt null, 0x0
	s_barrier
	buffer_gl0_inv
	s_clause 0x4
	scratch_load_b128 v[50:53], off, off offset:40
	scratch_load_b128 v[54:57], off, off offset:56
	;; [unrolled: 1-line block ×5, first 2 shown]
	v_mov_b32_e32 v1, 0
	ds_load_b128 v[70:73], v1 offset:240
	ds_load_b128 v[74:77], v1 offset:256
	scratch_load_b128 v[78:81], off, off offset:120
	s_mov_b32 s0, exec_lo
	s_waitcnt vmcnt(5) lgkmcnt(1)
	v_fma_f64 v[52:53], v[52:53], v[70:71], 0
	s_waitcnt vmcnt(4)
	s_delay_alu instid0(VALU_DEP_1) | instskip(SKIP_1) | instid1(VALU_DEP_1)
	v_fma_f64 v[52:53], v[54:55], v[72:73], v[52:53]
	s_waitcnt lgkmcnt(0)
	v_fma_f64 v[56:57], v[56:57], v[74:75], v[52:53]
	scratch_load_b128 v[52:55], off, off offset:136
	s_waitcnt vmcnt(4)
	v_fma_f64 v[74:75], v[58:59], v[76:77], v[56:57]
	ds_load_b128 v[56:59], v1 offset:272
	ds_load_b128 v[70:73], v1 offset:288
	s_waitcnt lgkmcnt(1)
	v_fma_f64 v[56:57], v[60:61], v[56:57], v[74:75]
	scratch_load_b128 v[74:77], off, off offset:152
	s_waitcnt vmcnt(4)
	v_fma_f64 v[56:57], v[62:63], v[58:59], v[56:57]
	s_waitcnt lgkmcnt(0)
	s_delay_alu instid0(VALU_DEP_1)
	v_fma_f64 v[60:61], v[64:65], v[70:71], v[56:57]
	scratch_load_b128 v[56:59], off, off offset:168
	s_waitcnt vmcnt(4)
	v_fma_f64 v[70:71], v[66:67], v[72:73], v[60:61]
	ds_load_b128 v[60:63], v1 offset:304
	ds_load_b128 v[64:67], v1 offset:320
	s_waitcnt lgkmcnt(1)
	v_fma_f64 v[60:61], v[68:69], v[60:61], v[70:71]
	s_waitcnt vmcnt(3)
	s_delay_alu instid0(VALU_DEP_1) | instskip(SKIP_1) | instid1(VALU_DEP_1)
	v_fma_f64 v[60:61], v[78:79], v[62:63], v[60:61]
	s_waitcnt lgkmcnt(0)
	v_fma_f64 v[60:61], v[80:81], v[64:65], v[60:61]
	s_waitcnt vmcnt(2)
	s_delay_alu instid0(VALU_DEP_1)
	v_fma_f64 v[52:53], v[52:53], v[66:67], v[60:61]
	ds_load_b128 v[60:63], v1 offset:336
	ds_load_b128 v[64:67], v1 offset:352
	s_waitcnt lgkmcnt(1)
	v_fma_f64 v[52:53], v[54:55], v[60:61], v[52:53]
	ds_load_b64 v[54:55], v1 offset:368
	s_waitcnt vmcnt(1)
	v_fma_f64 v[52:53], v[74:75], v[62:63], v[52:53]
	s_waitcnt lgkmcnt(1)
	s_delay_alu instid0(VALU_DEP_1) | instskip(SKIP_1) | instid1(VALU_DEP_1)
	v_fma_f64 v[52:53], v[76:77], v[64:65], v[52:53]
	s_waitcnt vmcnt(0)
	v_fma_f64 v[52:53], v[56:57], v[66:67], v[52:53]
	s_waitcnt lgkmcnt(0)
	s_delay_alu instid0(VALU_DEP_1) | instskip(NEXT) | instid1(VALU_DEP_1)
	v_fma_f64 v[52:53], v[58:59], v[54:55], v[52:53]
	v_add_f64 v[50:51], v[50:51], -v[52:53]
	scratch_store_b64 off, v[50:51], off offset:40
	v_cmpx_lt_u32_e32 4, v0
	s_cbranch_execz .LBB86_139
; %bb.138:
	scratch_load_b64 v[50:51], off, off offset:32
	v_mov_b32_e32 v2, v1
	scratch_store_b64 off, v[1:2], off offset:32
	s_waitcnt vmcnt(0)
	ds_store_b64 v3, v[50:51]
.LBB86_139:
	s_or_b32 exec_lo, exec_lo, s0
	s_waitcnt lgkmcnt(0)
	s_waitcnt_vscnt null, 0x0
	s_barrier
	buffer_gl0_inv
	s_clause 0x4
	scratch_load_b128 v[50:53], off, off offset:32
	scratch_load_b128 v[54:57], off, off offset:48
	;; [unrolled: 1-line block ×5, first 2 shown]
	ds_load_2addr_b64 v[70:73], v1 offset0:29 offset1:30
	ds_load_2addr_b64 v[74:77], v1 offset0:31 offset1:32
	scratch_load_b128 v[78:81], off, off offset:112
	s_mov_b32 s0, exec_lo
	s_waitcnt vmcnt(5) lgkmcnt(1)
	v_fma_f64 v[52:53], v[52:53], v[70:71], 0
	s_waitcnt vmcnt(4)
	s_delay_alu instid0(VALU_DEP_1) | instskip(SKIP_1) | instid1(VALU_DEP_1)
	v_fma_f64 v[52:53], v[54:55], v[72:73], v[52:53]
	s_waitcnt lgkmcnt(0)
	v_fma_f64 v[56:57], v[56:57], v[74:75], v[52:53]
	scratch_load_b128 v[52:55], off, off offset:128
	s_waitcnt vmcnt(4)
	v_fma_f64 v[74:75], v[58:59], v[76:77], v[56:57]
	ds_load_2addr_b64 v[56:59], v1 offset0:33 offset1:34
	ds_load_2addr_b64 v[70:73], v1 offset0:35 offset1:36
	s_waitcnt lgkmcnt(1)
	v_fma_f64 v[56:57], v[60:61], v[56:57], v[74:75]
	scratch_load_b128 v[74:77], off, off offset:144
	s_waitcnt vmcnt(4)
	v_fma_f64 v[56:57], v[62:63], v[58:59], v[56:57]
	s_waitcnt lgkmcnt(0)
	s_delay_alu instid0(VALU_DEP_1)
	v_fma_f64 v[60:61], v[64:65], v[70:71], v[56:57]
	scratch_load_b128 v[56:59], off, off offset:160
	s_waitcnt vmcnt(4)
	v_fma_f64 v[70:71], v[66:67], v[72:73], v[60:61]
	ds_load_2addr_b64 v[60:63], v1 offset0:37 offset1:38
	ds_load_2addr_b64 v[64:67], v1 offset0:39 offset1:40
	s_waitcnt lgkmcnt(1)
	v_fma_f64 v[60:61], v[68:69], v[60:61], v[70:71]
	scratch_load_b64 v[68:69], off, off offset:176
	s_waitcnt vmcnt(4)
	v_fma_f64 v[60:61], v[78:79], v[62:63], v[60:61]
	s_waitcnt lgkmcnt(0)
	s_delay_alu instid0(VALU_DEP_1) | instskip(SKIP_1) | instid1(VALU_DEP_1)
	v_fma_f64 v[60:61], v[80:81], v[64:65], v[60:61]
	s_waitcnt vmcnt(3)
	v_fma_f64 v[52:53], v[52:53], v[66:67], v[60:61]
	ds_load_2addr_b64 v[60:63], v1 offset0:41 offset1:42
	ds_load_2addr_b64 v[64:67], v1 offset0:43 offset1:44
	s_waitcnt lgkmcnt(1)
	v_fma_f64 v[52:53], v[54:55], v[60:61], v[52:53]
	s_waitcnt vmcnt(2)
	s_delay_alu instid0(VALU_DEP_1) | instskip(SKIP_1) | instid1(VALU_DEP_1)
	v_fma_f64 v[52:53], v[74:75], v[62:63], v[52:53]
	s_waitcnt lgkmcnt(0)
	v_fma_f64 v[52:53], v[76:77], v[64:65], v[52:53]
	s_waitcnt vmcnt(1)
	s_delay_alu instid0(VALU_DEP_1) | instskip(SKIP_4) | instid1(VALU_DEP_1)
	v_fma_f64 v[56:57], v[56:57], v[66:67], v[52:53]
	ds_load_2addr_b64 v[52:55], v1 offset0:45 offset1:46
	s_waitcnt lgkmcnt(0)
	v_fma_f64 v[1:2], v[58:59], v[52:53], v[56:57]
	s_waitcnt vmcnt(0)
	v_fma_f64 v[1:2], v[68:69], v[54:55], v[1:2]
	s_delay_alu instid0(VALU_DEP_1)
	v_add_f64 v[1:2], v[50:51], -v[1:2]
	scratch_store_b64 off, v[1:2], off offset:32
	v_cmpx_lt_u32_e32 3, v0
	s_cbranch_execz .LBB86_141
; %bb.140:
	scratch_load_b64 v[1:2], off, off offset:24
	v_mov_b32_e32 v50, 0
	s_delay_alu instid0(VALU_DEP_1)
	v_mov_b32_e32 v51, v50
	scratch_store_b64 off, v[50:51], off offset:24
	s_waitcnt vmcnt(0)
	ds_store_b64 v3, v[1:2]
.LBB86_141:
	s_or_b32 exec_lo, exec_lo, s0
	s_waitcnt lgkmcnt(0)
	s_waitcnt_vscnt null, 0x0
	s_barrier
	buffer_gl0_inv
	s_clause 0x4
	scratch_load_b128 v[50:53], off, off offset:24
	scratch_load_b128 v[54:57], off, off offset:40
	;; [unrolled: 1-line block ×5, first 2 shown]
	v_mov_b32_e32 v1, 0
	ds_load_b128 v[70:73], v1 offset:224
	ds_load_b128 v[74:77], v1 offset:240
	scratch_load_b128 v[78:81], off, off offset:104
	s_mov_b32 s0, exec_lo
	s_waitcnt vmcnt(5) lgkmcnt(1)
	v_fma_f64 v[52:53], v[52:53], v[70:71], 0
	s_waitcnt vmcnt(4)
	s_delay_alu instid0(VALU_DEP_1) | instskip(SKIP_1) | instid1(VALU_DEP_1)
	v_fma_f64 v[52:53], v[54:55], v[72:73], v[52:53]
	s_waitcnt lgkmcnt(0)
	v_fma_f64 v[56:57], v[56:57], v[74:75], v[52:53]
	scratch_load_b128 v[52:55], off, off offset:120
	s_waitcnt vmcnt(4)
	v_fma_f64 v[74:75], v[58:59], v[76:77], v[56:57]
	ds_load_b128 v[56:59], v1 offset:256
	ds_load_b128 v[70:73], v1 offset:272
	s_waitcnt lgkmcnt(1)
	v_fma_f64 v[56:57], v[60:61], v[56:57], v[74:75]
	scratch_load_b128 v[74:77], off, off offset:136
	s_waitcnt vmcnt(4)
	v_fma_f64 v[56:57], v[62:63], v[58:59], v[56:57]
	s_waitcnt lgkmcnt(0)
	s_delay_alu instid0(VALU_DEP_1)
	v_fma_f64 v[60:61], v[64:65], v[70:71], v[56:57]
	scratch_load_b128 v[56:59], off, off offset:152
	s_waitcnt vmcnt(4)
	v_fma_f64 v[70:71], v[66:67], v[72:73], v[60:61]
	ds_load_b128 v[60:63], v1 offset:288
	ds_load_b128 v[64:67], v1 offset:304
	s_waitcnt lgkmcnt(1)
	v_fma_f64 v[60:61], v[68:69], v[60:61], v[70:71]
	scratch_load_b128 v[68:71], off, off offset:168
	s_waitcnt vmcnt(4)
	v_fma_f64 v[60:61], v[78:79], v[62:63], v[60:61]
	s_waitcnt lgkmcnt(0)
	s_delay_alu instid0(VALU_DEP_1) | instskip(SKIP_1) | instid1(VALU_DEP_1)
	v_fma_f64 v[60:61], v[80:81], v[64:65], v[60:61]
	s_waitcnt vmcnt(3)
	v_fma_f64 v[52:53], v[52:53], v[66:67], v[60:61]
	ds_load_b128 v[60:63], v1 offset:320
	ds_load_b128 v[64:67], v1 offset:336
	s_waitcnt lgkmcnt(1)
	v_fma_f64 v[52:53], v[54:55], v[60:61], v[52:53]
	s_waitcnt vmcnt(2)
	s_delay_alu instid0(VALU_DEP_1) | instskip(SKIP_1) | instid1(VALU_DEP_1)
	v_fma_f64 v[52:53], v[74:75], v[62:63], v[52:53]
	s_waitcnt lgkmcnt(0)
	v_fma_f64 v[52:53], v[76:77], v[64:65], v[52:53]
	s_waitcnt vmcnt(1)
	s_delay_alu instid0(VALU_DEP_1)
	v_fma_f64 v[56:57], v[56:57], v[66:67], v[52:53]
	ds_load_b128 v[52:55], v1 offset:352
	ds_load_b64 v[60:61], v1 offset:368
	s_waitcnt lgkmcnt(1)
	v_fma_f64 v[52:53], v[58:59], v[52:53], v[56:57]
	s_waitcnt vmcnt(0)
	s_delay_alu instid0(VALU_DEP_1) | instskip(SKIP_1) | instid1(VALU_DEP_1)
	v_fma_f64 v[52:53], v[68:69], v[54:55], v[52:53]
	s_waitcnt lgkmcnt(0)
	v_fma_f64 v[52:53], v[70:71], v[60:61], v[52:53]
	s_delay_alu instid0(VALU_DEP_1)
	v_add_f64 v[50:51], v[50:51], -v[52:53]
	scratch_store_b64 off, v[50:51], off offset:24
	v_cmpx_lt_u32_e32 2, v0
	s_cbranch_execz .LBB86_143
; %bb.142:
	scratch_load_b64 v[50:51], off, off offset:16
	v_mov_b32_e32 v2, v1
	scratch_store_b64 off, v[1:2], off offset:16
	s_waitcnt vmcnt(0)
	ds_store_b64 v3, v[50:51]
.LBB86_143:
	s_or_b32 exec_lo, exec_lo, s0
	s_waitcnt lgkmcnt(0)
	s_waitcnt_vscnt null, 0x0
	s_barrier
	buffer_gl0_inv
	s_clause 0x4
	scratch_load_b128 v[50:53], off, off offset:16
	scratch_load_b128 v[54:57], off, off offset:32
	;; [unrolled: 1-line block ×5, first 2 shown]
	ds_load_2addr_b64 v[70:73], v1 offset0:27 offset1:28
	ds_load_2addr_b64 v[74:77], v1 offset0:29 offset1:30
	scratch_load_b128 v[78:81], off, off offset:96
	s_mov_b32 s0, exec_lo
	s_waitcnt vmcnt(5) lgkmcnt(1)
	v_fma_f64 v[52:53], v[52:53], v[70:71], 0
	s_waitcnt vmcnt(4)
	s_delay_alu instid0(VALU_DEP_1) | instskip(SKIP_1) | instid1(VALU_DEP_1)
	v_fma_f64 v[52:53], v[54:55], v[72:73], v[52:53]
	s_waitcnt lgkmcnt(0)
	v_fma_f64 v[56:57], v[56:57], v[74:75], v[52:53]
	scratch_load_b128 v[52:55], off, off offset:112
	s_waitcnt vmcnt(4)
	v_fma_f64 v[74:75], v[58:59], v[76:77], v[56:57]
	ds_load_2addr_b64 v[56:59], v1 offset0:31 offset1:32
	ds_load_2addr_b64 v[70:73], v1 offset0:33 offset1:34
	s_waitcnt lgkmcnt(1)
	v_fma_f64 v[56:57], v[60:61], v[56:57], v[74:75]
	scratch_load_b128 v[74:77], off, off offset:128
	s_waitcnt vmcnt(4)
	v_fma_f64 v[56:57], v[62:63], v[58:59], v[56:57]
	s_waitcnt lgkmcnt(0)
	s_delay_alu instid0(VALU_DEP_1)
	v_fma_f64 v[60:61], v[64:65], v[70:71], v[56:57]
	scratch_load_b128 v[56:59], off, off offset:144
	s_waitcnt vmcnt(4)
	v_fma_f64 v[70:71], v[66:67], v[72:73], v[60:61]
	ds_load_2addr_b64 v[60:63], v1 offset0:35 offset1:36
	ds_load_2addr_b64 v[64:67], v1 offset0:37 offset1:38
	scratch_load_b64 v[72:73], off, off offset:176
	s_waitcnt lgkmcnt(1)
	v_fma_f64 v[60:61], v[68:69], v[60:61], v[70:71]
	scratch_load_b128 v[68:71], off, off offset:160
	s_waitcnt vmcnt(5)
	v_fma_f64 v[60:61], v[78:79], v[62:63], v[60:61]
	s_waitcnt lgkmcnt(0)
	s_delay_alu instid0(VALU_DEP_1) | instskip(SKIP_1) | instid1(VALU_DEP_1)
	v_fma_f64 v[60:61], v[80:81], v[64:65], v[60:61]
	s_waitcnt vmcnt(4)
	v_fma_f64 v[52:53], v[52:53], v[66:67], v[60:61]
	ds_load_2addr_b64 v[60:63], v1 offset0:39 offset1:40
	ds_load_2addr_b64 v[64:67], v1 offset0:41 offset1:42
	s_waitcnt lgkmcnt(1)
	v_fma_f64 v[52:53], v[54:55], v[60:61], v[52:53]
	s_waitcnt vmcnt(3)
	s_delay_alu instid0(VALU_DEP_1) | instskip(SKIP_1) | instid1(VALU_DEP_1)
	v_fma_f64 v[52:53], v[74:75], v[62:63], v[52:53]
	s_waitcnt lgkmcnt(0)
	v_fma_f64 v[52:53], v[76:77], v[64:65], v[52:53]
	s_waitcnt vmcnt(2)
	s_delay_alu instid0(VALU_DEP_1)
	v_fma_f64 v[56:57], v[56:57], v[66:67], v[52:53]
	ds_load_2addr_b64 v[52:55], v1 offset0:43 offset1:44
	ds_load_2addr_b64 v[60:63], v1 offset0:45 offset1:46
	s_waitcnt lgkmcnt(1)
	v_fma_f64 v[1:2], v[58:59], v[52:53], v[56:57]
	s_waitcnt vmcnt(0)
	s_delay_alu instid0(VALU_DEP_1) | instskip(SKIP_1) | instid1(VALU_DEP_1)
	v_fma_f64 v[1:2], v[68:69], v[54:55], v[1:2]
	s_waitcnt lgkmcnt(0)
	v_fma_f64 v[1:2], v[70:71], v[60:61], v[1:2]
	s_delay_alu instid0(VALU_DEP_1) | instskip(NEXT) | instid1(VALU_DEP_1)
	v_fma_f64 v[1:2], v[72:73], v[62:63], v[1:2]
	v_add_f64 v[1:2], v[50:51], -v[1:2]
	scratch_store_b64 off, v[1:2], off offset:16
	v_cmpx_lt_u32_e32 1, v0
	s_cbranch_execz .LBB86_145
; %bb.144:
	scratch_load_b64 v[1:2], off, off offset:8
	v_mov_b32_e32 v50, 0
	s_delay_alu instid0(VALU_DEP_1)
	v_mov_b32_e32 v51, v50
	scratch_store_b64 off, v[50:51], off offset:8
	s_waitcnt vmcnt(0)
	ds_store_b64 v3, v[1:2]
.LBB86_145:
	s_or_b32 exec_lo, exec_lo, s0
	s_waitcnt lgkmcnt(0)
	s_waitcnt_vscnt null, 0x0
	s_barrier
	buffer_gl0_inv
	s_clause 0x4
	scratch_load_b128 v[51:54], off, off offset:8
	scratch_load_b128 v[55:58], off, off offset:24
	;; [unrolled: 1-line block ×5, first 2 shown]
	v_mov_b32_e32 v50, 0
	ds_load_b128 v[71:74], v50 offset:208
	ds_load_b128 v[75:78], v50 offset:224
	scratch_load_b128 v[79:82], off, off offset:88
	s_mov_b32 s0, exec_lo
	s_waitcnt vmcnt(5) lgkmcnt(1)
	v_fma_f64 v[1:2], v[53:54], v[71:72], 0
	s_waitcnt vmcnt(4)
	s_delay_alu instid0(VALU_DEP_1) | instskip(SKIP_4) | instid1(VALU_DEP_1)
	v_fma_f64 v[1:2], v[55:56], v[73:74], v[1:2]
	scratch_load_b128 v[53:56], off, off offset:104
	s_waitcnt lgkmcnt(0)
	v_fma_f64 v[1:2], v[57:58], v[75:76], v[1:2]
	s_waitcnt vmcnt(4)
	v_fma_f64 v[1:2], v[59:60], v[77:78], v[1:2]
	ds_load_b128 v[57:60], v50 offset:240
	ds_load_b128 v[71:74], v50 offset:256
	scratch_load_b128 v[75:78], off, off offset:120
	s_waitcnt lgkmcnt(1)
	v_fma_f64 v[1:2], v[61:62], v[57:58], v[1:2]
	s_waitcnt vmcnt(4)
	s_delay_alu instid0(VALU_DEP_1) | instskip(SKIP_4) | instid1(VALU_DEP_1)
	v_fma_f64 v[1:2], v[63:64], v[59:60], v[1:2]
	scratch_load_b128 v[57:60], off, off offset:136
	s_waitcnt lgkmcnt(0)
	v_fma_f64 v[1:2], v[65:66], v[71:72], v[1:2]
	s_waitcnt vmcnt(4)
	v_fma_f64 v[1:2], v[67:68], v[73:74], v[1:2]
	ds_load_b128 v[61:64], v50 offset:272
	ds_load_b128 v[65:68], v50 offset:288
	s_waitcnt lgkmcnt(1)
	v_fma_f64 v[1:2], v[69:70], v[61:62], v[1:2]
	scratch_load_b128 v[69:72], off, off offset:152
	s_waitcnt vmcnt(4)
	v_fma_f64 v[1:2], v[79:80], v[63:64], v[1:2]
	scratch_load_b128 v[61:64], off, off offset:168
	s_waitcnt lgkmcnt(0)
	v_fma_f64 v[1:2], v[81:82], v[65:66], v[1:2]
	s_waitcnt vmcnt(4)
	s_delay_alu instid0(VALU_DEP_1)
	v_fma_f64 v[1:2], v[53:54], v[67:68], v[1:2]
	ds_load_b128 v[65:68], v50 offset:304
	ds_load_b128 v[79:82], v50 offset:320
	s_waitcnt lgkmcnt(1)
	v_fma_f64 v[1:2], v[55:56], v[65:66], v[1:2]
	s_waitcnt vmcnt(3)
	s_delay_alu instid0(VALU_DEP_1)
	v_fma_f64 v[1:2], v[75:76], v[67:68], v[1:2]
	ds_load_b128 v[53:56], v50 offset:336
	ds_load_b128 v[65:68], v50 offset:352
	s_waitcnt lgkmcnt(2)
	v_fma_f64 v[1:2], v[77:78], v[79:80], v[1:2]
	s_waitcnt vmcnt(2)
	s_delay_alu instid0(VALU_DEP_1) | instskip(SKIP_1) | instid1(VALU_DEP_1)
	v_fma_f64 v[1:2], v[57:58], v[81:82], v[1:2]
	s_waitcnt lgkmcnt(1)
	v_fma_f64 v[1:2], v[59:60], v[53:54], v[1:2]
	ds_load_b64 v[53:54], v50 offset:368
	s_waitcnt vmcnt(1)
	v_fma_f64 v[1:2], v[69:70], v[55:56], v[1:2]
	s_waitcnt lgkmcnt(1)
	s_delay_alu instid0(VALU_DEP_1) | instskip(SKIP_1) | instid1(VALU_DEP_1)
	v_fma_f64 v[1:2], v[71:72], v[65:66], v[1:2]
	s_waitcnt vmcnt(0)
	v_fma_f64 v[1:2], v[61:62], v[67:68], v[1:2]
	s_waitcnt lgkmcnt(0)
	s_delay_alu instid0(VALU_DEP_1) | instskip(NEXT) | instid1(VALU_DEP_1)
	v_fma_f64 v[1:2], v[63:64], v[53:54], v[1:2]
	v_add_f64 v[1:2], v[51:52], -v[1:2]
	scratch_store_b64 off, v[1:2], off offset:8
	v_cmpx_ne_u32_e32 0, v0
	s_cbranch_execz .LBB86_147
; %bb.146:
	scratch_load_b64 v[0:1], off, off
	v_mov_b32_e32 v51, v50
	scratch_store_b64 off, v[50:51], off
	s_waitcnt vmcnt(0)
	ds_store_b64 v3, v[0:1]
.LBB86_147:
	s_or_b32 exec_lo, exec_lo, s0
	s_waitcnt lgkmcnt(0)
	s_waitcnt_vscnt null, 0x0
	s_barrier
	buffer_gl0_inv
	s_clause 0x4
	scratch_load_b128 v[51:54], off, off
	scratch_load_b128 v[0:3], off, off offset:16
	scratch_load_b128 v[55:58], off, off offset:32
	;; [unrolled: 1-line block ×4, first 2 shown]
	ds_load_2addr_b64 v[67:70], v50 offset0:25 offset1:26
	ds_load_2addr_b64 v[71:74], v50 offset0:27 offset1:28
	scratch_load_b128 v[75:78], off, off offset:80
	s_and_b32 vcc_lo, exec_lo, s12
	s_waitcnt vmcnt(5) lgkmcnt(1)
	v_fma_f64 v[53:54], v[53:54], v[67:68], 0
	s_waitcnt vmcnt(4)
	s_delay_alu instid0(VALU_DEP_1) | instskip(SKIP_4) | instid1(VALU_DEP_1)
	v_fma_f64 v[0:1], v[0:1], v[69:70], v[53:54]
	scratch_load_b128 v[67:70], off, off offset:96
	s_waitcnt lgkmcnt(0)
	v_fma_f64 v[0:1], v[2:3], v[71:72], v[0:1]
	s_waitcnt vmcnt(4)
	v_fma_f64 v[71:72], v[55:56], v[73:74], v[0:1]
	ds_load_2addr_b64 v[0:3], v50 offset0:29 offset1:30
	ds_load_2addr_b64 v[53:56], v50 offset0:31 offset1:32
	s_waitcnt lgkmcnt(1)
	v_fma_f64 v[0:1], v[57:58], v[0:1], v[71:72]
	scratch_load_b128 v[71:74], off, off offset:112
	s_waitcnt vmcnt(4)
	v_fma_f64 v[0:1], v[59:60], v[2:3], v[0:1]
	scratch_load_b128 v[57:60], off, off offset:128
	s_waitcnt lgkmcnt(0)
	v_fma_f64 v[0:1], v[61:62], v[53:54], v[0:1]
	s_waitcnt vmcnt(4)
	s_delay_alu instid0(VALU_DEP_1)
	v_fma_f64 v[61:62], v[63:64], v[55:56], v[0:1]
	ds_load_2addr_b64 v[0:3], v50 offset0:33 offset1:34
	ds_load_2addr_b64 v[53:56], v50 offset0:35 offset1:36
	s_waitcnt lgkmcnt(1)
	v_fma_f64 v[0:1], v[65:66], v[0:1], v[61:62]
	scratch_load_b128 v[61:64], off, off offset:144
	s_waitcnt vmcnt(4)
	v_fma_f64 v[0:1], v[75:76], v[2:3], v[0:1]
	s_waitcnt lgkmcnt(0)
	s_delay_alu instid0(VALU_DEP_1)
	v_fma_f64 v[53:54], v[77:78], v[53:54], v[0:1]
	scratch_load_b128 v[0:3], off, off offset:160
	s_waitcnt vmcnt(4)
	v_fma_f64 v[75:76], v[67:68], v[55:56], v[53:54]
	ds_load_2addr_b64 v[53:56], v50 offset0:37 offset1:38
	ds_load_2addr_b64 v[65:68], v50 offset0:39 offset1:40
	s_waitcnt lgkmcnt(1)
	v_fma_f64 v[53:54], v[69:70], v[53:54], v[75:76]
	scratch_load_b64 v[69:70], off, off offset:176
	s_waitcnt vmcnt(4)
	v_fma_f64 v[53:54], v[71:72], v[55:56], v[53:54]
	s_waitcnt lgkmcnt(0)
	s_delay_alu instid0(VALU_DEP_1) | instskip(SKIP_1) | instid1(VALU_DEP_1)
	v_fma_f64 v[53:54], v[73:74], v[65:66], v[53:54]
	s_waitcnt vmcnt(3)
	v_fma_f64 v[57:58], v[57:58], v[67:68], v[53:54]
	ds_load_2addr_b64 v[53:56], v50 offset0:41 offset1:42
	ds_load_2addr_b64 v[65:68], v50 offset0:43 offset1:44
	s_waitcnt lgkmcnt(1)
	v_fma_f64 v[53:54], v[59:60], v[53:54], v[57:58]
	s_waitcnt vmcnt(2)
	s_delay_alu instid0(VALU_DEP_1) | instskip(SKIP_1) | instid1(VALU_DEP_1)
	v_fma_f64 v[53:54], v[61:62], v[55:56], v[53:54]
	s_waitcnt lgkmcnt(0)
	v_fma_f64 v[53:54], v[63:64], v[65:66], v[53:54]
	s_waitcnt vmcnt(1)
	s_delay_alu instid0(VALU_DEP_1) | instskip(SKIP_4) | instid1(VALU_DEP_1)
	v_fma_f64 v[0:1], v[0:1], v[67:68], v[53:54]
	ds_load_2addr_b64 v[53:56], v50 offset0:45 offset1:46
	s_waitcnt lgkmcnt(0)
	v_fma_f64 v[0:1], v[2:3], v[53:54], v[0:1]
	s_waitcnt vmcnt(0)
	v_fma_f64 v[0:1], v[69:70], v[55:56], v[0:1]
	s_delay_alu instid0(VALU_DEP_1)
	v_add_f64 v[0:1], v[51:52], -v[0:1]
	scratch_store_b64 off, v[0:1], off
	s_cbranch_vccz .LBB86_193
; %bb.148:
	v_dual_mov_b32 v0, s2 :: v_dual_mov_b32 v1, s3
	s_mov_b32 s0, exec_lo
	flat_load_b32 v0, v[0:1] offset:84
	s_waitcnt vmcnt(0) lgkmcnt(0)
	v_cmpx_ne_u32_e32 22, v0
	s_cbranch_execz .LBB86_150
; %bb.149:
	v_lshl_add_u32 v50, v0, 3, 0
	scratch_load_b64 v[0:1], v50, off offset:-8
	s_waitcnt vmcnt(0)
	scratch_store_b64 off, v[0:1], off offset:168
	scratch_store_b64 v50, v[2:3], off offset:-8
.LBB86_150:
	s_or_b32 exec_lo, exec_lo, s0
	v_dual_mov_b32 v0, s2 :: v_dual_mov_b32 v1, s3
	s_mov_b32 s0, exec_lo
	flat_load_b32 v0, v[0:1] offset:80
	s_waitcnt vmcnt(0) lgkmcnt(0)
	v_cmpx_ne_u32_e32 21, v0
	s_cbranch_execz .LBB86_152
; %bb.151:
	v_lshl_add_u32 v50, v0, 3, 0
	scratch_load_b64 v[0:1], v50, off offset:-8
	scratch_load_b64 v[2:3], off, off offset:160
	s_waitcnt vmcnt(1)
	scratch_store_b64 off, v[0:1], off offset:160
	s_waitcnt vmcnt(0)
	scratch_store_b64 v50, v[2:3], off offset:-8
.LBB86_152:
	s_or_b32 exec_lo, exec_lo, s0
	v_dual_mov_b32 v0, s2 :: v_dual_mov_b32 v1, s3
	s_mov_b32 s0, exec_lo
	flat_load_b32 v0, v[0:1] offset:76
	s_waitcnt vmcnt(0) lgkmcnt(0)
	v_cmpx_ne_u32_e32 20, v0
	s_cbranch_execz .LBB86_154
; %bb.153:
	v_lshl_add_u32 v50, v0, 3, 0
	scratch_load_b64 v[0:1], v50, off offset:-8
	scratch_load_b64 v[2:3], off, off offset:152
	s_waitcnt vmcnt(1)
	scratch_store_b64 off, v[0:1], off offset:152
	s_waitcnt vmcnt(0)
	scratch_store_b64 v50, v[2:3], off offset:-8
.LBB86_154:
	;; [unrolled: 16-line block ×20, first 2 shown]
	s_or_b32 exec_lo, exec_lo, s0
	v_dual_mov_b32 v0, s2 :: v_dual_mov_b32 v1, s3
	s_mov_b32 s0, exec_lo
	flat_load_b32 v2, v[0:1]
	scratch_load_b64 v[0:1], off, off
	s_waitcnt vmcnt(1) lgkmcnt(0)
	v_cmpx_ne_u32_e32 1, v2
	s_cbranch_execz .LBB86_192
; %bb.191:
	v_lshl_add_u32 v50, v2, 3, 0
	scratch_load_b64 v[2:3], v50, off offset:-8
	s_waitcnt vmcnt(0)
	scratch_store_b64 off, v[2:3], off
	scratch_store_b64 v50, v[0:1], off offset:-8
	scratch_load_b64 v[0:1], off, off
.LBB86_192:
	s_or_b32 exec_lo, exec_lo, s0
.LBB86_193:
	s_clause 0xa
	scratch_load_b128 v[50:53], off, off offset:8
	scratch_load_b128 v[54:57], off, off offset:24
	;; [unrolled: 1-line block ×11, first 2 shown]
	s_waitcnt vmcnt(11)
	global_store_b64 v[4:5], v[0:1], off
	s_waitcnt vmcnt(10)
	s_clause 0x1
	global_store_b64 v[6:7], v[50:51], off
	global_store_b64 v[8:9], v[52:53], off
	s_waitcnt vmcnt(9)
	s_clause 0x1
	global_store_b64 v[10:11], v[54:55], off
	;; [unrolled: 4-line block ×11, first 2 shown]
	global_store_b64 v[42:43], v[92:93], off
	s_endpgm
	.section	.rodata,"a",@progbits
	.p2align	6, 0x0
	.amdhsa_kernel _ZN9rocsolver6v33100L18getri_kernel_smallILi23EdPKPdEEvT1_iilPiilS6_bb
		.amdhsa_group_segment_fixed_size 376
		.amdhsa_private_segment_fixed_size 192
		.amdhsa_kernarg_size 60
		.amdhsa_user_sgpr_count 15
		.amdhsa_user_sgpr_dispatch_ptr 0
		.amdhsa_user_sgpr_queue_ptr 0
		.amdhsa_user_sgpr_kernarg_segment_ptr 1
		.amdhsa_user_sgpr_dispatch_id 0
		.amdhsa_user_sgpr_private_segment_size 0
		.amdhsa_wavefront_size32 1
		.amdhsa_uses_dynamic_stack 0
		.amdhsa_enable_private_segment 1
		.amdhsa_system_sgpr_workgroup_id_x 1
		.amdhsa_system_sgpr_workgroup_id_y 0
		.amdhsa_system_sgpr_workgroup_id_z 0
		.amdhsa_system_sgpr_workgroup_info 0
		.amdhsa_system_vgpr_workitem_id 0
		.amdhsa_next_free_vgpr 94
		.amdhsa_next_free_sgpr 17
		.amdhsa_reserve_vcc 1
		.amdhsa_float_round_mode_32 0
		.amdhsa_float_round_mode_16_64 0
		.amdhsa_float_denorm_mode_32 3
		.amdhsa_float_denorm_mode_16_64 3
		.amdhsa_dx10_clamp 1
		.amdhsa_ieee_mode 1
		.amdhsa_fp16_overflow 0
		.amdhsa_workgroup_processor_mode 1
		.amdhsa_memory_ordered 1
		.amdhsa_forward_progress 0
		.amdhsa_shared_vgpr_count 0
		.amdhsa_exception_fp_ieee_invalid_op 0
		.amdhsa_exception_fp_denorm_src 0
		.amdhsa_exception_fp_ieee_div_zero 0
		.amdhsa_exception_fp_ieee_overflow 0
		.amdhsa_exception_fp_ieee_underflow 0
		.amdhsa_exception_fp_ieee_inexact 0
		.amdhsa_exception_int_div_zero 0
	.end_amdhsa_kernel
	.section	.text._ZN9rocsolver6v33100L18getri_kernel_smallILi23EdPKPdEEvT1_iilPiilS6_bb,"axG",@progbits,_ZN9rocsolver6v33100L18getri_kernel_smallILi23EdPKPdEEvT1_iilPiilS6_bb,comdat
.Lfunc_end86:
	.size	_ZN9rocsolver6v33100L18getri_kernel_smallILi23EdPKPdEEvT1_iilPiilS6_bb, .Lfunc_end86-_ZN9rocsolver6v33100L18getri_kernel_smallILi23EdPKPdEEvT1_iilPiilS6_bb
                                        ; -- End function
	.section	.AMDGPU.csdata,"",@progbits
; Kernel info:
; codeLenInByte = 15772
; NumSgprs: 19
; NumVgprs: 94
; ScratchSize: 192
; MemoryBound: 0
; FloatMode: 240
; IeeeMode: 1
; LDSByteSize: 376 bytes/workgroup (compile time only)
; SGPRBlocks: 2
; VGPRBlocks: 11
; NumSGPRsForWavesPerEU: 19
; NumVGPRsForWavesPerEU: 94
; Occupancy: 16
; WaveLimiterHint : 1
; COMPUTE_PGM_RSRC2:SCRATCH_EN: 1
; COMPUTE_PGM_RSRC2:USER_SGPR: 15
; COMPUTE_PGM_RSRC2:TRAP_HANDLER: 0
; COMPUTE_PGM_RSRC2:TGID_X_EN: 1
; COMPUTE_PGM_RSRC2:TGID_Y_EN: 0
; COMPUTE_PGM_RSRC2:TGID_Z_EN: 0
; COMPUTE_PGM_RSRC2:TIDIG_COMP_CNT: 0
	.section	.text._ZN9rocsolver6v33100L18getri_kernel_smallILi24EdPKPdEEvT1_iilPiilS6_bb,"axG",@progbits,_ZN9rocsolver6v33100L18getri_kernel_smallILi24EdPKPdEEvT1_iilPiilS6_bb,comdat
	.globl	_ZN9rocsolver6v33100L18getri_kernel_smallILi24EdPKPdEEvT1_iilPiilS6_bb ; -- Begin function _ZN9rocsolver6v33100L18getri_kernel_smallILi24EdPKPdEEvT1_iilPiilS6_bb
	.p2align	8
	.type	_ZN9rocsolver6v33100L18getri_kernel_smallILi24EdPKPdEEvT1_iilPiilS6_bb,@function
_ZN9rocsolver6v33100L18getri_kernel_smallILi24EdPKPdEEvT1_iilPiilS6_bb: ; @_ZN9rocsolver6v33100L18getri_kernel_smallILi24EdPKPdEEvT1_iilPiilS6_bb
; %bb.0:
	s_mov_b32 s2, exec_lo
	v_cmpx_gt_u32_e32 24, v0
	s_cbranch_execz .LBB87_106
; %bb.1:
	s_clause 0x1
	s_load_b32 s13, s[0:1], 0x38
	s_load_b64 s[2:3], s[0:1], 0x0
	s_mov_b32 s8, s15
	s_load_b128 s[4:7], s[0:1], 0x28
	s_waitcnt lgkmcnt(0)
	s_bitcmp1_b32 s13, 8
	s_cselect_b32 s12, -1, 0
	s_ashr_i32 s9, s15, 31
	s_delay_alu instid0(SALU_CYCLE_1) | instskip(NEXT) | instid1(SALU_CYCLE_1)
	s_lshl_b64 s[10:11], s[8:9], 3
	s_add_u32 s2, s2, s10
	s_addc_u32 s3, s3, s11
	s_load_b64 s[10:11], s[2:3], 0x0
	s_bfe_u32 s2, s13, 0x10008
	s_delay_alu instid0(SALU_CYCLE_1)
	s_cmp_eq_u32 s2, 0
                                        ; implicit-def: $sgpr2_sgpr3
	s_cbranch_scc1 .LBB87_3
; %bb.2:
	s_clause 0x1
	s_load_b32 s2, s[0:1], 0x20
	s_load_b64 s[14:15], s[0:1], 0x18
	s_mul_i32 s3, s8, s5
	s_mul_hi_u32 s5, s8, s4
	s_mul_i32 s16, s9, s4
	s_add_i32 s3, s5, s3
	s_mul_i32 s4, s8, s4
	s_add_i32 s5, s3, s16
	s_delay_alu instid0(SALU_CYCLE_1)
	s_lshl_b64 s[4:5], s[4:5], 2
	s_waitcnt lgkmcnt(0)
	s_ashr_i32 s3, s2, 31
	s_add_u32 s4, s14, s4
	s_addc_u32 s5, s15, s5
	s_lshl_b64 s[2:3], s[2:3], 2
	s_delay_alu instid0(SALU_CYCLE_1)
	s_add_u32 s2, s4, s2
	s_addc_u32 s3, s5, s3
.LBB87_3:
	s_load_b64 s[0:1], s[0:1], 0x8
	v_lshlrev_b32_e32 v3, 3, v0
	s_waitcnt lgkmcnt(0)
	v_add3_u32 v1, s1, s1, v0
	s_ashr_i32 s5, s0, 31
	s_mov_b32 s4, s0
	s_mov_b32 s14, s1
	s_lshl_b64 s[4:5], s[4:5], 3
	v_add_nc_u32_e32 v12, s1, v1
	v_ashrrev_i32_e32 v2, 31, v1
	s_add_u32 s4, s10, s4
	s_addc_u32 s5, s11, s5
	v_add_co_u32 v10, s0, s4, v3
	v_ashrrev_i32_e32 v13, 31, v12
	s_ashr_i32 s15, s1, 31
	v_add_co_ci_u32_e64 v11, null, s5, 0, s0
	v_lshlrev_b64 v[1:2], 3, v[1:2]
	s_lshl_b64 s[10:11], s[14:15], 3
	v_lshlrev_b64 v[8:9], 3, v[12:13]
	v_add_co_u32 v4, vcc_lo, v10, s10
	v_add_co_ci_u32_e32 v5, vcc_lo, s11, v11, vcc_lo
	s_delay_alu instid0(VALU_DEP_4)
	v_add_co_u32 v6, vcc_lo, s4, v1
	v_add_co_ci_u32_e32 v7, vcc_lo, s5, v2, vcc_lo
	v_add_co_u32 v8, vcc_lo, s4, v8
	v_add_co_ci_u32_e32 v9, vcc_lo, s5, v9, vcc_lo
	s_clause 0x3
	global_load_b64 v[52:53], v3, s[4:5]
	global_load_b64 v[54:55], v[4:5], off
	global_load_b64 v[56:57], v[6:7], off
	global_load_b64 v[58:59], v[8:9], off
	v_add_nc_u32_e32 v1, s1, v12
	s_bitcmp0_b32 s13, 0
	s_delay_alu instid0(VALU_DEP_1) | instskip(SKIP_1) | instid1(VALU_DEP_2)
	v_add_nc_u32_e32 v14, s1, v1
	v_ashrrev_i32_e32 v2, 31, v1
	v_add_nc_u32_e32 v16, s1, v14
	s_delay_alu instid0(VALU_DEP_2) | instskip(SKIP_1) | instid1(VALU_DEP_3)
	v_lshlrev_b64 v[1:2], 3, v[1:2]
	v_ashrrev_i32_e32 v15, 31, v14
	v_add_nc_u32_e32 v18, s1, v16
	v_ashrrev_i32_e32 v17, 31, v16
	s_delay_alu instid0(VALU_DEP_4) | instskip(SKIP_1) | instid1(VALU_DEP_4)
	v_add_co_u32 v12, vcc_lo, s4, v1
	v_add_co_ci_u32_e32 v13, vcc_lo, s5, v2, vcc_lo
	v_add_nc_u32_e32 v20, s1, v18
	v_lshlrev_b64 v[1:2], 3, v[14:15]
	v_ashrrev_i32_e32 v19, 31, v18
	v_lshlrev_b64 v[16:17], 3, v[16:17]
	global_load_b64 v[60:61], v[12:13], off
	v_add_nc_u32_e32 v22, s1, v20
	v_ashrrev_i32_e32 v21, 31, v20
	v_add_co_u32 v14, vcc_lo, s4, v1
	v_add_co_ci_u32_e32 v15, vcc_lo, s5, v2, vcc_lo
	s_delay_alu instid0(VALU_DEP_4) | instskip(SKIP_3) | instid1(VALU_DEP_4)
	v_add_nc_u32_e32 v24, s1, v22
	v_lshlrev_b64 v[1:2], 3, v[18:19]
	v_add_co_u32 v16, vcc_lo, s4, v16
	v_ashrrev_i32_e32 v23, 31, v22
	v_add_nc_u32_e32 v26, s1, v24
	v_add_co_ci_u32_e32 v17, vcc_lo, s5, v17, vcc_lo
	v_lshlrev_b64 v[20:21], 3, v[20:21]
	v_add_co_u32 v18, vcc_lo, s4, v1
	s_delay_alu instid0(VALU_DEP_4) | instskip(SKIP_3) | instid1(VALU_DEP_4)
	v_add_nc_u32_e32 v28, s1, v26
	v_add_co_ci_u32_e32 v19, vcc_lo, s5, v2, vcc_lo
	v_lshlrev_b64 v[1:2], 3, v[22:23]
	v_ashrrev_i32_e32 v25, 31, v24
	v_add_nc_u32_e32 v30, s1, v28
	v_add_co_u32 v20, vcc_lo, s4, v20
	v_ashrrev_i32_e32 v27, 31, v26
	v_add_co_ci_u32_e32 v21, vcc_lo, s5, v21, vcc_lo
	s_delay_alu instid0(VALU_DEP_4) | instskip(SKIP_3) | instid1(VALU_DEP_4)
	v_add_nc_u32_e32 v32, s1, v30
	v_lshlrev_b64 v[24:25], 3, v[24:25]
	v_add_co_u32 v22, vcc_lo, s4, v1
	v_add_co_ci_u32_e32 v23, vcc_lo, s5, v2, vcc_lo
	v_add_nc_u32_e32 v34, s1, v32
	v_lshlrev_b64 v[1:2], 3, v[26:27]
	v_ashrrev_i32_e32 v29, 31, v28
	v_add_co_u32 v24, vcc_lo, s4, v24
	s_delay_alu instid0(VALU_DEP_4) | instskip(SKIP_3) | instid1(VALU_DEP_4)
	v_add_nc_u32_e32 v36, s1, v34
	v_ashrrev_i32_e32 v31, 31, v30
	v_add_co_ci_u32_e32 v25, vcc_lo, s5, v25, vcc_lo
	v_lshlrev_b64 v[28:29], 3, v[28:29]
	v_add_nc_u32_e32 v38, s1, v36
	v_add_co_u32 v26, vcc_lo, s4, v1
	v_add_co_ci_u32_e32 v27, vcc_lo, s5, v2, vcc_lo
	v_lshlrev_b64 v[1:2], 3, v[30:31]
	v_ashrrev_i32_e32 v33, 31, v32
	v_add_nc_u32_e32 v40, s1, v38
	v_add_co_u32 v28, vcc_lo, s4, v28
	v_ashrrev_i32_e32 v35, 31, v34
	v_add_co_ci_u32_e32 v29, vcc_lo, s5, v29, vcc_lo
	v_lshlrev_b64 v[32:33], 3, v[32:33]
	v_add_nc_u32_e32 v42, s1, v40
	v_add_co_u32 v30, vcc_lo, s4, v1
	v_add_co_ci_u32_e32 v31, vcc_lo, s5, v2, vcc_lo
	v_lshlrev_b64 v[1:2], 3, v[34:35]
	v_ashrrev_i32_e32 v37, 31, v36
	v_add_nc_u32_e32 v44, s1, v42
	v_add_co_u32 v32, vcc_lo, s4, v32
	v_ashrrev_i32_e32 v39, 31, v38
	v_add_co_ci_u32_e32 v33, vcc_lo, s5, v33, vcc_lo
	v_lshlrev_b64 v[36:37], 3, v[36:37]
	v_add_co_u32 v34, vcc_lo, s4, v1
	v_add_nc_u32_e32 v46, s1, v44
	v_add_co_ci_u32_e32 v35, vcc_lo, s5, v2, vcc_lo
	v_lshlrev_b64 v[1:2], 3, v[38:39]
	v_ashrrev_i32_e32 v41, 31, v40
	v_add_co_u32 v36, vcc_lo, s4, v36
	v_ashrrev_i32_e32 v43, 31, v42
	v_add_nc_u32_e32 v48, s1, v46
	v_add_co_ci_u32_e32 v37, vcc_lo, s5, v37, vcc_lo
	v_lshlrev_b64 v[40:41], 3, v[40:41]
	v_add_co_u32 v38, vcc_lo, s4, v1
	v_add_co_ci_u32_e32 v39, vcc_lo, s5, v2, vcc_lo
	v_lshlrev_b64 v[1:2], 3, v[42:43]
	v_ashrrev_i32_e32 v45, 31, v44
	v_add_nc_u32_e32 v50, s1, v48
	v_add_co_u32 v40, vcc_lo, s4, v40
	v_ashrrev_i32_e32 v47, 31, v46
	v_add_co_ci_u32_e32 v41, vcc_lo, s5, v41, vcc_lo
	v_lshlrev_b64 v[44:45], 3, v[44:45]
	v_add_co_u32 v42, vcc_lo, s4, v1
	v_ashrrev_i32_e32 v49, 31, v48
	v_ashrrev_i32_e32 v51, 31, v50
	v_add_co_ci_u32_e32 v43, vcc_lo, s5, v2, vcc_lo
	v_lshlrev_b64 v[1:2], 3, v[46:47]
	v_add_co_u32 v44, vcc_lo, s4, v44
	v_lshlrev_b64 v[86:87], 3, v[48:49]
	v_lshlrev_b64 v[48:49], 3, v[50:51]
	v_add_co_ci_u32_e32 v45, vcc_lo, s5, v45, vcc_lo
	v_add_co_u32 v46, vcc_lo, s4, v1
	v_add_co_ci_u32_e32 v47, vcc_lo, s5, v2, vcc_lo
	s_delay_alu instid0(VALU_DEP_4)
	v_add_co_u32 v48, vcc_lo, s4, v48
	v_add_co_ci_u32_e32 v49, vcc_lo, s5, v49, vcc_lo
	v_add_co_u32 v50, vcc_lo, s4, v86
	v_add_co_ci_u32_e32 v51, vcc_lo, s5, v87, vcc_lo
	s_clause 0xc
	global_load_b64 v[62:63], v[14:15], off
	global_load_b64 v[64:65], v[16:17], off
	global_load_b64 v[66:67], v[18:19], off
	global_load_b64 v[68:69], v[20:21], off
	global_load_b64 v[70:71], v[22:23], off
	global_load_b64 v[72:73], v[24:25], off
	global_load_b64 v[74:75], v[26:27], off
	global_load_b64 v[76:77], v[28:29], off
	global_load_b64 v[78:79], v[30:31], off
	global_load_b64 v[80:81], v[32:33], off
	global_load_b64 v[82:83], v[34:35], off
	global_load_b64 v[84:85], v[36:37], off
	global_load_b64 v[90:91], v[48:49], off
	s_mov_b32 s1, -1
	s_waitcnt vmcnt(16)
	scratch_store_b128 off, v[52:55], off
	s_clause 0x2
	global_load_b64 v[86:87], v[38:39], off
	global_load_b64 v[52:53], v[40:41], off
	;; [unrolled: 1-line block ×3, first 2 shown]
	s_waitcnt vmcnt(17)
	scratch_store_b128 off, v[56:59], off offset:16
	s_clause 0x2
	global_load_b64 v[56:57], v[44:45], off
	global_load_b64 v[58:59], v[46:47], off
	;; [unrolled: 1-line block ×3, first 2 shown]
	s_waitcnt vmcnt(18)
	scratch_store_b128 off, v[60:63], off offset:32
	s_waitcnt vmcnt(16)
	scratch_store_b128 off, v[64:67], off offset:48
	;; [unrolled: 2-line block ×10, first 2 shown]
	s_cbranch_scc1 .LBB87_104
; %bb.4:
	v_cmp_eq_u32_e64 s0, 0, v0
	s_delay_alu instid0(VALU_DEP_1)
	s_and_saveexec_b32 s1, s0
	s_cbranch_execz .LBB87_6
; %bb.5:
	v_mov_b32_e32 v1, 0
	ds_store_b32 v1, v1 offset:384
.LBB87_6:
	s_or_b32 exec_lo, exec_lo, s1
	s_waitcnt lgkmcnt(0)
	s_waitcnt_vscnt null, 0x0
	s_barrier
	buffer_gl0_inv
	scratch_load_b64 v[1:2], v3, off
	s_mov_b32 s4, exec_lo
	s_waitcnt vmcnt(0)
	v_cmpx_eq_f64_e32 0, v[1:2]
	s_cbranch_execz .LBB87_10
; %bb.7:
	v_mov_b32_e32 v1, 0
	s_mov_b32 s5, 0
	ds_load_b32 v2, v1 offset:384
	s_waitcnt lgkmcnt(0)
	v_readfirstlane_b32 s1, v2
	v_add_nc_u32_e32 v2, 1, v0
	s_delay_alu instid0(VALU_DEP_2) | instskip(NEXT) | instid1(VALU_DEP_1)
	s_cmp_eq_u32 s1, 0
	v_cmp_gt_i32_e32 vcc_lo, s1, v2
	s_cselect_b32 s10, -1, 0
	s_delay_alu instid0(SALU_CYCLE_1) | instskip(NEXT) | instid1(SALU_CYCLE_1)
	s_or_b32 s10, s10, vcc_lo
	s_and_b32 exec_lo, exec_lo, s10
	s_cbranch_execz .LBB87_10
; %bb.8:
	v_mov_b32_e32 v52, s1
.LBB87_9:                               ; =>This Inner Loop Header: Depth=1
	ds_cmpstore_rtn_b32 v52, v1, v2, v52 offset:384
	s_waitcnt lgkmcnt(0)
	v_cmp_ne_u32_e32 vcc_lo, 0, v52
	v_cmp_le_i32_e64 s1, v52, v2
	s_delay_alu instid0(VALU_DEP_1) | instskip(NEXT) | instid1(SALU_CYCLE_1)
	s_and_b32 s1, vcc_lo, s1
	s_and_b32 s1, exec_lo, s1
	s_delay_alu instid0(SALU_CYCLE_1) | instskip(NEXT) | instid1(SALU_CYCLE_1)
	s_or_b32 s5, s1, s5
	s_and_not1_b32 exec_lo, exec_lo, s5
	s_cbranch_execnz .LBB87_9
.LBB87_10:
	s_or_b32 exec_lo, exec_lo, s4
	v_mov_b32_e32 v1, 0
	s_barrier
	buffer_gl0_inv
	ds_load_b32 v2, v1 offset:384
	s_and_saveexec_b32 s1, s0
	s_cbranch_execz .LBB87_12
; %bb.11:
	s_lshl_b64 s[4:5], s[8:9], 2
	s_delay_alu instid0(SALU_CYCLE_1)
	s_add_u32 s4, s6, s4
	s_addc_u32 s5, s7, s5
	s_waitcnt lgkmcnt(0)
	global_store_b32 v1, v2, s[4:5]
.LBB87_12:
	s_or_b32 exec_lo, exec_lo, s1
	s_waitcnt lgkmcnt(0)
	v_cmp_ne_u32_e32 vcc_lo, 0, v2
	s_mov_b32 s1, 0
	s_cbranch_vccnz .LBB87_104
; %bb.13:
	v_add_nc_u32_e32 v52, 0, v3
	scratch_load_b64 v[1:2], v52, off
	s_waitcnt vmcnt(0)
	v_div_scale_f64 v[53:54], null, v[1:2], v[1:2], 1.0
	v_div_scale_f64 v[59:60], vcc_lo, 1.0, v[1:2], 1.0
	s_delay_alu instid0(VALU_DEP_2) | instskip(SKIP_2) | instid1(VALU_DEP_1)
	v_rcp_f64_e32 v[55:56], v[53:54]
	s_waitcnt_depctr 0xfff
	v_fma_f64 v[57:58], -v[53:54], v[55:56], 1.0
	v_fma_f64 v[55:56], v[55:56], v[57:58], v[55:56]
	s_delay_alu instid0(VALU_DEP_1) | instskip(NEXT) | instid1(VALU_DEP_1)
	v_fma_f64 v[57:58], -v[53:54], v[55:56], 1.0
	v_fma_f64 v[55:56], v[55:56], v[57:58], v[55:56]
	s_delay_alu instid0(VALU_DEP_1) | instskip(NEXT) | instid1(VALU_DEP_1)
	v_mul_f64 v[57:58], v[59:60], v[55:56]
	v_fma_f64 v[53:54], -v[53:54], v[57:58], v[59:60]
	s_delay_alu instid0(VALU_DEP_1) | instskip(NEXT) | instid1(VALU_DEP_1)
	v_div_fmas_f64 v[53:54], v[53:54], v[55:56], v[57:58]
	v_div_fixup_f64 v[1:2], v[53:54], v[1:2], 1.0
	v_add_nc_u32_e32 v53, 0xc0, v3
	scratch_store_b64 v52, v[1:2], off
	scratch_load_b64 v[54:55], off, off offset:8
	v_xor_b32_e32 v2, 0x80000000, v2
	s_waitcnt vmcnt(0)
	ds_store_2addr_b64 v3, v[1:2], v[54:55] offset1:24
	s_waitcnt lgkmcnt(0)
	s_waitcnt_vscnt null, 0x0
	s_barrier
	buffer_gl0_inv
	s_and_saveexec_b32 s1, s0
	s_cbranch_execz .LBB87_15
; %bb.14:
	scratch_load_b64 v[1:2], v52, off
	ds_load_b64 v[54:55], v53
	s_waitcnt vmcnt(0) lgkmcnt(0)
	v_fma_f64 v[1:2], v[1:2], v[54:55], 0
	v_mov_b32_e32 v54, 0
	ds_load_b64 v[54:55], v54 offset:8
	s_waitcnt lgkmcnt(0)
	v_mul_f64 v[1:2], v[1:2], v[54:55]
	scratch_store_b64 off, v[1:2], off offset:8
.LBB87_15:
	s_or_b32 exec_lo, exec_lo, s1
	s_waitcnt_vscnt null, 0x0
	s_barrier
	buffer_gl0_inv
	scratch_load_b64 v[1:2], off, off offset:16
	s_mov_b32 s1, exec_lo
	s_waitcnt vmcnt(0)
	ds_store_b64 v53, v[1:2]
	s_waitcnt lgkmcnt(0)
	s_barrier
	buffer_gl0_inv
	v_cmpx_gt_u32_e32 2, v0
	s_cbranch_execz .LBB87_19
; %bb.16:
	scratch_load_b64 v[1:2], v52, off
	ds_load_b64 v[54:55], v53
	s_waitcnt vmcnt(0) lgkmcnt(0)
	v_fma_f64 v[1:2], v[1:2], v[54:55], 0
	s_and_saveexec_b32 s4, s0
	s_cbranch_execz .LBB87_18
; %bb.17:
	scratch_load_b64 v[54:55], off, off offset:8
	v_mov_b32_e32 v56, 0
	ds_load_b64 v[56:57], v56 offset:200
	s_waitcnt vmcnt(0) lgkmcnt(0)
	v_fma_f64 v[1:2], v[54:55], v[56:57], v[1:2]
.LBB87_18:
	s_or_b32 exec_lo, exec_lo, s4
	v_mov_b32_e32 v54, 0
	ds_load_b64 v[54:55], v54 offset:16
	s_waitcnt lgkmcnt(0)
	v_mul_f64 v[1:2], v[1:2], v[54:55]
	scratch_store_b64 off, v[1:2], off offset:16
.LBB87_19:
	s_or_b32 exec_lo, exec_lo, s1
	s_waitcnt_vscnt null, 0x0
	s_barrier
	buffer_gl0_inv
	scratch_load_b64 v[1:2], off, off offset:24
	v_add_nc_u32_e32 v54, -1, v0
	s_mov_b32 s0, exec_lo
	s_waitcnt vmcnt(0)
	ds_store_b64 v53, v[1:2]
	s_waitcnt lgkmcnt(0)
	s_barrier
	buffer_gl0_inv
	v_cmpx_gt_u32_e32 3, v0
	s_cbranch_execz .LBB87_23
; %bb.20:
	v_dual_mov_b32 v1, 0 :: v_dual_add_nc_u32 v56, 0xc0, v3
	v_dual_mov_b32 v2, 0 :: v_dual_add_nc_u32 v55, -1, v0
	v_add_nc_u32_e32 v57, 0, v3
	s_mov_b32 s1, 0
.LBB87_21:                              ; =>This Inner Loop Header: Depth=1
	scratch_load_b64 v[58:59], v57, off
	ds_load_b64 v[60:61], v56
	v_add_nc_u32_e32 v55, 1, v55
	v_add_nc_u32_e32 v56, 8, v56
	v_add_nc_u32_e32 v57, 8, v57
	s_delay_alu instid0(VALU_DEP_3)
	v_cmp_lt_u32_e32 vcc_lo, 1, v55
	s_or_b32 s1, vcc_lo, s1
	s_waitcnt vmcnt(0) lgkmcnt(0)
	v_fma_f64 v[1:2], v[58:59], v[60:61], v[1:2]
	s_and_not1_b32 exec_lo, exec_lo, s1
	s_cbranch_execnz .LBB87_21
; %bb.22:
	s_or_b32 exec_lo, exec_lo, s1
	v_mov_b32_e32 v55, 0
	ds_load_b64 v[55:56], v55 offset:24
	s_waitcnt lgkmcnt(0)
	v_mul_f64 v[1:2], v[1:2], v[55:56]
	scratch_store_b64 off, v[1:2], off offset:24
.LBB87_23:
	s_or_b32 exec_lo, exec_lo, s0
	s_waitcnt_vscnt null, 0x0
	s_barrier
	buffer_gl0_inv
	scratch_load_b64 v[1:2], off, off offset:32
	s_mov_b32 s0, exec_lo
	s_waitcnt vmcnt(0)
	ds_store_b64 v53, v[1:2]
	s_waitcnt lgkmcnt(0)
	s_barrier
	buffer_gl0_inv
	v_cmpx_gt_u32_e32 4, v0
	s_cbranch_execz .LBB87_27
; %bb.24:
	v_dual_mov_b32 v1, 0 :: v_dual_add_nc_u32 v56, 0xc0, v3
	v_dual_mov_b32 v2, 0 :: v_dual_add_nc_u32 v55, -1, v0
	v_add_nc_u32_e32 v57, 0, v3
	s_mov_b32 s1, 0
.LBB87_25:                              ; =>This Inner Loop Header: Depth=1
	scratch_load_b64 v[58:59], v57, off
	ds_load_b64 v[60:61], v56
	v_add_nc_u32_e32 v55, 1, v55
	v_add_nc_u32_e32 v56, 8, v56
	v_add_nc_u32_e32 v57, 8, v57
	s_delay_alu instid0(VALU_DEP_3)
	v_cmp_lt_u32_e32 vcc_lo, 2, v55
	s_or_b32 s1, vcc_lo, s1
	s_waitcnt vmcnt(0) lgkmcnt(0)
	v_fma_f64 v[1:2], v[58:59], v[60:61], v[1:2]
	s_and_not1_b32 exec_lo, exec_lo, s1
	s_cbranch_execnz .LBB87_25
; %bb.26:
	s_or_b32 exec_lo, exec_lo, s1
	v_mov_b32_e32 v55, 0
	ds_load_b64 v[55:56], v55 offset:32
	s_waitcnt lgkmcnt(0)
	v_mul_f64 v[1:2], v[1:2], v[55:56]
	scratch_store_b64 off, v[1:2], off offset:32
.LBB87_27:
	s_or_b32 exec_lo, exec_lo, s0
	s_waitcnt_vscnt null, 0x0
	s_barrier
	buffer_gl0_inv
	scratch_load_b64 v[1:2], off, off offset:40
	;; [unrolled: 39-line block ×20, first 2 shown]
	s_mov_b32 s0, exec_lo
	s_waitcnt vmcnt(0)
	ds_store_b64 v53, v[1:2]
	s_waitcnt lgkmcnt(0)
	s_barrier
	buffer_gl0_inv
	v_cmpx_ne_u32_e32 23, v0
	s_cbranch_execz .LBB87_103
; %bb.100:
	v_mov_b32_e32 v1, 0
	v_mov_b32_e32 v2, 0
	s_mov_b32 s1, 0
.LBB87_101:                             ; =>This Inner Loop Header: Depth=1
	scratch_load_b64 v[55:56], v52, off
	ds_load_b64 v[57:58], v53
	v_add_nc_u32_e32 v54, 1, v54
	v_add_nc_u32_e32 v53, 8, v53
	;; [unrolled: 1-line block ×3, first 2 shown]
	s_delay_alu instid0(VALU_DEP_3)
	v_cmp_lt_u32_e32 vcc_lo, 21, v54
	s_or_b32 s1, vcc_lo, s1
	s_waitcnt vmcnt(0) lgkmcnt(0)
	v_fma_f64 v[1:2], v[55:56], v[57:58], v[1:2]
	s_and_not1_b32 exec_lo, exec_lo, s1
	s_cbranch_execnz .LBB87_101
; %bb.102:
	s_or_b32 exec_lo, exec_lo, s1
	v_mov_b32_e32 v3, 0
	ds_load_b64 v[52:53], v3 offset:184
	s_waitcnt lgkmcnt(0)
	v_mul_f64 v[1:2], v[1:2], v[52:53]
	scratch_store_b64 off, v[1:2], off offset:184
.LBB87_103:
	s_or_b32 exec_lo, exec_lo, s0
	s_mov_b32 s1, -1
	s_waitcnt_vscnt null, 0x0
	s_barrier
	buffer_gl0_inv
.LBB87_104:
	s_and_b32 vcc_lo, exec_lo, s1
	s_cbranch_vccz .LBB87_106
; %bb.105:
	s_lshl_b64 s[0:1], s[8:9], 2
	v_mov_b32_e32 v1, 0
	s_add_u32 s0, s6, s0
	s_addc_u32 s1, s7, s1
	global_load_b32 v1, v1, s[0:1]
	s_waitcnt vmcnt(0)
	v_cmp_ne_u32_e32 vcc_lo, 0, v1
	s_cbranch_vccz .LBB87_107
.LBB87_106:
	s_endpgm
.LBB87_107:
	v_lshl_add_u32 v3, v0, 3, 0xc0
	s_mov_b32 s0, exec_lo
	v_cmpx_eq_u32_e32 23, v0
	s_cbranch_execz .LBB87_109
; %bb.108:
	scratch_load_b64 v[1:2], off, off offset:176
	v_mov_b32_e32 v52, 0
	s_delay_alu instid0(VALU_DEP_1)
	v_mov_b32_e32 v53, v52
	scratch_store_b64 off, v[52:53], off offset:176
	s_waitcnt vmcnt(0)
	ds_store_b64 v3, v[1:2]
.LBB87_109:
	s_or_b32 exec_lo, exec_lo, s0
	s_waitcnt lgkmcnt(0)
	s_waitcnt_vscnt null, 0x0
	s_barrier
	buffer_gl0_inv
	scratch_load_b128 v[52:55], off, off offset:176
	v_mov_b32_e32 v1, 0
	s_mov_b32 s0, exec_lo
	ds_load_b64 v[56:57], v1 offset:376
	s_waitcnt vmcnt(0) lgkmcnt(0)
	v_fma_f64 v[54:55], v[54:55], v[56:57], 0
	s_delay_alu instid0(VALU_DEP_1)
	v_add_f64 v[52:53], v[52:53], -v[54:55]
	scratch_store_b64 off, v[52:53], off offset:176
	v_cmpx_lt_u32_e32 21, v0
	s_cbranch_execz .LBB87_111
; %bb.110:
	scratch_load_b64 v[52:53], off, off offset:168
	v_mov_b32_e32 v2, v1
	scratch_store_b64 off, v[1:2], off offset:168
	s_waitcnt vmcnt(0)
	ds_store_b64 v3, v[52:53]
.LBB87_111:
	s_or_b32 exec_lo, exec_lo, s0
	s_waitcnt lgkmcnt(0)
	s_waitcnt_vscnt null, 0x0
	s_barrier
	buffer_gl0_inv
	s_clause 0x1
	scratch_load_b128 v[52:55], off, off offset:168
	scratch_load_b64 v[60:61], off, off offset:184
	ds_load_b128 v[56:59], v1 offset:368
	s_mov_b32 s0, exec_lo
	s_waitcnt vmcnt(1) lgkmcnt(0)
	v_fma_f64 v[1:2], v[54:55], v[56:57], 0
	s_waitcnt vmcnt(0)
	s_delay_alu instid0(VALU_DEP_1) | instskip(NEXT) | instid1(VALU_DEP_1)
	v_fma_f64 v[1:2], v[60:61], v[58:59], v[1:2]
	v_add_f64 v[1:2], v[52:53], -v[1:2]
	scratch_store_b64 off, v[1:2], off offset:168
	v_cmpx_lt_u32_e32 20, v0
	s_cbranch_execz .LBB87_113
; %bb.112:
	scratch_load_b64 v[1:2], off, off offset:160
	v_mov_b32_e32 v52, 0
	s_delay_alu instid0(VALU_DEP_1)
	v_mov_b32_e32 v53, v52
	scratch_store_b64 off, v[52:53], off offset:160
	s_waitcnt vmcnt(0)
	ds_store_b64 v3, v[1:2]
.LBB87_113:
	s_or_b32 exec_lo, exec_lo, s0
	s_waitcnt lgkmcnt(0)
	s_waitcnt_vscnt null, 0x0
	s_barrier
	buffer_gl0_inv
	s_clause 0x1
	scratch_load_b128 v[52:55], off, off offset:160
	scratch_load_b128 v[56:59], off, off offset:176
	v_mov_b32_e32 v1, 0
	ds_load_2addr_b64 v[60:63], v1 offset0:45 offset1:46
	ds_load_b64 v[64:65], v1 offset:376
	s_mov_b32 s0, exec_lo
	s_waitcnt vmcnt(1) lgkmcnt(1)
	v_fma_f64 v[54:55], v[54:55], v[60:61], 0
	s_waitcnt vmcnt(0)
	s_delay_alu instid0(VALU_DEP_1) | instskip(SKIP_1) | instid1(VALU_DEP_1)
	v_fma_f64 v[54:55], v[56:57], v[62:63], v[54:55]
	s_waitcnt lgkmcnt(0)
	v_fma_f64 v[54:55], v[58:59], v[64:65], v[54:55]
	s_delay_alu instid0(VALU_DEP_1)
	v_add_f64 v[52:53], v[52:53], -v[54:55]
	scratch_store_b64 off, v[52:53], off offset:160
	v_cmpx_lt_u32_e32 19, v0
	s_cbranch_execz .LBB87_115
; %bb.114:
	scratch_load_b64 v[52:53], off, off offset:152
	v_mov_b32_e32 v2, v1
	scratch_store_b64 off, v[1:2], off offset:152
	s_waitcnt vmcnt(0)
	ds_store_b64 v3, v[52:53]
.LBB87_115:
	s_or_b32 exec_lo, exec_lo, s0
	s_waitcnt lgkmcnt(0)
	s_waitcnt_vscnt null, 0x0
	s_barrier
	buffer_gl0_inv
	s_clause 0x2
	scratch_load_b128 v[52:55], off, off offset:152
	scratch_load_b128 v[56:59], off, off offset:168
	scratch_load_b64 v[68:69], off, off offset:184
	ds_load_b128 v[60:63], v1 offset:352
	ds_load_b128 v[64:67], v1 offset:368
	s_mov_b32 s0, exec_lo
	s_waitcnt vmcnt(2) lgkmcnt(1)
	v_fma_f64 v[1:2], v[54:55], v[60:61], 0
	s_waitcnt vmcnt(1)
	s_delay_alu instid0(VALU_DEP_1) | instskip(SKIP_1) | instid1(VALU_DEP_1)
	v_fma_f64 v[1:2], v[56:57], v[62:63], v[1:2]
	s_waitcnt lgkmcnt(0)
	v_fma_f64 v[1:2], v[58:59], v[64:65], v[1:2]
	s_waitcnt vmcnt(0)
	s_delay_alu instid0(VALU_DEP_1) | instskip(NEXT) | instid1(VALU_DEP_1)
	v_fma_f64 v[1:2], v[68:69], v[66:67], v[1:2]
	v_add_f64 v[1:2], v[52:53], -v[1:2]
	scratch_store_b64 off, v[1:2], off offset:152
	v_cmpx_lt_u32_e32 18, v0
	s_cbranch_execz .LBB87_117
; %bb.116:
	scratch_load_b64 v[1:2], off, off offset:144
	v_mov_b32_e32 v52, 0
	s_delay_alu instid0(VALU_DEP_1)
	v_mov_b32_e32 v53, v52
	scratch_store_b64 off, v[52:53], off offset:144
	s_waitcnt vmcnt(0)
	ds_store_b64 v3, v[1:2]
.LBB87_117:
	s_or_b32 exec_lo, exec_lo, s0
	s_waitcnt lgkmcnt(0)
	s_waitcnt_vscnt null, 0x0
	s_barrier
	buffer_gl0_inv
	s_clause 0x2
	scratch_load_b128 v[52:55], off, off offset:144
	scratch_load_b128 v[56:59], off, off offset:160
	;; [unrolled: 1-line block ×3, first 2 shown]
	v_mov_b32_e32 v1, 0
	ds_load_2addr_b64 v[64:67], v1 offset0:43 offset1:44
	ds_load_2addr_b64 v[68:71], v1 offset0:45 offset1:46
	s_mov_b32 s0, exec_lo
	s_waitcnt vmcnt(2) lgkmcnt(1)
	v_fma_f64 v[54:55], v[54:55], v[64:65], 0
	s_waitcnt vmcnt(1)
	s_delay_alu instid0(VALU_DEP_1) | instskip(SKIP_4) | instid1(VALU_DEP_1)
	v_fma_f64 v[54:55], v[56:57], v[66:67], v[54:55]
	ds_load_b64 v[56:57], v1 offset:376
	s_waitcnt lgkmcnt(1)
	v_fma_f64 v[54:55], v[58:59], v[68:69], v[54:55]
	s_waitcnt vmcnt(0)
	v_fma_f64 v[54:55], v[60:61], v[70:71], v[54:55]
	s_waitcnt lgkmcnt(0)
	s_delay_alu instid0(VALU_DEP_1) | instskip(NEXT) | instid1(VALU_DEP_1)
	v_fma_f64 v[54:55], v[62:63], v[56:57], v[54:55]
	v_add_f64 v[52:53], v[52:53], -v[54:55]
	scratch_store_b64 off, v[52:53], off offset:144
	v_cmpx_lt_u32_e32 17, v0
	s_cbranch_execz .LBB87_119
; %bb.118:
	scratch_load_b64 v[52:53], off, off offset:136
	v_mov_b32_e32 v2, v1
	scratch_store_b64 off, v[1:2], off offset:136
	s_waitcnt vmcnt(0)
	ds_store_b64 v3, v[52:53]
.LBB87_119:
	s_or_b32 exec_lo, exec_lo, s0
	s_waitcnt lgkmcnt(0)
	s_waitcnt_vscnt null, 0x0
	s_barrier
	buffer_gl0_inv
	s_clause 0x3
	scratch_load_b128 v[52:55], off, off offset:136
	scratch_load_b128 v[56:59], off, off offset:152
	;; [unrolled: 1-line block ×3, first 2 shown]
	scratch_load_b64 v[72:73], off, off offset:184
	ds_load_b128 v[64:67], v1 offset:336
	ds_load_b128 v[68:71], v1 offset:352
	s_mov_b32 s0, exec_lo
	s_waitcnt vmcnt(3) lgkmcnt(1)
	v_fma_f64 v[54:55], v[54:55], v[64:65], 0
	s_waitcnt vmcnt(2)
	s_delay_alu instid0(VALU_DEP_1) | instskip(SKIP_1) | instid1(VALU_DEP_1)
	v_fma_f64 v[54:55], v[56:57], v[66:67], v[54:55]
	s_waitcnt lgkmcnt(0)
	v_fma_f64 v[54:55], v[58:59], v[68:69], v[54:55]
	s_waitcnt vmcnt(1)
	s_delay_alu instid0(VALU_DEP_1) | instskip(SKIP_4) | instid1(VALU_DEP_1)
	v_fma_f64 v[58:59], v[60:61], v[70:71], v[54:55]
	ds_load_b128 v[54:57], v1 offset:368
	s_waitcnt lgkmcnt(0)
	v_fma_f64 v[1:2], v[62:63], v[54:55], v[58:59]
	s_waitcnt vmcnt(0)
	v_fma_f64 v[1:2], v[72:73], v[56:57], v[1:2]
	s_delay_alu instid0(VALU_DEP_1)
	v_add_f64 v[1:2], v[52:53], -v[1:2]
	scratch_store_b64 off, v[1:2], off offset:136
	v_cmpx_lt_u32_e32 16, v0
	s_cbranch_execz .LBB87_121
; %bb.120:
	scratch_load_b64 v[1:2], off, off offset:128
	v_mov_b32_e32 v52, 0
	s_delay_alu instid0(VALU_DEP_1)
	v_mov_b32_e32 v53, v52
	scratch_store_b64 off, v[52:53], off offset:128
	s_waitcnt vmcnt(0)
	ds_store_b64 v3, v[1:2]
.LBB87_121:
	s_or_b32 exec_lo, exec_lo, s0
	s_waitcnt lgkmcnt(0)
	s_waitcnt_vscnt null, 0x0
	s_barrier
	buffer_gl0_inv
	s_clause 0x3
	scratch_load_b128 v[52:55], off, off offset:128
	scratch_load_b128 v[56:59], off, off offset:144
	;; [unrolled: 1-line block ×4, first 2 shown]
	v_mov_b32_e32 v1, 0
	ds_load_2addr_b64 v[68:71], v1 offset0:41 offset1:42
	ds_load_2addr_b64 v[72:75], v1 offset0:43 offset1:44
	s_mov_b32 s0, exec_lo
	s_waitcnt vmcnt(3) lgkmcnt(1)
	v_fma_f64 v[54:55], v[54:55], v[68:69], 0
	s_waitcnt vmcnt(2)
	s_delay_alu instid0(VALU_DEP_1) | instskip(SKIP_1) | instid1(VALU_DEP_1)
	v_fma_f64 v[54:55], v[56:57], v[70:71], v[54:55]
	s_waitcnt lgkmcnt(0)
	v_fma_f64 v[54:55], v[58:59], v[72:73], v[54:55]
	s_waitcnt vmcnt(1)
	s_delay_alu instid0(VALU_DEP_1)
	v_fma_f64 v[58:59], v[60:61], v[74:75], v[54:55]
	ds_load_2addr_b64 v[54:57], v1 offset0:45 offset1:46
	ds_load_b64 v[60:61], v1 offset:376
	s_waitcnt lgkmcnt(1)
	v_fma_f64 v[54:55], v[62:63], v[54:55], v[58:59]
	s_waitcnt vmcnt(0)
	s_delay_alu instid0(VALU_DEP_1) | instskip(SKIP_1) | instid1(VALU_DEP_1)
	v_fma_f64 v[54:55], v[64:65], v[56:57], v[54:55]
	s_waitcnt lgkmcnt(0)
	v_fma_f64 v[54:55], v[66:67], v[60:61], v[54:55]
	s_delay_alu instid0(VALU_DEP_1)
	v_add_f64 v[52:53], v[52:53], -v[54:55]
	scratch_store_b64 off, v[52:53], off offset:128
	v_cmpx_lt_u32_e32 15, v0
	s_cbranch_execz .LBB87_123
; %bb.122:
	scratch_load_b64 v[52:53], off, off offset:120
	v_mov_b32_e32 v2, v1
	scratch_store_b64 off, v[1:2], off offset:120
	s_waitcnt vmcnt(0)
	ds_store_b64 v3, v[52:53]
.LBB87_123:
	s_or_b32 exec_lo, exec_lo, s0
	s_waitcnt lgkmcnt(0)
	s_waitcnt_vscnt null, 0x0
	s_barrier
	buffer_gl0_inv
	s_clause 0x4
	scratch_load_b128 v[52:55], off, off offset:120
	scratch_load_b128 v[56:59], off, off offset:136
	;; [unrolled: 1-line block ×4, first 2 shown]
	scratch_load_b64 v[76:77], off, off offset:184
	ds_load_b128 v[68:71], v1 offset:320
	ds_load_b128 v[72:75], v1 offset:336
	s_mov_b32 s0, exec_lo
	s_waitcnt vmcnt(4) lgkmcnt(1)
	v_fma_f64 v[54:55], v[54:55], v[68:69], 0
	s_waitcnt vmcnt(3)
	s_delay_alu instid0(VALU_DEP_1) | instskip(SKIP_1) | instid1(VALU_DEP_1)
	v_fma_f64 v[54:55], v[56:57], v[70:71], v[54:55]
	s_waitcnt lgkmcnt(0)
	v_fma_f64 v[54:55], v[58:59], v[72:73], v[54:55]
	s_waitcnt vmcnt(2)
	s_delay_alu instid0(VALU_DEP_1)
	v_fma_f64 v[68:69], v[60:61], v[74:75], v[54:55]
	ds_load_b128 v[54:57], v1 offset:352
	ds_load_b128 v[58:61], v1 offset:368
	s_waitcnt lgkmcnt(1)
	v_fma_f64 v[1:2], v[62:63], v[54:55], v[68:69]
	s_waitcnt vmcnt(1)
	s_delay_alu instid0(VALU_DEP_1) | instskip(SKIP_1) | instid1(VALU_DEP_1)
	v_fma_f64 v[1:2], v[64:65], v[56:57], v[1:2]
	s_waitcnt lgkmcnt(0)
	v_fma_f64 v[1:2], v[66:67], v[58:59], v[1:2]
	s_waitcnt vmcnt(0)
	s_delay_alu instid0(VALU_DEP_1) | instskip(NEXT) | instid1(VALU_DEP_1)
	v_fma_f64 v[1:2], v[76:77], v[60:61], v[1:2]
	v_add_f64 v[1:2], v[52:53], -v[1:2]
	scratch_store_b64 off, v[1:2], off offset:120
	v_cmpx_lt_u32_e32 14, v0
	s_cbranch_execz .LBB87_125
; %bb.124:
	scratch_load_b64 v[1:2], off, off offset:112
	v_mov_b32_e32 v52, 0
	s_delay_alu instid0(VALU_DEP_1)
	v_mov_b32_e32 v53, v52
	scratch_store_b64 off, v[52:53], off offset:112
	s_waitcnt vmcnt(0)
	ds_store_b64 v3, v[1:2]
.LBB87_125:
	s_or_b32 exec_lo, exec_lo, s0
	s_waitcnt lgkmcnt(0)
	s_waitcnt_vscnt null, 0x0
	s_barrier
	buffer_gl0_inv
	s_clause 0x4
	scratch_load_b128 v[52:55], off, off offset:112
	scratch_load_b128 v[56:59], off, off offset:128
	;; [unrolled: 1-line block ×5, first 2 shown]
	v_mov_b32_e32 v1, 0
	ds_load_2addr_b64 v[72:75], v1 offset0:39 offset1:40
	ds_load_2addr_b64 v[76:79], v1 offset0:41 offset1:42
	s_mov_b32 s0, exec_lo
	s_waitcnt vmcnt(4) lgkmcnt(1)
	v_fma_f64 v[54:55], v[54:55], v[72:73], 0
	s_waitcnt vmcnt(3)
	s_delay_alu instid0(VALU_DEP_1) | instskip(SKIP_1) | instid1(VALU_DEP_1)
	v_fma_f64 v[54:55], v[56:57], v[74:75], v[54:55]
	s_waitcnt lgkmcnt(0)
	v_fma_f64 v[54:55], v[58:59], v[76:77], v[54:55]
	s_waitcnt vmcnt(2)
	s_delay_alu instid0(VALU_DEP_1)
	v_fma_f64 v[72:73], v[60:61], v[78:79], v[54:55]
	ds_load_2addr_b64 v[54:57], v1 offset0:43 offset1:44
	ds_load_2addr_b64 v[58:61], v1 offset0:45 offset1:46
	s_waitcnt lgkmcnt(1)
	v_fma_f64 v[54:55], v[62:63], v[54:55], v[72:73]
	s_waitcnt vmcnt(1)
	s_delay_alu instid0(VALU_DEP_1) | instskip(SKIP_4) | instid1(VALU_DEP_1)
	v_fma_f64 v[54:55], v[64:65], v[56:57], v[54:55]
	ds_load_b64 v[56:57], v1 offset:376
	s_waitcnt lgkmcnt(1)
	v_fma_f64 v[54:55], v[66:67], v[58:59], v[54:55]
	s_waitcnt vmcnt(0)
	v_fma_f64 v[54:55], v[68:69], v[60:61], v[54:55]
	s_waitcnt lgkmcnt(0)
	s_delay_alu instid0(VALU_DEP_1) | instskip(NEXT) | instid1(VALU_DEP_1)
	v_fma_f64 v[54:55], v[70:71], v[56:57], v[54:55]
	v_add_f64 v[52:53], v[52:53], -v[54:55]
	scratch_store_b64 off, v[52:53], off offset:112
	v_cmpx_lt_u32_e32 13, v0
	s_cbranch_execz .LBB87_127
; %bb.126:
	scratch_load_b64 v[52:53], off, off offset:104
	v_mov_b32_e32 v2, v1
	scratch_store_b64 off, v[1:2], off offset:104
	s_waitcnt vmcnt(0)
	ds_store_b64 v3, v[52:53]
.LBB87_127:
	s_or_b32 exec_lo, exec_lo, s0
	s_waitcnt lgkmcnt(0)
	s_waitcnt_vscnt null, 0x0
	s_barrier
	buffer_gl0_inv
	s_clause 0x4
	scratch_load_b128 v[52:55], off, off offset:104
	scratch_load_b128 v[56:59], off, off offset:120
	;; [unrolled: 1-line block ×5, first 2 shown]
	ds_load_b128 v[72:75], v1 offset:304
	ds_load_b128 v[76:79], v1 offset:320
	s_mov_b32 s0, exec_lo
	s_waitcnt vmcnt(4) lgkmcnt(1)
	v_fma_f64 v[54:55], v[54:55], v[72:73], 0
	scratch_load_b64 v[72:73], off, off offset:184
	s_waitcnt vmcnt(4)
	v_fma_f64 v[54:55], v[56:57], v[74:75], v[54:55]
	s_waitcnt lgkmcnt(0)
	s_delay_alu instid0(VALU_DEP_1) | instskip(SKIP_1) | instid1(VALU_DEP_1)
	v_fma_f64 v[54:55], v[58:59], v[76:77], v[54:55]
	s_waitcnt vmcnt(3)
	v_fma_f64 v[74:75], v[60:61], v[78:79], v[54:55]
	ds_load_b128 v[54:57], v1 offset:336
	ds_load_b128 v[58:61], v1 offset:352
	s_waitcnt lgkmcnt(1)
	v_fma_f64 v[54:55], v[62:63], v[54:55], v[74:75]
	s_waitcnt vmcnt(2)
	s_delay_alu instid0(VALU_DEP_1) | instskip(SKIP_1) | instid1(VALU_DEP_1)
	v_fma_f64 v[54:55], v[64:65], v[56:57], v[54:55]
	s_waitcnt lgkmcnt(0)
	v_fma_f64 v[54:55], v[66:67], v[58:59], v[54:55]
	s_waitcnt vmcnt(1)
	s_delay_alu instid0(VALU_DEP_1) | instskip(SKIP_4) | instid1(VALU_DEP_1)
	v_fma_f64 v[58:59], v[68:69], v[60:61], v[54:55]
	ds_load_b128 v[54:57], v1 offset:368
	s_waitcnt lgkmcnt(0)
	v_fma_f64 v[1:2], v[70:71], v[54:55], v[58:59]
	s_waitcnt vmcnt(0)
	v_fma_f64 v[1:2], v[72:73], v[56:57], v[1:2]
	s_delay_alu instid0(VALU_DEP_1)
	v_add_f64 v[1:2], v[52:53], -v[1:2]
	scratch_store_b64 off, v[1:2], off offset:104
	v_cmpx_lt_u32_e32 12, v0
	s_cbranch_execz .LBB87_129
; %bb.128:
	scratch_load_b64 v[1:2], off, off offset:96
	v_mov_b32_e32 v52, 0
	s_delay_alu instid0(VALU_DEP_1)
	v_mov_b32_e32 v53, v52
	scratch_store_b64 off, v[52:53], off offset:96
	s_waitcnt vmcnt(0)
	ds_store_b64 v3, v[1:2]
.LBB87_129:
	s_or_b32 exec_lo, exec_lo, s0
	s_waitcnt lgkmcnt(0)
	s_waitcnt_vscnt null, 0x0
	s_barrier
	buffer_gl0_inv
	s_clause 0x4
	scratch_load_b128 v[52:55], off, off offset:96
	scratch_load_b128 v[56:59], off, off offset:112
	;; [unrolled: 1-line block ×5, first 2 shown]
	v_mov_b32_e32 v1, 0
	ds_load_2addr_b64 v[72:75], v1 offset0:37 offset1:38
	ds_load_2addr_b64 v[76:79], v1 offset0:39 offset1:40
	scratch_load_b128 v[80:83], off, off offset:176
	s_mov_b32 s0, exec_lo
	s_waitcnt vmcnt(5) lgkmcnt(1)
	v_fma_f64 v[54:55], v[54:55], v[72:73], 0
	s_waitcnt vmcnt(4)
	s_delay_alu instid0(VALU_DEP_1) | instskip(SKIP_1) | instid1(VALU_DEP_1)
	v_fma_f64 v[54:55], v[56:57], v[74:75], v[54:55]
	s_waitcnt lgkmcnt(0)
	v_fma_f64 v[54:55], v[58:59], v[76:77], v[54:55]
	s_waitcnt vmcnt(3)
	s_delay_alu instid0(VALU_DEP_1)
	v_fma_f64 v[72:73], v[60:61], v[78:79], v[54:55]
	ds_load_2addr_b64 v[54:57], v1 offset0:41 offset1:42
	ds_load_2addr_b64 v[58:61], v1 offset0:43 offset1:44
	s_waitcnt lgkmcnt(1)
	v_fma_f64 v[54:55], v[62:63], v[54:55], v[72:73]
	s_waitcnt vmcnt(2)
	s_delay_alu instid0(VALU_DEP_1) | instskip(SKIP_1) | instid1(VALU_DEP_1)
	v_fma_f64 v[54:55], v[64:65], v[56:57], v[54:55]
	s_waitcnt lgkmcnt(0)
	v_fma_f64 v[54:55], v[66:67], v[58:59], v[54:55]
	s_waitcnt vmcnt(1)
	s_delay_alu instid0(VALU_DEP_1)
	v_fma_f64 v[58:59], v[68:69], v[60:61], v[54:55]
	ds_load_2addr_b64 v[54:57], v1 offset0:45 offset1:46
	ds_load_b64 v[60:61], v1 offset:376
	s_waitcnt lgkmcnt(1)
	v_fma_f64 v[54:55], v[70:71], v[54:55], v[58:59]
	s_waitcnt vmcnt(0)
	s_delay_alu instid0(VALU_DEP_1) | instskip(SKIP_1) | instid1(VALU_DEP_1)
	v_fma_f64 v[54:55], v[80:81], v[56:57], v[54:55]
	s_waitcnt lgkmcnt(0)
	v_fma_f64 v[54:55], v[82:83], v[60:61], v[54:55]
	s_delay_alu instid0(VALU_DEP_1)
	v_add_f64 v[52:53], v[52:53], -v[54:55]
	scratch_store_b64 off, v[52:53], off offset:96
	v_cmpx_lt_u32_e32 11, v0
	s_cbranch_execz .LBB87_131
; %bb.130:
	scratch_load_b64 v[52:53], off, off offset:88
	v_mov_b32_e32 v2, v1
	scratch_store_b64 off, v[1:2], off offset:88
	s_waitcnt vmcnt(0)
	ds_store_b64 v3, v[52:53]
.LBB87_131:
	s_or_b32 exec_lo, exec_lo, s0
	s_waitcnt lgkmcnt(0)
	s_waitcnt_vscnt null, 0x0
	s_barrier
	buffer_gl0_inv
	s_clause 0x4
	scratch_load_b128 v[52:55], off, off offset:88
	scratch_load_b128 v[56:59], off, off offset:104
	;; [unrolled: 1-line block ×5, first 2 shown]
	ds_load_b128 v[72:75], v1 offset:288
	ds_load_b128 v[76:79], v1 offset:304
	scratch_load_b128 v[80:83], off, off offset:168
	s_mov_b32 s0, exec_lo
	s_waitcnt vmcnt(5) lgkmcnt(1)
	v_fma_f64 v[54:55], v[54:55], v[72:73], 0
	scratch_load_b64 v[72:73], off, off offset:184
	s_waitcnt vmcnt(5)
	v_fma_f64 v[54:55], v[56:57], v[74:75], v[54:55]
	s_waitcnt lgkmcnt(0)
	s_delay_alu instid0(VALU_DEP_1) | instskip(SKIP_1) | instid1(VALU_DEP_1)
	v_fma_f64 v[54:55], v[58:59], v[76:77], v[54:55]
	s_waitcnt vmcnt(4)
	v_fma_f64 v[74:75], v[60:61], v[78:79], v[54:55]
	ds_load_b128 v[54:57], v1 offset:320
	ds_load_b128 v[58:61], v1 offset:336
	s_waitcnt lgkmcnt(1)
	v_fma_f64 v[54:55], v[62:63], v[54:55], v[74:75]
	s_waitcnt vmcnt(3)
	s_delay_alu instid0(VALU_DEP_1) | instskip(SKIP_1) | instid1(VALU_DEP_1)
	v_fma_f64 v[54:55], v[64:65], v[56:57], v[54:55]
	s_waitcnt lgkmcnt(0)
	v_fma_f64 v[54:55], v[66:67], v[58:59], v[54:55]
	s_waitcnt vmcnt(2)
	s_delay_alu instid0(VALU_DEP_1)
	v_fma_f64 v[62:63], v[68:69], v[60:61], v[54:55]
	ds_load_b128 v[54:57], v1 offset:352
	ds_load_b128 v[58:61], v1 offset:368
	s_waitcnt lgkmcnt(1)
	v_fma_f64 v[1:2], v[70:71], v[54:55], v[62:63]
	s_waitcnt vmcnt(1)
	s_delay_alu instid0(VALU_DEP_1) | instskip(SKIP_1) | instid1(VALU_DEP_1)
	v_fma_f64 v[1:2], v[80:81], v[56:57], v[1:2]
	s_waitcnt lgkmcnt(0)
	v_fma_f64 v[1:2], v[82:83], v[58:59], v[1:2]
	s_waitcnt vmcnt(0)
	s_delay_alu instid0(VALU_DEP_1) | instskip(NEXT) | instid1(VALU_DEP_1)
	v_fma_f64 v[1:2], v[72:73], v[60:61], v[1:2]
	v_add_f64 v[1:2], v[52:53], -v[1:2]
	scratch_store_b64 off, v[1:2], off offset:88
	v_cmpx_lt_u32_e32 10, v0
	s_cbranch_execz .LBB87_133
; %bb.132:
	scratch_load_b64 v[1:2], off, off offset:80
	v_mov_b32_e32 v52, 0
	s_delay_alu instid0(VALU_DEP_1)
	v_mov_b32_e32 v53, v52
	scratch_store_b64 off, v[52:53], off offset:80
	s_waitcnt vmcnt(0)
	ds_store_b64 v3, v[1:2]
.LBB87_133:
	s_or_b32 exec_lo, exec_lo, s0
	s_waitcnt lgkmcnt(0)
	s_waitcnt_vscnt null, 0x0
	s_barrier
	buffer_gl0_inv
	s_clause 0x4
	scratch_load_b128 v[52:55], off, off offset:80
	scratch_load_b128 v[56:59], off, off offset:96
	;; [unrolled: 1-line block ×5, first 2 shown]
	v_mov_b32_e32 v1, 0
	ds_load_2addr_b64 v[72:75], v1 offset0:35 offset1:36
	ds_load_2addr_b64 v[76:79], v1 offset0:37 offset1:38
	scratch_load_b128 v[80:83], off, off offset:160
	s_mov_b32 s0, exec_lo
	s_waitcnt vmcnt(5) lgkmcnt(1)
	v_fma_f64 v[54:55], v[54:55], v[72:73], 0
	s_waitcnt vmcnt(4)
	s_delay_alu instid0(VALU_DEP_1) | instskip(SKIP_1) | instid1(VALU_DEP_1)
	v_fma_f64 v[54:55], v[56:57], v[74:75], v[54:55]
	s_waitcnt lgkmcnt(0)
	v_fma_f64 v[58:59], v[58:59], v[76:77], v[54:55]
	scratch_load_b128 v[54:57], off, off offset:176
	s_waitcnt vmcnt(4)
	v_fma_f64 v[76:77], v[60:61], v[78:79], v[58:59]
	ds_load_2addr_b64 v[58:61], v1 offset0:39 offset1:40
	ds_load_2addr_b64 v[72:75], v1 offset0:41 offset1:42
	s_waitcnt lgkmcnt(1)
	v_fma_f64 v[58:59], v[62:63], v[58:59], v[76:77]
	s_waitcnt vmcnt(3)
	s_delay_alu instid0(VALU_DEP_1) | instskip(SKIP_1) | instid1(VALU_DEP_1)
	v_fma_f64 v[58:59], v[64:65], v[60:61], v[58:59]
	s_waitcnt lgkmcnt(0)
	v_fma_f64 v[58:59], v[66:67], v[72:73], v[58:59]
	s_waitcnt vmcnt(2)
	s_delay_alu instid0(VALU_DEP_1)
	v_fma_f64 v[66:67], v[68:69], v[74:75], v[58:59]
	ds_load_2addr_b64 v[58:61], v1 offset0:43 offset1:44
	ds_load_2addr_b64 v[62:65], v1 offset0:45 offset1:46
	s_waitcnt lgkmcnt(1)
	v_fma_f64 v[58:59], v[70:71], v[58:59], v[66:67]
	s_waitcnt vmcnt(1)
	s_delay_alu instid0(VALU_DEP_1) | instskip(SKIP_1) | instid1(VALU_DEP_1)
	v_fma_f64 v[58:59], v[80:81], v[60:61], v[58:59]
	s_waitcnt lgkmcnt(0)
	v_fma_f64 v[58:59], v[82:83], v[62:63], v[58:59]
	s_waitcnt vmcnt(0)
	s_delay_alu instid0(VALU_DEP_1) | instskip(SKIP_3) | instid1(VALU_DEP_1)
	v_fma_f64 v[54:55], v[54:55], v[64:65], v[58:59]
	ds_load_b64 v[58:59], v1 offset:376
	s_waitcnt lgkmcnt(0)
	v_fma_f64 v[54:55], v[56:57], v[58:59], v[54:55]
	v_add_f64 v[52:53], v[52:53], -v[54:55]
	scratch_store_b64 off, v[52:53], off offset:80
	v_cmpx_lt_u32_e32 9, v0
	s_cbranch_execz .LBB87_135
; %bb.134:
	scratch_load_b64 v[52:53], off, off offset:72
	v_mov_b32_e32 v2, v1
	scratch_store_b64 off, v[1:2], off offset:72
	s_waitcnt vmcnt(0)
	ds_store_b64 v3, v[52:53]
.LBB87_135:
	s_or_b32 exec_lo, exec_lo, s0
	s_waitcnt lgkmcnt(0)
	s_waitcnt_vscnt null, 0x0
	s_barrier
	buffer_gl0_inv
	s_clause 0x4
	scratch_load_b128 v[52:55], off, off offset:72
	scratch_load_b128 v[56:59], off, off offset:88
	;; [unrolled: 1-line block ×5, first 2 shown]
	ds_load_b128 v[72:75], v1 offset:272
	ds_load_b128 v[76:79], v1 offset:288
	scratch_load_b128 v[80:83], off, off offset:152
	s_mov_b32 s0, exec_lo
	s_waitcnt vmcnt(5) lgkmcnt(1)
	v_fma_f64 v[54:55], v[54:55], v[72:73], 0
	s_waitcnt vmcnt(4)
	s_delay_alu instid0(VALU_DEP_1) | instskip(SKIP_1) | instid1(VALU_DEP_1)
	v_fma_f64 v[54:55], v[56:57], v[74:75], v[54:55]
	s_waitcnt lgkmcnt(0)
	v_fma_f64 v[58:59], v[58:59], v[76:77], v[54:55]
	scratch_load_b128 v[54:57], off, off offset:168
	s_waitcnt vmcnt(4)
	v_fma_f64 v[76:77], v[60:61], v[78:79], v[58:59]
	ds_load_b128 v[58:61], v1 offset:304
	ds_load_b128 v[72:75], v1 offset:320
	s_waitcnt lgkmcnt(1)
	v_fma_f64 v[58:59], v[62:63], v[58:59], v[76:77]
	scratch_load_b64 v[76:77], off, off offset:184
	s_waitcnt vmcnt(4)
	v_fma_f64 v[58:59], v[64:65], v[60:61], v[58:59]
	s_waitcnt lgkmcnt(0)
	s_delay_alu instid0(VALU_DEP_1) | instskip(SKIP_1) | instid1(VALU_DEP_1)
	v_fma_f64 v[58:59], v[66:67], v[72:73], v[58:59]
	s_waitcnt vmcnt(3)
	v_fma_f64 v[66:67], v[68:69], v[74:75], v[58:59]
	ds_load_b128 v[58:61], v1 offset:336
	ds_load_b128 v[62:65], v1 offset:352
	s_waitcnt lgkmcnt(1)
	v_fma_f64 v[58:59], v[70:71], v[58:59], v[66:67]
	s_waitcnt vmcnt(2)
	s_delay_alu instid0(VALU_DEP_1) | instskip(SKIP_1) | instid1(VALU_DEP_1)
	v_fma_f64 v[58:59], v[80:81], v[60:61], v[58:59]
	s_waitcnt lgkmcnt(0)
	v_fma_f64 v[58:59], v[82:83], v[62:63], v[58:59]
	s_waitcnt vmcnt(1)
	s_delay_alu instid0(VALU_DEP_1) | instskip(SKIP_4) | instid1(VALU_DEP_1)
	v_fma_f64 v[54:55], v[54:55], v[64:65], v[58:59]
	ds_load_b128 v[58:61], v1 offset:368
	s_waitcnt lgkmcnt(0)
	v_fma_f64 v[1:2], v[56:57], v[58:59], v[54:55]
	s_waitcnt vmcnt(0)
	v_fma_f64 v[1:2], v[76:77], v[60:61], v[1:2]
	s_delay_alu instid0(VALU_DEP_1)
	v_add_f64 v[1:2], v[52:53], -v[1:2]
	scratch_store_b64 off, v[1:2], off offset:72
	v_cmpx_lt_u32_e32 8, v0
	s_cbranch_execz .LBB87_137
; %bb.136:
	scratch_load_b64 v[1:2], off, off offset:64
	v_mov_b32_e32 v52, 0
	s_delay_alu instid0(VALU_DEP_1)
	v_mov_b32_e32 v53, v52
	scratch_store_b64 off, v[52:53], off offset:64
	s_waitcnt vmcnt(0)
	ds_store_b64 v3, v[1:2]
.LBB87_137:
	s_or_b32 exec_lo, exec_lo, s0
	s_waitcnt lgkmcnt(0)
	s_waitcnt_vscnt null, 0x0
	s_barrier
	buffer_gl0_inv
	s_clause 0x4
	scratch_load_b128 v[52:55], off, off offset:64
	scratch_load_b128 v[56:59], off, off offset:80
	;; [unrolled: 1-line block ×5, first 2 shown]
	v_mov_b32_e32 v1, 0
	ds_load_2addr_b64 v[72:75], v1 offset0:33 offset1:34
	ds_load_2addr_b64 v[76:79], v1 offset0:35 offset1:36
	scratch_load_b128 v[80:83], off, off offset:144
	s_mov_b32 s0, exec_lo
	s_waitcnt vmcnt(5) lgkmcnt(1)
	v_fma_f64 v[54:55], v[54:55], v[72:73], 0
	s_waitcnt vmcnt(4)
	s_delay_alu instid0(VALU_DEP_1) | instskip(SKIP_1) | instid1(VALU_DEP_1)
	v_fma_f64 v[54:55], v[56:57], v[74:75], v[54:55]
	s_waitcnt lgkmcnt(0)
	v_fma_f64 v[58:59], v[58:59], v[76:77], v[54:55]
	scratch_load_b128 v[54:57], off, off offset:160
	s_waitcnt vmcnt(4)
	v_fma_f64 v[76:77], v[60:61], v[78:79], v[58:59]
	ds_load_2addr_b64 v[58:61], v1 offset0:37 offset1:38
	ds_load_2addr_b64 v[72:75], v1 offset0:39 offset1:40
	s_waitcnt lgkmcnt(1)
	v_fma_f64 v[58:59], v[62:63], v[58:59], v[76:77]
	scratch_load_b128 v[76:79], off, off offset:176
	s_waitcnt vmcnt(4)
	v_fma_f64 v[58:59], v[64:65], v[60:61], v[58:59]
	s_waitcnt lgkmcnt(0)
	s_delay_alu instid0(VALU_DEP_1) | instskip(SKIP_1) | instid1(VALU_DEP_1)
	v_fma_f64 v[58:59], v[66:67], v[72:73], v[58:59]
	s_waitcnt vmcnt(3)
	v_fma_f64 v[66:67], v[68:69], v[74:75], v[58:59]
	ds_load_2addr_b64 v[58:61], v1 offset0:41 offset1:42
	ds_load_2addr_b64 v[62:65], v1 offset0:43 offset1:44
	s_waitcnt lgkmcnt(1)
	v_fma_f64 v[58:59], v[70:71], v[58:59], v[66:67]
	s_waitcnt vmcnt(2)
	s_delay_alu instid0(VALU_DEP_1) | instskip(SKIP_1) | instid1(VALU_DEP_1)
	v_fma_f64 v[58:59], v[80:81], v[60:61], v[58:59]
	s_waitcnt lgkmcnt(0)
	v_fma_f64 v[58:59], v[82:83], v[62:63], v[58:59]
	s_waitcnt vmcnt(1)
	s_delay_alu instid0(VALU_DEP_1)
	v_fma_f64 v[54:55], v[54:55], v[64:65], v[58:59]
	ds_load_2addr_b64 v[58:61], v1 offset0:45 offset1:46
	ds_load_b64 v[62:63], v1 offset:376
	s_waitcnt lgkmcnt(1)
	v_fma_f64 v[54:55], v[56:57], v[58:59], v[54:55]
	s_waitcnt vmcnt(0)
	s_delay_alu instid0(VALU_DEP_1) | instskip(SKIP_1) | instid1(VALU_DEP_1)
	v_fma_f64 v[54:55], v[76:77], v[60:61], v[54:55]
	s_waitcnt lgkmcnt(0)
	v_fma_f64 v[54:55], v[78:79], v[62:63], v[54:55]
	s_delay_alu instid0(VALU_DEP_1)
	v_add_f64 v[52:53], v[52:53], -v[54:55]
	scratch_store_b64 off, v[52:53], off offset:64
	v_cmpx_lt_u32_e32 7, v0
	s_cbranch_execz .LBB87_139
; %bb.138:
	scratch_load_b64 v[52:53], off, off offset:56
	v_mov_b32_e32 v2, v1
	scratch_store_b64 off, v[1:2], off offset:56
	s_waitcnt vmcnt(0)
	ds_store_b64 v3, v[52:53]
.LBB87_139:
	s_or_b32 exec_lo, exec_lo, s0
	s_waitcnt lgkmcnt(0)
	s_waitcnt_vscnt null, 0x0
	s_barrier
	buffer_gl0_inv
	s_clause 0x4
	scratch_load_b128 v[52:55], off, off offset:56
	scratch_load_b128 v[56:59], off, off offset:72
	;; [unrolled: 1-line block ×5, first 2 shown]
	ds_load_b128 v[72:75], v1 offset:256
	ds_load_b128 v[76:79], v1 offset:272
	scratch_load_b128 v[80:83], off, off offset:136
	s_mov_b32 s0, exec_lo
	s_waitcnt vmcnt(5) lgkmcnt(1)
	v_fma_f64 v[54:55], v[54:55], v[72:73], 0
	s_waitcnt vmcnt(4)
	s_delay_alu instid0(VALU_DEP_1) | instskip(SKIP_1) | instid1(VALU_DEP_1)
	v_fma_f64 v[54:55], v[56:57], v[74:75], v[54:55]
	s_waitcnt lgkmcnt(0)
	v_fma_f64 v[58:59], v[58:59], v[76:77], v[54:55]
	scratch_load_b128 v[54:57], off, off offset:152
	s_waitcnt vmcnt(4)
	v_fma_f64 v[76:77], v[60:61], v[78:79], v[58:59]
	ds_load_b128 v[58:61], v1 offset:288
	ds_load_b128 v[72:75], v1 offset:304
	s_waitcnt lgkmcnt(1)
	v_fma_f64 v[58:59], v[62:63], v[58:59], v[76:77]
	scratch_load_b128 v[76:79], off, off offset:168
	s_waitcnt vmcnt(4)
	v_fma_f64 v[58:59], v[64:65], v[60:61], v[58:59]
	s_waitcnt lgkmcnt(0)
	s_delay_alu instid0(VALU_DEP_1)
	v_fma_f64 v[58:59], v[66:67], v[72:73], v[58:59]
	scratch_load_b64 v[66:67], off, off offset:184
	s_waitcnt vmcnt(4)
	v_fma_f64 v[68:69], v[68:69], v[74:75], v[58:59]
	ds_load_b128 v[58:61], v1 offset:320
	ds_load_b128 v[62:65], v1 offset:336
	s_waitcnt lgkmcnt(1)
	v_fma_f64 v[58:59], v[70:71], v[58:59], v[68:69]
	s_waitcnt vmcnt(3)
	s_delay_alu instid0(VALU_DEP_1) | instskip(SKIP_1) | instid1(VALU_DEP_1)
	v_fma_f64 v[58:59], v[80:81], v[60:61], v[58:59]
	s_waitcnt lgkmcnt(0)
	v_fma_f64 v[58:59], v[82:83], v[62:63], v[58:59]
	s_waitcnt vmcnt(2)
	s_delay_alu instid0(VALU_DEP_1)
	v_fma_f64 v[54:55], v[54:55], v[64:65], v[58:59]
	ds_load_b128 v[58:61], v1 offset:352
	ds_load_b128 v[62:65], v1 offset:368
	s_waitcnt lgkmcnt(1)
	v_fma_f64 v[1:2], v[56:57], v[58:59], v[54:55]
	s_waitcnt vmcnt(1)
	s_delay_alu instid0(VALU_DEP_1) | instskip(SKIP_1) | instid1(VALU_DEP_1)
	v_fma_f64 v[1:2], v[76:77], v[60:61], v[1:2]
	s_waitcnt lgkmcnt(0)
	v_fma_f64 v[1:2], v[78:79], v[62:63], v[1:2]
	s_waitcnt vmcnt(0)
	s_delay_alu instid0(VALU_DEP_1) | instskip(NEXT) | instid1(VALU_DEP_1)
	v_fma_f64 v[1:2], v[66:67], v[64:65], v[1:2]
	v_add_f64 v[1:2], v[52:53], -v[1:2]
	scratch_store_b64 off, v[1:2], off offset:56
	v_cmpx_lt_u32_e32 6, v0
	s_cbranch_execz .LBB87_141
; %bb.140:
	scratch_load_b64 v[1:2], off, off offset:48
	v_mov_b32_e32 v52, 0
	s_delay_alu instid0(VALU_DEP_1)
	v_mov_b32_e32 v53, v52
	scratch_store_b64 off, v[52:53], off offset:48
	s_waitcnt vmcnt(0)
	ds_store_b64 v3, v[1:2]
.LBB87_141:
	s_or_b32 exec_lo, exec_lo, s0
	s_waitcnt lgkmcnt(0)
	s_waitcnt_vscnt null, 0x0
	s_barrier
	buffer_gl0_inv
	s_clause 0x4
	scratch_load_b128 v[52:55], off, off offset:48
	scratch_load_b128 v[56:59], off, off offset:64
	;; [unrolled: 1-line block ×5, first 2 shown]
	v_mov_b32_e32 v1, 0
	ds_load_2addr_b64 v[72:75], v1 offset0:31 offset1:32
	ds_load_2addr_b64 v[76:79], v1 offset0:33 offset1:34
	scratch_load_b128 v[80:83], off, off offset:128
	s_mov_b32 s0, exec_lo
	s_waitcnt vmcnt(5) lgkmcnt(1)
	v_fma_f64 v[54:55], v[54:55], v[72:73], 0
	s_waitcnt vmcnt(4)
	s_delay_alu instid0(VALU_DEP_1) | instskip(SKIP_1) | instid1(VALU_DEP_1)
	v_fma_f64 v[54:55], v[56:57], v[74:75], v[54:55]
	s_waitcnt lgkmcnt(0)
	v_fma_f64 v[58:59], v[58:59], v[76:77], v[54:55]
	scratch_load_b128 v[54:57], off, off offset:144
	s_waitcnt vmcnt(4)
	v_fma_f64 v[76:77], v[60:61], v[78:79], v[58:59]
	ds_load_2addr_b64 v[58:61], v1 offset0:35 offset1:36
	ds_load_2addr_b64 v[72:75], v1 offset0:37 offset1:38
	s_waitcnt lgkmcnt(1)
	v_fma_f64 v[58:59], v[62:63], v[58:59], v[76:77]
	scratch_load_b128 v[76:79], off, off offset:160
	s_waitcnt vmcnt(4)
	v_fma_f64 v[58:59], v[64:65], v[60:61], v[58:59]
	s_waitcnt lgkmcnt(0)
	s_delay_alu instid0(VALU_DEP_1)
	v_fma_f64 v[62:63], v[66:67], v[72:73], v[58:59]
	scratch_load_b128 v[58:61], off, off offset:176
	s_waitcnt vmcnt(4)
	v_fma_f64 v[72:73], v[68:69], v[74:75], v[62:63]
	ds_load_2addr_b64 v[62:65], v1 offset0:39 offset1:40
	ds_load_2addr_b64 v[66:69], v1 offset0:41 offset1:42
	s_waitcnt lgkmcnt(1)
	v_fma_f64 v[62:63], v[70:71], v[62:63], v[72:73]
	s_waitcnt vmcnt(3)
	s_delay_alu instid0(VALU_DEP_1) | instskip(SKIP_1) | instid1(VALU_DEP_1)
	v_fma_f64 v[62:63], v[80:81], v[64:65], v[62:63]
	s_waitcnt lgkmcnt(0)
	v_fma_f64 v[62:63], v[82:83], v[66:67], v[62:63]
	s_waitcnt vmcnt(2)
	s_delay_alu instid0(VALU_DEP_1)
	v_fma_f64 v[54:55], v[54:55], v[68:69], v[62:63]
	ds_load_2addr_b64 v[62:65], v1 offset0:43 offset1:44
	ds_load_2addr_b64 v[66:69], v1 offset0:45 offset1:46
	s_waitcnt lgkmcnt(1)
	v_fma_f64 v[54:55], v[56:57], v[62:63], v[54:55]
	ds_load_b64 v[56:57], v1 offset:376
	s_waitcnt vmcnt(1)
	v_fma_f64 v[54:55], v[76:77], v[64:65], v[54:55]
	s_waitcnt lgkmcnt(1)
	s_delay_alu instid0(VALU_DEP_1) | instskip(SKIP_1) | instid1(VALU_DEP_1)
	v_fma_f64 v[54:55], v[78:79], v[66:67], v[54:55]
	s_waitcnt vmcnt(0)
	v_fma_f64 v[54:55], v[58:59], v[68:69], v[54:55]
	s_waitcnt lgkmcnt(0)
	s_delay_alu instid0(VALU_DEP_1) | instskip(NEXT) | instid1(VALU_DEP_1)
	v_fma_f64 v[54:55], v[60:61], v[56:57], v[54:55]
	v_add_f64 v[52:53], v[52:53], -v[54:55]
	scratch_store_b64 off, v[52:53], off offset:48
	v_cmpx_lt_u32_e32 5, v0
	s_cbranch_execz .LBB87_143
; %bb.142:
	scratch_load_b64 v[52:53], off, off offset:40
	v_mov_b32_e32 v2, v1
	scratch_store_b64 off, v[1:2], off offset:40
	s_waitcnt vmcnt(0)
	ds_store_b64 v3, v[52:53]
.LBB87_143:
	s_or_b32 exec_lo, exec_lo, s0
	s_waitcnt lgkmcnt(0)
	s_waitcnt_vscnt null, 0x0
	s_barrier
	buffer_gl0_inv
	s_clause 0x4
	scratch_load_b128 v[52:55], off, off offset:40
	scratch_load_b128 v[56:59], off, off offset:56
	;; [unrolled: 1-line block ×5, first 2 shown]
	ds_load_b128 v[72:75], v1 offset:240
	ds_load_b128 v[76:79], v1 offset:256
	scratch_load_b128 v[80:83], off, off offset:120
	s_mov_b32 s0, exec_lo
	s_waitcnt vmcnt(5) lgkmcnt(1)
	v_fma_f64 v[54:55], v[54:55], v[72:73], 0
	s_waitcnt vmcnt(4)
	s_delay_alu instid0(VALU_DEP_1) | instskip(SKIP_1) | instid1(VALU_DEP_1)
	v_fma_f64 v[54:55], v[56:57], v[74:75], v[54:55]
	s_waitcnt lgkmcnt(0)
	v_fma_f64 v[58:59], v[58:59], v[76:77], v[54:55]
	scratch_load_b128 v[54:57], off, off offset:136
	s_waitcnt vmcnt(4)
	v_fma_f64 v[76:77], v[60:61], v[78:79], v[58:59]
	ds_load_b128 v[58:61], v1 offset:272
	ds_load_b128 v[72:75], v1 offset:288
	s_waitcnt lgkmcnt(1)
	v_fma_f64 v[58:59], v[62:63], v[58:59], v[76:77]
	scratch_load_b128 v[76:79], off, off offset:152
	s_waitcnt vmcnt(4)
	v_fma_f64 v[58:59], v[64:65], v[60:61], v[58:59]
	s_waitcnt lgkmcnt(0)
	s_delay_alu instid0(VALU_DEP_1)
	v_fma_f64 v[62:63], v[66:67], v[72:73], v[58:59]
	scratch_load_b128 v[58:61], off, off offset:168
	s_waitcnt vmcnt(4)
	v_fma_f64 v[72:73], v[68:69], v[74:75], v[62:63]
	ds_load_b128 v[62:65], v1 offset:304
	ds_load_b128 v[66:69], v1 offset:320
	s_waitcnt lgkmcnt(1)
	v_fma_f64 v[62:63], v[70:71], v[62:63], v[72:73]
	scratch_load_b64 v[70:71], off, off offset:184
	s_waitcnt vmcnt(4)
	v_fma_f64 v[62:63], v[80:81], v[64:65], v[62:63]
	s_waitcnt lgkmcnt(0)
	s_delay_alu instid0(VALU_DEP_1) | instskip(SKIP_1) | instid1(VALU_DEP_1)
	v_fma_f64 v[62:63], v[82:83], v[66:67], v[62:63]
	s_waitcnt vmcnt(3)
	v_fma_f64 v[54:55], v[54:55], v[68:69], v[62:63]
	ds_load_b128 v[62:65], v1 offset:336
	ds_load_b128 v[66:69], v1 offset:352
	s_waitcnt lgkmcnt(1)
	v_fma_f64 v[54:55], v[56:57], v[62:63], v[54:55]
	s_waitcnt vmcnt(2)
	s_delay_alu instid0(VALU_DEP_1) | instskip(SKIP_1) | instid1(VALU_DEP_1)
	v_fma_f64 v[54:55], v[76:77], v[64:65], v[54:55]
	s_waitcnt lgkmcnt(0)
	v_fma_f64 v[54:55], v[78:79], v[66:67], v[54:55]
	s_waitcnt vmcnt(1)
	s_delay_alu instid0(VALU_DEP_1) | instskip(SKIP_4) | instid1(VALU_DEP_1)
	v_fma_f64 v[58:59], v[58:59], v[68:69], v[54:55]
	ds_load_b128 v[54:57], v1 offset:368
	s_waitcnt lgkmcnt(0)
	v_fma_f64 v[1:2], v[60:61], v[54:55], v[58:59]
	s_waitcnt vmcnt(0)
	v_fma_f64 v[1:2], v[70:71], v[56:57], v[1:2]
	s_delay_alu instid0(VALU_DEP_1)
	v_add_f64 v[1:2], v[52:53], -v[1:2]
	scratch_store_b64 off, v[1:2], off offset:40
	v_cmpx_lt_u32_e32 4, v0
	s_cbranch_execz .LBB87_145
; %bb.144:
	scratch_load_b64 v[1:2], off, off offset:32
	v_mov_b32_e32 v52, 0
	s_delay_alu instid0(VALU_DEP_1)
	v_mov_b32_e32 v53, v52
	scratch_store_b64 off, v[52:53], off offset:32
	s_waitcnt vmcnt(0)
	ds_store_b64 v3, v[1:2]
.LBB87_145:
	s_or_b32 exec_lo, exec_lo, s0
	s_waitcnt lgkmcnt(0)
	s_waitcnt_vscnt null, 0x0
	s_barrier
	buffer_gl0_inv
	s_clause 0x4
	scratch_load_b128 v[52:55], off, off offset:32
	scratch_load_b128 v[56:59], off, off offset:48
	;; [unrolled: 1-line block ×5, first 2 shown]
	v_mov_b32_e32 v1, 0
	ds_load_2addr_b64 v[72:75], v1 offset0:29 offset1:30
	ds_load_2addr_b64 v[76:79], v1 offset0:31 offset1:32
	scratch_load_b128 v[80:83], off, off offset:112
	s_mov_b32 s0, exec_lo
	s_waitcnt vmcnt(5) lgkmcnt(1)
	v_fma_f64 v[54:55], v[54:55], v[72:73], 0
	s_waitcnt vmcnt(4)
	s_delay_alu instid0(VALU_DEP_1) | instskip(SKIP_1) | instid1(VALU_DEP_1)
	v_fma_f64 v[54:55], v[56:57], v[74:75], v[54:55]
	s_waitcnt lgkmcnt(0)
	v_fma_f64 v[58:59], v[58:59], v[76:77], v[54:55]
	scratch_load_b128 v[54:57], off, off offset:128
	s_waitcnt vmcnt(4)
	v_fma_f64 v[76:77], v[60:61], v[78:79], v[58:59]
	ds_load_2addr_b64 v[58:61], v1 offset0:33 offset1:34
	ds_load_2addr_b64 v[72:75], v1 offset0:35 offset1:36
	s_waitcnt lgkmcnt(1)
	v_fma_f64 v[58:59], v[62:63], v[58:59], v[76:77]
	scratch_load_b128 v[76:79], off, off offset:144
	s_waitcnt vmcnt(4)
	v_fma_f64 v[58:59], v[64:65], v[60:61], v[58:59]
	s_waitcnt lgkmcnt(0)
	s_delay_alu instid0(VALU_DEP_1)
	v_fma_f64 v[62:63], v[66:67], v[72:73], v[58:59]
	scratch_load_b128 v[58:61], off, off offset:160
	s_waitcnt vmcnt(4)
	v_fma_f64 v[72:73], v[68:69], v[74:75], v[62:63]
	ds_load_2addr_b64 v[62:65], v1 offset0:37 offset1:38
	ds_load_2addr_b64 v[66:69], v1 offset0:39 offset1:40
	s_waitcnt lgkmcnt(1)
	v_fma_f64 v[62:63], v[70:71], v[62:63], v[72:73]
	scratch_load_b128 v[70:73], off, off offset:176
	s_waitcnt vmcnt(4)
	v_fma_f64 v[62:63], v[80:81], v[64:65], v[62:63]
	s_waitcnt lgkmcnt(0)
	s_delay_alu instid0(VALU_DEP_1) | instskip(SKIP_1) | instid1(VALU_DEP_1)
	v_fma_f64 v[62:63], v[82:83], v[66:67], v[62:63]
	s_waitcnt vmcnt(3)
	v_fma_f64 v[54:55], v[54:55], v[68:69], v[62:63]
	ds_load_2addr_b64 v[62:65], v1 offset0:41 offset1:42
	ds_load_2addr_b64 v[66:69], v1 offset0:43 offset1:44
	s_waitcnt lgkmcnt(1)
	v_fma_f64 v[54:55], v[56:57], v[62:63], v[54:55]
	s_waitcnt vmcnt(2)
	s_delay_alu instid0(VALU_DEP_1) | instskip(SKIP_1) | instid1(VALU_DEP_1)
	v_fma_f64 v[54:55], v[76:77], v[64:65], v[54:55]
	s_waitcnt lgkmcnt(0)
	v_fma_f64 v[54:55], v[78:79], v[66:67], v[54:55]
	s_waitcnt vmcnt(1)
	s_delay_alu instid0(VALU_DEP_1)
	v_fma_f64 v[58:59], v[58:59], v[68:69], v[54:55]
	ds_load_2addr_b64 v[54:57], v1 offset0:45 offset1:46
	ds_load_b64 v[62:63], v1 offset:376
	s_waitcnt lgkmcnt(1)
	v_fma_f64 v[54:55], v[60:61], v[54:55], v[58:59]
	s_waitcnt vmcnt(0)
	s_delay_alu instid0(VALU_DEP_1) | instskip(SKIP_1) | instid1(VALU_DEP_1)
	v_fma_f64 v[54:55], v[70:71], v[56:57], v[54:55]
	s_waitcnt lgkmcnt(0)
	v_fma_f64 v[54:55], v[72:73], v[62:63], v[54:55]
	s_delay_alu instid0(VALU_DEP_1)
	v_add_f64 v[52:53], v[52:53], -v[54:55]
	scratch_store_b64 off, v[52:53], off offset:32
	v_cmpx_lt_u32_e32 3, v0
	s_cbranch_execz .LBB87_147
; %bb.146:
	scratch_load_b64 v[52:53], off, off offset:24
	v_mov_b32_e32 v2, v1
	scratch_store_b64 off, v[1:2], off offset:24
	s_waitcnt vmcnt(0)
	ds_store_b64 v3, v[52:53]
.LBB87_147:
	s_or_b32 exec_lo, exec_lo, s0
	s_waitcnt lgkmcnt(0)
	s_waitcnt_vscnt null, 0x0
	s_barrier
	buffer_gl0_inv
	s_clause 0x4
	scratch_load_b128 v[52:55], off, off offset:24
	scratch_load_b128 v[56:59], off, off offset:40
	;; [unrolled: 1-line block ×5, first 2 shown]
	ds_load_b128 v[72:75], v1 offset:224
	ds_load_b128 v[76:79], v1 offset:240
	scratch_load_b128 v[80:83], off, off offset:104
	s_mov_b32 s0, exec_lo
	s_waitcnt vmcnt(5) lgkmcnt(1)
	v_fma_f64 v[54:55], v[54:55], v[72:73], 0
	s_waitcnt vmcnt(4)
	s_delay_alu instid0(VALU_DEP_1) | instskip(SKIP_1) | instid1(VALU_DEP_1)
	v_fma_f64 v[54:55], v[56:57], v[74:75], v[54:55]
	s_waitcnt lgkmcnt(0)
	v_fma_f64 v[58:59], v[58:59], v[76:77], v[54:55]
	scratch_load_b128 v[54:57], off, off offset:120
	s_waitcnt vmcnt(4)
	v_fma_f64 v[76:77], v[60:61], v[78:79], v[58:59]
	ds_load_b128 v[58:61], v1 offset:256
	ds_load_b128 v[72:75], v1 offset:272
	s_waitcnt lgkmcnt(1)
	v_fma_f64 v[58:59], v[62:63], v[58:59], v[76:77]
	scratch_load_b128 v[76:79], off, off offset:136
	s_waitcnt vmcnt(4)
	v_fma_f64 v[58:59], v[64:65], v[60:61], v[58:59]
	s_waitcnt lgkmcnt(0)
	s_delay_alu instid0(VALU_DEP_1)
	v_fma_f64 v[62:63], v[66:67], v[72:73], v[58:59]
	scratch_load_b128 v[58:61], off, off offset:152
	s_waitcnt vmcnt(4)
	v_fma_f64 v[72:73], v[68:69], v[74:75], v[62:63]
	ds_load_b128 v[62:65], v1 offset:288
	ds_load_b128 v[66:69], v1 offset:304
	scratch_load_b64 v[74:75], off, off offset:184
	s_waitcnt lgkmcnt(1)
	v_fma_f64 v[62:63], v[70:71], v[62:63], v[72:73]
	scratch_load_b128 v[70:73], off, off offset:168
	s_waitcnt vmcnt(5)
	v_fma_f64 v[62:63], v[80:81], v[64:65], v[62:63]
	s_waitcnt lgkmcnt(0)
	s_delay_alu instid0(VALU_DEP_1) | instskip(SKIP_1) | instid1(VALU_DEP_1)
	v_fma_f64 v[62:63], v[82:83], v[66:67], v[62:63]
	s_waitcnt vmcnt(4)
	v_fma_f64 v[54:55], v[54:55], v[68:69], v[62:63]
	ds_load_b128 v[62:65], v1 offset:320
	ds_load_b128 v[66:69], v1 offset:336
	s_waitcnt lgkmcnt(1)
	v_fma_f64 v[54:55], v[56:57], v[62:63], v[54:55]
	s_waitcnt vmcnt(3)
	s_delay_alu instid0(VALU_DEP_1) | instskip(SKIP_1) | instid1(VALU_DEP_1)
	v_fma_f64 v[54:55], v[76:77], v[64:65], v[54:55]
	s_waitcnt lgkmcnt(0)
	v_fma_f64 v[54:55], v[78:79], v[66:67], v[54:55]
	s_waitcnt vmcnt(2)
	s_delay_alu instid0(VALU_DEP_1)
	v_fma_f64 v[58:59], v[58:59], v[68:69], v[54:55]
	ds_load_b128 v[54:57], v1 offset:352
	ds_load_b128 v[62:65], v1 offset:368
	s_waitcnt lgkmcnt(1)
	v_fma_f64 v[1:2], v[60:61], v[54:55], v[58:59]
	s_waitcnt vmcnt(0)
	s_delay_alu instid0(VALU_DEP_1) | instskip(SKIP_1) | instid1(VALU_DEP_1)
	v_fma_f64 v[1:2], v[70:71], v[56:57], v[1:2]
	s_waitcnt lgkmcnt(0)
	v_fma_f64 v[1:2], v[72:73], v[62:63], v[1:2]
	s_delay_alu instid0(VALU_DEP_1) | instskip(NEXT) | instid1(VALU_DEP_1)
	v_fma_f64 v[1:2], v[74:75], v[64:65], v[1:2]
	v_add_f64 v[1:2], v[52:53], -v[1:2]
	scratch_store_b64 off, v[1:2], off offset:24
	v_cmpx_lt_u32_e32 2, v0
	s_cbranch_execz .LBB87_149
; %bb.148:
	scratch_load_b64 v[1:2], off, off offset:16
	v_mov_b32_e32 v52, 0
	s_delay_alu instid0(VALU_DEP_1)
	v_mov_b32_e32 v53, v52
	scratch_store_b64 off, v[52:53], off offset:16
	s_waitcnt vmcnt(0)
	ds_store_b64 v3, v[1:2]
.LBB87_149:
	s_or_b32 exec_lo, exec_lo, s0
	s_waitcnt lgkmcnt(0)
	s_waitcnt_vscnt null, 0x0
	s_barrier
	buffer_gl0_inv
	s_clause 0x4
	scratch_load_b128 v[52:55], off, off offset:16
	scratch_load_b128 v[56:59], off, off offset:32
	;; [unrolled: 1-line block ×5, first 2 shown]
	v_mov_b32_e32 v1, 0
	ds_load_2addr_b64 v[72:75], v1 offset0:27 offset1:28
	ds_load_2addr_b64 v[76:79], v1 offset0:29 offset1:30
	scratch_load_b128 v[80:83], off, off offset:96
	s_mov_b32 s0, exec_lo
	s_waitcnt vmcnt(5) lgkmcnt(1)
	v_fma_f64 v[54:55], v[54:55], v[72:73], 0
	s_waitcnt vmcnt(4)
	s_delay_alu instid0(VALU_DEP_1) | instskip(SKIP_1) | instid1(VALU_DEP_1)
	v_fma_f64 v[54:55], v[56:57], v[74:75], v[54:55]
	s_waitcnt lgkmcnt(0)
	v_fma_f64 v[58:59], v[58:59], v[76:77], v[54:55]
	scratch_load_b128 v[54:57], off, off offset:112
	s_waitcnt vmcnt(4)
	v_fma_f64 v[76:77], v[60:61], v[78:79], v[58:59]
	ds_load_2addr_b64 v[58:61], v1 offset0:31 offset1:32
	ds_load_2addr_b64 v[72:75], v1 offset0:33 offset1:34
	s_waitcnt lgkmcnt(1)
	v_fma_f64 v[58:59], v[62:63], v[58:59], v[76:77]
	scratch_load_b128 v[76:79], off, off offset:128
	s_waitcnt vmcnt(4)
	v_fma_f64 v[58:59], v[64:65], v[60:61], v[58:59]
	s_waitcnt lgkmcnt(0)
	s_delay_alu instid0(VALU_DEP_1)
	v_fma_f64 v[62:63], v[66:67], v[72:73], v[58:59]
	scratch_load_b128 v[58:61], off, off offset:144
	s_waitcnt vmcnt(4)
	v_fma_f64 v[72:73], v[68:69], v[74:75], v[62:63]
	ds_load_2addr_b64 v[62:65], v1 offset0:35 offset1:36
	ds_load_2addr_b64 v[66:69], v1 offset0:37 offset1:38
	s_waitcnt lgkmcnt(1)
	v_fma_f64 v[62:63], v[70:71], v[62:63], v[72:73]
	scratch_load_b128 v[70:73], off, off offset:160
	s_waitcnt vmcnt(4)
	v_fma_f64 v[62:63], v[80:81], v[64:65], v[62:63]
	s_waitcnt lgkmcnt(0)
	s_delay_alu instid0(VALU_DEP_1)
	v_fma_f64 v[66:67], v[82:83], v[66:67], v[62:63]
	scratch_load_b128 v[62:65], off, off offset:176
	s_waitcnt vmcnt(4)
	v_fma_f64 v[54:55], v[54:55], v[68:69], v[66:67]
	ds_load_2addr_b64 v[66:69], v1 offset0:39 offset1:40
	ds_load_2addr_b64 v[80:83], v1 offset0:41 offset1:42
	s_waitcnt lgkmcnt(1)
	v_fma_f64 v[54:55], v[56:57], v[66:67], v[54:55]
	s_waitcnt vmcnt(3)
	s_delay_alu instid0(VALU_DEP_1) | instskip(SKIP_1) | instid1(VALU_DEP_1)
	v_fma_f64 v[54:55], v[76:77], v[68:69], v[54:55]
	s_waitcnt lgkmcnt(0)
	v_fma_f64 v[54:55], v[78:79], v[80:81], v[54:55]
	s_waitcnt vmcnt(2)
	s_delay_alu instid0(VALU_DEP_1)
	v_fma_f64 v[58:59], v[58:59], v[82:83], v[54:55]
	ds_load_2addr_b64 v[54:57], v1 offset0:43 offset1:44
	ds_load_2addr_b64 v[66:69], v1 offset0:45 offset1:46
	s_waitcnt lgkmcnt(1)
	v_fma_f64 v[54:55], v[60:61], v[54:55], v[58:59]
	s_waitcnt vmcnt(1)
	s_delay_alu instid0(VALU_DEP_1) | instskip(SKIP_4) | instid1(VALU_DEP_1)
	v_fma_f64 v[54:55], v[70:71], v[56:57], v[54:55]
	ds_load_b64 v[56:57], v1 offset:376
	s_waitcnt lgkmcnt(1)
	v_fma_f64 v[54:55], v[72:73], v[66:67], v[54:55]
	s_waitcnt vmcnt(0)
	v_fma_f64 v[54:55], v[62:63], v[68:69], v[54:55]
	s_waitcnt lgkmcnt(0)
	s_delay_alu instid0(VALU_DEP_1) | instskip(NEXT) | instid1(VALU_DEP_1)
	v_fma_f64 v[54:55], v[64:65], v[56:57], v[54:55]
	v_add_f64 v[52:53], v[52:53], -v[54:55]
	scratch_store_b64 off, v[52:53], off offset:16
	v_cmpx_lt_u32_e32 1, v0
	s_cbranch_execz .LBB87_151
; %bb.150:
	scratch_load_b64 v[52:53], off, off offset:8
	v_mov_b32_e32 v2, v1
	scratch_store_b64 off, v[1:2], off offset:8
	s_waitcnt vmcnt(0)
	ds_store_b64 v3, v[52:53]
.LBB87_151:
	s_or_b32 exec_lo, exec_lo, s0
	s_waitcnt lgkmcnt(0)
	s_waitcnt_vscnt null, 0x0
	s_barrier
	buffer_gl0_inv
	s_clause 0x4
	scratch_load_b128 v[52:55], off, off offset:8
	scratch_load_b128 v[56:59], off, off offset:24
	scratch_load_b128 v[60:63], off, off offset:40
	scratch_load_b128 v[64:67], off, off offset:56
	scratch_load_b128 v[68:71], off, off offset:72
	ds_load_b128 v[72:75], v1 offset:208
	ds_load_b128 v[76:79], v1 offset:224
	scratch_load_b128 v[80:83], off, off offset:88
	s_mov_b32 s0, exec_lo
	s_waitcnt vmcnt(5) lgkmcnt(1)
	v_fma_f64 v[54:55], v[54:55], v[72:73], 0
	s_waitcnt vmcnt(4)
	s_delay_alu instid0(VALU_DEP_1) | instskip(SKIP_1) | instid1(VALU_DEP_1)
	v_fma_f64 v[54:55], v[56:57], v[74:75], v[54:55]
	s_waitcnt lgkmcnt(0)
	v_fma_f64 v[58:59], v[58:59], v[76:77], v[54:55]
	scratch_load_b128 v[54:57], off, off offset:104
	s_waitcnt vmcnt(4)
	v_fma_f64 v[76:77], v[60:61], v[78:79], v[58:59]
	ds_load_b128 v[58:61], v1 offset:240
	ds_load_b128 v[72:75], v1 offset:256
	s_waitcnt lgkmcnt(1)
	v_fma_f64 v[58:59], v[62:63], v[58:59], v[76:77]
	scratch_load_b128 v[76:79], off, off offset:120
	s_waitcnt vmcnt(4)
	v_fma_f64 v[58:59], v[64:65], v[60:61], v[58:59]
	s_waitcnt lgkmcnt(0)
	s_delay_alu instid0(VALU_DEP_1)
	v_fma_f64 v[62:63], v[66:67], v[72:73], v[58:59]
	scratch_load_b128 v[58:61], off, off offset:136
	s_waitcnt vmcnt(4)
	v_fma_f64 v[72:73], v[68:69], v[74:75], v[62:63]
	ds_load_b128 v[62:65], v1 offset:272
	ds_load_b128 v[66:69], v1 offset:288
	s_waitcnt lgkmcnt(1)
	v_fma_f64 v[62:63], v[70:71], v[62:63], v[72:73]
	scratch_load_b128 v[70:73], off, off offset:152
	s_waitcnt vmcnt(4)
	v_fma_f64 v[62:63], v[80:81], v[64:65], v[62:63]
	s_waitcnt lgkmcnt(0)
	s_delay_alu instid0(VALU_DEP_1)
	v_fma_f64 v[66:67], v[82:83], v[66:67], v[62:63]
	scratch_load_b128 v[62:65], off, off offset:168
	s_waitcnt vmcnt(4)
	v_fma_f64 v[54:55], v[54:55], v[68:69], v[66:67]
	ds_load_b128 v[66:69], v1 offset:304
	ds_load_b128 v[80:83], v1 offset:320
	scratch_load_b64 v[74:75], off, off offset:184
	s_waitcnt lgkmcnt(1)
	v_fma_f64 v[54:55], v[56:57], v[66:67], v[54:55]
	s_waitcnt vmcnt(4)
	s_delay_alu instid0(VALU_DEP_1) | instskip(SKIP_1) | instid1(VALU_DEP_1)
	v_fma_f64 v[54:55], v[76:77], v[68:69], v[54:55]
	s_waitcnt lgkmcnt(0)
	v_fma_f64 v[54:55], v[78:79], v[80:81], v[54:55]
	s_waitcnt vmcnt(3)
	s_delay_alu instid0(VALU_DEP_1)
	v_fma_f64 v[58:59], v[58:59], v[82:83], v[54:55]
	ds_load_b128 v[54:57], v1 offset:336
	ds_load_b128 v[66:69], v1 offset:352
	s_waitcnt lgkmcnt(1)
	v_fma_f64 v[54:55], v[60:61], v[54:55], v[58:59]
	s_waitcnt vmcnt(2)
	s_delay_alu instid0(VALU_DEP_1) | instskip(SKIP_1) | instid1(VALU_DEP_1)
	v_fma_f64 v[54:55], v[70:71], v[56:57], v[54:55]
	s_waitcnt lgkmcnt(0)
	v_fma_f64 v[54:55], v[72:73], v[66:67], v[54:55]
	s_waitcnt vmcnt(1)
	s_delay_alu instid0(VALU_DEP_1) | instskip(SKIP_4) | instid1(VALU_DEP_1)
	v_fma_f64 v[58:59], v[62:63], v[68:69], v[54:55]
	ds_load_b128 v[54:57], v1 offset:368
	s_waitcnt lgkmcnt(0)
	v_fma_f64 v[1:2], v[64:65], v[54:55], v[58:59]
	s_waitcnt vmcnt(0)
	v_fma_f64 v[1:2], v[74:75], v[56:57], v[1:2]
	s_delay_alu instid0(VALU_DEP_1)
	v_add_f64 v[1:2], v[52:53], -v[1:2]
	scratch_store_b64 off, v[1:2], off offset:8
	v_cmpx_ne_u32_e32 0, v0
	s_cbranch_execz .LBB87_153
; %bb.152:
	scratch_load_b64 v[0:1], off, off
	v_mov_b32_e32 v52, 0
	s_delay_alu instid0(VALU_DEP_1)
	v_mov_b32_e32 v53, v52
	scratch_store_b64 off, v[52:53], off
	s_waitcnt vmcnt(0)
	ds_store_b64 v3, v[0:1]
.LBB87_153:
	s_or_b32 exec_lo, exec_lo, s0
	s_waitcnt lgkmcnt(0)
	s_waitcnt_vscnt null, 0x0
	s_barrier
	buffer_gl0_inv
	s_clause 0x4
	scratch_load_b128 v[52:55], off, off
	scratch_load_b128 v[0:3], off, off offset:16
	scratch_load_b128 v[56:59], off, off offset:32
	;; [unrolled: 1-line block ×4, first 2 shown]
	v_mov_b32_e32 v80, 0
	ds_load_2addr_b64 v[68:71], v80 offset0:25 offset1:26
	ds_load_2addr_b64 v[72:75], v80 offset0:27 offset1:28
	scratch_load_b128 v[76:79], off, off offset:80
	s_and_b32 vcc_lo, exec_lo, s12
	s_waitcnt vmcnt(5) lgkmcnt(1)
	v_fma_f64 v[54:55], v[54:55], v[68:69], 0
	s_waitcnt vmcnt(4)
	s_delay_alu instid0(VALU_DEP_1) | instskip(SKIP_1) | instid1(VALU_DEP_1)
	v_fma_f64 v[0:1], v[0:1], v[70:71], v[54:55]
	s_waitcnt lgkmcnt(0)
	v_fma_f64 v[54:55], v[2:3], v[72:73], v[0:1]
	scratch_load_b128 v[0:3], off, off offset:96
	s_waitcnt vmcnt(4)
	v_fma_f64 v[72:73], v[56:57], v[74:75], v[54:55]
	ds_load_2addr_b64 v[54:57], v80 offset0:29 offset1:30
	ds_load_2addr_b64 v[68:71], v80 offset0:31 offset1:32
	s_waitcnt lgkmcnt(1)
	v_fma_f64 v[54:55], v[58:59], v[54:55], v[72:73]
	scratch_load_b128 v[72:75], off, off offset:112
	s_waitcnt vmcnt(4)
	v_fma_f64 v[54:55], v[60:61], v[56:57], v[54:55]
	s_waitcnt lgkmcnt(0)
	s_delay_alu instid0(VALU_DEP_1)
	v_fma_f64 v[58:59], v[62:63], v[68:69], v[54:55]
	scratch_load_b128 v[54:57], off, off offset:128
	s_waitcnt vmcnt(4)
	v_fma_f64 v[68:69], v[64:65], v[70:71], v[58:59]
	ds_load_2addr_b64 v[58:61], v80 offset0:33 offset1:34
	ds_load_2addr_b64 v[62:65], v80 offset0:35 offset1:36
	s_waitcnt lgkmcnt(1)
	v_fma_f64 v[58:59], v[66:67], v[58:59], v[68:69]
	scratch_load_b128 v[66:69], off, off offset:144
	s_waitcnt vmcnt(4)
	v_fma_f64 v[58:59], v[76:77], v[60:61], v[58:59]
	s_waitcnt lgkmcnt(0)
	s_delay_alu instid0(VALU_DEP_1)
	v_fma_f64 v[62:63], v[78:79], v[62:63], v[58:59]
	scratch_load_b128 v[58:61], off, off offset:160
	s_waitcnt vmcnt(4)
	v_fma_f64 v[0:1], v[0:1], v[64:65], v[62:63]
	ds_load_2addr_b64 v[62:65], v80 offset0:37 offset1:38
	ds_load_2addr_b64 v[76:79], v80 offset0:39 offset1:40
	s_waitcnt lgkmcnt(1)
	v_fma_f64 v[62:63], v[2:3], v[62:63], v[0:1]
	scratch_load_b128 v[0:3], off, off offset:176
	s_waitcnt vmcnt(4)
	v_fma_f64 v[62:63], v[72:73], v[64:65], v[62:63]
	s_waitcnt lgkmcnt(0)
	s_delay_alu instid0(VALU_DEP_1) | instskip(SKIP_1) | instid1(VALU_DEP_1)
	v_fma_f64 v[62:63], v[74:75], v[76:77], v[62:63]
	s_waitcnt vmcnt(3)
	v_fma_f64 v[54:55], v[54:55], v[78:79], v[62:63]
	ds_load_2addr_b64 v[62:65], v80 offset0:41 offset1:42
	ds_load_2addr_b64 v[70:73], v80 offset0:43 offset1:44
	s_waitcnt lgkmcnt(1)
	v_fma_f64 v[54:55], v[56:57], v[62:63], v[54:55]
	s_waitcnt vmcnt(2)
	s_delay_alu instid0(VALU_DEP_1) | instskip(SKIP_1) | instid1(VALU_DEP_1)
	v_fma_f64 v[54:55], v[66:67], v[64:65], v[54:55]
	s_waitcnt lgkmcnt(0)
	v_fma_f64 v[54:55], v[68:69], v[70:71], v[54:55]
	s_waitcnt vmcnt(1)
	s_delay_alu instid0(VALU_DEP_1)
	v_fma_f64 v[58:59], v[58:59], v[72:73], v[54:55]
	ds_load_2addr_b64 v[54:57], v80 offset0:45 offset1:46
	ds_load_b64 v[62:63], v80 offset:376
	s_waitcnt lgkmcnt(1)
	v_fma_f64 v[54:55], v[60:61], v[54:55], v[58:59]
	s_waitcnt vmcnt(0)
	s_delay_alu instid0(VALU_DEP_1) | instskip(SKIP_1) | instid1(VALU_DEP_1)
	v_fma_f64 v[54:55], v[0:1], v[56:57], v[54:55]
	s_waitcnt lgkmcnt(0)
	v_fma_f64 v[2:3], v[2:3], v[62:63], v[54:55]
	s_delay_alu instid0(VALU_DEP_1)
	v_add_f64 v[2:3], v[52:53], -v[2:3]
	scratch_store_b64 off, v[2:3], off
	s_cbranch_vccz .LBB87_201
; %bb.154:
	v_dual_mov_b32 v2, s2 :: v_dual_mov_b32 v3, s3
	s_mov_b32 s0, exec_lo
	flat_load_b32 v2, v[2:3] offset:88
	s_waitcnt vmcnt(0) lgkmcnt(0)
	v_cmpx_ne_u32_e32 23, v2
	s_cbranch_execz .LBB87_156
; %bb.155:
	v_lshl_add_u32 v52, v2, 3, 0
	scratch_load_b64 v[2:3], v52, off offset:-8
	s_waitcnt vmcnt(0)
	scratch_store_b64 off, v[2:3], off offset:176
	scratch_store_b64 v52, v[0:1], off offset:-8
.LBB87_156:
	s_or_b32 exec_lo, exec_lo, s0
	v_dual_mov_b32 v0, s2 :: v_dual_mov_b32 v1, s3
	s_mov_b32 s0, exec_lo
	flat_load_b32 v0, v[0:1] offset:84
	s_waitcnt vmcnt(0) lgkmcnt(0)
	v_cmpx_ne_u32_e32 22, v0
	s_cbranch_execz .LBB87_158
; %bb.157:
	v_lshl_add_u32 v52, v0, 3, 0
	scratch_load_b64 v[0:1], v52, off offset:-8
	scratch_load_b64 v[2:3], off, off offset:168
	s_waitcnt vmcnt(1)
	scratch_store_b64 off, v[0:1], off offset:168
	s_waitcnt vmcnt(0)
	scratch_store_b64 v52, v[2:3], off offset:-8
.LBB87_158:
	s_or_b32 exec_lo, exec_lo, s0
	v_dual_mov_b32 v0, s2 :: v_dual_mov_b32 v1, s3
	s_mov_b32 s0, exec_lo
	flat_load_b32 v0, v[0:1] offset:80
	s_waitcnt vmcnt(0) lgkmcnt(0)
	v_cmpx_ne_u32_e32 21, v0
	s_cbranch_execz .LBB87_160
; %bb.159:
	v_lshl_add_u32 v52, v0, 3, 0
	scratch_load_b64 v[0:1], v52, off offset:-8
	scratch_load_b64 v[2:3], off, off offset:160
	s_waitcnt vmcnt(1)
	scratch_store_b64 off, v[0:1], off offset:160
	s_waitcnt vmcnt(0)
	scratch_store_b64 v52, v[2:3], off offset:-8
.LBB87_160:
	;; [unrolled: 16-line block ×21, first 2 shown]
	s_or_b32 exec_lo, exec_lo, s0
	v_dual_mov_b32 v0, s2 :: v_dual_mov_b32 v1, s3
	s_mov_b32 s0, exec_lo
	flat_load_b32 v0, v[0:1]
	scratch_load_b64 v[2:3], off, off
	s_waitcnt vmcnt(1) lgkmcnt(0)
	v_cmpx_ne_u32_e32 1, v0
	s_cbranch_execz .LBB87_200
; %bb.199:
	v_lshl_add_u32 v52, v0, 3, 0
	scratch_load_b64 v[0:1], v52, off offset:-8
	s_waitcnt vmcnt(0)
	scratch_store_b64 off, v[0:1], off
	scratch_store_b64 v52, v[2:3], off offset:-8
	scratch_load_b64 v[2:3], off, off
.LBB87_200:
	s_or_b32 exec_lo, exec_lo, s0
.LBB87_201:
	s_clause 0x9
	scratch_load_b128 v[52:55], off, off offset:8
	scratch_load_b128 v[56:59], off, off offset:24
	;; [unrolled: 1-line block ×10, first 2 shown]
	s_waitcnt vmcnt(10)
	global_store_b64 v[10:11], v[2:3], off
	s_clause 0x1
	scratch_load_b128 v[0:3], off, off offset:168
	scratch_load_b64 v[10:11], off, off offset:184
	s_waitcnt vmcnt(11)
	s_clause 0x1
	global_store_b64 v[4:5], v[52:53], off
	global_store_b64 v[6:7], v[54:55], off
	s_waitcnt vmcnt(10)
	s_clause 0x1
	global_store_b64 v[8:9], v[56:57], off
	global_store_b64 v[12:13], v[58:59], off
	s_waitcnt vmcnt(9)
	s_clause 0x1
	global_store_b64 v[14:15], v[60:61], off
	global_store_b64 v[16:17], v[62:63], off
	s_waitcnt vmcnt(8)
	s_clause 0x1
	global_store_b64 v[18:19], v[64:65], off
	global_store_b64 v[20:21], v[66:67], off
	s_waitcnt vmcnt(7)
	s_clause 0x1
	global_store_b64 v[22:23], v[68:69], off
	global_store_b64 v[24:25], v[70:71], off
	s_waitcnt vmcnt(6)
	s_clause 0x1
	global_store_b64 v[26:27], v[72:73], off
	global_store_b64 v[28:29], v[74:75], off
	s_waitcnt vmcnt(5)
	s_clause 0x1
	global_store_b64 v[30:31], v[76:77], off
	global_store_b64 v[32:33], v[78:79], off
	s_waitcnt vmcnt(4)
	s_clause 0x1
	global_store_b64 v[34:35], v[80:81], off
	global_store_b64 v[36:37], v[82:83], off
	s_waitcnt vmcnt(3)
	s_clause 0x1
	global_store_b64 v[38:39], v[84:85], off
	global_store_b64 v[40:41], v[86:87], off
	s_waitcnt vmcnt(2)
	s_clause 0x1
	global_store_b64 v[42:43], v[88:89], off
	global_store_b64 v[44:45], v[90:91], off
	s_waitcnt vmcnt(1)
	s_clause 0x1
	global_store_b64 v[46:47], v[0:1], off
	global_store_b64 v[50:51], v[2:3], off
	s_waitcnt vmcnt(0)
	global_store_b64 v[48:49], v[10:11], off
	s_endpgm
	.section	.rodata,"a",@progbits
	.p2align	6, 0x0
	.amdhsa_kernel _ZN9rocsolver6v33100L18getri_kernel_smallILi24EdPKPdEEvT1_iilPiilS6_bb
		.amdhsa_group_segment_fixed_size 392
		.amdhsa_private_segment_fixed_size 208
		.amdhsa_kernarg_size 60
		.amdhsa_user_sgpr_count 15
		.amdhsa_user_sgpr_dispatch_ptr 0
		.amdhsa_user_sgpr_queue_ptr 0
		.amdhsa_user_sgpr_kernarg_segment_ptr 1
		.amdhsa_user_sgpr_dispatch_id 0
		.amdhsa_user_sgpr_private_segment_size 0
		.amdhsa_wavefront_size32 1
		.amdhsa_uses_dynamic_stack 0
		.amdhsa_enable_private_segment 1
		.amdhsa_system_sgpr_workgroup_id_x 1
		.amdhsa_system_sgpr_workgroup_id_y 0
		.amdhsa_system_sgpr_workgroup_id_z 0
		.amdhsa_system_sgpr_workgroup_info 0
		.amdhsa_system_vgpr_workitem_id 0
		.amdhsa_next_free_vgpr 92
		.amdhsa_next_free_sgpr 17
		.amdhsa_reserve_vcc 1
		.amdhsa_float_round_mode_32 0
		.amdhsa_float_round_mode_16_64 0
		.amdhsa_float_denorm_mode_32 3
		.amdhsa_float_denorm_mode_16_64 3
		.amdhsa_dx10_clamp 1
		.amdhsa_ieee_mode 1
		.amdhsa_fp16_overflow 0
		.amdhsa_workgroup_processor_mode 1
		.amdhsa_memory_ordered 1
		.amdhsa_forward_progress 0
		.amdhsa_shared_vgpr_count 0
		.amdhsa_exception_fp_ieee_invalid_op 0
		.amdhsa_exception_fp_denorm_src 0
		.amdhsa_exception_fp_ieee_div_zero 0
		.amdhsa_exception_fp_ieee_overflow 0
		.amdhsa_exception_fp_ieee_underflow 0
		.amdhsa_exception_fp_ieee_inexact 0
		.amdhsa_exception_int_div_zero 0
	.end_amdhsa_kernel
	.section	.text._ZN9rocsolver6v33100L18getri_kernel_smallILi24EdPKPdEEvT1_iilPiilS6_bb,"axG",@progbits,_ZN9rocsolver6v33100L18getri_kernel_smallILi24EdPKPdEEvT1_iilPiilS6_bb,comdat
.Lfunc_end87:
	.size	_ZN9rocsolver6v33100L18getri_kernel_smallILi24EdPKPdEEvT1_iilPiilS6_bb, .Lfunc_end87-_ZN9rocsolver6v33100L18getri_kernel_smallILi24EdPKPdEEvT1_iilPiilS6_bb
                                        ; -- End function
	.section	.AMDGPU.csdata,"",@progbits
; Kernel info:
; codeLenInByte = 16720
; NumSgprs: 19
; NumVgprs: 92
; ScratchSize: 208
; MemoryBound: 0
; FloatMode: 240
; IeeeMode: 1
; LDSByteSize: 392 bytes/workgroup (compile time only)
; SGPRBlocks: 2
; VGPRBlocks: 11
; NumSGPRsForWavesPerEU: 19
; NumVGPRsForWavesPerEU: 92
; Occupancy: 16
; WaveLimiterHint : 1
; COMPUTE_PGM_RSRC2:SCRATCH_EN: 1
; COMPUTE_PGM_RSRC2:USER_SGPR: 15
; COMPUTE_PGM_RSRC2:TRAP_HANDLER: 0
; COMPUTE_PGM_RSRC2:TGID_X_EN: 1
; COMPUTE_PGM_RSRC2:TGID_Y_EN: 0
; COMPUTE_PGM_RSRC2:TGID_Z_EN: 0
; COMPUTE_PGM_RSRC2:TIDIG_COMP_CNT: 0
	.section	.text._ZN9rocsolver6v33100L18getri_kernel_smallILi25EdPKPdEEvT1_iilPiilS6_bb,"axG",@progbits,_ZN9rocsolver6v33100L18getri_kernel_smallILi25EdPKPdEEvT1_iilPiilS6_bb,comdat
	.globl	_ZN9rocsolver6v33100L18getri_kernel_smallILi25EdPKPdEEvT1_iilPiilS6_bb ; -- Begin function _ZN9rocsolver6v33100L18getri_kernel_smallILi25EdPKPdEEvT1_iilPiilS6_bb
	.p2align	8
	.type	_ZN9rocsolver6v33100L18getri_kernel_smallILi25EdPKPdEEvT1_iilPiilS6_bb,@function
_ZN9rocsolver6v33100L18getri_kernel_smallILi25EdPKPdEEvT1_iilPiilS6_bb: ; @_ZN9rocsolver6v33100L18getri_kernel_smallILi25EdPKPdEEvT1_iilPiilS6_bb
; %bb.0:
	s_mov_b32 s2, exec_lo
	v_cmpx_gt_u32_e32 25, v0
	s_cbranch_execz .LBB88_110
; %bb.1:
	s_clause 0x1
	s_load_b32 s13, s[0:1], 0x38
	s_load_b64 s[2:3], s[0:1], 0x0
	s_mov_b32 s8, s15
	s_load_b128 s[4:7], s[0:1], 0x28
	s_waitcnt lgkmcnt(0)
	s_bitcmp1_b32 s13, 8
	s_cselect_b32 s12, -1, 0
	s_ashr_i32 s9, s15, 31
	s_delay_alu instid0(SALU_CYCLE_1) | instskip(NEXT) | instid1(SALU_CYCLE_1)
	s_lshl_b64 s[10:11], s[8:9], 3
	s_add_u32 s2, s2, s10
	s_addc_u32 s3, s3, s11
	s_load_b64 s[10:11], s[2:3], 0x0
	s_bfe_u32 s2, s13, 0x10008
	s_delay_alu instid0(SALU_CYCLE_1)
	s_cmp_eq_u32 s2, 0
                                        ; implicit-def: $sgpr2_sgpr3
	s_cbranch_scc1 .LBB88_3
; %bb.2:
	s_clause 0x1
	s_load_b32 s2, s[0:1], 0x20
	s_load_b64 s[14:15], s[0:1], 0x18
	s_mul_i32 s3, s8, s5
	s_mul_hi_u32 s5, s8, s4
	s_mul_i32 s16, s9, s4
	s_add_i32 s3, s5, s3
	s_mul_i32 s4, s8, s4
	s_add_i32 s5, s3, s16
	s_delay_alu instid0(SALU_CYCLE_1)
	s_lshl_b64 s[4:5], s[4:5], 2
	s_waitcnt lgkmcnt(0)
	s_ashr_i32 s3, s2, 31
	s_add_u32 s4, s14, s4
	s_addc_u32 s5, s15, s5
	s_lshl_b64 s[2:3], s[2:3], 2
	s_delay_alu instid0(SALU_CYCLE_1)
	s_add_u32 s2, s4, s2
	s_addc_u32 s3, s5, s3
.LBB88_3:
	s_load_b64 s[0:1], s[0:1], 0x8
	v_lshlrev_b32_e32 v3, 3, v0
	s_waitcnt lgkmcnt(0)
	v_add3_u32 v1, s1, s1, v0
	s_ashr_i32 s5, s0, 31
	s_mov_b32 s4, s0
	s_mov_b32 s14, s1
	s_lshl_b64 s[4:5], s[4:5], 3
	v_add_nc_u32_e32 v6, s1, v1
	v_ashrrev_i32_e32 v2, 31, v1
	s_add_u32 s4, s10, s4
	s_addc_u32 s5, s11, s5
	v_add_co_u32 v4, s0, s4, v3
	v_add_nc_u32_e32 v10, s1, v6
	s_ashr_i32 s15, s1, 31
	v_add_co_ci_u32_e64 v5, null, s5, 0, s0
	v_lshlrev_b64 v[1:2], 3, v[1:2]
	v_ashrrev_i32_e32 v7, 31, v6
	s_lshl_b64 s[10:11], s[14:15], 3
	v_add_nc_u32_e32 v16, s1, v10
	v_add_co_u32 v8, vcc_lo, v4, s10
	v_ashrrev_i32_e32 v11, 31, v10
	v_add_co_ci_u32_e32 v9, vcc_lo, s11, v5, vcc_lo
	v_lshlrev_b64 v[6:7], 3, v[6:7]
	v_add_co_u32 v14, vcc_lo, s4, v1
	v_ashrrev_i32_e32 v17, 31, v16
	v_add_co_ci_u32_e32 v15, vcc_lo, s5, v2, vcc_lo
	v_lshlrev_b64 v[1:2], 3, v[10:11]
	v_add_co_u32 v6, vcc_lo, s4, v6
	s_delay_alu instid0(VALU_DEP_4) | instskip(SKIP_1) | instid1(VALU_DEP_4)
	v_lshlrev_b64 v[12:13], 3, v[16:17]
	v_add_co_ci_u32_e32 v7, vcc_lo, s5, v7, vcc_lo
	v_add_co_u32 v10, vcc_lo, s4, v1
	v_add_co_ci_u32_e32 v11, vcc_lo, s5, v2, vcc_lo
	s_delay_alu instid0(VALU_DEP_4)
	v_add_co_u32 v12, vcc_lo, s4, v12
	s_clause 0x1
	global_load_b64 v[54:55], v3, s[4:5]
	global_load_b64 v[56:57], v[8:9], off
	v_add_co_ci_u32_e32 v13, vcc_lo, s5, v13, vcc_lo
	s_clause 0x3
	global_load_b64 v[58:59], v[14:15], off
	global_load_b64 v[60:61], v[6:7], off
	;; [unrolled: 1-line block ×4, first 2 shown]
	v_add_nc_u32_e32 v1, s1, v16
	s_bitcmp0_b32 s13, 0
	s_delay_alu instid0(VALU_DEP_1) | instskip(SKIP_1) | instid1(VALU_DEP_2)
	v_add_nc_u32_e32 v16, s1, v1
	v_ashrrev_i32_e32 v2, 31, v1
	v_add_nc_u32_e32 v18, s1, v16
	v_ashrrev_i32_e32 v17, 31, v16
	s_delay_alu instid0(VALU_DEP_3) | instskip(NEXT) | instid1(VALU_DEP_3)
	v_lshlrev_b64 v[1:2], 3, v[1:2]
	v_add_nc_u32_e32 v22, s1, v18
	v_ashrrev_i32_e32 v19, 31, v18
	s_delay_alu instid0(VALU_DEP_4) | instskip(NEXT) | instid1(VALU_DEP_4)
	v_lshlrev_b64 v[20:21], 3, v[16:17]
	v_add_co_u32 v16, vcc_lo, s4, v1
	s_delay_alu instid0(VALU_DEP_4) | instskip(SKIP_3) | instid1(VALU_DEP_4)
	v_add_nc_u32_e32 v24, s1, v22
	v_add_co_ci_u32_e32 v17, vcc_lo, s5, v2, vcc_lo
	v_lshlrev_b64 v[1:2], 3, v[18:19]
	v_ashrrev_i32_e32 v23, 31, v22
	v_add_nc_u32_e32 v26, s1, v24
	v_add_co_u32 v18, vcc_lo, s4, v20
	v_ashrrev_i32_e32 v25, 31, v24
	v_add_co_ci_u32_e32 v19, vcc_lo, s5, v21, vcc_lo
	s_delay_alu instid0(VALU_DEP_4) | instskip(SKIP_3) | instid1(VALU_DEP_4)
	v_add_nc_u32_e32 v28, s1, v26
	v_lshlrev_b64 v[22:23], 3, v[22:23]
	v_add_co_u32 v20, vcc_lo, s4, v1
	v_add_co_ci_u32_e32 v21, vcc_lo, s5, v2, vcc_lo
	v_add_nc_u32_e32 v30, s1, v28
	v_lshlrev_b64 v[1:2], 3, v[24:25]
	v_ashrrev_i32_e32 v27, 31, v26
	v_add_co_u32 v22, vcc_lo, s4, v22
	s_delay_alu instid0(VALU_DEP_4) | instskip(SKIP_3) | instid1(VALU_DEP_4)
	v_add_nc_u32_e32 v32, s1, v30
	v_ashrrev_i32_e32 v29, 31, v28
	v_add_co_ci_u32_e32 v23, vcc_lo, s5, v23, vcc_lo
	v_lshlrev_b64 v[26:27], 3, v[26:27]
	v_add_nc_u32_e32 v34, s1, v32
	v_add_co_u32 v24, vcc_lo, s4, v1
	v_add_co_ci_u32_e32 v25, vcc_lo, s5, v2, vcc_lo
	s_delay_alu instid0(VALU_DEP_3)
	v_add_nc_u32_e32 v36, s1, v34
	v_lshlrev_b64 v[1:2], 3, v[28:29]
	v_ashrrev_i32_e32 v31, 31, v30
	v_add_co_u32 v26, vcc_lo, s4, v26
	v_ashrrev_i32_e32 v33, 31, v32
	v_add_nc_u32_e32 v38, s1, v36
	v_add_co_ci_u32_e32 v27, vcc_lo, s5, v27, vcc_lo
	v_lshlrev_b64 v[30:31], 3, v[30:31]
	v_add_co_u32 v28, vcc_lo, s4, v1
	v_add_co_ci_u32_e32 v29, vcc_lo, s5, v2, vcc_lo
	v_lshlrev_b64 v[1:2], 3, v[32:33]
	v_ashrrev_i32_e32 v35, 31, v34
	v_add_nc_u32_e32 v40, s1, v38
	v_add_co_u32 v30, vcc_lo, s4, v30
	v_ashrrev_i32_e32 v37, 31, v36
	v_add_co_ci_u32_e32 v31, vcc_lo, s5, v31, vcc_lo
	v_lshlrev_b64 v[34:35], 3, v[34:35]
	v_add_nc_u32_e32 v42, s1, v40
	v_add_co_u32 v32, vcc_lo, s4, v1
	v_add_co_ci_u32_e32 v33, vcc_lo, s5, v2, vcc_lo
	v_lshlrev_b64 v[1:2], 3, v[36:37]
	v_ashrrev_i32_e32 v39, 31, v38
	v_add_nc_u32_e32 v44, s1, v42
	v_add_co_u32 v34, vcc_lo, s4, v34
	v_ashrrev_i32_e32 v41, 31, v40
	v_add_co_ci_u32_e32 v35, vcc_lo, s5, v35, vcc_lo
	v_lshlrev_b64 v[38:39], 3, v[38:39]
	v_add_co_u32 v36, vcc_lo, s4, v1
	v_add_nc_u32_e32 v46, s1, v44
	v_add_co_ci_u32_e32 v37, vcc_lo, s5, v2, vcc_lo
	v_lshlrev_b64 v[1:2], 3, v[40:41]
	v_ashrrev_i32_e32 v43, 31, v42
	v_add_co_u32 v38, vcc_lo, s4, v38
	v_ashrrev_i32_e32 v45, 31, v44
	v_add_nc_u32_e32 v48, s1, v46
	v_add_co_ci_u32_e32 v39, vcc_lo, s5, v39, vcc_lo
	v_lshlrev_b64 v[42:43], 3, v[42:43]
	v_add_co_u32 v40, vcc_lo, s4, v1
	v_add_co_ci_u32_e32 v41, vcc_lo, s5, v2, vcc_lo
	v_lshlrev_b64 v[1:2], 3, v[44:45]
	v_ashrrev_i32_e32 v47, 31, v46
	v_add_nc_u32_e32 v50, s1, v48
	v_add_co_u32 v42, vcc_lo, s4, v42
	v_ashrrev_i32_e32 v49, 31, v48
	v_add_co_ci_u32_e32 v43, vcc_lo, s5, v43, vcc_lo
	v_lshlrev_b64 v[46:47], 3, v[46:47]
	v_add_co_u32 v44, vcc_lo, s4, v1
	v_add_nc_u32_e32 v88, s1, v50
	v_add_co_ci_u32_e32 v45, vcc_lo, s5, v2, vcc_lo
	v_lshlrev_b64 v[1:2], 3, v[48:49]
	v_ashrrev_i32_e32 v51, 31, v50
	v_add_co_u32 v48, vcc_lo, s4, v46
	v_ashrrev_i32_e32 v89, 31, v88
	v_add_co_ci_u32_e32 v49, vcc_lo, s5, v47, vcc_lo
	s_delay_alu instid0(VALU_DEP_4) | instskip(SKIP_3) | instid1(VALU_DEP_4)
	v_lshlrev_b64 v[46:47], 3, v[50:51]
	v_add_co_u32 v52, vcc_lo, s4, v1
	v_add_co_ci_u32_e32 v53, vcc_lo, s5, v2, vcc_lo
	v_lshlrev_b64 v[1:2], 3, v[88:89]
	v_add_co_u32 v46, vcc_lo, s4, v46
	v_add_co_ci_u32_e32 v47, vcc_lo, s5, v47, vcc_lo
	s_clause 0x2
	global_load_b64 v[66:67], v[16:17], off
	global_load_b64 v[68:69], v[18:19], off
	;; [unrolled: 1-line block ×3, first 2 shown]
	v_add_co_u32 v50, vcc_lo, s4, v1
	v_add_co_ci_u32_e32 v51, vcc_lo, s5, v2, vcc_lo
	s_clause 0x7
	global_load_b64 v[72:73], v[22:23], off
	global_load_b64 v[74:75], v[24:25], off
	;; [unrolled: 1-line block ×8, first 2 shown]
	s_mov_b32 s1, -1
	s_waitcnt vmcnt(15)
	scratch_store_b128 off, v[54:57], off
	s_clause 0x3
	global_load_b64 v[88:89], v[38:39], off
	global_load_b64 v[54:55], v[40:41], off
	;; [unrolled: 1-line block ×4, first 2 shown]
	s_waitcnt vmcnt(17)
	scratch_store_b128 off, v[58:61], off offset:16
	s_clause 0x3
	global_load_b64 v[92:93], v[48:49], off
	global_load_b64 v[58:59], v[52:53], off
	;; [unrolled: 1-line block ×4, first 2 shown]
	s_waitcnt vmcnt(19)
	scratch_store_b128 off, v[62:65], off offset:32
	s_waitcnt vmcnt(17)
	scratch_store_b128 off, v[66:69], off offset:48
	;; [unrolled: 2-line block ×10, first 2 shown]
	s_waitcnt vmcnt(0)
	scratch_store_b64 off, v[1:2], off offset:192
	s_cbranch_scc1 .LBB88_108
; %bb.4:
	v_cmp_eq_u32_e64 s0, 0, v0
	s_delay_alu instid0(VALU_DEP_1)
	s_and_saveexec_b32 s1, s0
	s_cbranch_execz .LBB88_6
; %bb.5:
	v_mov_b32_e32 v1, 0
	ds_store_b32 v1, v1 offset:200
.LBB88_6:
	s_or_b32 exec_lo, exec_lo, s1
	s_waitcnt lgkmcnt(0)
	s_waitcnt_vscnt null, 0x0
	s_barrier
	buffer_gl0_inv
	scratch_load_b64 v[1:2], v3, off
	s_mov_b32 s4, exec_lo
	s_waitcnt vmcnt(0)
	v_cmpx_eq_f64_e32 0, v[1:2]
	s_cbranch_execz .LBB88_10
; %bb.7:
	v_mov_b32_e32 v1, 0
	s_mov_b32 s5, 0
	ds_load_b32 v2, v1 offset:200
	s_waitcnt lgkmcnt(0)
	v_readfirstlane_b32 s1, v2
	v_add_nc_u32_e32 v2, 1, v0
	s_delay_alu instid0(VALU_DEP_2) | instskip(NEXT) | instid1(VALU_DEP_1)
	s_cmp_eq_u32 s1, 0
	v_cmp_gt_i32_e32 vcc_lo, s1, v2
	s_cselect_b32 s10, -1, 0
	s_delay_alu instid0(SALU_CYCLE_1) | instskip(NEXT) | instid1(SALU_CYCLE_1)
	s_or_b32 s10, s10, vcc_lo
	s_and_b32 exec_lo, exec_lo, s10
	s_cbranch_execz .LBB88_10
; %bb.8:
	v_mov_b32_e32 v54, s1
.LBB88_9:                               ; =>This Inner Loop Header: Depth=1
	ds_cmpstore_rtn_b32 v54, v1, v2, v54 offset:200
	s_waitcnt lgkmcnt(0)
	v_cmp_ne_u32_e32 vcc_lo, 0, v54
	v_cmp_le_i32_e64 s1, v54, v2
	s_delay_alu instid0(VALU_DEP_1) | instskip(NEXT) | instid1(SALU_CYCLE_1)
	s_and_b32 s1, vcc_lo, s1
	s_and_b32 s1, exec_lo, s1
	s_delay_alu instid0(SALU_CYCLE_1) | instskip(NEXT) | instid1(SALU_CYCLE_1)
	s_or_b32 s5, s1, s5
	s_and_not1_b32 exec_lo, exec_lo, s5
	s_cbranch_execnz .LBB88_9
.LBB88_10:
	s_or_b32 exec_lo, exec_lo, s4
	v_mov_b32_e32 v1, 0
	s_barrier
	buffer_gl0_inv
	ds_load_b32 v2, v1 offset:200
	s_and_saveexec_b32 s1, s0
	s_cbranch_execz .LBB88_12
; %bb.11:
	s_lshl_b64 s[4:5], s[8:9], 2
	s_delay_alu instid0(SALU_CYCLE_1)
	s_add_u32 s4, s6, s4
	s_addc_u32 s5, s7, s5
	s_waitcnt lgkmcnt(0)
	global_store_b32 v1, v2, s[4:5]
.LBB88_12:
	s_or_b32 exec_lo, exec_lo, s1
	s_waitcnt lgkmcnt(0)
	v_cmp_ne_u32_e32 vcc_lo, 0, v2
	s_mov_b32 s1, 0
	s_cbranch_vccnz .LBB88_108
; %bb.13:
	v_add_nc_u32_e32 v54, 0, v3
	scratch_load_b64 v[1:2], v54, off
	s_waitcnt vmcnt(0)
	v_div_scale_f64 v[55:56], null, v[1:2], v[1:2], 1.0
	v_div_scale_f64 v[61:62], vcc_lo, 1.0, v[1:2], 1.0
	s_delay_alu instid0(VALU_DEP_2) | instskip(SKIP_2) | instid1(VALU_DEP_1)
	v_rcp_f64_e32 v[57:58], v[55:56]
	s_waitcnt_depctr 0xfff
	v_fma_f64 v[59:60], -v[55:56], v[57:58], 1.0
	v_fma_f64 v[57:58], v[57:58], v[59:60], v[57:58]
	s_delay_alu instid0(VALU_DEP_1) | instskip(NEXT) | instid1(VALU_DEP_1)
	v_fma_f64 v[59:60], -v[55:56], v[57:58], 1.0
	v_fma_f64 v[57:58], v[57:58], v[59:60], v[57:58]
	s_delay_alu instid0(VALU_DEP_1) | instskip(NEXT) | instid1(VALU_DEP_1)
	v_mul_f64 v[59:60], v[61:62], v[57:58]
	v_fma_f64 v[55:56], -v[55:56], v[59:60], v[61:62]
	s_delay_alu instid0(VALU_DEP_1) | instskip(NEXT) | instid1(VALU_DEP_1)
	v_div_fmas_f64 v[55:56], v[55:56], v[57:58], v[59:60]
	v_div_fixup_f64 v[1:2], v[55:56], v[1:2], 1.0
	v_add_nc_u32_e32 v55, 0xd0, v3
	scratch_store_b64 v54, v[1:2], off
	scratch_load_b64 v[56:57], off, off offset:8
	v_xor_b32_e32 v2, 0x80000000, v2
	s_waitcnt vmcnt(0)
	ds_store_2addr_b64 v3, v[1:2], v[56:57] offset1:26
	s_waitcnt lgkmcnt(0)
	s_waitcnt_vscnt null, 0x0
	s_barrier
	buffer_gl0_inv
	s_and_saveexec_b32 s1, s0
	s_cbranch_execz .LBB88_15
; %bb.14:
	scratch_load_b64 v[1:2], v54, off
	ds_load_b64 v[56:57], v55
	s_waitcnt vmcnt(0) lgkmcnt(0)
	v_fma_f64 v[1:2], v[1:2], v[56:57], 0
	v_mov_b32_e32 v56, 0
	ds_load_b64 v[56:57], v56 offset:8
	s_waitcnt lgkmcnt(0)
	v_mul_f64 v[1:2], v[1:2], v[56:57]
	scratch_store_b64 off, v[1:2], off offset:8
.LBB88_15:
	s_or_b32 exec_lo, exec_lo, s1
	s_waitcnt_vscnt null, 0x0
	s_barrier
	buffer_gl0_inv
	scratch_load_b64 v[1:2], off, off offset:16
	s_mov_b32 s1, exec_lo
	s_waitcnt vmcnt(0)
	ds_store_b64 v55, v[1:2]
	s_waitcnt lgkmcnt(0)
	s_barrier
	buffer_gl0_inv
	v_cmpx_gt_u32_e32 2, v0
	s_cbranch_execz .LBB88_19
; %bb.16:
	scratch_load_b64 v[1:2], v54, off
	ds_load_b64 v[56:57], v55
	s_waitcnt vmcnt(0) lgkmcnt(0)
	v_fma_f64 v[1:2], v[1:2], v[56:57], 0
	s_and_saveexec_b32 s4, s0
	s_cbranch_execz .LBB88_18
; %bb.17:
	scratch_load_b64 v[56:57], off, off offset:8
	v_mov_b32_e32 v58, 0
	ds_load_b64 v[58:59], v58 offset:216
	s_waitcnt vmcnt(0) lgkmcnt(0)
	v_fma_f64 v[1:2], v[56:57], v[58:59], v[1:2]
.LBB88_18:
	s_or_b32 exec_lo, exec_lo, s4
	v_mov_b32_e32 v56, 0
	ds_load_b64 v[56:57], v56 offset:16
	s_waitcnt lgkmcnt(0)
	v_mul_f64 v[1:2], v[1:2], v[56:57]
	scratch_store_b64 off, v[1:2], off offset:16
.LBB88_19:
	s_or_b32 exec_lo, exec_lo, s1
	s_waitcnt_vscnt null, 0x0
	s_barrier
	buffer_gl0_inv
	scratch_load_b64 v[1:2], off, off offset:24
	v_add_nc_u32_e32 v56, -1, v0
	s_mov_b32 s0, exec_lo
	s_waitcnt vmcnt(0)
	ds_store_b64 v55, v[1:2]
	s_waitcnt lgkmcnt(0)
	s_barrier
	buffer_gl0_inv
	v_cmpx_gt_u32_e32 3, v0
	s_cbranch_execz .LBB88_23
; %bb.20:
	v_dual_mov_b32 v1, 0 :: v_dual_add_nc_u32 v58, 0xd0, v3
	v_dual_mov_b32 v2, 0 :: v_dual_add_nc_u32 v57, -1, v0
	v_add_nc_u32_e32 v59, 0, v3
	s_mov_b32 s1, 0
.LBB88_21:                              ; =>This Inner Loop Header: Depth=1
	scratch_load_b64 v[60:61], v59, off
	ds_load_b64 v[62:63], v58
	v_add_nc_u32_e32 v57, 1, v57
	v_add_nc_u32_e32 v58, 8, v58
	v_add_nc_u32_e32 v59, 8, v59
	s_delay_alu instid0(VALU_DEP_3)
	v_cmp_lt_u32_e32 vcc_lo, 1, v57
	s_or_b32 s1, vcc_lo, s1
	s_waitcnt vmcnt(0) lgkmcnt(0)
	v_fma_f64 v[1:2], v[60:61], v[62:63], v[1:2]
	s_and_not1_b32 exec_lo, exec_lo, s1
	s_cbranch_execnz .LBB88_21
; %bb.22:
	s_or_b32 exec_lo, exec_lo, s1
	v_mov_b32_e32 v57, 0
	ds_load_b64 v[57:58], v57 offset:24
	s_waitcnt lgkmcnt(0)
	v_mul_f64 v[1:2], v[1:2], v[57:58]
	scratch_store_b64 off, v[1:2], off offset:24
.LBB88_23:
	s_or_b32 exec_lo, exec_lo, s0
	s_waitcnt_vscnt null, 0x0
	s_barrier
	buffer_gl0_inv
	scratch_load_b64 v[1:2], off, off offset:32
	s_mov_b32 s0, exec_lo
	s_waitcnt vmcnt(0)
	ds_store_b64 v55, v[1:2]
	s_waitcnt lgkmcnt(0)
	s_barrier
	buffer_gl0_inv
	v_cmpx_gt_u32_e32 4, v0
	s_cbranch_execz .LBB88_27
; %bb.24:
	v_dual_mov_b32 v1, 0 :: v_dual_add_nc_u32 v58, 0xd0, v3
	v_dual_mov_b32 v2, 0 :: v_dual_add_nc_u32 v57, -1, v0
	v_add_nc_u32_e32 v59, 0, v3
	s_mov_b32 s1, 0
.LBB88_25:                              ; =>This Inner Loop Header: Depth=1
	scratch_load_b64 v[60:61], v59, off
	ds_load_b64 v[62:63], v58
	v_add_nc_u32_e32 v57, 1, v57
	v_add_nc_u32_e32 v58, 8, v58
	v_add_nc_u32_e32 v59, 8, v59
	s_delay_alu instid0(VALU_DEP_3)
	v_cmp_lt_u32_e32 vcc_lo, 2, v57
	s_or_b32 s1, vcc_lo, s1
	s_waitcnt vmcnt(0) lgkmcnt(0)
	v_fma_f64 v[1:2], v[60:61], v[62:63], v[1:2]
	s_and_not1_b32 exec_lo, exec_lo, s1
	s_cbranch_execnz .LBB88_25
; %bb.26:
	s_or_b32 exec_lo, exec_lo, s1
	v_mov_b32_e32 v57, 0
	ds_load_b64 v[57:58], v57 offset:32
	s_waitcnt lgkmcnt(0)
	v_mul_f64 v[1:2], v[1:2], v[57:58]
	scratch_store_b64 off, v[1:2], off offset:32
.LBB88_27:
	s_or_b32 exec_lo, exec_lo, s0
	s_waitcnt_vscnt null, 0x0
	s_barrier
	buffer_gl0_inv
	scratch_load_b64 v[1:2], off, off offset:40
	;; [unrolled: 39-line block ×20, first 2 shown]
	s_mov_b32 s0, exec_lo
	s_waitcnt vmcnt(0)
	ds_store_b64 v55, v[1:2]
	s_waitcnt lgkmcnt(0)
	s_barrier
	buffer_gl0_inv
	v_cmpx_gt_u32_e32 23, v0
	s_cbranch_execz .LBB88_103
; %bb.100:
	v_dual_mov_b32 v1, 0 :: v_dual_add_nc_u32 v58, 0xd0, v3
	v_dual_mov_b32 v2, 0 :: v_dual_add_nc_u32 v57, -1, v0
	v_add_nc_u32_e32 v3, 0, v3
	s_mov_b32 s1, 0
.LBB88_101:                             ; =>This Inner Loop Header: Depth=1
	scratch_load_b64 v[59:60], v3, off
	ds_load_b64 v[61:62], v58
	v_add_nc_u32_e32 v57, 1, v57
	v_add_nc_u32_e32 v58, 8, v58
	;; [unrolled: 1-line block ×3, first 2 shown]
	s_delay_alu instid0(VALU_DEP_3)
	v_cmp_lt_u32_e32 vcc_lo, 21, v57
	s_or_b32 s1, vcc_lo, s1
	s_waitcnt vmcnt(0) lgkmcnt(0)
	v_fma_f64 v[1:2], v[59:60], v[61:62], v[1:2]
	s_and_not1_b32 exec_lo, exec_lo, s1
	s_cbranch_execnz .LBB88_101
; %bb.102:
	s_or_b32 exec_lo, exec_lo, s1
	v_mov_b32_e32 v3, 0
	ds_load_b64 v[57:58], v3 offset:184
	s_waitcnt lgkmcnt(0)
	v_mul_f64 v[1:2], v[1:2], v[57:58]
	scratch_store_b64 off, v[1:2], off offset:184
.LBB88_103:
	s_or_b32 exec_lo, exec_lo, s0
	s_waitcnt_vscnt null, 0x0
	s_barrier
	buffer_gl0_inv
	scratch_load_b64 v[1:2], off, off offset:192
	s_mov_b32 s0, exec_lo
	s_waitcnt vmcnt(0)
	ds_store_b64 v55, v[1:2]
	s_waitcnt lgkmcnt(0)
	s_barrier
	buffer_gl0_inv
	v_cmpx_ne_u32_e32 24, v0
	s_cbranch_execz .LBB88_107
; %bb.104:
	v_mov_b32_e32 v1, 0
	v_mov_b32_e32 v2, 0
	s_mov_b32 s1, 0
.LBB88_105:                             ; =>This Inner Loop Header: Depth=1
	scratch_load_b64 v[57:58], v54, off
	ds_load_b64 v[59:60], v55
	v_add_nc_u32_e32 v56, 1, v56
	v_add_nc_u32_e32 v55, 8, v55
	;; [unrolled: 1-line block ×3, first 2 shown]
	s_delay_alu instid0(VALU_DEP_3)
	v_cmp_lt_u32_e32 vcc_lo, 22, v56
	s_or_b32 s1, vcc_lo, s1
	s_waitcnt vmcnt(0) lgkmcnt(0)
	v_fma_f64 v[1:2], v[57:58], v[59:60], v[1:2]
	s_and_not1_b32 exec_lo, exec_lo, s1
	s_cbranch_execnz .LBB88_105
; %bb.106:
	s_or_b32 exec_lo, exec_lo, s1
	v_mov_b32_e32 v3, 0
	ds_load_b64 v[54:55], v3 offset:192
	s_waitcnt lgkmcnt(0)
	v_mul_f64 v[1:2], v[1:2], v[54:55]
	scratch_store_b64 off, v[1:2], off offset:192
.LBB88_107:
	s_or_b32 exec_lo, exec_lo, s0
	s_mov_b32 s1, -1
	s_waitcnt_vscnt null, 0x0
	s_barrier
	buffer_gl0_inv
.LBB88_108:
	s_and_b32 vcc_lo, exec_lo, s1
	s_cbranch_vccz .LBB88_110
; %bb.109:
	s_lshl_b64 s[0:1], s[8:9], 2
	v_mov_b32_e32 v1, 0
	s_add_u32 s0, s6, s0
	s_addc_u32 s1, s7, s1
	global_load_b32 v1, v1, s[0:1]
	s_waitcnt vmcnt(0)
	v_cmp_ne_u32_e32 vcc_lo, 0, v1
	s_cbranch_vccz .LBB88_111
.LBB88_110:
	s_endpgm
.LBB88_111:
	v_lshl_add_u32 v3, v0, 3, 0xd0
	s_mov_b32 s0, exec_lo
	v_cmpx_eq_u32_e32 24, v0
	s_cbranch_execz .LBB88_113
; %bb.112:
	scratch_load_b64 v[1:2], off, off offset:184
	v_mov_b32_e32 v54, 0
	s_delay_alu instid0(VALU_DEP_1)
	v_mov_b32_e32 v55, v54
	scratch_store_b64 off, v[54:55], off offset:184
	s_waitcnt vmcnt(0)
	ds_store_b64 v3, v[1:2]
.LBB88_113:
	s_or_b32 exec_lo, exec_lo, s0
	s_waitcnt lgkmcnt(0)
	s_waitcnt_vscnt null, 0x0
	s_barrier
	buffer_gl0_inv
	scratch_load_b128 v[54:57], off, off offset:184
	v_mov_b32_e32 v1, 0
	s_mov_b32 s0, exec_lo
	ds_load_b64 v[58:59], v1 offset:400
	s_waitcnt vmcnt(0) lgkmcnt(0)
	v_fma_f64 v[56:57], v[56:57], v[58:59], 0
	s_delay_alu instid0(VALU_DEP_1)
	v_add_f64 v[54:55], v[54:55], -v[56:57]
	scratch_store_b64 off, v[54:55], off offset:184
	v_cmpx_lt_u32_e32 22, v0
	s_cbranch_execz .LBB88_115
; %bb.114:
	scratch_load_b64 v[54:55], off, off offset:176
	v_mov_b32_e32 v2, v1
	scratch_store_b64 off, v[1:2], off offset:176
	s_waitcnt vmcnt(0)
	ds_store_b64 v3, v[54:55]
.LBB88_115:
	s_or_b32 exec_lo, exec_lo, s0
	s_waitcnt lgkmcnt(0)
	s_waitcnt_vscnt null, 0x0
	s_barrier
	buffer_gl0_inv
	s_clause 0x1
	scratch_load_b128 v[54:57], off, off offset:176
	scratch_load_b64 v[62:63], off, off offset:192
	ds_load_2addr_b64 v[58:61], v1 offset0:49 offset1:50
	s_mov_b32 s0, exec_lo
	s_waitcnt vmcnt(1) lgkmcnt(0)
	v_fma_f64 v[1:2], v[56:57], v[58:59], 0
	s_waitcnt vmcnt(0)
	s_delay_alu instid0(VALU_DEP_1) | instskip(NEXT) | instid1(VALU_DEP_1)
	v_fma_f64 v[1:2], v[62:63], v[60:61], v[1:2]
	v_add_f64 v[1:2], v[54:55], -v[1:2]
	scratch_store_b64 off, v[1:2], off offset:176
	v_cmpx_lt_u32_e32 21, v0
	s_cbranch_execz .LBB88_117
; %bb.116:
	scratch_load_b64 v[1:2], off, off offset:168
	v_mov_b32_e32 v54, 0
	s_delay_alu instid0(VALU_DEP_1)
	v_mov_b32_e32 v55, v54
	scratch_store_b64 off, v[54:55], off offset:168
	s_waitcnt vmcnt(0)
	ds_store_b64 v3, v[1:2]
.LBB88_117:
	s_or_b32 exec_lo, exec_lo, s0
	s_waitcnt lgkmcnt(0)
	s_waitcnt_vscnt null, 0x0
	s_barrier
	buffer_gl0_inv
	s_clause 0x1
	scratch_load_b128 v[54:57], off, off offset:168
	scratch_load_b128 v[58:61], off, off offset:184
	v_mov_b32_e32 v1, 0
	ds_load_b128 v[62:65], v1 offset:384
	ds_load_b64 v[66:67], v1 offset:400
	s_mov_b32 s0, exec_lo
	s_waitcnt vmcnt(1) lgkmcnt(1)
	v_fma_f64 v[56:57], v[56:57], v[62:63], 0
	s_waitcnt vmcnt(0)
	s_delay_alu instid0(VALU_DEP_1) | instskip(SKIP_1) | instid1(VALU_DEP_1)
	v_fma_f64 v[56:57], v[58:59], v[64:65], v[56:57]
	s_waitcnt lgkmcnt(0)
	v_fma_f64 v[56:57], v[60:61], v[66:67], v[56:57]
	s_delay_alu instid0(VALU_DEP_1)
	v_add_f64 v[54:55], v[54:55], -v[56:57]
	scratch_store_b64 off, v[54:55], off offset:168
	v_cmpx_lt_u32_e32 20, v0
	s_cbranch_execz .LBB88_119
; %bb.118:
	scratch_load_b64 v[54:55], off, off offset:160
	v_mov_b32_e32 v2, v1
	scratch_store_b64 off, v[1:2], off offset:160
	s_waitcnt vmcnt(0)
	ds_store_b64 v3, v[54:55]
.LBB88_119:
	s_or_b32 exec_lo, exec_lo, s0
	s_waitcnt lgkmcnt(0)
	s_waitcnt_vscnt null, 0x0
	s_barrier
	buffer_gl0_inv
	s_clause 0x2
	scratch_load_b128 v[54:57], off, off offset:160
	scratch_load_b128 v[58:61], off, off offset:176
	scratch_load_b64 v[70:71], off, off offset:192
	ds_load_2addr_b64 v[62:65], v1 offset0:47 offset1:48
	ds_load_2addr_b64 v[66:69], v1 offset0:49 offset1:50
	s_mov_b32 s0, exec_lo
	s_waitcnt vmcnt(2) lgkmcnt(1)
	v_fma_f64 v[1:2], v[56:57], v[62:63], 0
	s_waitcnt vmcnt(1)
	s_delay_alu instid0(VALU_DEP_1) | instskip(SKIP_1) | instid1(VALU_DEP_1)
	v_fma_f64 v[1:2], v[58:59], v[64:65], v[1:2]
	s_waitcnt lgkmcnt(0)
	v_fma_f64 v[1:2], v[60:61], v[66:67], v[1:2]
	s_waitcnt vmcnt(0)
	s_delay_alu instid0(VALU_DEP_1) | instskip(NEXT) | instid1(VALU_DEP_1)
	v_fma_f64 v[1:2], v[70:71], v[68:69], v[1:2]
	v_add_f64 v[1:2], v[54:55], -v[1:2]
	scratch_store_b64 off, v[1:2], off offset:160
	v_cmpx_lt_u32_e32 19, v0
	s_cbranch_execz .LBB88_121
; %bb.120:
	scratch_load_b64 v[1:2], off, off offset:152
	v_mov_b32_e32 v54, 0
	s_delay_alu instid0(VALU_DEP_1)
	v_mov_b32_e32 v55, v54
	scratch_store_b64 off, v[54:55], off offset:152
	s_waitcnt vmcnt(0)
	ds_store_b64 v3, v[1:2]
.LBB88_121:
	s_or_b32 exec_lo, exec_lo, s0
	s_waitcnt lgkmcnt(0)
	s_waitcnt_vscnt null, 0x0
	s_barrier
	buffer_gl0_inv
	s_clause 0x2
	scratch_load_b128 v[54:57], off, off offset:152
	scratch_load_b128 v[58:61], off, off offset:168
	;; [unrolled: 1-line block ×3, first 2 shown]
	v_mov_b32_e32 v1, 0
	ds_load_b128 v[66:69], v1 offset:368
	ds_load_b128 v[70:73], v1 offset:384
	s_mov_b32 s0, exec_lo
	s_waitcnt vmcnt(2) lgkmcnt(1)
	v_fma_f64 v[56:57], v[56:57], v[66:67], 0
	s_waitcnt vmcnt(1)
	s_delay_alu instid0(VALU_DEP_1) | instskip(SKIP_4) | instid1(VALU_DEP_1)
	v_fma_f64 v[56:57], v[58:59], v[68:69], v[56:57]
	ds_load_b64 v[58:59], v1 offset:400
	s_waitcnt lgkmcnt(1)
	v_fma_f64 v[56:57], v[60:61], v[70:71], v[56:57]
	s_waitcnt vmcnt(0)
	v_fma_f64 v[56:57], v[62:63], v[72:73], v[56:57]
	s_waitcnt lgkmcnt(0)
	s_delay_alu instid0(VALU_DEP_1) | instskip(NEXT) | instid1(VALU_DEP_1)
	v_fma_f64 v[56:57], v[64:65], v[58:59], v[56:57]
	v_add_f64 v[54:55], v[54:55], -v[56:57]
	scratch_store_b64 off, v[54:55], off offset:152
	v_cmpx_lt_u32_e32 18, v0
	s_cbranch_execz .LBB88_123
; %bb.122:
	scratch_load_b64 v[54:55], off, off offset:144
	v_mov_b32_e32 v2, v1
	scratch_store_b64 off, v[1:2], off offset:144
	s_waitcnt vmcnt(0)
	ds_store_b64 v3, v[54:55]
.LBB88_123:
	s_or_b32 exec_lo, exec_lo, s0
	s_waitcnt lgkmcnt(0)
	s_waitcnt_vscnt null, 0x0
	s_barrier
	buffer_gl0_inv
	s_clause 0x3
	scratch_load_b128 v[54:57], off, off offset:144
	scratch_load_b128 v[58:61], off, off offset:160
	;; [unrolled: 1-line block ×3, first 2 shown]
	scratch_load_b64 v[74:75], off, off offset:192
	ds_load_2addr_b64 v[66:69], v1 offset0:45 offset1:46
	ds_load_2addr_b64 v[70:73], v1 offset0:47 offset1:48
	s_mov_b32 s0, exec_lo
	s_waitcnt vmcnt(3) lgkmcnt(1)
	v_fma_f64 v[56:57], v[56:57], v[66:67], 0
	s_waitcnt vmcnt(2)
	s_delay_alu instid0(VALU_DEP_1) | instskip(SKIP_1) | instid1(VALU_DEP_1)
	v_fma_f64 v[56:57], v[58:59], v[68:69], v[56:57]
	s_waitcnt lgkmcnt(0)
	v_fma_f64 v[56:57], v[60:61], v[70:71], v[56:57]
	s_waitcnt vmcnt(1)
	s_delay_alu instid0(VALU_DEP_1) | instskip(SKIP_4) | instid1(VALU_DEP_1)
	v_fma_f64 v[60:61], v[62:63], v[72:73], v[56:57]
	ds_load_2addr_b64 v[56:59], v1 offset0:49 offset1:50
	s_waitcnt lgkmcnt(0)
	v_fma_f64 v[1:2], v[64:65], v[56:57], v[60:61]
	s_waitcnt vmcnt(0)
	v_fma_f64 v[1:2], v[74:75], v[58:59], v[1:2]
	s_delay_alu instid0(VALU_DEP_1)
	v_add_f64 v[1:2], v[54:55], -v[1:2]
	scratch_store_b64 off, v[1:2], off offset:144
	v_cmpx_lt_u32_e32 17, v0
	s_cbranch_execz .LBB88_125
; %bb.124:
	scratch_load_b64 v[1:2], off, off offset:136
	v_mov_b32_e32 v54, 0
	s_delay_alu instid0(VALU_DEP_1)
	v_mov_b32_e32 v55, v54
	scratch_store_b64 off, v[54:55], off offset:136
	s_waitcnt vmcnt(0)
	ds_store_b64 v3, v[1:2]
.LBB88_125:
	s_or_b32 exec_lo, exec_lo, s0
	s_waitcnt lgkmcnt(0)
	s_waitcnt_vscnt null, 0x0
	s_barrier
	buffer_gl0_inv
	s_clause 0x3
	scratch_load_b128 v[54:57], off, off offset:136
	scratch_load_b128 v[58:61], off, off offset:152
	;; [unrolled: 1-line block ×4, first 2 shown]
	v_mov_b32_e32 v1, 0
	ds_load_b128 v[70:73], v1 offset:352
	ds_load_b128 v[74:77], v1 offset:368
	s_mov_b32 s0, exec_lo
	s_waitcnt vmcnt(3) lgkmcnt(1)
	v_fma_f64 v[56:57], v[56:57], v[70:71], 0
	s_waitcnt vmcnt(2)
	s_delay_alu instid0(VALU_DEP_1) | instskip(SKIP_1) | instid1(VALU_DEP_1)
	v_fma_f64 v[56:57], v[58:59], v[72:73], v[56:57]
	s_waitcnt lgkmcnt(0)
	v_fma_f64 v[56:57], v[60:61], v[74:75], v[56:57]
	s_waitcnt vmcnt(1)
	s_delay_alu instid0(VALU_DEP_1)
	v_fma_f64 v[60:61], v[62:63], v[76:77], v[56:57]
	ds_load_b128 v[56:59], v1 offset:384
	ds_load_b64 v[62:63], v1 offset:400
	s_waitcnt lgkmcnt(1)
	v_fma_f64 v[56:57], v[64:65], v[56:57], v[60:61]
	s_waitcnt vmcnt(0)
	s_delay_alu instid0(VALU_DEP_1) | instskip(SKIP_1) | instid1(VALU_DEP_1)
	v_fma_f64 v[56:57], v[66:67], v[58:59], v[56:57]
	s_waitcnt lgkmcnt(0)
	v_fma_f64 v[56:57], v[68:69], v[62:63], v[56:57]
	s_delay_alu instid0(VALU_DEP_1)
	v_add_f64 v[54:55], v[54:55], -v[56:57]
	scratch_store_b64 off, v[54:55], off offset:136
	v_cmpx_lt_u32_e32 16, v0
	s_cbranch_execz .LBB88_127
; %bb.126:
	scratch_load_b64 v[54:55], off, off offset:128
	v_mov_b32_e32 v2, v1
	scratch_store_b64 off, v[1:2], off offset:128
	s_waitcnt vmcnt(0)
	ds_store_b64 v3, v[54:55]
.LBB88_127:
	s_or_b32 exec_lo, exec_lo, s0
	s_waitcnt lgkmcnt(0)
	s_waitcnt_vscnt null, 0x0
	s_barrier
	buffer_gl0_inv
	s_clause 0x4
	scratch_load_b128 v[54:57], off, off offset:128
	scratch_load_b128 v[58:61], off, off offset:144
	;; [unrolled: 1-line block ×4, first 2 shown]
	scratch_load_b64 v[78:79], off, off offset:192
	ds_load_2addr_b64 v[70:73], v1 offset0:43 offset1:44
	ds_load_2addr_b64 v[74:77], v1 offset0:45 offset1:46
	s_mov_b32 s0, exec_lo
	s_waitcnt vmcnt(4) lgkmcnt(1)
	v_fma_f64 v[56:57], v[56:57], v[70:71], 0
	s_waitcnt vmcnt(3)
	s_delay_alu instid0(VALU_DEP_1) | instskip(SKIP_1) | instid1(VALU_DEP_1)
	v_fma_f64 v[56:57], v[58:59], v[72:73], v[56:57]
	s_waitcnt lgkmcnt(0)
	v_fma_f64 v[56:57], v[60:61], v[74:75], v[56:57]
	s_waitcnt vmcnt(2)
	s_delay_alu instid0(VALU_DEP_1)
	v_fma_f64 v[70:71], v[62:63], v[76:77], v[56:57]
	ds_load_2addr_b64 v[56:59], v1 offset0:47 offset1:48
	ds_load_2addr_b64 v[60:63], v1 offset0:49 offset1:50
	s_waitcnt lgkmcnt(1)
	v_fma_f64 v[1:2], v[64:65], v[56:57], v[70:71]
	s_waitcnt vmcnt(1)
	s_delay_alu instid0(VALU_DEP_1) | instskip(SKIP_1) | instid1(VALU_DEP_1)
	v_fma_f64 v[1:2], v[66:67], v[58:59], v[1:2]
	s_waitcnt lgkmcnt(0)
	v_fma_f64 v[1:2], v[68:69], v[60:61], v[1:2]
	s_waitcnt vmcnt(0)
	s_delay_alu instid0(VALU_DEP_1) | instskip(NEXT) | instid1(VALU_DEP_1)
	v_fma_f64 v[1:2], v[78:79], v[62:63], v[1:2]
	v_add_f64 v[1:2], v[54:55], -v[1:2]
	scratch_store_b64 off, v[1:2], off offset:128
	v_cmpx_lt_u32_e32 15, v0
	s_cbranch_execz .LBB88_129
; %bb.128:
	scratch_load_b64 v[1:2], off, off offset:120
	v_mov_b32_e32 v54, 0
	s_delay_alu instid0(VALU_DEP_1)
	v_mov_b32_e32 v55, v54
	scratch_store_b64 off, v[54:55], off offset:120
	s_waitcnt vmcnt(0)
	ds_store_b64 v3, v[1:2]
.LBB88_129:
	s_or_b32 exec_lo, exec_lo, s0
	s_waitcnt lgkmcnt(0)
	s_waitcnt_vscnt null, 0x0
	s_barrier
	buffer_gl0_inv
	s_clause 0x4
	scratch_load_b128 v[54:57], off, off offset:120
	scratch_load_b128 v[58:61], off, off offset:136
	;; [unrolled: 1-line block ×5, first 2 shown]
	v_mov_b32_e32 v1, 0
	ds_load_b128 v[74:77], v1 offset:336
	ds_load_b128 v[78:81], v1 offset:352
	s_mov_b32 s0, exec_lo
	s_waitcnt vmcnt(4) lgkmcnt(1)
	v_fma_f64 v[56:57], v[56:57], v[74:75], 0
	s_waitcnt vmcnt(3)
	s_delay_alu instid0(VALU_DEP_1) | instskip(SKIP_1) | instid1(VALU_DEP_1)
	v_fma_f64 v[56:57], v[58:59], v[76:77], v[56:57]
	s_waitcnt lgkmcnt(0)
	v_fma_f64 v[56:57], v[60:61], v[78:79], v[56:57]
	s_waitcnt vmcnt(2)
	s_delay_alu instid0(VALU_DEP_1)
	v_fma_f64 v[74:75], v[62:63], v[80:81], v[56:57]
	ds_load_b128 v[56:59], v1 offset:368
	ds_load_b128 v[60:63], v1 offset:384
	s_waitcnt lgkmcnt(1)
	v_fma_f64 v[56:57], v[64:65], v[56:57], v[74:75]
	s_waitcnt vmcnt(1)
	s_delay_alu instid0(VALU_DEP_1) | instskip(SKIP_4) | instid1(VALU_DEP_1)
	v_fma_f64 v[56:57], v[66:67], v[58:59], v[56:57]
	ds_load_b64 v[58:59], v1 offset:400
	s_waitcnt lgkmcnt(1)
	v_fma_f64 v[56:57], v[68:69], v[60:61], v[56:57]
	s_waitcnt vmcnt(0)
	v_fma_f64 v[56:57], v[70:71], v[62:63], v[56:57]
	s_waitcnt lgkmcnt(0)
	s_delay_alu instid0(VALU_DEP_1) | instskip(NEXT) | instid1(VALU_DEP_1)
	v_fma_f64 v[56:57], v[72:73], v[58:59], v[56:57]
	v_add_f64 v[54:55], v[54:55], -v[56:57]
	scratch_store_b64 off, v[54:55], off offset:120
	v_cmpx_lt_u32_e32 14, v0
	s_cbranch_execz .LBB88_131
; %bb.130:
	scratch_load_b64 v[54:55], off, off offset:112
	v_mov_b32_e32 v2, v1
	scratch_store_b64 off, v[1:2], off offset:112
	s_waitcnt vmcnt(0)
	ds_store_b64 v3, v[54:55]
.LBB88_131:
	s_or_b32 exec_lo, exec_lo, s0
	s_waitcnt lgkmcnt(0)
	s_waitcnt_vscnt null, 0x0
	s_barrier
	buffer_gl0_inv
	s_clause 0x4
	scratch_load_b128 v[54:57], off, off offset:112
	scratch_load_b128 v[58:61], off, off offset:128
	;; [unrolled: 1-line block ×5, first 2 shown]
	ds_load_2addr_b64 v[74:77], v1 offset0:41 offset1:42
	ds_load_2addr_b64 v[78:81], v1 offset0:43 offset1:44
	s_mov_b32 s0, exec_lo
	s_waitcnt vmcnt(4) lgkmcnt(1)
	v_fma_f64 v[56:57], v[56:57], v[74:75], 0
	scratch_load_b64 v[74:75], off, off offset:192
	s_waitcnt vmcnt(4)
	v_fma_f64 v[56:57], v[58:59], v[76:77], v[56:57]
	s_waitcnt lgkmcnt(0)
	s_delay_alu instid0(VALU_DEP_1) | instskip(SKIP_1) | instid1(VALU_DEP_1)
	v_fma_f64 v[56:57], v[60:61], v[78:79], v[56:57]
	s_waitcnt vmcnt(3)
	v_fma_f64 v[76:77], v[62:63], v[80:81], v[56:57]
	ds_load_2addr_b64 v[56:59], v1 offset0:45 offset1:46
	ds_load_2addr_b64 v[60:63], v1 offset0:47 offset1:48
	s_waitcnt lgkmcnt(1)
	v_fma_f64 v[56:57], v[64:65], v[56:57], v[76:77]
	s_waitcnt vmcnt(2)
	s_delay_alu instid0(VALU_DEP_1) | instskip(SKIP_1) | instid1(VALU_DEP_1)
	v_fma_f64 v[56:57], v[66:67], v[58:59], v[56:57]
	s_waitcnt lgkmcnt(0)
	v_fma_f64 v[56:57], v[68:69], v[60:61], v[56:57]
	s_waitcnt vmcnt(1)
	s_delay_alu instid0(VALU_DEP_1) | instskip(SKIP_4) | instid1(VALU_DEP_1)
	v_fma_f64 v[60:61], v[70:71], v[62:63], v[56:57]
	ds_load_2addr_b64 v[56:59], v1 offset0:49 offset1:50
	s_waitcnt lgkmcnt(0)
	v_fma_f64 v[1:2], v[72:73], v[56:57], v[60:61]
	s_waitcnt vmcnt(0)
	v_fma_f64 v[1:2], v[74:75], v[58:59], v[1:2]
	s_delay_alu instid0(VALU_DEP_1)
	v_add_f64 v[1:2], v[54:55], -v[1:2]
	scratch_store_b64 off, v[1:2], off offset:112
	v_cmpx_lt_u32_e32 13, v0
	s_cbranch_execz .LBB88_133
; %bb.132:
	scratch_load_b64 v[1:2], off, off offset:104
	v_mov_b32_e32 v54, 0
	s_delay_alu instid0(VALU_DEP_1)
	v_mov_b32_e32 v55, v54
	scratch_store_b64 off, v[54:55], off offset:104
	s_waitcnt vmcnt(0)
	ds_store_b64 v3, v[1:2]
.LBB88_133:
	s_or_b32 exec_lo, exec_lo, s0
	s_waitcnt lgkmcnt(0)
	s_waitcnt_vscnt null, 0x0
	s_barrier
	buffer_gl0_inv
	s_clause 0x4
	scratch_load_b128 v[54:57], off, off offset:104
	scratch_load_b128 v[58:61], off, off offset:120
	;; [unrolled: 1-line block ×5, first 2 shown]
	v_mov_b32_e32 v1, 0
	ds_load_b128 v[74:77], v1 offset:320
	ds_load_b128 v[78:81], v1 offset:336
	scratch_load_b128 v[82:85], off, off offset:184
	s_mov_b32 s0, exec_lo
	s_waitcnt vmcnt(5) lgkmcnt(1)
	v_fma_f64 v[56:57], v[56:57], v[74:75], 0
	s_waitcnt vmcnt(4)
	s_delay_alu instid0(VALU_DEP_1) | instskip(SKIP_1) | instid1(VALU_DEP_1)
	v_fma_f64 v[56:57], v[58:59], v[76:77], v[56:57]
	s_waitcnt lgkmcnt(0)
	v_fma_f64 v[56:57], v[60:61], v[78:79], v[56:57]
	s_waitcnt vmcnt(3)
	s_delay_alu instid0(VALU_DEP_1)
	v_fma_f64 v[74:75], v[62:63], v[80:81], v[56:57]
	ds_load_b128 v[56:59], v1 offset:352
	ds_load_b128 v[60:63], v1 offset:368
	s_waitcnt lgkmcnt(1)
	v_fma_f64 v[56:57], v[64:65], v[56:57], v[74:75]
	s_waitcnt vmcnt(2)
	s_delay_alu instid0(VALU_DEP_1) | instskip(SKIP_1) | instid1(VALU_DEP_1)
	v_fma_f64 v[56:57], v[66:67], v[58:59], v[56:57]
	s_waitcnt lgkmcnt(0)
	v_fma_f64 v[56:57], v[68:69], v[60:61], v[56:57]
	s_waitcnt vmcnt(1)
	s_delay_alu instid0(VALU_DEP_1)
	v_fma_f64 v[60:61], v[70:71], v[62:63], v[56:57]
	ds_load_b128 v[56:59], v1 offset:384
	ds_load_b64 v[62:63], v1 offset:400
	s_waitcnt lgkmcnt(1)
	v_fma_f64 v[56:57], v[72:73], v[56:57], v[60:61]
	s_waitcnt vmcnt(0)
	s_delay_alu instid0(VALU_DEP_1) | instskip(SKIP_1) | instid1(VALU_DEP_1)
	v_fma_f64 v[56:57], v[82:83], v[58:59], v[56:57]
	s_waitcnt lgkmcnt(0)
	v_fma_f64 v[56:57], v[84:85], v[62:63], v[56:57]
	s_delay_alu instid0(VALU_DEP_1)
	v_add_f64 v[54:55], v[54:55], -v[56:57]
	scratch_store_b64 off, v[54:55], off offset:104
	v_cmpx_lt_u32_e32 12, v0
	s_cbranch_execz .LBB88_135
; %bb.134:
	scratch_load_b64 v[54:55], off, off offset:96
	v_mov_b32_e32 v2, v1
	scratch_store_b64 off, v[1:2], off offset:96
	s_waitcnt vmcnt(0)
	ds_store_b64 v3, v[54:55]
.LBB88_135:
	s_or_b32 exec_lo, exec_lo, s0
	s_waitcnt lgkmcnt(0)
	s_waitcnt_vscnt null, 0x0
	s_barrier
	buffer_gl0_inv
	s_clause 0x4
	scratch_load_b128 v[54:57], off, off offset:96
	scratch_load_b128 v[58:61], off, off offset:112
	;; [unrolled: 1-line block ×5, first 2 shown]
	ds_load_2addr_b64 v[74:77], v1 offset0:39 offset1:40
	ds_load_2addr_b64 v[78:81], v1 offset0:41 offset1:42
	scratch_load_b128 v[82:85], off, off offset:176
	s_mov_b32 s0, exec_lo
	s_waitcnt vmcnt(5) lgkmcnt(1)
	v_fma_f64 v[56:57], v[56:57], v[74:75], 0
	scratch_load_b64 v[74:75], off, off offset:192
	s_waitcnt vmcnt(5)
	v_fma_f64 v[56:57], v[58:59], v[76:77], v[56:57]
	s_waitcnt lgkmcnt(0)
	s_delay_alu instid0(VALU_DEP_1) | instskip(SKIP_1) | instid1(VALU_DEP_1)
	v_fma_f64 v[56:57], v[60:61], v[78:79], v[56:57]
	s_waitcnt vmcnt(4)
	v_fma_f64 v[76:77], v[62:63], v[80:81], v[56:57]
	ds_load_2addr_b64 v[56:59], v1 offset0:43 offset1:44
	ds_load_2addr_b64 v[60:63], v1 offset0:45 offset1:46
	s_waitcnt lgkmcnt(1)
	v_fma_f64 v[56:57], v[64:65], v[56:57], v[76:77]
	s_waitcnt vmcnt(3)
	s_delay_alu instid0(VALU_DEP_1) | instskip(SKIP_1) | instid1(VALU_DEP_1)
	v_fma_f64 v[56:57], v[66:67], v[58:59], v[56:57]
	s_waitcnt lgkmcnt(0)
	v_fma_f64 v[56:57], v[68:69], v[60:61], v[56:57]
	s_waitcnt vmcnt(2)
	s_delay_alu instid0(VALU_DEP_1)
	v_fma_f64 v[64:65], v[70:71], v[62:63], v[56:57]
	ds_load_2addr_b64 v[56:59], v1 offset0:47 offset1:48
	ds_load_2addr_b64 v[60:63], v1 offset0:49 offset1:50
	s_waitcnt lgkmcnt(1)
	v_fma_f64 v[1:2], v[72:73], v[56:57], v[64:65]
	s_waitcnt vmcnt(1)
	s_delay_alu instid0(VALU_DEP_1) | instskip(SKIP_1) | instid1(VALU_DEP_1)
	v_fma_f64 v[1:2], v[82:83], v[58:59], v[1:2]
	s_waitcnt lgkmcnt(0)
	v_fma_f64 v[1:2], v[84:85], v[60:61], v[1:2]
	s_waitcnt vmcnt(0)
	s_delay_alu instid0(VALU_DEP_1) | instskip(NEXT) | instid1(VALU_DEP_1)
	v_fma_f64 v[1:2], v[74:75], v[62:63], v[1:2]
	v_add_f64 v[1:2], v[54:55], -v[1:2]
	scratch_store_b64 off, v[1:2], off offset:96
	v_cmpx_lt_u32_e32 11, v0
	s_cbranch_execz .LBB88_137
; %bb.136:
	scratch_load_b64 v[1:2], off, off offset:88
	v_mov_b32_e32 v54, 0
	s_delay_alu instid0(VALU_DEP_1)
	v_mov_b32_e32 v55, v54
	scratch_store_b64 off, v[54:55], off offset:88
	s_waitcnt vmcnt(0)
	ds_store_b64 v3, v[1:2]
.LBB88_137:
	s_or_b32 exec_lo, exec_lo, s0
	s_waitcnt lgkmcnt(0)
	s_waitcnt_vscnt null, 0x0
	s_barrier
	buffer_gl0_inv
	s_clause 0x4
	scratch_load_b128 v[54:57], off, off offset:88
	scratch_load_b128 v[58:61], off, off offset:104
	scratch_load_b128 v[62:65], off, off offset:120
	scratch_load_b128 v[66:69], off, off offset:136
	scratch_load_b128 v[70:73], off, off offset:152
	v_mov_b32_e32 v1, 0
	ds_load_b128 v[74:77], v1 offset:304
	ds_load_b128 v[78:81], v1 offset:320
	scratch_load_b128 v[82:85], off, off offset:168
	s_mov_b32 s0, exec_lo
	s_waitcnt vmcnt(5) lgkmcnt(1)
	v_fma_f64 v[56:57], v[56:57], v[74:75], 0
	s_waitcnt vmcnt(4)
	s_delay_alu instid0(VALU_DEP_1) | instskip(SKIP_1) | instid1(VALU_DEP_1)
	v_fma_f64 v[56:57], v[58:59], v[76:77], v[56:57]
	s_waitcnt lgkmcnt(0)
	v_fma_f64 v[60:61], v[60:61], v[78:79], v[56:57]
	scratch_load_b128 v[56:59], off, off offset:184
	s_waitcnt vmcnt(4)
	v_fma_f64 v[78:79], v[62:63], v[80:81], v[60:61]
	ds_load_b128 v[60:63], v1 offset:336
	ds_load_b128 v[74:77], v1 offset:352
	s_waitcnt lgkmcnt(1)
	v_fma_f64 v[60:61], v[64:65], v[60:61], v[78:79]
	s_waitcnt vmcnt(3)
	s_delay_alu instid0(VALU_DEP_1) | instskip(SKIP_1) | instid1(VALU_DEP_1)
	v_fma_f64 v[60:61], v[66:67], v[62:63], v[60:61]
	s_waitcnt lgkmcnt(0)
	v_fma_f64 v[60:61], v[68:69], v[74:75], v[60:61]
	s_waitcnt vmcnt(2)
	s_delay_alu instid0(VALU_DEP_1)
	v_fma_f64 v[68:69], v[70:71], v[76:77], v[60:61]
	ds_load_b128 v[60:63], v1 offset:368
	ds_load_b128 v[64:67], v1 offset:384
	s_waitcnt lgkmcnt(1)
	v_fma_f64 v[60:61], v[72:73], v[60:61], v[68:69]
	s_waitcnt vmcnt(1)
	s_delay_alu instid0(VALU_DEP_1) | instskip(SKIP_1) | instid1(VALU_DEP_1)
	v_fma_f64 v[60:61], v[82:83], v[62:63], v[60:61]
	s_waitcnt lgkmcnt(0)
	v_fma_f64 v[60:61], v[84:85], v[64:65], v[60:61]
	s_waitcnt vmcnt(0)
	s_delay_alu instid0(VALU_DEP_1) | instskip(SKIP_3) | instid1(VALU_DEP_1)
	v_fma_f64 v[56:57], v[56:57], v[66:67], v[60:61]
	ds_load_b64 v[60:61], v1 offset:400
	s_waitcnt lgkmcnt(0)
	v_fma_f64 v[56:57], v[58:59], v[60:61], v[56:57]
	v_add_f64 v[54:55], v[54:55], -v[56:57]
	scratch_store_b64 off, v[54:55], off offset:88
	v_cmpx_lt_u32_e32 10, v0
	s_cbranch_execz .LBB88_139
; %bb.138:
	scratch_load_b64 v[54:55], off, off offset:80
	v_mov_b32_e32 v2, v1
	scratch_store_b64 off, v[1:2], off offset:80
	s_waitcnt vmcnt(0)
	ds_store_b64 v3, v[54:55]
.LBB88_139:
	s_or_b32 exec_lo, exec_lo, s0
	s_waitcnt lgkmcnt(0)
	s_waitcnt_vscnt null, 0x0
	s_barrier
	buffer_gl0_inv
	s_clause 0x4
	scratch_load_b128 v[54:57], off, off offset:80
	scratch_load_b128 v[58:61], off, off offset:96
	;; [unrolled: 1-line block ×5, first 2 shown]
	ds_load_2addr_b64 v[74:77], v1 offset0:37 offset1:38
	ds_load_2addr_b64 v[78:81], v1 offset0:39 offset1:40
	scratch_load_b128 v[82:85], off, off offset:160
	s_mov_b32 s0, exec_lo
	s_waitcnt vmcnt(5) lgkmcnt(1)
	v_fma_f64 v[56:57], v[56:57], v[74:75], 0
	s_waitcnt vmcnt(4)
	s_delay_alu instid0(VALU_DEP_1) | instskip(SKIP_1) | instid1(VALU_DEP_1)
	v_fma_f64 v[56:57], v[58:59], v[76:77], v[56:57]
	s_waitcnt lgkmcnt(0)
	v_fma_f64 v[60:61], v[60:61], v[78:79], v[56:57]
	scratch_load_b128 v[56:59], off, off offset:176
	s_waitcnt vmcnt(4)
	v_fma_f64 v[78:79], v[62:63], v[80:81], v[60:61]
	ds_load_2addr_b64 v[60:63], v1 offset0:41 offset1:42
	ds_load_2addr_b64 v[74:77], v1 offset0:43 offset1:44
	s_waitcnt lgkmcnt(1)
	v_fma_f64 v[60:61], v[64:65], v[60:61], v[78:79]
	scratch_load_b64 v[78:79], off, off offset:192
	s_waitcnt vmcnt(4)
	v_fma_f64 v[60:61], v[66:67], v[62:63], v[60:61]
	s_waitcnt lgkmcnt(0)
	s_delay_alu instid0(VALU_DEP_1) | instskip(SKIP_1) | instid1(VALU_DEP_1)
	v_fma_f64 v[60:61], v[68:69], v[74:75], v[60:61]
	s_waitcnt vmcnt(3)
	v_fma_f64 v[68:69], v[70:71], v[76:77], v[60:61]
	ds_load_2addr_b64 v[60:63], v1 offset0:45 offset1:46
	ds_load_2addr_b64 v[64:67], v1 offset0:47 offset1:48
	s_waitcnt lgkmcnt(1)
	v_fma_f64 v[60:61], v[72:73], v[60:61], v[68:69]
	s_waitcnt vmcnt(2)
	s_delay_alu instid0(VALU_DEP_1) | instskip(SKIP_1) | instid1(VALU_DEP_1)
	v_fma_f64 v[60:61], v[82:83], v[62:63], v[60:61]
	s_waitcnt lgkmcnt(0)
	v_fma_f64 v[60:61], v[84:85], v[64:65], v[60:61]
	s_waitcnt vmcnt(1)
	s_delay_alu instid0(VALU_DEP_1) | instskip(SKIP_4) | instid1(VALU_DEP_1)
	v_fma_f64 v[56:57], v[56:57], v[66:67], v[60:61]
	ds_load_2addr_b64 v[60:63], v1 offset0:49 offset1:50
	s_waitcnt lgkmcnt(0)
	v_fma_f64 v[1:2], v[58:59], v[60:61], v[56:57]
	s_waitcnt vmcnt(0)
	v_fma_f64 v[1:2], v[78:79], v[62:63], v[1:2]
	s_delay_alu instid0(VALU_DEP_1)
	v_add_f64 v[1:2], v[54:55], -v[1:2]
	scratch_store_b64 off, v[1:2], off offset:80
	v_cmpx_lt_u32_e32 9, v0
	s_cbranch_execz .LBB88_141
; %bb.140:
	scratch_load_b64 v[1:2], off, off offset:72
	v_mov_b32_e32 v54, 0
	s_delay_alu instid0(VALU_DEP_1)
	v_mov_b32_e32 v55, v54
	scratch_store_b64 off, v[54:55], off offset:72
	s_waitcnt vmcnt(0)
	ds_store_b64 v3, v[1:2]
.LBB88_141:
	s_or_b32 exec_lo, exec_lo, s0
	s_waitcnt lgkmcnt(0)
	s_waitcnt_vscnt null, 0x0
	s_barrier
	buffer_gl0_inv
	s_clause 0x4
	scratch_load_b128 v[54:57], off, off offset:72
	scratch_load_b128 v[58:61], off, off offset:88
	;; [unrolled: 1-line block ×5, first 2 shown]
	v_mov_b32_e32 v1, 0
	ds_load_b128 v[74:77], v1 offset:288
	ds_load_b128 v[78:81], v1 offset:304
	scratch_load_b128 v[82:85], off, off offset:152
	s_mov_b32 s0, exec_lo
	s_waitcnt vmcnt(5) lgkmcnt(1)
	v_fma_f64 v[56:57], v[56:57], v[74:75], 0
	s_waitcnt vmcnt(4)
	s_delay_alu instid0(VALU_DEP_1) | instskip(SKIP_1) | instid1(VALU_DEP_1)
	v_fma_f64 v[56:57], v[58:59], v[76:77], v[56:57]
	s_waitcnt lgkmcnt(0)
	v_fma_f64 v[60:61], v[60:61], v[78:79], v[56:57]
	scratch_load_b128 v[56:59], off, off offset:168
	s_waitcnt vmcnt(4)
	v_fma_f64 v[78:79], v[62:63], v[80:81], v[60:61]
	ds_load_b128 v[60:63], v1 offset:320
	ds_load_b128 v[74:77], v1 offset:336
	s_waitcnt lgkmcnt(1)
	v_fma_f64 v[60:61], v[64:65], v[60:61], v[78:79]
	scratch_load_b128 v[78:81], off, off offset:184
	s_waitcnt vmcnt(4)
	v_fma_f64 v[60:61], v[66:67], v[62:63], v[60:61]
	s_waitcnt lgkmcnt(0)
	s_delay_alu instid0(VALU_DEP_1) | instskip(SKIP_1) | instid1(VALU_DEP_1)
	v_fma_f64 v[60:61], v[68:69], v[74:75], v[60:61]
	s_waitcnt vmcnt(3)
	v_fma_f64 v[68:69], v[70:71], v[76:77], v[60:61]
	ds_load_b128 v[60:63], v1 offset:352
	ds_load_b128 v[64:67], v1 offset:368
	s_waitcnt lgkmcnt(1)
	v_fma_f64 v[60:61], v[72:73], v[60:61], v[68:69]
	s_waitcnt vmcnt(2)
	s_delay_alu instid0(VALU_DEP_1) | instskip(SKIP_1) | instid1(VALU_DEP_1)
	v_fma_f64 v[60:61], v[82:83], v[62:63], v[60:61]
	s_waitcnt lgkmcnt(0)
	v_fma_f64 v[60:61], v[84:85], v[64:65], v[60:61]
	s_waitcnt vmcnt(1)
	s_delay_alu instid0(VALU_DEP_1)
	v_fma_f64 v[56:57], v[56:57], v[66:67], v[60:61]
	ds_load_b128 v[60:63], v1 offset:384
	ds_load_b64 v[64:65], v1 offset:400
	s_waitcnt lgkmcnt(1)
	v_fma_f64 v[56:57], v[58:59], v[60:61], v[56:57]
	s_waitcnt vmcnt(0)
	s_delay_alu instid0(VALU_DEP_1) | instskip(SKIP_1) | instid1(VALU_DEP_1)
	v_fma_f64 v[56:57], v[78:79], v[62:63], v[56:57]
	s_waitcnt lgkmcnt(0)
	v_fma_f64 v[56:57], v[80:81], v[64:65], v[56:57]
	s_delay_alu instid0(VALU_DEP_1)
	v_add_f64 v[54:55], v[54:55], -v[56:57]
	scratch_store_b64 off, v[54:55], off offset:72
	v_cmpx_lt_u32_e32 8, v0
	s_cbranch_execz .LBB88_143
; %bb.142:
	scratch_load_b64 v[54:55], off, off offset:64
	v_mov_b32_e32 v2, v1
	scratch_store_b64 off, v[1:2], off offset:64
	s_waitcnt vmcnt(0)
	ds_store_b64 v3, v[54:55]
.LBB88_143:
	s_or_b32 exec_lo, exec_lo, s0
	s_waitcnt lgkmcnt(0)
	s_waitcnt_vscnt null, 0x0
	s_barrier
	buffer_gl0_inv
	s_clause 0x4
	scratch_load_b128 v[54:57], off, off offset:64
	scratch_load_b128 v[58:61], off, off offset:80
	;; [unrolled: 1-line block ×5, first 2 shown]
	ds_load_2addr_b64 v[74:77], v1 offset0:35 offset1:36
	ds_load_2addr_b64 v[78:81], v1 offset0:37 offset1:38
	scratch_load_b128 v[82:85], off, off offset:144
	s_mov_b32 s0, exec_lo
	s_waitcnt vmcnt(5) lgkmcnt(1)
	v_fma_f64 v[56:57], v[56:57], v[74:75], 0
	s_waitcnt vmcnt(4)
	s_delay_alu instid0(VALU_DEP_1) | instskip(SKIP_1) | instid1(VALU_DEP_1)
	v_fma_f64 v[56:57], v[58:59], v[76:77], v[56:57]
	s_waitcnt lgkmcnt(0)
	v_fma_f64 v[60:61], v[60:61], v[78:79], v[56:57]
	scratch_load_b128 v[56:59], off, off offset:160
	s_waitcnt vmcnt(4)
	v_fma_f64 v[78:79], v[62:63], v[80:81], v[60:61]
	ds_load_2addr_b64 v[60:63], v1 offset0:39 offset1:40
	ds_load_2addr_b64 v[74:77], v1 offset0:41 offset1:42
	s_waitcnt lgkmcnt(1)
	v_fma_f64 v[60:61], v[64:65], v[60:61], v[78:79]
	scratch_load_b128 v[78:81], off, off offset:176
	s_waitcnt vmcnt(4)
	v_fma_f64 v[60:61], v[66:67], v[62:63], v[60:61]
	s_waitcnt lgkmcnt(0)
	s_delay_alu instid0(VALU_DEP_1)
	v_fma_f64 v[60:61], v[68:69], v[74:75], v[60:61]
	scratch_load_b64 v[68:69], off, off offset:192
	s_waitcnt vmcnt(4)
	v_fma_f64 v[70:71], v[70:71], v[76:77], v[60:61]
	ds_load_2addr_b64 v[60:63], v1 offset0:43 offset1:44
	ds_load_2addr_b64 v[64:67], v1 offset0:45 offset1:46
	s_waitcnt lgkmcnt(1)
	v_fma_f64 v[60:61], v[72:73], v[60:61], v[70:71]
	s_waitcnt vmcnt(3)
	s_delay_alu instid0(VALU_DEP_1) | instskip(SKIP_1) | instid1(VALU_DEP_1)
	v_fma_f64 v[60:61], v[82:83], v[62:63], v[60:61]
	s_waitcnt lgkmcnt(0)
	v_fma_f64 v[60:61], v[84:85], v[64:65], v[60:61]
	s_waitcnt vmcnt(2)
	s_delay_alu instid0(VALU_DEP_1)
	v_fma_f64 v[56:57], v[56:57], v[66:67], v[60:61]
	ds_load_2addr_b64 v[60:63], v1 offset0:47 offset1:48
	ds_load_2addr_b64 v[64:67], v1 offset0:49 offset1:50
	s_waitcnt lgkmcnt(1)
	v_fma_f64 v[1:2], v[58:59], v[60:61], v[56:57]
	s_waitcnt vmcnt(1)
	s_delay_alu instid0(VALU_DEP_1) | instskip(SKIP_1) | instid1(VALU_DEP_1)
	v_fma_f64 v[1:2], v[78:79], v[62:63], v[1:2]
	s_waitcnt lgkmcnt(0)
	v_fma_f64 v[1:2], v[80:81], v[64:65], v[1:2]
	s_waitcnt vmcnt(0)
	s_delay_alu instid0(VALU_DEP_1) | instskip(NEXT) | instid1(VALU_DEP_1)
	v_fma_f64 v[1:2], v[68:69], v[66:67], v[1:2]
	v_add_f64 v[1:2], v[54:55], -v[1:2]
	scratch_store_b64 off, v[1:2], off offset:64
	v_cmpx_lt_u32_e32 7, v0
	s_cbranch_execz .LBB88_145
; %bb.144:
	scratch_load_b64 v[1:2], off, off offset:56
	v_mov_b32_e32 v54, 0
	s_delay_alu instid0(VALU_DEP_1)
	v_mov_b32_e32 v55, v54
	scratch_store_b64 off, v[54:55], off offset:56
	s_waitcnt vmcnt(0)
	ds_store_b64 v3, v[1:2]
.LBB88_145:
	s_or_b32 exec_lo, exec_lo, s0
	s_waitcnt lgkmcnt(0)
	s_waitcnt_vscnt null, 0x0
	s_barrier
	buffer_gl0_inv
	s_clause 0x4
	scratch_load_b128 v[54:57], off, off offset:56
	scratch_load_b128 v[58:61], off, off offset:72
	;; [unrolled: 1-line block ×5, first 2 shown]
	v_mov_b32_e32 v1, 0
	ds_load_b128 v[74:77], v1 offset:272
	ds_load_b128 v[78:81], v1 offset:288
	scratch_load_b128 v[82:85], off, off offset:136
	s_mov_b32 s0, exec_lo
	s_waitcnt vmcnt(5) lgkmcnt(1)
	v_fma_f64 v[56:57], v[56:57], v[74:75], 0
	s_waitcnt vmcnt(4)
	s_delay_alu instid0(VALU_DEP_1) | instskip(SKIP_1) | instid1(VALU_DEP_1)
	v_fma_f64 v[56:57], v[58:59], v[76:77], v[56:57]
	s_waitcnt lgkmcnt(0)
	v_fma_f64 v[60:61], v[60:61], v[78:79], v[56:57]
	scratch_load_b128 v[56:59], off, off offset:152
	s_waitcnt vmcnt(4)
	v_fma_f64 v[78:79], v[62:63], v[80:81], v[60:61]
	ds_load_b128 v[60:63], v1 offset:304
	ds_load_b128 v[74:77], v1 offset:320
	s_waitcnt lgkmcnt(1)
	v_fma_f64 v[60:61], v[64:65], v[60:61], v[78:79]
	scratch_load_b128 v[78:81], off, off offset:168
	s_waitcnt vmcnt(4)
	v_fma_f64 v[60:61], v[66:67], v[62:63], v[60:61]
	s_waitcnt lgkmcnt(0)
	s_delay_alu instid0(VALU_DEP_1)
	v_fma_f64 v[64:65], v[68:69], v[74:75], v[60:61]
	scratch_load_b128 v[60:63], off, off offset:184
	s_waitcnt vmcnt(4)
	v_fma_f64 v[74:75], v[70:71], v[76:77], v[64:65]
	ds_load_b128 v[64:67], v1 offset:336
	ds_load_b128 v[68:71], v1 offset:352
	s_waitcnt lgkmcnt(1)
	v_fma_f64 v[64:65], v[72:73], v[64:65], v[74:75]
	s_waitcnt vmcnt(3)
	s_delay_alu instid0(VALU_DEP_1) | instskip(SKIP_1) | instid1(VALU_DEP_1)
	v_fma_f64 v[64:65], v[82:83], v[66:67], v[64:65]
	s_waitcnt lgkmcnt(0)
	v_fma_f64 v[64:65], v[84:85], v[68:69], v[64:65]
	s_waitcnt vmcnt(2)
	s_delay_alu instid0(VALU_DEP_1)
	v_fma_f64 v[56:57], v[56:57], v[70:71], v[64:65]
	ds_load_b128 v[64:67], v1 offset:368
	ds_load_b128 v[68:71], v1 offset:384
	s_waitcnt lgkmcnt(1)
	v_fma_f64 v[56:57], v[58:59], v[64:65], v[56:57]
	ds_load_b64 v[58:59], v1 offset:400
	s_waitcnt vmcnt(1)
	v_fma_f64 v[56:57], v[78:79], v[66:67], v[56:57]
	s_waitcnt lgkmcnt(1)
	s_delay_alu instid0(VALU_DEP_1) | instskip(SKIP_1) | instid1(VALU_DEP_1)
	v_fma_f64 v[56:57], v[80:81], v[68:69], v[56:57]
	s_waitcnt vmcnt(0)
	v_fma_f64 v[56:57], v[60:61], v[70:71], v[56:57]
	s_waitcnt lgkmcnt(0)
	s_delay_alu instid0(VALU_DEP_1) | instskip(NEXT) | instid1(VALU_DEP_1)
	v_fma_f64 v[56:57], v[62:63], v[58:59], v[56:57]
	v_add_f64 v[54:55], v[54:55], -v[56:57]
	scratch_store_b64 off, v[54:55], off offset:56
	v_cmpx_lt_u32_e32 6, v0
	s_cbranch_execz .LBB88_147
; %bb.146:
	scratch_load_b64 v[54:55], off, off offset:48
	v_mov_b32_e32 v2, v1
	scratch_store_b64 off, v[1:2], off offset:48
	s_waitcnt vmcnt(0)
	ds_store_b64 v3, v[54:55]
.LBB88_147:
	s_or_b32 exec_lo, exec_lo, s0
	s_waitcnt lgkmcnt(0)
	s_waitcnt_vscnt null, 0x0
	s_barrier
	buffer_gl0_inv
	s_clause 0x4
	scratch_load_b128 v[54:57], off, off offset:48
	scratch_load_b128 v[58:61], off, off offset:64
	;; [unrolled: 1-line block ×5, first 2 shown]
	ds_load_2addr_b64 v[74:77], v1 offset0:33 offset1:34
	ds_load_2addr_b64 v[78:81], v1 offset0:35 offset1:36
	scratch_load_b128 v[82:85], off, off offset:128
	s_mov_b32 s0, exec_lo
	s_waitcnt vmcnt(5) lgkmcnt(1)
	v_fma_f64 v[56:57], v[56:57], v[74:75], 0
	s_waitcnt vmcnt(4)
	s_delay_alu instid0(VALU_DEP_1) | instskip(SKIP_1) | instid1(VALU_DEP_1)
	v_fma_f64 v[56:57], v[58:59], v[76:77], v[56:57]
	s_waitcnt lgkmcnt(0)
	v_fma_f64 v[60:61], v[60:61], v[78:79], v[56:57]
	scratch_load_b128 v[56:59], off, off offset:144
	s_waitcnt vmcnt(4)
	v_fma_f64 v[78:79], v[62:63], v[80:81], v[60:61]
	ds_load_2addr_b64 v[60:63], v1 offset0:37 offset1:38
	ds_load_2addr_b64 v[74:77], v1 offset0:39 offset1:40
	s_waitcnt lgkmcnt(1)
	v_fma_f64 v[60:61], v[64:65], v[60:61], v[78:79]
	scratch_load_b128 v[78:81], off, off offset:160
	s_waitcnt vmcnt(4)
	v_fma_f64 v[60:61], v[66:67], v[62:63], v[60:61]
	s_waitcnt lgkmcnt(0)
	s_delay_alu instid0(VALU_DEP_1)
	v_fma_f64 v[64:65], v[68:69], v[74:75], v[60:61]
	scratch_load_b128 v[60:63], off, off offset:176
	s_waitcnt vmcnt(4)
	v_fma_f64 v[74:75], v[70:71], v[76:77], v[64:65]
	ds_load_2addr_b64 v[64:67], v1 offset0:41 offset1:42
	ds_load_2addr_b64 v[68:71], v1 offset0:43 offset1:44
	s_waitcnt lgkmcnt(1)
	v_fma_f64 v[64:65], v[72:73], v[64:65], v[74:75]
	scratch_load_b64 v[72:73], off, off offset:192
	s_waitcnt vmcnt(4)
	v_fma_f64 v[64:65], v[82:83], v[66:67], v[64:65]
	s_waitcnt lgkmcnt(0)
	s_delay_alu instid0(VALU_DEP_1) | instskip(SKIP_1) | instid1(VALU_DEP_1)
	v_fma_f64 v[64:65], v[84:85], v[68:69], v[64:65]
	s_waitcnt vmcnt(3)
	v_fma_f64 v[56:57], v[56:57], v[70:71], v[64:65]
	ds_load_2addr_b64 v[64:67], v1 offset0:45 offset1:46
	ds_load_2addr_b64 v[68:71], v1 offset0:47 offset1:48
	s_waitcnt lgkmcnt(1)
	v_fma_f64 v[56:57], v[58:59], v[64:65], v[56:57]
	s_waitcnt vmcnt(2)
	s_delay_alu instid0(VALU_DEP_1) | instskip(SKIP_1) | instid1(VALU_DEP_1)
	v_fma_f64 v[56:57], v[78:79], v[66:67], v[56:57]
	s_waitcnt lgkmcnt(0)
	v_fma_f64 v[56:57], v[80:81], v[68:69], v[56:57]
	s_waitcnt vmcnt(1)
	s_delay_alu instid0(VALU_DEP_1) | instskip(SKIP_4) | instid1(VALU_DEP_1)
	v_fma_f64 v[60:61], v[60:61], v[70:71], v[56:57]
	ds_load_2addr_b64 v[56:59], v1 offset0:49 offset1:50
	s_waitcnt lgkmcnt(0)
	v_fma_f64 v[1:2], v[62:63], v[56:57], v[60:61]
	s_waitcnt vmcnt(0)
	v_fma_f64 v[1:2], v[72:73], v[58:59], v[1:2]
	s_delay_alu instid0(VALU_DEP_1)
	v_add_f64 v[1:2], v[54:55], -v[1:2]
	scratch_store_b64 off, v[1:2], off offset:48
	v_cmpx_lt_u32_e32 5, v0
	s_cbranch_execz .LBB88_149
; %bb.148:
	scratch_load_b64 v[1:2], off, off offset:40
	v_mov_b32_e32 v54, 0
	s_delay_alu instid0(VALU_DEP_1)
	v_mov_b32_e32 v55, v54
	scratch_store_b64 off, v[54:55], off offset:40
	s_waitcnt vmcnt(0)
	ds_store_b64 v3, v[1:2]
.LBB88_149:
	s_or_b32 exec_lo, exec_lo, s0
	s_waitcnt lgkmcnt(0)
	s_waitcnt_vscnt null, 0x0
	s_barrier
	buffer_gl0_inv
	s_clause 0x4
	scratch_load_b128 v[54:57], off, off offset:40
	scratch_load_b128 v[58:61], off, off offset:56
	;; [unrolled: 1-line block ×5, first 2 shown]
	v_mov_b32_e32 v1, 0
	ds_load_b128 v[74:77], v1 offset:256
	ds_load_b128 v[78:81], v1 offset:272
	scratch_load_b128 v[82:85], off, off offset:120
	s_mov_b32 s0, exec_lo
	s_waitcnt vmcnt(5) lgkmcnt(1)
	v_fma_f64 v[56:57], v[56:57], v[74:75], 0
	s_waitcnt vmcnt(4)
	s_delay_alu instid0(VALU_DEP_1) | instskip(SKIP_1) | instid1(VALU_DEP_1)
	v_fma_f64 v[56:57], v[58:59], v[76:77], v[56:57]
	s_waitcnt lgkmcnt(0)
	v_fma_f64 v[60:61], v[60:61], v[78:79], v[56:57]
	scratch_load_b128 v[56:59], off, off offset:136
	s_waitcnt vmcnt(4)
	v_fma_f64 v[78:79], v[62:63], v[80:81], v[60:61]
	ds_load_b128 v[60:63], v1 offset:288
	ds_load_b128 v[74:77], v1 offset:304
	s_waitcnt lgkmcnt(1)
	v_fma_f64 v[60:61], v[64:65], v[60:61], v[78:79]
	scratch_load_b128 v[78:81], off, off offset:152
	s_waitcnt vmcnt(4)
	v_fma_f64 v[60:61], v[66:67], v[62:63], v[60:61]
	s_waitcnt lgkmcnt(0)
	s_delay_alu instid0(VALU_DEP_1)
	v_fma_f64 v[64:65], v[68:69], v[74:75], v[60:61]
	scratch_load_b128 v[60:63], off, off offset:168
	s_waitcnt vmcnt(4)
	v_fma_f64 v[74:75], v[70:71], v[76:77], v[64:65]
	ds_load_b128 v[64:67], v1 offset:320
	ds_load_b128 v[68:71], v1 offset:336
	s_waitcnt lgkmcnt(1)
	v_fma_f64 v[64:65], v[72:73], v[64:65], v[74:75]
	scratch_load_b128 v[72:75], off, off offset:184
	s_waitcnt vmcnt(4)
	v_fma_f64 v[64:65], v[82:83], v[66:67], v[64:65]
	s_waitcnt lgkmcnt(0)
	s_delay_alu instid0(VALU_DEP_1) | instskip(SKIP_1) | instid1(VALU_DEP_1)
	v_fma_f64 v[64:65], v[84:85], v[68:69], v[64:65]
	s_waitcnt vmcnt(3)
	v_fma_f64 v[56:57], v[56:57], v[70:71], v[64:65]
	ds_load_b128 v[64:67], v1 offset:352
	ds_load_b128 v[68:71], v1 offset:368
	s_waitcnt lgkmcnt(1)
	v_fma_f64 v[56:57], v[58:59], v[64:65], v[56:57]
	s_waitcnt vmcnt(2)
	s_delay_alu instid0(VALU_DEP_1) | instskip(SKIP_1) | instid1(VALU_DEP_1)
	v_fma_f64 v[56:57], v[78:79], v[66:67], v[56:57]
	s_waitcnt lgkmcnt(0)
	v_fma_f64 v[56:57], v[80:81], v[68:69], v[56:57]
	s_waitcnt vmcnt(1)
	s_delay_alu instid0(VALU_DEP_1)
	v_fma_f64 v[60:61], v[60:61], v[70:71], v[56:57]
	ds_load_b128 v[56:59], v1 offset:384
	ds_load_b64 v[64:65], v1 offset:400
	s_waitcnt lgkmcnt(1)
	v_fma_f64 v[56:57], v[62:63], v[56:57], v[60:61]
	s_waitcnt vmcnt(0)
	s_delay_alu instid0(VALU_DEP_1) | instskip(SKIP_1) | instid1(VALU_DEP_1)
	v_fma_f64 v[56:57], v[72:73], v[58:59], v[56:57]
	s_waitcnt lgkmcnt(0)
	v_fma_f64 v[56:57], v[74:75], v[64:65], v[56:57]
	s_delay_alu instid0(VALU_DEP_1)
	v_add_f64 v[54:55], v[54:55], -v[56:57]
	scratch_store_b64 off, v[54:55], off offset:40
	v_cmpx_lt_u32_e32 4, v0
	s_cbranch_execz .LBB88_151
; %bb.150:
	scratch_load_b64 v[54:55], off, off offset:32
	v_mov_b32_e32 v2, v1
	scratch_store_b64 off, v[1:2], off offset:32
	s_waitcnt vmcnt(0)
	ds_store_b64 v3, v[54:55]
.LBB88_151:
	s_or_b32 exec_lo, exec_lo, s0
	s_waitcnt lgkmcnt(0)
	s_waitcnt_vscnt null, 0x0
	s_barrier
	buffer_gl0_inv
	s_clause 0x4
	scratch_load_b128 v[54:57], off, off offset:32
	scratch_load_b128 v[58:61], off, off offset:48
	;; [unrolled: 1-line block ×5, first 2 shown]
	ds_load_2addr_b64 v[74:77], v1 offset0:31 offset1:32
	ds_load_2addr_b64 v[78:81], v1 offset0:33 offset1:34
	scratch_load_b128 v[82:85], off, off offset:112
	s_mov_b32 s0, exec_lo
	s_waitcnt vmcnt(5) lgkmcnt(1)
	v_fma_f64 v[56:57], v[56:57], v[74:75], 0
	s_waitcnt vmcnt(4)
	s_delay_alu instid0(VALU_DEP_1) | instskip(SKIP_1) | instid1(VALU_DEP_1)
	v_fma_f64 v[56:57], v[58:59], v[76:77], v[56:57]
	s_waitcnt lgkmcnt(0)
	v_fma_f64 v[60:61], v[60:61], v[78:79], v[56:57]
	scratch_load_b128 v[56:59], off, off offset:128
	s_waitcnt vmcnt(4)
	v_fma_f64 v[78:79], v[62:63], v[80:81], v[60:61]
	ds_load_2addr_b64 v[60:63], v1 offset0:35 offset1:36
	ds_load_2addr_b64 v[74:77], v1 offset0:37 offset1:38
	s_waitcnt lgkmcnt(1)
	v_fma_f64 v[60:61], v[64:65], v[60:61], v[78:79]
	scratch_load_b128 v[78:81], off, off offset:144
	s_waitcnt vmcnt(4)
	v_fma_f64 v[60:61], v[66:67], v[62:63], v[60:61]
	s_waitcnt lgkmcnt(0)
	s_delay_alu instid0(VALU_DEP_1)
	v_fma_f64 v[64:65], v[68:69], v[74:75], v[60:61]
	scratch_load_b128 v[60:63], off, off offset:160
	s_waitcnt vmcnt(4)
	v_fma_f64 v[74:75], v[70:71], v[76:77], v[64:65]
	ds_load_2addr_b64 v[64:67], v1 offset0:39 offset1:40
	ds_load_2addr_b64 v[68:71], v1 offset0:41 offset1:42
	scratch_load_b64 v[76:77], off, off offset:192
	s_waitcnt lgkmcnt(1)
	v_fma_f64 v[64:65], v[72:73], v[64:65], v[74:75]
	scratch_load_b128 v[72:75], off, off offset:176
	s_waitcnt vmcnt(5)
	v_fma_f64 v[64:65], v[82:83], v[66:67], v[64:65]
	s_waitcnt lgkmcnt(0)
	s_delay_alu instid0(VALU_DEP_1) | instskip(SKIP_1) | instid1(VALU_DEP_1)
	v_fma_f64 v[64:65], v[84:85], v[68:69], v[64:65]
	s_waitcnt vmcnt(4)
	v_fma_f64 v[56:57], v[56:57], v[70:71], v[64:65]
	ds_load_2addr_b64 v[64:67], v1 offset0:43 offset1:44
	ds_load_2addr_b64 v[68:71], v1 offset0:45 offset1:46
	s_waitcnt lgkmcnt(1)
	v_fma_f64 v[56:57], v[58:59], v[64:65], v[56:57]
	s_waitcnt vmcnt(3)
	s_delay_alu instid0(VALU_DEP_1) | instskip(SKIP_1) | instid1(VALU_DEP_1)
	v_fma_f64 v[56:57], v[78:79], v[66:67], v[56:57]
	s_waitcnt lgkmcnt(0)
	v_fma_f64 v[56:57], v[80:81], v[68:69], v[56:57]
	s_waitcnt vmcnt(2)
	s_delay_alu instid0(VALU_DEP_1)
	v_fma_f64 v[60:61], v[60:61], v[70:71], v[56:57]
	ds_load_2addr_b64 v[56:59], v1 offset0:47 offset1:48
	ds_load_2addr_b64 v[64:67], v1 offset0:49 offset1:50
	s_waitcnt lgkmcnt(1)
	v_fma_f64 v[1:2], v[62:63], v[56:57], v[60:61]
	s_waitcnt vmcnt(0)
	s_delay_alu instid0(VALU_DEP_1) | instskip(SKIP_1) | instid1(VALU_DEP_1)
	v_fma_f64 v[1:2], v[72:73], v[58:59], v[1:2]
	s_waitcnt lgkmcnt(0)
	v_fma_f64 v[1:2], v[74:75], v[64:65], v[1:2]
	s_delay_alu instid0(VALU_DEP_1) | instskip(NEXT) | instid1(VALU_DEP_1)
	v_fma_f64 v[1:2], v[76:77], v[66:67], v[1:2]
	v_add_f64 v[1:2], v[54:55], -v[1:2]
	scratch_store_b64 off, v[1:2], off offset:32
	v_cmpx_lt_u32_e32 3, v0
	s_cbranch_execz .LBB88_153
; %bb.152:
	scratch_load_b64 v[1:2], off, off offset:24
	v_mov_b32_e32 v54, 0
	s_delay_alu instid0(VALU_DEP_1)
	v_mov_b32_e32 v55, v54
	scratch_store_b64 off, v[54:55], off offset:24
	s_waitcnt vmcnt(0)
	ds_store_b64 v3, v[1:2]
.LBB88_153:
	s_or_b32 exec_lo, exec_lo, s0
	s_waitcnt lgkmcnt(0)
	s_waitcnt_vscnt null, 0x0
	s_barrier
	buffer_gl0_inv
	s_clause 0x4
	scratch_load_b128 v[54:57], off, off offset:24
	scratch_load_b128 v[58:61], off, off offset:40
	;; [unrolled: 1-line block ×5, first 2 shown]
	v_mov_b32_e32 v1, 0
	ds_load_b128 v[74:77], v1 offset:240
	ds_load_b128 v[78:81], v1 offset:256
	scratch_load_b128 v[82:85], off, off offset:104
	s_mov_b32 s0, exec_lo
	s_waitcnt vmcnt(5) lgkmcnt(1)
	v_fma_f64 v[56:57], v[56:57], v[74:75], 0
	s_waitcnt vmcnt(4)
	s_delay_alu instid0(VALU_DEP_1) | instskip(SKIP_1) | instid1(VALU_DEP_1)
	v_fma_f64 v[56:57], v[58:59], v[76:77], v[56:57]
	s_waitcnt lgkmcnt(0)
	v_fma_f64 v[60:61], v[60:61], v[78:79], v[56:57]
	scratch_load_b128 v[56:59], off, off offset:120
	s_waitcnt vmcnt(4)
	v_fma_f64 v[78:79], v[62:63], v[80:81], v[60:61]
	ds_load_b128 v[60:63], v1 offset:272
	ds_load_b128 v[74:77], v1 offset:288
	s_waitcnt lgkmcnt(1)
	v_fma_f64 v[60:61], v[64:65], v[60:61], v[78:79]
	scratch_load_b128 v[78:81], off, off offset:136
	s_waitcnt vmcnt(4)
	v_fma_f64 v[60:61], v[66:67], v[62:63], v[60:61]
	s_waitcnt lgkmcnt(0)
	s_delay_alu instid0(VALU_DEP_1)
	v_fma_f64 v[64:65], v[68:69], v[74:75], v[60:61]
	scratch_load_b128 v[60:63], off, off offset:152
	s_waitcnt vmcnt(4)
	v_fma_f64 v[74:75], v[70:71], v[76:77], v[64:65]
	ds_load_b128 v[64:67], v1 offset:304
	ds_load_b128 v[68:71], v1 offset:320
	s_waitcnt lgkmcnt(1)
	v_fma_f64 v[64:65], v[72:73], v[64:65], v[74:75]
	scratch_load_b128 v[72:75], off, off offset:168
	s_waitcnt vmcnt(4)
	v_fma_f64 v[64:65], v[82:83], v[66:67], v[64:65]
	s_waitcnt lgkmcnt(0)
	s_delay_alu instid0(VALU_DEP_1)
	v_fma_f64 v[68:69], v[84:85], v[68:69], v[64:65]
	scratch_load_b128 v[64:67], off, off offset:184
	s_waitcnt vmcnt(4)
	v_fma_f64 v[56:57], v[56:57], v[70:71], v[68:69]
	ds_load_b128 v[68:71], v1 offset:336
	ds_load_b128 v[82:85], v1 offset:352
	s_waitcnt lgkmcnt(1)
	v_fma_f64 v[56:57], v[58:59], v[68:69], v[56:57]
	s_waitcnt vmcnt(3)
	s_delay_alu instid0(VALU_DEP_1) | instskip(SKIP_1) | instid1(VALU_DEP_1)
	v_fma_f64 v[56:57], v[78:79], v[70:71], v[56:57]
	s_waitcnt lgkmcnt(0)
	v_fma_f64 v[56:57], v[80:81], v[82:83], v[56:57]
	s_waitcnt vmcnt(2)
	s_delay_alu instid0(VALU_DEP_1)
	v_fma_f64 v[60:61], v[60:61], v[84:85], v[56:57]
	ds_load_b128 v[56:59], v1 offset:368
	ds_load_b128 v[68:71], v1 offset:384
	s_waitcnt lgkmcnt(1)
	v_fma_f64 v[56:57], v[62:63], v[56:57], v[60:61]
	s_waitcnt vmcnt(1)
	s_delay_alu instid0(VALU_DEP_1) | instskip(SKIP_4) | instid1(VALU_DEP_1)
	v_fma_f64 v[56:57], v[72:73], v[58:59], v[56:57]
	ds_load_b64 v[58:59], v1 offset:400
	s_waitcnt lgkmcnt(1)
	v_fma_f64 v[56:57], v[74:75], v[68:69], v[56:57]
	s_waitcnt vmcnt(0)
	v_fma_f64 v[56:57], v[64:65], v[70:71], v[56:57]
	s_waitcnt lgkmcnt(0)
	s_delay_alu instid0(VALU_DEP_1) | instskip(NEXT) | instid1(VALU_DEP_1)
	v_fma_f64 v[56:57], v[66:67], v[58:59], v[56:57]
	v_add_f64 v[54:55], v[54:55], -v[56:57]
	scratch_store_b64 off, v[54:55], off offset:24
	v_cmpx_lt_u32_e32 2, v0
	s_cbranch_execz .LBB88_155
; %bb.154:
	scratch_load_b64 v[54:55], off, off offset:16
	v_mov_b32_e32 v2, v1
	scratch_store_b64 off, v[1:2], off offset:16
	s_waitcnt vmcnt(0)
	ds_store_b64 v3, v[54:55]
.LBB88_155:
	s_or_b32 exec_lo, exec_lo, s0
	s_waitcnt lgkmcnt(0)
	s_waitcnt_vscnt null, 0x0
	s_barrier
	buffer_gl0_inv
	s_clause 0x4
	scratch_load_b128 v[54:57], off, off offset:16
	scratch_load_b128 v[58:61], off, off offset:32
	scratch_load_b128 v[62:65], off, off offset:48
	scratch_load_b128 v[66:69], off, off offset:64
	scratch_load_b128 v[70:73], off, off offset:80
	ds_load_2addr_b64 v[74:77], v1 offset0:29 offset1:30
	ds_load_2addr_b64 v[78:81], v1 offset0:31 offset1:32
	scratch_load_b128 v[82:85], off, off offset:96
	s_mov_b32 s0, exec_lo
	s_waitcnt vmcnt(5) lgkmcnt(1)
	v_fma_f64 v[56:57], v[56:57], v[74:75], 0
	s_waitcnt vmcnt(4)
	s_delay_alu instid0(VALU_DEP_1) | instskip(SKIP_1) | instid1(VALU_DEP_1)
	v_fma_f64 v[56:57], v[58:59], v[76:77], v[56:57]
	s_waitcnt lgkmcnt(0)
	v_fma_f64 v[60:61], v[60:61], v[78:79], v[56:57]
	scratch_load_b128 v[56:59], off, off offset:112
	s_waitcnt vmcnt(4)
	v_fma_f64 v[78:79], v[62:63], v[80:81], v[60:61]
	ds_load_2addr_b64 v[60:63], v1 offset0:33 offset1:34
	ds_load_2addr_b64 v[74:77], v1 offset0:35 offset1:36
	s_waitcnt lgkmcnt(1)
	v_fma_f64 v[60:61], v[64:65], v[60:61], v[78:79]
	scratch_load_b128 v[78:81], off, off offset:128
	s_waitcnt vmcnt(4)
	v_fma_f64 v[60:61], v[66:67], v[62:63], v[60:61]
	s_waitcnt lgkmcnt(0)
	s_delay_alu instid0(VALU_DEP_1)
	v_fma_f64 v[64:65], v[68:69], v[74:75], v[60:61]
	scratch_load_b128 v[60:63], off, off offset:144
	s_waitcnt vmcnt(4)
	v_fma_f64 v[74:75], v[70:71], v[76:77], v[64:65]
	ds_load_2addr_b64 v[64:67], v1 offset0:37 offset1:38
	ds_load_2addr_b64 v[68:71], v1 offset0:39 offset1:40
	s_waitcnt lgkmcnt(1)
	v_fma_f64 v[64:65], v[72:73], v[64:65], v[74:75]
	scratch_load_b128 v[72:75], off, off offset:160
	s_waitcnt vmcnt(4)
	v_fma_f64 v[64:65], v[82:83], v[66:67], v[64:65]
	s_waitcnt lgkmcnt(0)
	s_delay_alu instid0(VALU_DEP_1)
	v_fma_f64 v[68:69], v[84:85], v[68:69], v[64:65]
	scratch_load_b128 v[64:67], off, off offset:176
	s_waitcnt vmcnt(4)
	v_fma_f64 v[56:57], v[56:57], v[70:71], v[68:69]
	ds_load_2addr_b64 v[68:71], v1 offset0:41 offset1:42
	ds_load_2addr_b64 v[82:85], v1 offset0:43 offset1:44
	scratch_load_b64 v[76:77], off, off offset:192
	s_waitcnt lgkmcnt(1)
	v_fma_f64 v[56:57], v[58:59], v[68:69], v[56:57]
	s_waitcnt vmcnt(4)
	s_delay_alu instid0(VALU_DEP_1) | instskip(SKIP_1) | instid1(VALU_DEP_1)
	v_fma_f64 v[56:57], v[78:79], v[70:71], v[56:57]
	s_waitcnt lgkmcnt(0)
	v_fma_f64 v[56:57], v[80:81], v[82:83], v[56:57]
	s_waitcnt vmcnt(3)
	s_delay_alu instid0(VALU_DEP_1)
	v_fma_f64 v[60:61], v[60:61], v[84:85], v[56:57]
	ds_load_2addr_b64 v[56:59], v1 offset0:45 offset1:46
	ds_load_2addr_b64 v[68:71], v1 offset0:47 offset1:48
	s_waitcnt lgkmcnt(1)
	v_fma_f64 v[56:57], v[62:63], v[56:57], v[60:61]
	s_waitcnt vmcnt(2)
	s_delay_alu instid0(VALU_DEP_1) | instskip(SKIP_1) | instid1(VALU_DEP_1)
	v_fma_f64 v[56:57], v[72:73], v[58:59], v[56:57]
	s_waitcnt lgkmcnt(0)
	v_fma_f64 v[56:57], v[74:75], v[68:69], v[56:57]
	s_waitcnt vmcnt(1)
	s_delay_alu instid0(VALU_DEP_1) | instskip(SKIP_4) | instid1(VALU_DEP_1)
	v_fma_f64 v[60:61], v[64:65], v[70:71], v[56:57]
	ds_load_2addr_b64 v[56:59], v1 offset0:49 offset1:50
	s_waitcnt lgkmcnt(0)
	v_fma_f64 v[1:2], v[66:67], v[56:57], v[60:61]
	s_waitcnt vmcnt(0)
	v_fma_f64 v[1:2], v[76:77], v[58:59], v[1:2]
	s_delay_alu instid0(VALU_DEP_1)
	v_add_f64 v[1:2], v[54:55], -v[1:2]
	scratch_store_b64 off, v[1:2], off offset:16
	v_cmpx_lt_u32_e32 1, v0
	s_cbranch_execz .LBB88_157
; %bb.156:
	scratch_load_b64 v[1:2], off, off offset:8
	v_mov_b32_e32 v54, 0
	s_delay_alu instid0(VALU_DEP_1)
	v_mov_b32_e32 v55, v54
	scratch_store_b64 off, v[54:55], off offset:8
	s_waitcnt vmcnt(0)
	ds_store_b64 v3, v[1:2]
.LBB88_157:
	s_or_b32 exec_lo, exec_lo, s0
	s_waitcnt lgkmcnt(0)
	s_waitcnt_vscnt null, 0x0
	s_barrier
	buffer_gl0_inv
	s_clause 0x4
	scratch_load_b128 v[55:58], off, off offset:8
	scratch_load_b128 v[59:62], off, off offset:24
	;; [unrolled: 1-line block ×5, first 2 shown]
	v_mov_b32_e32 v54, 0
	ds_load_b128 v[75:78], v54 offset:224
	ds_load_b128 v[79:82], v54 offset:240
	scratch_load_b128 v[83:86], off, off offset:88
	s_mov_b32 s0, exec_lo
	s_waitcnt vmcnt(5) lgkmcnt(1)
	v_fma_f64 v[1:2], v[57:58], v[75:76], 0
	s_waitcnt vmcnt(4)
	s_delay_alu instid0(VALU_DEP_1) | instskip(SKIP_4) | instid1(VALU_DEP_1)
	v_fma_f64 v[1:2], v[59:60], v[77:78], v[1:2]
	scratch_load_b128 v[57:60], off, off offset:104
	s_waitcnt lgkmcnt(0)
	v_fma_f64 v[1:2], v[61:62], v[79:80], v[1:2]
	s_waitcnt vmcnt(4)
	v_fma_f64 v[1:2], v[63:64], v[81:82], v[1:2]
	ds_load_b128 v[61:64], v54 offset:256
	ds_load_b128 v[75:78], v54 offset:272
	scratch_load_b128 v[79:82], off, off offset:120
	s_waitcnt lgkmcnt(1)
	v_fma_f64 v[1:2], v[65:66], v[61:62], v[1:2]
	s_waitcnt vmcnt(4)
	s_delay_alu instid0(VALU_DEP_1) | instskip(SKIP_4) | instid1(VALU_DEP_1)
	v_fma_f64 v[1:2], v[67:68], v[63:64], v[1:2]
	scratch_load_b128 v[61:64], off, off offset:136
	s_waitcnt lgkmcnt(0)
	v_fma_f64 v[1:2], v[69:70], v[75:76], v[1:2]
	s_waitcnt vmcnt(4)
	v_fma_f64 v[1:2], v[71:72], v[77:78], v[1:2]
	ds_load_b128 v[65:68], v54 offset:288
	ds_load_b128 v[69:72], v54 offset:304
	s_waitcnt lgkmcnt(1)
	v_fma_f64 v[1:2], v[73:74], v[65:66], v[1:2]
	scratch_load_b128 v[73:76], off, off offset:152
	s_waitcnt vmcnt(4)
	v_fma_f64 v[1:2], v[83:84], v[67:68], v[1:2]
	scratch_load_b128 v[65:68], off, off offset:168
	s_waitcnt lgkmcnt(0)
	v_fma_f64 v[1:2], v[85:86], v[69:70], v[1:2]
	s_waitcnt vmcnt(4)
	s_delay_alu instid0(VALU_DEP_1)
	v_fma_f64 v[1:2], v[57:58], v[71:72], v[1:2]
	ds_load_b128 v[69:72], v54 offset:320
	ds_load_b128 v[83:86], v54 offset:336
	s_waitcnt lgkmcnt(1)
	v_fma_f64 v[1:2], v[59:60], v[69:70], v[1:2]
	scratch_load_b128 v[57:60], off, off offset:184
	s_waitcnt vmcnt(4)
	v_fma_f64 v[1:2], v[79:80], v[71:72], v[1:2]
	ds_load_b128 v[69:72], v54 offset:352
	ds_load_b128 v[77:80], v54 offset:368
	s_waitcnt lgkmcnt(2)
	v_fma_f64 v[1:2], v[81:82], v[83:84], v[1:2]
	s_waitcnt vmcnt(3)
	s_delay_alu instid0(VALU_DEP_1) | instskip(SKIP_1) | instid1(VALU_DEP_1)
	v_fma_f64 v[1:2], v[61:62], v[85:86], v[1:2]
	s_waitcnt lgkmcnt(1)
	v_fma_f64 v[1:2], v[63:64], v[69:70], v[1:2]
	s_waitcnt vmcnt(2)
	s_delay_alu instid0(VALU_DEP_1) | instskip(SKIP_1) | instid1(VALU_DEP_1)
	v_fma_f64 v[1:2], v[73:74], v[71:72], v[1:2]
	s_waitcnt lgkmcnt(0)
	v_fma_f64 v[1:2], v[75:76], v[77:78], v[1:2]
	s_waitcnt vmcnt(1)
	s_delay_alu instid0(VALU_DEP_1)
	v_fma_f64 v[1:2], v[65:66], v[79:80], v[1:2]
	ds_load_b128 v[61:64], v54 offset:384
	ds_load_b64 v[65:66], v54 offset:400
	s_waitcnt lgkmcnt(1)
	v_fma_f64 v[1:2], v[67:68], v[61:62], v[1:2]
	s_waitcnt vmcnt(0)
	s_delay_alu instid0(VALU_DEP_1) | instskip(SKIP_1) | instid1(VALU_DEP_1)
	v_fma_f64 v[1:2], v[57:58], v[63:64], v[1:2]
	s_waitcnt lgkmcnt(0)
	v_fma_f64 v[1:2], v[59:60], v[65:66], v[1:2]
	s_delay_alu instid0(VALU_DEP_1)
	v_add_f64 v[1:2], v[55:56], -v[1:2]
	scratch_store_b64 off, v[1:2], off offset:8
	v_cmpx_ne_u32_e32 0, v0
	s_cbranch_execz .LBB88_159
; %bb.158:
	scratch_load_b64 v[0:1], off, off
	v_mov_b32_e32 v55, v54
	scratch_store_b64 off, v[54:55], off
	s_waitcnt vmcnt(0)
	ds_store_b64 v3, v[0:1]
.LBB88_159:
	s_or_b32 exec_lo, exec_lo, s0
	s_waitcnt lgkmcnt(0)
	s_waitcnt_vscnt null, 0x0
	s_barrier
	buffer_gl0_inv
	s_clause 0x4
	scratch_load_b128 v[55:58], off, off
	scratch_load_b128 v[0:3], off, off offset:16
	scratch_load_b128 v[59:62], off, off offset:32
	scratch_load_b128 v[63:66], off, off offset:48
	scratch_load_b128 v[67:70], off, off offset:64
	ds_load_2addr_b64 v[71:74], v54 offset0:27 offset1:28
	ds_load_2addr_b64 v[75:78], v54 offset0:29 offset1:30
	scratch_load_b128 v[79:82], off, off offset:80
	s_and_b32 vcc_lo, exec_lo, s12
	s_waitcnt vmcnt(5) lgkmcnt(1)
	v_fma_f64 v[57:58], v[57:58], v[71:72], 0
	s_waitcnt vmcnt(4)
	s_delay_alu instid0(VALU_DEP_1) | instskip(SKIP_1) | instid1(VALU_DEP_1)
	v_fma_f64 v[0:1], v[0:1], v[73:74], v[57:58]
	s_waitcnt lgkmcnt(0)
	v_fma_f64 v[57:58], v[2:3], v[75:76], v[0:1]
	scratch_load_b128 v[0:3], off, off offset:96
	s_waitcnt vmcnt(4)
	v_fma_f64 v[75:76], v[59:60], v[77:78], v[57:58]
	ds_load_2addr_b64 v[57:60], v54 offset0:31 offset1:32
	ds_load_2addr_b64 v[71:74], v54 offset0:33 offset1:34
	s_waitcnt lgkmcnt(1)
	v_fma_f64 v[57:58], v[61:62], v[57:58], v[75:76]
	scratch_load_b128 v[75:78], off, off offset:112
	s_waitcnt vmcnt(4)
	v_fma_f64 v[57:58], v[63:64], v[59:60], v[57:58]
	s_waitcnt lgkmcnt(0)
	s_delay_alu instid0(VALU_DEP_1)
	v_fma_f64 v[61:62], v[65:66], v[71:72], v[57:58]
	scratch_load_b128 v[57:60], off, off offset:128
	s_waitcnt vmcnt(4)
	v_fma_f64 v[71:72], v[67:68], v[73:74], v[61:62]
	ds_load_2addr_b64 v[61:64], v54 offset0:35 offset1:36
	ds_load_2addr_b64 v[65:68], v54 offset0:37 offset1:38
	s_waitcnt lgkmcnt(1)
	v_fma_f64 v[61:62], v[69:70], v[61:62], v[71:72]
	scratch_load_b128 v[69:72], off, off offset:144
	s_waitcnt vmcnt(4)
	v_fma_f64 v[61:62], v[79:80], v[63:64], v[61:62]
	s_waitcnt lgkmcnt(0)
	s_delay_alu instid0(VALU_DEP_1)
	;; [unrolled: 13-line block ×3, first 2 shown]
	v_fma_f64 v[65:66], v[77:78], v[79:80], v[65:66]
	scratch_load_b64 v[77:78], off, off offset:192
	s_waitcnt vmcnt(4)
	v_fma_f64 v[57:58], v[57:58], v[81:82], v[65:66]
	ds_load_2addr_b64 v[65:68], v54 offset0:43 offset1:44
	ds_load_2addr_b64 v[73:76], v54 offset0:45 offset1:46
	s_waitcnt lgkmcnt(1)
	v_fma_f64 v[57:58], v[59:60], v[65:66], v[57:58]
	s_waitcnt vmcnt(3)
	s_delay_alu instid0(VALU_DEP_1) | instskip(SKIP_1) | instid1(VALU_DEP_1)
	v_fma_f64 v[57:58], v[69:70], v[67:68], v[57:58]
	s_waitcnt lgkmcnt(0)
	v_fma_f64 v[57:58], v[71:72], v[73:74], v[57:58]
	s_waitcnt vmcnt(2)
	s_delay_alu instid0(VALU_DEP_1)
	v_fma_f64 v[61:62], v[61:62], v[75:76], v[57:58]
	ds_load_2addr_b64 v[57:60], v54 offset0:47 offset1:48
	ds_load_2addr_b64 v[65:68], v54 offset0:49 offset1:50
	s_waitcnt lgkmcnt(1)
	v_fma_f64 v[57:58], v[63:64], v[57:58], v[61:62]
	s_waitcnt vmcnt(1)
	s_delay_alu instid0(VALU_DEP_1) | instskip(SKIP_1) | instid1(VALU_DEP_1)
	v_fma_f64 v[0:1], v[0:1], v[59:60], v[57:58]
	s_waitcnt lgkmcnt(0)
	v_fma_f64 v[0:1], v[2:3], v[65:66], v[0:1]
	s_waitcnt vmcnt(0)
	s_delay_alu instid0(VALU_DEP_1) | instskip(NEXT) | instid1(VALU_DEP_1)
	v_fma_f64 v[0:1], v[77:78], v[67:68], v[0:1]
	v_add_f64 v[0:1], v[55:56], -v[0:1]
	scratch_store_b64 off, v[0:1], off
	s_cbranch_vccz .LBB88_209
; %bb.160:
	v_dual_mov_b32 v0, s2 :: v_dual_mov_b32 v1, s3
	s_mov_b32 s0, exec_lo
	flat_load_b32 v0, v[0:1] offset:92
	s_waitcnt vmcnt(0) lgkmcnt(0)
	v_cmpx_ne_u32_e32 24, v0
	s_cbranch_execz .LBB88_162
; %bb.161:
	v_lshl_add_u32 v54, v0, 3, 0
	scratch_load_b64 v[0:1], v54, off offset:-8
	s_waitcnt vmcnt(0)
	scratch_store_b64 off, v[0:1], off offset:184
	scratch_store_b64 v54, v[2:3], off offset:-8
.LBB88_162:
	s_or_b32 exec_lo, exec_lo, s0
	v_dual_mov_b32 v0, s2 :: v_dual_mov_b32 v1, s3
	s_mov_b32 s0, exec_lo
	flat_load_b32 v0, v[0:1] offset:88
	s_waitcnt vmcnt(0) lgkmcnt(0)
	v_cmpx_ne_u32_e32 23, v0
	s_cbranch_execz .LBB88_164
; %bb.163:
	v_lshl_add_u32 v54, v0, 3, 0
	scratch_load_b64 v[0:1], v54, off offset:-8
	scratch_load_b64 v[2:3], off, off offset:176
	s_waitcnt vmcnt(1)
	scratch_store_b64 off, v[0:1], off offset:176
	s_waitcnt vmcnt(0)
	scratch_store_b64 v54, v[2:3], off offset:-8
.LBB88_164:
	s_or_b32 exec_lo, exec_lo, s0
	v_dual_mov_b32 v0, s2 :: v_dual_mov_b32 v1, s3
	s_mov_b32 s0, exec_lo
	flat_load_b32 v0, v[0:1] offset:84
	s_waitcnt vmcnt(0) lgkmcnt(0)
	v_cmpx_ne_u32_e32 22, v0
	s_cbranch_execz .LBB88_166
; %bb.165:
	v_lshl_add_u32 v54, v0, 3, 0
	scratch_load_b64 v[0:1], v54, off offset:-8
	scratch_load_b64 v[2:3], off, off offset:168
	s_waitcnt vmcnt(1)
	scratch_store_b64 off, v[0:1], off offset:168
	s_waitcnt vmcnt(0)
	scratch_store_b64 v54, v[2:3], off offset:-8
.LBB88_166:
	s_or_b32 exec_lo, exec_lo, s0
	v_dual_mov_b32 v0, s2 :: v_dual_mov_b32 v1, s3
	s_mov_b32 s0, exec_lo
	flat_load_b32 v0, v[0:1] offset:80
	s_waitcnt vmcnt(0) lgkmcnt(0)
	v_cmpx_ne_u32_e32 21, v0
	s_cbranch_execz .LBB88_168
; %bb.167:
	v_lshl_add_u32 v54, v0, 3, 0
	scratch_load_b64 v[0:1], v54, off offset:-8
	scratch_load_b64 v[2:3], off, off offset:160
	s_waitcnt vmcnt(1)
	scratch_store_b64 off, v[0:1], off offset:160
	s_waitcnt vmcnt(0)
	scratch_store_b64 v54, v[2:3], off offset:-8
.LBB88_168:
	s_or_b32 exec_lo, exec_lo, s0
	v_dual_mov_b32 v0, s2 :: v_dual_mov_b32 v1, s3
	s_mov_b32 s0, exec_lo
	flat_load_b32 v0, v[0:1] offset:76
	s_waitcnt vmcnt(0) lgkmcnt(0)
	v_cmpx_ne_u32_e32 20, v0
	s_cbranch_execz .LBB88_170
; %bb.169:
	v_lshl_add_u32 v54, v0, 3, 0
	scratch_load_b64 v[0:1], v54, off offset:-8
	scratch_load_b64 v[2:3], off, off offset:152
	s_waitcnt vmcnt(1)
	scratch_store_b64 off, v[0:1], off offset:152
	s_waitcnt vmcnt(0)
	scratch_store_b64 v54, v[2:3], off offset:-8
.LBB88_170:
	s_or_b32 exec_lo, exec_lo, s0
	v_dual_mov_b32 v0, s2 :: v_dual_mov_b32 v1, s3
	s_mov_b32 s0, exec_lo
	flat_load_b32 v0, v[0:1] offset:72
	s_waitcnt vmcnt(0) lgkmcnt(0)
	v_cmpx_ne_u32_e32 19, v0
	s_cbranch_execz .LBB88_172
; %bb.171:
	v_lshl_add_u32 v54, v0, 3, 0
	scratch_load_b64 v[0:1], v54, off offset:-8
	scratch_load_b64 v[2:3], off, off offset:144
	s_waitcnt vmcnt(1)
	scratch_store_b64 off, v[0:1], off offset:144
	s_waitcnt vmcnt(0)
	scratch_store_b64 v54, v[2:3], off offset:-8
.LBB88_172:
	s_or_b32 exec_lo, exec_lo, s0
	v_dual_mov_b32 v0, s2 :: v_dual_mov_b32 v1, s3
	s_mov_b32 s0, exec_lo
	flat_load_b32 v0, v[0:1] offset:68
	s_waitcnt vmcnt(0) lgkmcnt(0)
	v_cmpx_ne_u32_e32 18, v0
	s_cbranch_execz .LBB88_174
; %bb.173:
	v_lshl_add_u32 v54, v0, 3, 0
	scratch_load_b64 v[0:1], v54, off offset:-8
	scratch_load_b64 v[2:3], off, off offset:136
	s_waitcnt vmcnt(1)
	scratch_store_b64 off, v[0:1], off offset:136
	s_waitcnt vmcnt(0)
	scratch_store_b64 v54, v[2:3], off offset:-8
.LBB88_174:
	s_or_b32 exec_lo, exec_lo, s0
	v_dual_mov_b32 v0, s2 :: v_dual_mov_b32 v1, s3
	s_mov_b32 s0, exec_lo
	flat_load_b32 v0, v[0:1] offset:64
	s_waitcnt vmcnt(0) lgkmcnt(0)
	v_cmpx_ne_u32_e32 17, v0
	s_cbranch_execz .LBB88_176
; %bb.175:
	v_lshl_add_u32 v54, v0, 3, 0
	scratch_load_b64 v[0:1], v54, off offset:-8
	scratch_load_b64 v[2:3], off, off offset:128
	s_waitcnt vmcnt(1)
	scratch_store_b64 off, v[0:1], off offset:128
	s_waitcnt vmcnt(0)
	scratch_store_b64 v54, v[2:3], off offset:-8
.LBB88_176:
	s_or_b32 exec_lo, exec_lo, s0
	v_dual_mov_b32 v0, s2 :: v_dual_mov_b32 v1, s3
	s_mov_b32 s0, exec_lo
	flat_load_b32 v0, v[0:1] offset:60
	s_waitcnt vmcnt(0) lgkmcnt(0)
	v_cmpx_ne_u32_e32 16, v0
	s_cbranch_execz .LBB88_178
; %bb.177:
	v_lshl_add_u32 v54, v0, 3, 0
	scratch_load_b64 v[0:1], v54, off offset:-8
	scratch_load_b64 v[2:3], off, off offset:120
	s_waitcnt vmcnt(1)
	scratch_store_b64 off, v[0:1], off offset:120
	s_waitcnt vmcnt(0)
	scratch_store_b64 v54, v[2:3], off offset:-8
.LBB88_178:
	s_or_b32 exec_lo, exec_lo, s0
	v_dual_mov_b32 v0, s2 :: v_dual_mov_b32 v1, s3
	s_mov_b32 s0, exec_lo
	flat_load_b32 v0, v[0:1] offset:56
	s_waitcnt vmcnt(0) lgkmcnt(0)
	v_cmpx_ne_u32_e32 15, v0
	s_cbranch_execz .LBB88_180
; %bb.179:
	v_lshl_add_u32 v54, v0, 3, 0
	scratch_load_b64 v[0:1], v54, off offset:-8
	scratch_load_b64 v[2:3], off, off offset:112
	s_waitcnt vmcnt(1)
	scratch_store_b64 off, v[0:1], off offset:112
	s_waitcnt vmcnt(0)
	scratch_store_b64 v54, v[2:3], off offset:-8
.LBB88_180:
	s_or_b32 exec_lo, exec_lo, s0
	v_dual_mov_b32 v0, s2 :: v_dual_mov_b32 v1, s3
	s_mov_b32 s0, exec_lo
	flat_load_b32 v0, v[0:1] offset:52
	s_waitcnt vmcnt(0) lgkmcnt(0)
	v_cmpx_ne_u32_e32 14, v0
	s_cbranch_execz .LBB88_182
; %bb.181:
	v_lshl_add_u32 v54, v0, 3, 0
	scratch_load_b64 v[0:1], v54, off offset:-8
	scratch_load_b64 v[2:3], off, off offset:104
	s_waitcnt vmcnt(1)
	scratch_store_b64 off, v[0:1], off offset:104
	s_waitcnt vmcnt(0)
	scratch_store_b64 v54, v[2:3], off offset:-8
.LBB88_182:
	s_or_b32 exec_lo, exec_lo, s0
	v_dual_mov_b32 v0, s2 :: v_dual_mov_b32 v1, s3
	s_mov_b32 s0, exec_lo
	flat_load_b32 v0, v[0:1] offset:48
	s_waitcnt vmcnt(0) lgkmcnt(0)
	v_cmpx_ne_u32_e32 13, v0
	s_cbranch_execz .LBB88_184
; %bb.183:
	v_lshl_add_u32 v54, v0, 3, 0
	scratch_load_b64 v[0:1], v54, off offset:-8
	scratch_load_b64 v[2:3], off, off offset:96
	s_waitcnt vmcnt(1)
	scratch_store_b64 off, v[0:1], off offset:96
	s_waitcnt vmcnt(0)
	scratch_store_b64 v54, v[2:3], off offset:-8
.LBB88_184:
	s_or_b32 exec_lo, exec_lo, s0
	v_dual_mov_b32 v0, s2 :: v_dual_mov_b32 v1, s3
	s_mov_b32 s0, exec_lo
	flat_load_b32 v0, v[0:1] offset:44
	s_waitcnt vmcnt(0) lgkmcnt(0)
	v_cmpx_ne_u32_e32 12, v0
	s_cbranch_execz .LBB88_186
; %bb.185:
	v_lshl_add_u32 v54, v0, 3, 0
	scratch_load_b64 v[0:1], v54, off offset:-8
	scratch_load_b64 v[2:3], off, off offset:88
	s_waitcnt vmcnt(1)
	scratch_store_b64 off, v[0:1], off offset:88
	s_waitcnt vmcnt(0)
	scratch_store_b64 v54, v[2:3], off offset:-8
.LBB88_186:
	s_or_b32 exec_lo, exec_lo, s0
	v_dual_mov_b32 v0, s2 :: v_dual_mov_b32 v1, s3
	s_mov_b32 s0, exec_lo
	flat_load_b32 v0, v[0:1] offset:40
	s_waitcnt vmcnt(0) lgkmcnt(0)
	v_cmpx_ne_u32_e32 11, v0
	s_cbranch_execz .LBB88_188
; %bb.187:
	v_lshl_add_u32 v54, v0, 3, 0
	scratch_load_b64 v[0:1], v54, off offset:-8
	scratch_load_b64 v[2:3], off, off offset:80
	s_waitcnt vmcnt(1)
	scratch_store_b64 off, v[0:1], off offset:80
	s_waitcnt vmcnt(0)
	scratch_store_b64 v54, v[2:3], off offset:-8
.LBB88_188:
	s_or_b32 exec_lo, exec_lo, s0
	v_dual_mov_b32 v0, s2 :: v_dual_mov_b32 v1, s3
	s_mov_b32 s0, exec_lo
	flat_load_b32 v0, v[0:1] offset:36
	s_waitcnt vmcnt(0) lgkmcnt(0)
	v_cmpx_ne_u32_e32 10, v0
	s_cbranch_execz .LBB88_190
; %bb.189:
	v_lshl_add_u32 v54, v0, 3, 0
	scratch_load_b64 v[0:1], v54, off offset:-8
	scratch_load_b64 v[2:3], off, off offset:72
	s_waitcnt vmcnt(1)
	scratch_store_b64 off, v[0:1], off offset:72
	s_waitcnt vmcnt(0)
	scratch_store_b64 v54, v[2:3], off offset:-8
.LBB88_190:
	s_or_b32 exec_lo, exec_lo, s0
	v_dual_mov_b32 v0, s2 :: v_dual_mov_b32 v1, s3
	s_mov_b32 s0, exec_lo
	flat_load_b32 v0, v[0:1] offset:32
	s_waitcnt vmcnt(0) lgkmcnt(0)
	v_cmpx_ne_u32_e32 9, v0
	s_cbranch_execz .LBB88_192
; %bb.191:
	v_lshl_add_u32 v54, v0, 3, 0
	scratch_load_b64 v[0:1], v54, off offset:-8
	scratch_load_b64 v[2:3], off, off offset:64
	s_waitcnt vmcnt(1)
	scratch_store_b64 off, v[0:1], off offset:64
	s_waitcnt vmcnt(0)
	scratch_store_b64 v54, v[2:3], off offset:-8
.LBB88_192:
	s_or_b32 exec_lo, exec_lo, s0
	v_dual_mov_b32 v0, s2 :: v_dual_mov_b32 v1, s3
	s_mov_b32 s0, exec_lo
	flat_load_b32 v0, v[0:1] offset:28
	s_waitcnt vmcnt(0) lgkmcnt(0)
	v_cmpx_ne_u32_e32 8, v0
	s_cbranch_execz .LBB88_194
; %bb.193:
	v_lshl_add_u32 v54, v0, 3, 0
	scratch_load_b64 v[0:1], v54, off offset:-8
	scratch_load_b64 v[2:3], off, off offset:56
	s_waitcnt vmcnt(1)
	scratch_store_b64 off, v[0:1], off offset:56
	s_waitcnt vmcnt(0)
	scratch_store_b64 v54, v[2:3], off offset:-8
.LBB88_194:
	s_or_b32 exec_lo, exec_lo, s0
	v_dual_mov_b32 v0, s2 :: v_dual_mov_b32 v1, s3
	s_mov_b32 s0, exec_lo
	flat_load_b32 v0, v[0:1] offset:24
	s_waitcnt vmcnt(0) lgkmcnt(0)
	v_cmpx_ne_u32_e32 7, v0
	s_cbranch_execz .LBB88_196
; %bb.195:
	v_lshl_add_u32 v54, v0, 3, 0
	scratch_load_b64 v[0:1], v54, off offset:-8
	scratch_load_b64 v[2:3], off, off offset:48
	s_waitcnt vmcnt(1)
	scratch_store_b64 off, v[0:1], off offset:48
	s_waitcnt vmcnt(0)
	scratch_store_b64 v54, v[2:3], off offset:-8
.LBB88_196:
	s_or_b32 exec_lo, exec_lo, s0
	v_dual_mov_b32 v0, s2 :: v_dual_mov_b32 v1, s3
	s_mov_b32 s0, exec_lo
	flat_load_b32 v0, v[0:1] offset:20
	s_waitcnt vmcnt(0) lgkmcnt(0)
	v_cmpx_ne_u32_e32 6, v0
	s_cbranch_execz .LBB88_198
; %bb.197:
	v_lshl_add_u32 v54, v0, 3, 0
	scratch_load_b64 v[0:1], v54, off offset:-8
	scratch_load_b64 v[2:3], off, off offset:40
	s_waitcnt vmcnt(1)
	scratch_store_b64 off, v[0:1], off offset:40
	s_waitcnt vmcnt(0)
	scratch_store_b64 v54, v[2:3], off offset:-8
.LBB88_198:
	s_or_b32 exec_lo, exec_lo, s0
	v_dual_mov_b32 v0, s2 :: v_dual_mov_b32 v1, s3
	s_mov_b32 s0, exec_lo
	flat_load_b32 v0, v[0:1] offset:16
	s_waitcnt vmcnt(0) lgkmcnt(0)
	v_cmpx_ne_u32_e32 5, v0
	s_cbranch_execz .LBB88_200
; %bb.199:
	v_lshl_add_u32 v54, v0, 3, 0
	scratch_load_b64 v[0:1], v54, off offset:-8
	scratch_load_b64 v[2:3], off, off offset:32
	s_waitcnt vmcnt(1)
	scratch_store_b64 off, v[0:1], off offset:32
	s_waitcnt vmcnt(0)
	scratch_store_b64 v54, v[2:3], off offset:-8
.LBB88_200:
	s_or_b32 exec_lo, exec_lo, s0
	v_dual_mov_b32 v0, s2 :: v_dual_mov_b32 v1, s3
	s_mov_b32 s0, exec_lo
	flat_load_b32 v0, v[0:1] offset:12
	s_waitcnt vmcnt(0) lgkmcnt(0)
	v_cmpx_ne_u32_e32 4, v0
	s_cbranch_execz .LBB88_202
; %bb.201:
	v_lshl_add_u32 v54, v0, 3, 0
	scratch_load_b64 v[0:1], v54, off offset:-8
	scratch_load_b64 v[2:3], off, off offset:24
	s_waitcnt vmcnt(1)
	scratch_store_b64 off, v[0:1], off offset:24
	s_waitcnt vmcnt(0)
	scratch_store_b64 v54, v[2:3], off offset:-8
.LBB88_202:
	s_or_b32 exec_lo, exec_lo, s0
	v_dual_mov_b32 v0, s2 :: v_dual_mov_b32 v1, s3
	s_mov_b32 s0, exec_lo
	flat_load_b32 v0, v[0:1] offset:8
	s_waitcnt vmcnt(0) lgkmcnt(0)
	v_cmpx_ne_u32_e32 3, v0
	s_cbranch_execz .LBB88_204
; %bb.203:
	v_lshl_add_u32 v54, v0, 3, 0
	scratch_load_b64 v[0:1], v54, off offset:-8
	scratch_load_b64 v[2:3], off, off offset:16
	s_waitcnt vmcnt(1)
	scratch_store_b64 off, v[0:1], off offset:16
	s_waitcnt vmcnt(0)
	scratch_store_b64 v54, v[2:3], off offset:-8
.LBB88_204:
	s_or_b32 exec_lo, exec_lo, s0
	v_dual_mov_b32 v0, s2 :: v_dual_mov_b32 v1, s3
	s_mov_b32 s0, exec_lo
	flat_load_b32 v0, v[0:1] offset:4
	s_waitcnt vmcnt(0) lgkmcnt(0)
	v_cmpx_ne_u32_e32 2, v0
	s_cbranch_execz .LBB88_206
; %bb.205:
	v_lshl_add_u32 v54, v0, 3, 0
	scratch_load_b64 v[0:1], v54, off offset:-8
	scratch_load_b64 v[2:3], off, off offset:8
	s_waitcnt vmcnt(1)
	scratch_store_b64 off, v[0:1], off offset:8
	s_waitcnt vmcnt(0)
	scratch_store_b64 v54, v[2:3], off offset:-8
.LBB88_206:
	s_or_b32 exec_lo, exec_lo, s0
	v_dual_mov_b32 v0, s2 :: v_dual_mov_b32 v1, s3
	s_mov_b32 s0, exec_lo
	flat_load_b32 v2, v[0:1]
	scratch_load_b64 v[0:1], off, off
	s_waitcnt vmcnt(1) lgkmcnt(0)
	v_cmpx_ne_u32_e32 1, v2
	s_cbranch_execz .LBB88_208
; %bb.207:
	v_lshl_add_u32 v54, v2, 3, 0
	scratch_load_b64 v[2:3], v54, off offset:-8
	s_waitcnt vmcnt(0)
	scratch_store_b64 off, v[2:3], off
	scratch_store_b64 v54, v[0:1], off offset:-8
	scratch_load_b64 v[0:1], off, off
.LBB88_208:
	s_or_b32 exec_lo, exec_lo, s0
.LBB88_209:
	s_clause 0x8
	scratch_load_b128 v[54:57], off, off offset:8
	scratch_load_b128 v[58:61], off, off offset:24
	;; [unrolled: 1-line block ×9, first 2 shown]
	s_waitcnt vmcnt(9)
	global_store_b64 v[4:5], v[0:1], off
	s_clause 0x1
	scratch_load_b128 v[0:3], off, off offset:152
	scratch_load_b128 v[90:93], off, off offset:168
	s_waitcnt vmcnt(10)
	s_clause 0x1
	global_store_b64 v[8:9], v[54:55], off
	global_store_b64 v[14:15], v[56:57], off
	scratch_load_b128 v[54:57], off, off offset:184
	s_waitcnt vmcnt(10)
	s_clause 0x1
	global_store_b64 v[6:7], v[58:59], off
	global_store_b64 v[10:11], v[60:61], off
	s_waitcnt vmcnt(9)
	s_clause 0x1
	global_store_b64 v[12:13], v[62:63], off
	global_store_b64 v[16:17], v[64:65], off
	;; [unrolled: 4-line block ×11, first 2 shown]
	s_endpgm
	.section	.rodata,"a",@progbits
	.p2align	6, 0x0
	.amdhsa_kernel _ZN9rocsolver6v33100L18getri_kernel_smallILi25EdPKPdEEvT1_iilPiilS6_bb
		.amdhsa_group_segment_fixed_size 408
		.amdhsa_private_segment_fixed_size 208
		.amdhsa_kernarg_size 60
		.amdhsa_user_sgpr_count 15
		.amdhsa_user_sgpr_dispatch_ptr 0
		.amdhsa_user_sgpr_queue_ptr 0
		.amdhsa_user_sgpr_kernarg_segment_ptr 1
		.amdhsa_user_sgpr_dispatch_id 0
		.amdhsa_user_sgpr_private_segment_size 0
		.amdhsa_wavefront_size32 1
		.amdhsa_uses_dynamic_stack 0
		.amdhsa_enable_private_segment 1
		.amdhsa_system_sgpr_workgroup_id_x 1
		.amdhsa_system_sgpr_workgroup_id_y 0
		.amdhsa_system_sgpr_workgroup_id_z 0
		.amdhsa_system_sgpr_workgroup_info 0
		.amdhsa_system_vgpr_workitem_id 0
		.amdhsa_next_free_vgpr 94
		.amdhsa_next_free_sgpr 17
		.amdhsa_reserve_vcc 1
		.amdhsa_float_round_mode_32 0
		.amdhsa_float_round_mode_16_64 0
		.amdhsa_float_denorm_mode_32 3
		.amdhsa_float_denorm_mode_16_64 3
		.amdhsa_dx10_clamp 1
		.amdhsa_ieee_mode 1
		.amdhsa_fp16_overflow 0
		.amdhsa_workgroup_processor_mode 1
		.amdhsa_memory_ordered 1
		.amdhsa_forward_progress 0
		.amdhsa_shared_vgpr_count 0
		.amdhsa_exception_fp_ieee_invalid_op 0
		.amdhsa_exception_fp_denorm_src 0
		.amdhsa_exception_fp_ieee_div_zero 0
		.amdhsa_exception_fp_ieee_overflow 0
		.amdhsa_exception_fp_ieee_underflow 0
		.amdhsa_exception_fp_ieee_inexact 0
		.amdhsa_exception_int_div_zero 0
	.end_amdhsa_kernel
	.section	.text._ZN9rocsolver6v33100L18getri_kernel_smallILi25EdPKPdEEvT1_iilPiilS6_bb,"axG",@progbits,_ZN9rocsolver6v33100L18getri_kernel_smallILi25EdPKPdEEvT1_iilPiilS6_bb,comdat
.Lfunc_end88:
	.size	_ZN9rocsolver6v33100L18getri_kernel_smallILi25EdPKPdEEvT1_iilPiilS6_bb, .Lfunc_end88-_ZN9rocsolver6v33100L18getri_kernel_smallILi25EdPKPdEEvT1_iilPiilS6_bb
                                        ; -- End function
	.section	.AMDGPU.csdata,"",@progbits
; Kernel info:
; codeLenInByte = 17676
; NumSgprs: 19
; NumVgprs: 94
; ScratchSize: 208
; MemoryBound: 0
; FloatMode: 240
; IeeeMode: 1
; LDSByteSize: 408 bytes/workgroup (compile time only)
; SGPRBlocks: 2
; VGPRBlocks: 11
; NumSGPRsForWavesPerEU: 19
; NumVGPRsForWavesPerEU: 94
; Occupancy: 16
; WaveLimiterHint : 1
; COMPUTE_PGM_RSRC2:SCRATCH_EN: 1
; COMPUTE_PGM_RSRC2:USER_SGPR: 15
; COMPUTE_PGM_RSRC2:TRAP_HANDLER: 0
; COMPUTE_PGM_RSRC2:TGID_X_EN: 1
; COMPUTE_PGM_RSRC2:TGID_Y_EN: 0
; COMPUTE_PGM_RSRC2:TGID_Z_EN: 0
; COMPUTE_PGM_RSRC2:TIDIG_COMP_CNT: 0
	.section	.text._ZN9rocsolver6v33100L18getri_kernel_smallILi26EdPKPdEEvT1_iilPiilS6_bb,"axG",@progbits,_ZN9rocsolver6v33100L18getri_kernel_smallILi26EdPKPdEEvT1_iilPiilS6_bb,comdat
	.globl	_ZN9rocsolver6v33100L18getri_kernel_smallILi26EdPKPdEEvT1_iilPiilS6_bb ; -- Begin function _ZN9rocsolver6v33100L18getri_kernel_smallILi26EdPKPdEEvT1_iilPiilS6_bb
	.p2align	8
	.type	_ZN9rocsolver6v33100L18getri_kernel_smallILi26EdPKPdEEvT1_iilPiilS6_bb,@function
_ZN9rocsolver6v33100L18getri_kernel_smallILi26EdPKPdEEvT1_iilPiilS6_bb: ; @_ZN9rocsolver6v33100L18getri_kernel_smallILi26EdPKPdEEvT1_iilPiilS6_bb
; %bb.0:
	s_mov_b32 s2, exec_lo
	v_cmpx_gt_u32_e32 26, v0
	s_cbranch_execz .LBB89_114
; %bb.1:
	s_clause 0x1
	s_load_b32 s13, s[0:1], 0x38
	s_load_b64 s[2:3], s[0:1], 0x0
	s_mov_b32 s8, s15
	s_load_b128 s[4:7], s[0:1], 0x28
	s_waitcnt lgkmcnt(0)
	s_bitcmp1_b32 s13, 8
	s_cselect_b32 s12, -1, 0
	s_ashr_i32 s9, s15, 31
	s_delay_alu instid0(SALU_CYCLE_1) | instskip(NEXT) | instid1(SALU_CYCLE_1)
	s_lshl_b64 s[10:11], s[8:9], 3
	s_add_u32 s2, s2, s10
	s_addc_u32 s3, s3, s11
	s_load_b64 s[10:11], s[2:3], 0x0
	s_bfe_u32 s2, s13, 0x10008
	s_delay_alu instid0(SALU_CYCLE_1)
	s_cmp_eq_u32 s2, 0
                                        ; implicit-def: $sgpr2_sgpr3
	s_cbranch_scc1 .LBB89_3
; %bb.2:
	s_clause 0x1
	s_load_b32 s2, s[0:1], 0x20
	s_load_b64 s[14:15], s[0:1], 0x18
	s_mul_i32 s3, s8, s5
	s_mul_hi_u32 s5, s8, s4
	s_mul_i32 s16, s9, s4
	s_add_i32 s3, s5, s3
	s_mul_i32 s4, s8, s4
	s_add_i32 s5, s3, s16
	s_delay_alu instid0(SALU_CYCLE_1)
	s_lshl_b64 s[4:5], s[4:5], 2
	s_waitcnt lgkmcnt(0)
	s_ashr_i32 s3, s2, 31
	s_add_u32 s4, s14, s4
	s_addc_u32 s5, s15, s5
	s_lshl_b64 s[2:3], s[2:3], 2
	s_delay_alu instid0(SALU_CYCLE_1)
	s_add_u32 s2, s4, s2
	s_addc_u32 s3, s5, s3
.LBB89_3:
	s_load_b64 s[4:5], s[0:1], 0x8
	v_lshlrev_b32_e32 v3, 3, v0
	s_waitcnt lgkmcnt(0)
	v_add3_u32 v1, s5, s5, v0
	s_ashr_i32 s1, s4, 31
	s_mov_b32 s0, s4
	s_mov_b32 s14, s5
	s_lshl_b64 s[0:1], s[0:1], 3
	v_add_nc_u32_e32 v6, s5, v1
	v_ashrrev_i32_e32 v2, 31, v1
	s_add_u32 s0, s10, s0
	s_addc_u32 s1, s11, s1
	v_add_co_u32 v8, s4, s0, v3
	v_add_nc_u32_e32 v10, s5, v6
	s_ashr_i32 s15, s5, 31
	v_add_co_ci_u32_e64 v9, null, s1, 0, s4
	v_ashrrev_i32_e32 v7, 31, v6
	v_lshlrev_b64 v[1:2], 3, v[1:2]
	s_lshl_b64 s[10:11], s[14:15], 3
	v_ashrrev_i32_e32 v11, 31, v10
	v_add_co_u32 v4, vcc_lo, v8, s10
	v_add_co_ci_u32_e32 v5, vcc_lo, s11, v9, vcc_lo
	v_lshlrev_b64 v[6:7], 3, v[6:7]
	v_add_co_u32 v14, vcc_lo, s0, v1
	v_add_nc_u32_e32 v16, s5, v10
	v_add_co_ci_u32_e32 v15, vcc_lo, s1, v2, vcc_lo
	v_lshlrev_b64 v[1:2], 3, v[10:11]
	v_add_co_u32 v6, vcc_lo, s0, v6
	s_delay_alu instid0(VALU_DEP_4)
	v_ashrrev_i32_e32 v17, 31, v16
	s_clause 0x1
	global_load_b64 v[40:41], v3, s[0:1]
	global_load_b64 v[42:43], v[4:5], off
	v_add_co_ci_u32_e32 v7, vcc_lo, s1, v7, vcc_lo
	v_add_co_u32 v10, vcc_lo, s0, v1
	v_add_nc_u32_e32 v1, s5, v16
	v_lshlrev_b64 v[12:13], 3, v[16:17]
	v_add_co_ci_u32_e32 v11, vcc_lo, s1, v2, vcc_lo
	s_bitcmp0_b32 s13, 0
	s_delay_alu instid0(VALU_DEP_3) | instskip(SKIP_1) | instid1(VALU_DEP_4)
	v_add_nc_u32_e32 v20, s5, v1
	v_ashrrev_i32_e32 v2, 31, v1
	v_add_co_u32 v12, vcc_lo, s0, v12
	v_add_co_ci_u32_e32 v13, vcc_lo, s1, v13, vcc_lo
	s_delay_alu instid0(VALU_DEP_4) | instskip(NEXT) | instid1(VALU_DEP_4)
	v_ashrrev_i32_e32 v21, 31, v20
	v_lshlrev_b64 v[1:2], 3, v[1:2]
	s_clause 0x3
	global_load_b64 v[48:49], v[14:15], off
	global_load_b64 v[50:51], v[6:7], off
	;; [unrolled: 1-line block ×4, first 2 shown]
	v_lshlrev_b64 v[18:19], 3, v[20:21]
	v_add_co_u32 v16, vcc_lo, s0, v1
	v_add_co_ci_u32_e32 v17, vcc_lo, s1, v2, vcc_lo
	s_delay_alu instid0(VALU_DEP_3) | instskip(NEXT) | instid1(VALU_DEP_4)
	v_add_co_u32 v18, vcc_lo, s0, v18
	v_add_co_ci_u32_e32 v19, vcc_lo, s1, v19, vcc_lo
	s_clause 0x1
	global_load_b64 v[56:57], v[16:17], off
	global_load_b64 v[58:59], v[18:19], off
	v_add_nc_u32_e32 v1, s5, v20
	s_delay_alu instid0(VALU_DEP_1) | instskip(SKIP_1) | instid1(VALU_DEP_2)
	v_add_nc_u32_e32 v22, s5, v1
	v_ashrrev_i32_e32 v2, 31, v1
	v_add_nc_u32_e32 v24, s5, v22
	s_delay_alu instid0(VALU_DEP_2) | instskip(SKIP_1) | instid1(VALU_DEP_3)
	v_lshlrev_b64 v[1:2], 3, v[1:2]
	v_ashrrev_i32_e32 v23, 31, v22
	v_add_nc_u32_e32 v26, s5, v24
	v_ashrrev_i32_e32 v25, 31, v24
	s_delay_alu instid0(VALU_DEP_4) | instskip(NEXT) | instid1(VALU_DEP_4)
	v_add_co_u32 v20, vcc_lo, s0, v1
	v_lshlrev_b64 v[22:23], 3, v[22:23]
	s_delay_alu instid0(VALU_DEP_4) | instskip(SKIP_3) | instid1(VALU_DEP_4)
	v_add_nc_u32_e32 v28, s5, v26
	v_ashrrev_i32_e32 v27, 31, v26
	v_lshlrev_b64 v[24:25], 3, v[24:25]
	v_add_co_ci_u32_e32 v21, vcc_lo, s1, v2, vcc_lo
	v_add_nc_u32_e32 v30, s5, v28
	v_ashrrev_i32_e32 v29, 31, v28
	v_add_co_u32 v22, vcc_lo, s0, v22
	v_lshlrev_b64 v[26:27], 3, v[26:27]
	s_delay_alu instid0(VALU_DEP_4) | instskip(SKIP_3) | instid1(VALU_DEP_4)
	v_add_nc_u32_e32 v32, s5, v30
	v_ashrrev_i32_e32 v31, 31, v30
	v_add_co_ci_u32_e32 v23, vcc_lo, s1, v23, vcc_lo
	v_add_co_u32 v24, vcc_lo, s0, v24
	v_add_nc_u32_e32 v34, s5, v32
	v_lshlrev_b64 v[28:29], 3, v[28:29]
	v_ashrrev_i32_e32 v33, 31, v32
	v_add_co_ci_u32_e32 v25, vcc_lo, s1, v25, vcc_lo
	s_delay_alu instid0(VALU_DEP_4) | instskip(SKIP_3) | instid1(VALU_DEP_4)
	v_add_nc_u32_e32 v36, s5, v34
	v_add_co_u32 v26, vcc_lo, s0, v26
	v_lshlrev_b64 v[30:31], 3, v[30:31]
	v_ashrrev_i32_e32 v35, 31, v34
	v_add_nc_u32_e32 v38, s5, v36
	v_add_co_ci_u32_e32 v27, vcc_lo, s1, v27, vcc_lo
	v_add_co_u32 v28, vcc_lo, s0, v28
	s_delay_alu instid0(VALU_DEP_3) | instskip(SKIP_3) | instid1(VALU_DEP_4)
	v_add_nc_u32_e32 v44, s5, v38
	v_lshlrev_b64 v[32:33], 3, v[32:33]
	v_add_co_ci_u32_e32 v29, vcc_lo, s1, v29, vcc_lo
	v_add_co_u32 v30, vcc_lo, s0, v30
	v_add_nc_u32_e32 v1, s5, v44
	v_lshlrev_b64 v[34:35], 3, v[34:35]
	v_ashrrev_i32_e32 v37, 31, v36
	v_add_co_ci_u32_e32 v31, vcc_lo, s1, v31, vcc_lo
	s_delay_alu instid0(VALU_DEP_4) | instskip(SKIP_3) | instid1(VALU_DEP_4)
	v_add_nc_u32_e32 v46, s5, v1
	v_add_co_u32 v32, vcc_lo, s0, v32
	v_ashrrev_i32_e32 v39, 31, v38
	v_add_co_ci_u32_e32 v33, vcc_lo, s1, v33, vcc_lo
	v_add_nc_u32_e32 v72, s5, v46
	v_lshlrev_b64 v[73:74], 3, v[36:37]
	v_add_co_u32 v36, vcc_lo, s0, v34
	v_ashrrev_i32_e32 v45, 31, v44
	s_delay_alu instid0(VALU_DEP_4) | instskip(SKIP_3) | instid1(VALU_DEP_4)
	v_add_nc_u32_e32 v82, s5, v72
	v_add_co_ci_u32_e32 v37, vcc_lo, s1, v35, vcc_lo
	v_lshlrev_b64 v[83:84], 3, v[38:39]
	v_ashrrev_i32_e32 v2, 31, v1
	v_add_nc_u32_e32 v90, s5, v82
	v_lshlrev_b64 v[44:45], 3, v[44:45]
	s_clause 0x4
	global_load_b64 v[60:61], v[20:21], off
	global_load_b64 v[62:63], v[22:23], off
	;; [unrolled: 1-line block ×5, first 2 shown]
	v_lshlrev_b64 v[1:2], 3, v[1:2]
	v_add_nc_u32_e32 v92, s5, v90
	v_ashrrev_i32_e32 v47, 31, v46
	v_ashrrev_i32_e32 v91, 31, v90
	s_delay_alu instid0(VALU_DEP_3) | instskip(NEXT) | instid1(VALU_DEP_3)
	v_add_nc_u32_e32 v70, s5, v92
	v_lshlrev_b64 v[46:47], 3, v[46:47]
	v_ashrrev_i32_e32 v93, 31, v92
	s_delay_alu instid0(VALU_DEP_3) | instskip(NEXT) | instid1(VALU_DEP_1)
	v_ashrrev_i32_e32 v71, 31, v70
	v_lshlrev_b64 v[70:71], 3, v[70:71]
	s_delay_alu instid0(VALU_DEP_1) | instskip(NEXT) | instid1(VALU_DEP_2)
	v_add_co_u32 v34, vcc_lo, s0, v70
	v_add_co_ci_u32_e32 v35, vcc_lo, s1, v71, vcc_lo
	v_add_co_u32 v38, vcc_lo, s0, v73
	v_add_co_ci_u32_e32 v39, vcc_lo, s1, v74, vcc_lo
	v_ashrrev_i32_e32 v73, 31, v72
	global_load_b64 v[74:75], v[34:35], off
	s_waitcnt vmcnt(12)
	scratch_store_b128 off, v[40:43], off
	v_add_co_u32 v40, vcc_lo, s0, v83
	v_add_co_ci_u32_e32 v41, vcc_lo, s1, v84, vcc_lo
	v_add_co_u32 v42, vcc_lo, s0, v44
	v_add_co_ci_u32_e32 v43, vcc_lo, s1, v45, vcc_lo
	;; [unrolled: 2-line block ×3, first 2 shown]
	v_lshlrev_b64 v[1:2], 3, v[72:73]
	v_ashrrev_i32_e32 v83, 31, v82
	v_add_co_u32 v46, vcc_lo, s0, v46
	v_add_co_ci_u32_e32 v47, vcc_lo, s1, v47, vcc_lo
	s_delay_alu instid0(VALU_DEP_3)
	v_lshlrev_b64 v[72:73], 3, v[82:83]
	s_clause 0x3
	global_load_b64 v[70:71], v[30:31], off
	global_load_b64 v[76:77], v[32:33], off
	;; [unrolled: 1-line block ×4, first 2 shown]
	s_waitcnt vmcnt(14)
	scratch_store_b128 off, v[48:51], off offset:16
	s_waitcnt vmcnt(12)
	scratch_store_b128 off, v[52:55], off offset:32
	v_add_co_u32 v48, vcc_lo, s0, v1
	v_add_co_ci_u32_e32 v49, vcc_lo, s1, v2, vcc_lo
	v_lshlrev_b64 v[1:2], 3, v[90:91]
	v_add_co_u32 v50, vcc_lo, s0, v72
	v_lshlrev_b64 v[54:55], 3, v[92:93]
	v_add_co_ci_u32_e32 v51, vcc_lo, s1, v73, vcc_lo
	s_delay_alu instid0(VALU_DEP_4) | instskip(SKIP_1) | instid1(VALU_DEP_4)
	v_add_co_u32 v52, vcc_lo, s0, v1
	v_add_co_ci_u32_e32 v53, vcc_lo, s1, v2, vcc_lo
	v_add_co_u32 v54, vcc_lo, s0, v54
	v_add_co_ci_u32_e32 v55, vcc_lo, s1, v55, vcc_lo
	s_clause 0x3
	global_load_b64 v[82:83], v[40:41], off
	global_load_b64 v[84:85], v[42:43], off
	;; [unrolled: 1-line block ×4, first 2 shown]
	s_waitcnt vmcnt(14)
	scratch_store_b128 off, v[56:59], off offset:48
	s_clause 0x3
	global_load_b64 v[90:91], v[48:49], off
	global_load_b64 v[56:57], v[50:51], off
	;; [unrolled: 1-line block ×4, first 2 shown]
	s_mov_b32 s1, -1
	s_waitcnt vmcnt(16)
	scratch_store_b128 off, v[60:63], off offset:64
	s_waitcnt vmcnt(14)
	scratch_store_b128 off, v[64:67], off offset:80
	;; [unrolled: 2-line block ×9, first 2 shown]
	s_cbranch_scc1 .LBB89_112
; %bb.4:
	v_cmp_eq_u32_e64 s0, 0, v0
	s_delay_alu instid0(VALU_DEP_1)
	s_and_saveexec_b32 s1, s0
	s_cbranch_execz .LBB89_6
; %bb.5:
	v_mov_b32_e32 v1, 0
	ds_store_b32 v1, v1 offset:416
.LBB89_6:
	s_or_b32 exec_lo, exec_lo, s1
	s_waitcnt lgkmcnt(0)
	s_waitcnt_vscnt null, 0x0
	s_barrier
	buffer_gl0_inv
	scratch_load_b64 v[1:2], v3, off
	s_mov_b32 s4, exec_lo
	s_waitcnt vmcnt(0)
	v_cmpx_eq_f64_e32 0, v[1:2]
	s_cbranch_execz .LBB89_10
; %bb.7:
	v_mov_b32_e32 v1, 0
	s_mov_b32 s5, 0
	ds_load_b32 v2, v1 offset:416
	s_waitcnt lgkmcnt(0)
	v_readfirstlane_b32 s1, v2
	v_add_nc_u32_e32 v2, 1, v0
	s_delay_alu instid0(VALU_DEP_2) | instskip(NEXT) | instid1(VALU_DEP_1)
	s_cmp_eq_u32 s1, 0
	v_cmp_gt_i32_e32 vcc_lo, s1, v2
	s_cselect_b32 s10, -1, 0
	s_delay_alu instid0(SALU_CYCLE_1) | instskip(NEXT) | instid1(SALU_CYCLE_1)
	s_or_b32 s10, s10, vcc_lo
	s_and_b32 exec_lo, exec_lo, s10
	s_cbranch_execz .LBB89_10
; %bb.8:
	v_mov_b32_e32 v56, s1
.LBB89_9:                               ; =>This Inner Loop Header: Depth=1
	ds_cmpstore_rtn_b32 v56, v1, v2, v56 offset:416
	s_waitcnt lgkmcnt(0)
	v_cmp_ne_u32_e32 vcc_lo, 0, v56
	v_cmp_le_i32_e64 s1, v56, v2
	s_delay_alu instid0(VALU_DEP_1) | instskip(NEXT) | instid1(SALU_CYCLE_1)
	s_and_b32 s1, vcc_lo, s1
	s_and_b32 s1, exec_lo, s1
	s_delay_alu instid0(SALU_CYCLE_1) | instskip(NEXT) | instid1(SALU_CYCLE_1)
	s_or_b32 s5, s1, s5
	s_and_not1_b32 exec_lo, exec_lo, s5
	s_cbranch_execnz .LBB89_9
.LBB89_10:
	s_or_b32 exec_lo, exec_lo, s4
	v_mov_b32_e32 v1, 0
	s_barrier
	buffer_gl0_inv
	ds_load_b32 v2, v1 offset:416
	s_and_saveexec_b32 s1, s0
	s_cbranch_execz .LBB89_12
; %bb.11:
	s_lshl_b64 s[4:5], s[8:9], 2
	s_delay_alu instid0(SALU_CYCLE_1)
	s_add_u32 s4, s6, s4
	s_addc_u32 s5, s7, s5
	s_waitcnt lgkmcnt(0)
	global_store_b32 v1, v2, s[4:5]
.LBB89_12:
	s_or_b32 exec_lo, exec_lo, s1
	s_waitcnt lgkmcnt(0)
	v_cmp_ne_u32_e32 vcc_lo, 0, v2
	s_mov_b32 s1, 0
	s_cbranch_vccnz .LBB89_112
; %bb.13:
	v_add_nc_u32_e32 v56, 0, v3
	scratch_load_b64 v[1:2], v56, off
	s_waitcnt vmcnt(0)
	v_div_scale_f64 v[57:58], null, v[1:2], v[1:2], 1.0
	v_div_scale_f64 v[63:64], vcc_lo, 1.0, v[1:2], 1.0
	s_delay_alu instid0(VALU_DEP_2) | instskip(SKIP_2) | instid1(VALU_DEP_1)
	v_rcp_f64_e32 v[59:60], v[57:58]
	s_waitcnt_depctr 0xfff
	v_fma_f64 v[61:62], -v[57:58], v[59:60], 1.0
	v_fma_f64 v[59:60], v[59:60], v[61:62], v[59:60]
	s_delay_alu instid0(VALU_DEP_1) | instskip(NEXT) | instid1(VALU_DEP_1)
	v_fma_f64 v[61:62], -v[57:58], v[59:60], 1.0
	v_fma_f64 v[59:60], v[59:60], v[61:62], v[59:60]
	s_delay_alu instid0(VALU_DEP_1) | instskip(NEXT) | instid1(VALU_DEP_1)
	v_mul_f64 v[61:62], v[63:64], v[59:60]
	v_fma_f64 v[57:58], -v[57:58], v[61:62], v[63:64]
	s_delay_alu instid0(VALU_DEP_1) | instskip(NEXT) | instid1(VALU_DEP_1)
	v_div_fmas_f64 v[57:58], v[57:58], v[59:60], v[61:62]
	v_div_fixup_f64 v[1:2], v[57:58], v[1:2], 1.0
	v_add_nc_u32_e32 v57, 0xd0, v3
	scratch_store_b64 v56, v[1:2], off
	scratch_load_b64 v[58:59], off, off offset:8
	v_xor_b32_e32 v2, 0x80000000, v2
	s_waitcnt vmcnt(0)
	ds_store_2addr_b64 v3, v[1:2], v[58:59] offset1:26
	s_waitcnt lgkmcnt(0)
	s_waitcnt_vscnt null, 0x0
	s_barrier
	buffer_gl0_inv
	s_and_saveexec_b32 s1, s0
	s_cbranch_execz .LBB89_15
; %bb.14:
	scratch_load_b64 v[1:2], v56, off
	ds_load_b64 v[58:59], v57
	s_waitcnt vmcnt(0) lgkmcnt(0)
	v_fma_f64 v[1:2], v[1:2], v[58:59], 0
	v_mov_b32_e32 v58, 0
	ds_load_b64 v[58:59], v58 offset:8
	s_waitcnt lgkmcnt(0)
	v_mul_f64 v[1:2], v[1:2], v[58:59]
	scratch_store_b64 off, v[1:2], off offset:8
.LBB89_15:
	s_or_b32 exec_lo, exec_lo, s1
	s_waitcnt_vscnt null, 0x0
	s_barrier
	buffer_gl0_inv
	scratch_load_b64 v[1:2], off, off offset:16
	s_mov_b32 s1, exec_lo
	s_waitcnt vmcnt(0)
	ds_store_b64 v57, v[1:2]
	s_waitcnt lgkmcnt(0)
	s_barrier
	buffer_gl0_inv
	v_cmpx_gt_u32_e32 2, v0
	s_cbranch_execz .LBB89_19
; %bb.16:
	scratch_load_b64 v[1:2], v56, off
	ds_load_b64 v[58:59], v57
	s_waitcnt vmcnt(0) lgkmcnt(0)
	v_fma_f64 v[1:2], v[1:2], v[58:59], 0
	s_and_saveexec_b32 s4, s0
	s_cbranch_execz .LBB89_18
; %bb.17:
	scratch_load_b64 v[58:59], off, off offset:8
	v_mov_b32_e32 v60, 0
	ds_load_b64 v[60:61], v60 offset:216
	s_waitcnt vmcnt(0) lgkmcnt(0)
	v_fma_f64 v[1:2], v[58:59], v[60:61], v[1:2]
.LBB89_18:
	s_or_b32 exec_lo, exec_lo, s4
	v_mov_b32_e32 v58, 0
	ds_load_b64 v[58:59], v58 offset:16
	s_waitcnt lgkmcnt(0)
	v_mul_f64 v[1:2], v[1:2], v[58:59]
	scratch_store_b64 off, v[1:2], off offset:16
.LBB89_19:
	s_or_b32 exec_lo, exec_lo, s1
	s_waitcnt_vscnt null, 0x0
	s_barrier
	buffer_gl0_inv
	scratch_load_b64 v[1:2], off, off offset:24
	v_add_nc_u32_e32 v58, -1, v0
	s_mov_b32 s0, exec_lo
	s_waitcnt vmcnt(0)
	ds_store_b64 v57, v[1:2]
	s_waitcnt lgkmcnt(0)
	s_barrier
	buffer_gl0_inv
	v_cmpx_gt_u32_e32 3, v0
	s_cbranch_execz .LBB89_23
; %bb.20:
	v_dual_mov_b32 v1, 0 :: v_dual_add_nc_u32 v60, 0xd0, v3
	v_dual_mov_b32 v2, 0 :: v_dual_add_nc_u32 v59, -1, v0
	v_add_nc_u32_e32 v61, 0, v3
	s_mov_b32 s1, 0
.LBB89_21:                              ; =>This Inner Loop Header: Depth=1
	scratch_load_b64 v[62:63], v61, off
	ds_load_b64 v[64:65], v60
	v_add_nc_u32_e32 v59, 1, v59
	v_add_nc_u32_e32 v60, 8, v60
	v_add_nc_u32_e32 v61, 8, v61
	s_delay_alu instid0(VALU_DEP_3)
	v_cmp_lt_u32_e32 vcc_lo, 1, v59
	s_or_b32 s1, vcc_lo, s1
	s_waitcnt vmcnt(0) lgkmcnt(0)
	v_fma_f64 v[1:2], v[62:63], v[64:65], v[1:2]
	s_and_not1_b32 exec_lo, exec_lo, s1
	s_cbranch_execnz .LBB89_21
; %bb.22:
	s_or_b32 exec_lo, exec_lo, s1
	v_mov_b32_e32 v59, 0
	ds_load_b64 v[59:60], v59 offset:24
	s_waitcnt lgkmcnt(0)
	v_mul_f64 v[1:2], v[1:2], v[59:60]
	scratch_store_b64 off, v[1:2], off offset:24
.LBB89_23:
	s_or_b32 exec_lo, exec_lo, s0
	s_waitcnt_vscnt null, 0x0
	s_barrier
	buffer_gl0_inv
	scratch_load_b64 v[1:2], off, off offset:32
	s_mov_b32 s0, exec_lo
	s_waitcnt vmcnt(0)
	ds_store_b64 v57, v[1:2]
	s_waitcnt lgkmcnt(0)
	s_barrier
	buffer_gl0_inv
	v_cmpx_gt_u32_e32 4, v0
	s_cbranch_execz .LBB89_27
; %bb.24:
	v_dual_mov_b32 v1, 0 :: v_dual_add_nc_u32 v60, 0xd0, v3
	v_dual_mov_b32 v2, 0 :: v_dual_add_nc_u32 v59, -1, v0
	v_add_nc_u32_e32 v61, 0, v3
	s_mov_b32 s1, 0
.LBB89_25:                              ; =>This Inner Loop Header: Depth=1
	scratch_load_b64 v[62:63], v61, off
	ds_load_b64 v[64:65], v60
	v_add_nc_u32_e32 v59, 1, v59
	v_add_nc_u32_e32 v60, 8, v60
	v_add_nc_u32_e32 v61, 8, v61
	s_delay_alu instid0(VALU_DEP_3)
	v_cmp_lt_u32_e32 vcc_lo, 2, v59
	s_or_b32 s1, vcc_lo, s1
	s_waitcnt vmcnt(0) lgkmcnt(0)
	v_fma_f64 v[1:2], v[62:63], v[64:65], v[1:2]
	s_and_not1_b32 exec_lo, exec_lo, s1
	s_cbranch_execnz .LBB89_25
; %bb.26:
	s_or_b32 exec_lo, exec_lo, s1
	v_mov_b32_e32 v59, 0
	ds_load_b64 v[59:60], v59 offset:32
	s_waitcnt lgkmcnt(0)
	v_mul_f64 v[1:2], v[1:2], v[59:60]
	scratch_store_b64 off, v[1:2], off offset:32
.LBB89_27:
	s_or_b32 exec_lo, exec_lo, s0
	s_waitcnt_vscnt null, 0x0
	s_barrier
	buffer_gl0_inv
	scratch_load_b64 v[1:2], off, off offset:40
	;; [unrolled: 39-line block ×20, first 2 shown]
	s_mov_b32 s0, exec_lo
	s_waitcnt vmcnt(0)
	ds_store_b64 v57, v[1:2]
	s_waitcnt lgkmcnt(0)
	s_barrier
	buffer_gl0_inv
	v_cmpx_gt_u32_e32 23, v0
	s_cbranch_execz .LBB89_103
; %bb.100:
	v_dual_mov_b32 v1, 0 :: v_dual_add_nc_u32 v60, 0xd0, v3
	v_dual_mov_b32 v2, 0 :: v_dual_add_nc_u32 v59, -1, v0
	v_add_nc_u32_e32 v61, 0, v3
	s_mov_b32 s1, 0
.LBB89_101:                             ; =>This Inner Loop Header: Depth=1
	scratch_load_b64 v[62:63], v61, off
	ds_load_b64 v[64:65], v60
	v_add_nc_u32_e32 v59, 1, v59
	v_add_nc_u32_e32 v60, 8, v60
	;; [unrolled: 1-line block ×3, first 2 shown]
	s_delay_alu instid0(VALU_DEP_3)
	v_cmp_lt_u32_e32 vcc_lo, 21, v59
	s_or_b32 s1, vcc_lo, s1
	s_waitcnt vmcnt(0) lgkmcnt(0)
	v_fma_f64 v[1:2], v[62:63], v[64:65], v[1:2]
	s_and_not1_b32 exec_lo, exec_lo, s1
	s_cbranch_execnz .LBB89_101
; %bb.102:
	s_or_b32 exec_lo, exec_lo, s1
	v_mov_b32_e32 v59, 0
	ds_load_b64 v[59:60], v59 offset:184
	s_waitcnt lgkmcnt(0)
	v_mul_f64 v[1:2], v[1:2], v[59:60]
	scratch_store_b64 off, v[1:2], off offset:184
.LBB89_103:
	s_or_b32 exec_lo, exec_lo, s0
	s_waitcnt_vscnt null, 0x0
	s_barrier
	buffer_gl0_inv
	scratch_load_b64 v[1:2], off, off offset:192
	s_mov_b32 s0, exec_lo
	s_waitcnt vmcnt(0)
	ds_store_b64 v57, v[1:2]
	s_waitcnt lgkmcnt(0)
	s_barrier
	buffer_gl0_inv
	v_cmpx_gt_u32_e32 24, v0
	s_cbranch_execz .LBB89_107
; %bb.104:
	v_dual_mov_b32 v1, 0 :: v_dual_add_nc_u32 v60, 0xd0, v3
	v_dual_mov_b32 v2, 0 :: v_dual_add_nc_u32 v59, -1, v0
	v_add_nc_u32_e32 v3, 0, v3
	s_mov_b32 s1, 0
.LBB89_105:                             ; =>This Inner Loop Header: Depth=1
	scratch_load_b64 v[61:62], v3, off
	ds_load_b64 v[63:64], v60
	v_add_nc_u32_e32 v59, 1, v59
	v_add_nc_u32_e32 v60, 8, v60
	;; [unrolled: 1-line block ×3, first 2 shown]
	s_delay_alu instid0(VALU_DEP_3)
	v_cmp_lt_u32_e32 vcc_lo, 22, v59
	s_or_b32 s1, vcc_lo, s1
	s_waitcnt vmcnt(0) lgkmcnt(0)
	v_fma_f64 v[1:2], v[61:62], v[63:64], v[1:2]
	s_and_not1_b32 exec_lo, exec_lo, s1
	s_cbranch_execnz .LBB89_105
; %bb.106:
	s_or_b32 exec_lo, exec_lo, s1
	v_mov_b32_e32 v3, 0
	ds_load_b64 v[59:60], v3 offset:192
	s_waitcnt lgkmcnt(0)
	v_mul_f64 v[1:2], v[1:2], v[59:60]
	scratch_store_b64 off, v[1:2], off offset:192
.LBB89_107:
	s_or_b32 exec_lo, exec_lo, s0
	s_waitcnt_vscnt null, 0x0
	s_barrier
	buffer_gl0_inv
	scratch_load_b64 v[1:2], off, off offset:200
	s_mov_b32 s0, exec_lo
	s_waitcnt vmcnt(0)
	ds_store_b64 v57, v[1:2]
	s_waitcnt lgkmcnt(0)
	s_barrier
	buffer_gl0_inv
	v_cmpx_ne_u32_e32 25, v0
	s_cbranch_execz .LBB89_111
; %bb.108:
	v_mov_b32_e32 v1, 0
	v_mov_b32_e32 v2, 0
	s_mov_b32 s1, 0
.LBB89_109:                             ; =>This Inner Loop Header: Depth=1
	scratch_load_b64 v[59:60], v56, off
	ds_load_b64 v[61:62], v57
	v_add_nc_u32_e32 v58, 1, v58
	v_add_nc_u32_e32 v57, 8, v57
	;; [unrolled: 1-line block ×3, first 2 shown]
	s_delay_alu instid0(VALU_DEP_3)
	v_cmp_lt_u32_e32 vcc_lo, 23, v58
	s_or_b32 s1, vcc_lo, s1
	s_waitcnt vmcnt(0) lgkmcnt(0)
	v_fma_f64 v[1:2], v[59:60], v[61:62], v[1:2]
	s_and_not1_b32 exec_lo, exec_lo, s1
	s_cbranch_execnz .LBB89_109
; %bb.110:
	s_or_b32 exec_lo, exec_lo, s1
	v_mov_b32_e32 v3, 0
	ds_load_b64 v[56:57], v3 offset:200
	s_waitcnt lgkmcnt(0)
	v_mul_f64 v[1:2], v[1:2], v[56:57]
	scratch_store_b64 off, v[1:2], off offset:200
.LBB89_111:
	s_or_b32 exec_lo, exec_lo, s0
	s_mov_b32 s1, -1
	s_waitcnt_vscnt null, 0x0
	s_barrier
	buffer_gl0_inv
.LBB89_112:
	s_and_b32 vcc_lo, exec_lo, s1
	s_cbranch_vccz .LBB89_114
; %bb.113:
	s_lshl_b64 s[0:1], s[8:9], 2
	v_mov_b32_e32 v1, 0
	s_add_u32 s0, s6, s0
	s_addc_u32 s1, s7, s1
	global_load_b32 v1, v1, s[0:1]
	s_waitcnt vmcnt(0)
	v_cmp_ne_u32_e32 vcc_lo, 0, v1
	s_cbranch_vccz .LBB89_115
.LBB89_114:
	s_endpgm
.LBB89_115:
	v_lshl_add_u32 v3, v0, 3, 0xd0
	s_mov_b32 s0, exec_lo
	v_cmpx_eq_u32_e32 25, v0
	s_cbranch_execz .LBB89_117
; %bb.116:
	scratch_load_b64 v[1:2], off, off offset:192
	v_mov_b32_e32 v56, 0
	s_delay_alu instid0(VALU_DEP_1)
	v_mov_b32_e32 v57, v56
	scratch_store_b64 off, v[56:57], off offset:192
	s_waitcnt vmcnt(0)
	ds_store_b64 v3, v[1:2]
.LBB89_117:
	s_or_b32 exec_lo, exec_lo, s0
	s_waitcnt lgkmcnt(0)
	s_waitcnt_vscnt null, 0x0
	s_barrier
	buffer_gl0_inv
	scratch_load_b128 v[56:59], off, off offset:192
	v_mov_b32_e32 v1, 0
	s_mov_b32 s0, exec_lo
	ds_load_b64 v[60:61], v1 offset:408
	s_waitcnt vmcnt(0) lgkmcnt(0)
	v_fma_f64 v[58:59], v[58:59], v[60:61], 0
	s_delay_alu instid0(VALU_DEP_1)
	v_add_f64 v[56:57], v[56:57], -v[58:59]
	scratch_store_b64 off, v[56:57], off offset:192
	v_cmpx_lt_u32_e32 23, v0
	s_cbranch_execz .LBB89_119
; %bb.118:
	scratch_load_b64 v[56:57], off, off offset:184
	v_mov_b32_e32 v2, v1
	scratch_store_b64 off, v[1:2], off offset:184
	s_waitcnt vmcnt(0)
	ds_store_b64 v3, v[56:57]
.LBB89_119:
	s_or_b32 exec_lo, exec_lo, s0
	s_waitcnt lgkmcnt(0)
	s_waitcnt_vscnt null, 0x0
	s_barrier
	buffer_gl0_inv
	s_clause 0x1
	scratch_load_b128 v[56:59], off, off offset:184
	scratch_load_b64 v[64:65], off, off offset:200
	ds_load_b128 v[60:63], v1 offset:400
	s_mov_b32 s0, exec_lo
	s_waitcnt vmcnt(1) lgkmcnt(0)
	v_fma_f64 v[1:2], v[58:59], v[60:61], 0
	s_waitcnt vmcnt(0)
	s_delay_alu instid0(VALU_DEP_1) | instskip(NEXT) | instid1(VALU_DEP_1)
	v_fma_f64 v[1:2], v[64:65], v[62:63], v[1:2]
	v_add_f64 v[1:2], v[56:57], -v[1:2]
	scratch_store_b64 off, v[1:2], off offset:184
	v_cmpx_lt_u32_e32 22, v0
	s_cbranch_execz .LBB89_121
; %bb.120:
	scratch_load_b64 v[1:2], off, off offset:176
	v_mov_b32_e32 v56, 0
	s_delay_alu instid0(VALU_DEP_1)
	v_mov_b32_e32 v57, v56
	scratch_store_b64 off, v[56:57], off offset:176
	s_waitcnt vmcnt(0)
	ds_store_b64 v3, v[1:2]
.LBB89_121:
	s_or_b32 exec_lo, exec_lo, s0
	s_waitcnt lgkmcnt(0)
	s_waitcnt_vscnt null, 0x0
	s_barrier
	buffer_gl0_inv
	s_clause 0x1
	scratch_load_b128 v[56:59], off, off offset:176
	scratch_load_b128 v[60:63], off, off offset:192
	v_mov_b32_e32 v1, 0
	ds_load_2addr_b64 v[64:67], v1 offset0:49 offset1:50
	ds_load_b64 v[68:69], v1 offset:408
	s_mov_b32 s0, exec_lo
	s_waitcnt vmcnt(1) lgkmcnt(1)
	v_fma_f64 v[58:59], v[58:59], v[64:65], 0
	s_waitcnt vmcnt(0)
	s_delay_alu instid0(VALU_DEP_1) | instskip(SKIP_1) | instid1(VALU_DEP_1)
	v_fma_f64 v[58:59], v[60:61], v[66:67], v[58:59]
	s_waitcnt lgkmcnt(0)
	v_fma_f64 v[58:59], v[62:63], v[68:69], v[58:59]
	s_delay_alu instid0(VALU_DEP_1)
	v_add_f64 v[56:57], v[56:57], -v[58:59]
	scratch_store_b64 off, v[56:57], off offset:176
	v_cmpx_lt_u32_e32 21, v0
	s_cbranch_execz .LBB89_123
; %bb.122:
	scratch_load_b64 v[56:57], off, off offset:168
	v_mov_b32_e32 v2, v1
	scratch_store_b64 off, v[1:2], off offset:168
	s_waitcnt vmcnt(0)
	ds_store_b64 v3, v[56:57]
.LBB89_123:
	s_or_b32 exec_lo, exec_lo, s0
	s_waitcnt lgkmcnt(0)
	s_waitcnt_vscnt null, 0x0
	s_barrier
	buffer_gl0_inv
	s_clause 0x2
	scratch_load_b128 v[56:59], off, off offset:168
	scratch_load_b128 v[60:63], off, off offset:184
	scratch_load_b64 v[72:73], off, off offset:200
	ds_load_b128 v[64:67], v1 offset:384
	ds_load_b128 v[68:71], v1 offset:400
	s_mov_b32 s0, exec_lo
	s_waitcnt vmcnt(2) lgkmcnt(1)
	v_fma_f64 v[1:2], v[58:59], v[64:65], 0
	s_waitcnt vmcnt(1)
	s_delay_alu instid0(VALU_DEP_1) | instskip(SKIP_1) | instid1(VALU_DEP_1)
	v_fma_f64 v[1:2], v[60:61], v[66:67], v[1:2]
	s_waitcnt lgkmcnt(0)
	v_fma_f64 v[1:2], v[62:63], v[68:69], v[1:2]
	s_waitcnt vmcnt(0)
	s_delay_alu instid0(VALU_DEP_1) | instskip(NEXT) | instid1(VALU_DEP_1)
	v_fma_f64 v[1:2], v[72:73], v[70:71], v[1:2]
	v_add_f64 v[1:2], v[56:57], -v[1:2]
	scratch_store_b64 off, v[1:2], off offset:168
	v_cmpx_lt_u32_e32 20, v0
	s_cbranch_execz .LBB89_125
; %bb.124:
	scratch_load_b64 v[1:2], off, off offset:160
	v_mov_b32_e32 v56, 0
	s_delay_alu instid0(VALU_DEP_1)
	v_mov_b32_e32 v57, v56
	scratch_store_b64 off, v[56:57], off offset:160
	s_waitcnt vmcnt(0)
	ds_store_b64 v3, v[1:2]
.LBB89_125:
	s_or_b32 exec_lo, exec_lo, s0
	s_waitcnt lgkmcnt(0)
	s_waitcnt_vscnt null, 0x0
	s_barrier
	buffer_gl0_inv
	s_clause 0x2
	scratch_load_b128 v[56:59], off, off offset:160
	scratch_load_b128 v[60:63], off, off offset:176
	;; [unrolled: 1-line block ×3, first 2 shown]
	v_mov_b32_e32 v1, 0
	ds_load_2addr_b64 v[68:71], v1 offset0:47 offset1:48
	ds_load_2addr_b64 v[72:75], v1 offset0:49 offset1:50
	s_mov_b32 s0, exec_lo
	s_waitcnt vmcnt(2) lgkmcnt(1)
	v_fma_f64 v[58:59], v[58:59], v[68:69], 0
	s_waitcnt vmcnt(1)
	s_delay_alu instid0(VALU_DEP_1) | instskip(SKIP_4) | instid1(VALU_DEP_1)
	v_fma_f64 v[58:59], v[60:61], v[70:71], v[58:59]
	ds_load_b64 v[60:61], v1 offset:408
	s_waitcnt lgkmcnt(1)
	v_fma_f64 v[58:59], v[62:63], v[72:73], v[58:59]
	s_waitcnt vmcnt(0)
	v_fma_f64 v[58:59], v[64:65], v[74:75], v[58:59]
	s_waitcnt lgkmcnt(0)
	s_delay_alu instid0(VALU_DEP_1) | instskip(NEXT) | instid1(VALU_DEP_1)
	v_fma_f64 v[58:59], v[66:67], v[60:61], v[58:59]
	v_add_f64 v[56:57], v[56:57], -v[58:59]
	scratch_store_b64 off, v[56:57], off offset:160
	v_cmpx_lt_u32_e32 19, v0
	s_cbranch_execz .LBB89_127
; %bb.126:
	scratch_load_b64 v[56:57], off, off offset:152
	v_mov_b32_e32 v2, v1
	scratch_store_b64 off, v[1:2], off offset:152
	s_waitcnt vmcnt(0)
	ds_store_b64 v3, v[56:57]
.LBB89_127:
	s_or_b32 exec_lo, exec_lo, s0
	s_waitcnt lgkmcnt(0)
	s_waitcnt_vscnt null, 0x0
	s_barrier
	buffer_gl0_inv
	s_clause 0x3
	scratch_load_b128 v[56:59], off, off offset:152
	scratch_load_b128 v[60:63], off, off offset:168
	;; [unrolled: 1-line block ×3, first 2 shown]
	scratch_load_b64 v[76:77], off, off offset:200
	ds_load_b128 v[68:71], v1 offset:368
	ds_load_b128 v[72:75], v1 offset:384
	s_mov_b32 s0, exec_lo
	s_waitcnt vmcnt(3) lgkmcnt(1)
	v_fma_f64 v[58:59], v[58:59], v[68:69], 0
	s_waitcnt vmcnt(2)
	s_delay_alu instid0(VALU_DEP_1) | instskip(SKIP_1) | instid1(VALU_DEP_1)
	v_fma_f64 v[58:59], v[60:61], v[70:71], v[58:59]
	s_waitcnt lgkmcnt(0)
	v_fma_f64 v[58:59], v[62:63], v[72:73], v[58:59]
	s_waitcnt vmcnt(1)
	s_delay_alu instid0(VALU_DEP_1) | instskip(SKIP_4) | instid1(VALU_DEP_1)
	v_fma_f64 v[62:63], v[64:65], v[74:75], v[58:59]
	ds_load_b128 v[58:61], v1 offset:400
	s_waitcnt lgkmcnt(0)
	v_fma_f64 v[1:2], v[66:67], v[58:59], v[62:63]
	s_waitcnt vmcnt(0)
	v_fma_f64 v[1:2], v[76:77], v[60:61], v[1:2]
	s_delay_alu instid0(VALU_DEP_1)
	v_add_f64 v[1:2], v[56:57], -v[1:2]
	scratch_store_b64 off, v[1:2], off offset:152
	v_cmpx_lt_u32_e32 18, v0
	s_cbranch_execz .LBB89_129
; %bb.128:
	scratch_load_b64 v[1:2], off, off offset:144
	v_mov_b32_e32 v56, 0
	s_delay_alu instid0(VALU_DEP_1)
	v_mov_b32_e32 v57, v56
	scratch_store_b64 off, v[56:57], off offset:144
	s_waitcnt vmcnt(0)
	ds_store_b64 v3, v[1:2]
.LBB89_129:
	s_or_b32 exec_lo, exec_lo, s0
	s_waitcnt lgkmcnt(0)
	s_waitcnt_vscnt null, 0x0
	s_barrier
	buffer_gl0_inv
	s_clause 0x3
	scratch_load_b128 v[56:59], off, off offset:144
	scratch_load_b128 v[60:63], off, off offset:160
	;; [unrolled: 1-line block ×4, first 2 shown]
	v_mov_b32_e32 v1, 0
	ds_load_2addr_b64 v[72:75], v1 offset0:45 offset1:46
	ds_load_2addr_b64 v[76:79], v1 offset0:47 offset1:48
	s_mov_b32 s0, exec_lo
	s_waitcnt vmcnt(3) lgkmcnt(1)
	v_fma_f64 v[58:59], v[58:59], v[72:73], 0
	s_waitcnt vmcnt(2)
	s_delay_alu instid0(VALU_DEP_1) | instskip(SKIP_1) | instid1(VALU_DEP_1)
	v_fma_f64 v[58:59], v[60:61], v[74:75], v[58:59]
	s_waitcnt lgkmcnt(0)
	v_fma_f64 v[58:59], v[62:63], v[76:77], v[58:59]
	s_waitcnt vmcnt(1)
	s_delay_alu instid0(VALU_DEP_1)
	v_fma_f64 v[62:63], v[64:65], v[78:79], v[58:59]
	ds_load_2addr_b64 v[58:61], v1 offset0:49 offset1:50
	ds_load_b64 v[64:65], v1 offset:408
	s_waitcnt lgkmcnt(1)
	v_fma_f64 v[58:59], v[66:67], v[58:59], v[62:63]
	s_waitcnt vmcnt(0)
	s_delay_alu instid0(VALU_DEP_1) | instskip(SKIP_1) | instid1(VALU_DEP_1)
	v_fma_f64 v[58:59], v[68:69], v[60:61], v[58:59]
	s_waitcnt lgkmcnt(0)
	v_fma_f64 v[58:59], v[70:71], v[64:65], v[58:59]
	s_delay_alu instid0(VALU_DEP_1)
	v_add_f64 v[56:57], v[56:57], -v[58:59]
	scratch_store_b64 off, v[56:57], off offset:144
	v_cmpx_lt_u32_e32 17, v0
	s_cbranch_execz .LBB89_131
; %bb.130:
	scratch_load_b64 v[56:57], off, off offset:136
	v_mov_b32_e32 v2, v1
	scratch_store_b64 off, v[1:2], off offset:136
	s_waitcnt vmcnt(0)
	ds_store_b64 v3, v[56:57]
.LBB89_131:
	s_or_b32 exec_lo, exec_lo, s0
	s_waitcnt lgkmcnt(0)
	s_waitcnt_vscnt null, 0x0
	s_barrier
	buffer_gl0_inv
	s_clause 0x4
	scratch_load_b128 v[56:59], off, off offset:136
	scratch_load_b128 v[60:63], off, off offset:152
	scratch_load_b128 v[64:67], off, off offset:168
	scratch_load_b128 v[68:71], off, off offset:184
	scratch_load_b64 v[80:81], off, off offset:200
	ds_load_b128 v[72:75], v1 offset:352
	ds_load_b128 v[76:79], v1 offset:368
	s_mov_b32 s0, exec_lo
	s_waitcnt vmcnt(4) lgkmcnt(1)
	v_fma_f64 v[58:59], v[58:59], v[72:73], 0
	s_waitcnt vmcnt(3)
	s_delay_alu instid0(VALU_DEP_1) | instskip(SKIP_1) | instid1(VALU_DEP_1)
	v_fma_f64 v[58:59], v[60:61], v[74:75], v[58:59]
	s_waitcnt lgkmcnt(0)
	v_fma_f64 v[58:59], v[62:63], v[76:77], v[58:59]
	s_waitcnt vmcnt(2)
	s_delay_alu instid0(VALU_DEP_1)
	v_fma_f64 v[72:73], v[64:65], v[78:79], v[58:59]
	ds_load_b128 v[58:61], v1 offset:384
	ds_load_b128 v[62:65], v1 offset:400
	s_waitcnt lgkmcnt(1)
	v_fma_f64 v[1:2], v[66:67], v[58:59], v[72:73]
	s_waitcnt vmcnt(1)
	s_delay_alu instid0(VALU_DEP_1) | instskip(SKIP_1) | instid1(VALU_DEP_1)
	v_fma_f64 v[1:2], v[68:69], v[60:61], v[1:2]
	s_waitcnt lgkmcnt(0)
	v_fma_f64 v[1:2], v[70:71], v[62:63], v[1:2]
	s_waitcnt vmcnt(0)
	s_delay_alu instid0(VALU_DEP_1) | instskip(NEXT) | instid1(VALU_DEP_1)
	v_fma_f64 v[1:2], v[80:81], v[64:65], v[1:2]
	v_add_f64 v[1:2], v[56:57], -v[1:2]
	scratch_store_b64 off, v[1:2], off offset:136
	v_cmpx_lt_u32_e32 16, v0
	s_cbranch_execz .LBB89_133
; %bb.132:
	scratch_load_b64 v[1:2], off, off offset:128
	v_mov_b32_e32 v56, 0
	s_delay_alu instid0(VALU_DEP_1)
	v_mov_b32_e32 v57, v56
	scratch_store_b64 off, v[56:57], off offset:128
	s_waitcnt vmcnt(0)
	ds_store_b64 v3, v[1:2]
.LBB89_133:
	s_or_b32 exec_lo, exec_lo, s0
	s_waitcnt lgkmcnt(0)
	s_waitcnt_vscnt null, 0x0
	s_barrier
	buffer_gl0_inv
	s_clause 0x4
	scratch_load_b128 v[56:59], off, off offset:128
	scratch_load_b128 v[60:63], off, off offset:144
	;; [unrolled: 1-line block ×5, first 2 shown]
	v_mov_b32_e32 v1, 0
	ds_load_2addr_b64 v[76:79], v1 offset0:43 offset1:44
	ds_load_2addr_b64 v[80:83], v1 offset0:45 offset1:46
	s_mov_b32 s0, exec_lo
	s_waitcnt vmcnt(4) lgkmcnt(1)
	v_fma_f64 v[58:59], v[58:59], v[76:77], 0
	s_waitcnt vmcnt(3)
	s_delay_alu instid0(VALU_DEP_1) | instskip(SKIP_1) | instid1(VALU_DEP_1)
	v_fma_f64 v[58:59], v[60:61], v[78:79], v[58:59]
	s_waitcnt lgkmcnt(0)
	v_fma_f64 v[58:59], v[62:63], v[80:81], v[58:59]
	s_waitcnt vmcnt(2)
	s_delay_alu instid0(VALU_DEP_1)
	v_fma_f64 v[76:77], v[64:65], v[82:83], v[58:59]
	ds_load_2addr_b64 v[58:61], v1 offset0:47 offset1:48
	ds_load_2addr_b64 v[62:65], v1 offset0:49 offset1:50
	s_waitcnt lgkmcnt(1)
	v_fma_f64 v[58:59], v[66:67], v[58:59], v[76:77]
	s_waitcnt vmcnt(1)
	s_delay_alu instid0(VALU_DEP_1) | instskip(SKIP_4) | instid1(VALU_DEP_1)
	v_fma_f64 v[58:59], v[68:69], v[60:61], v[58:59]
	ds_load_b64 v[60:61], v1 offset:408
	s_waitcnt lgkmcnt(1)
	v_fma_f64 v[58:59], v[70:71], v[62:63], v[58:59]
	s_waitcnt vmcnt(0)
	v_fma_f64 v[58:59], v[72:73], v[64:65], v[58:59]
	s_waitcnt lgkmcnt(0)
	s_delay_alu instid0(VALU_DEP_1) | instskip(NEXT) | instid1(VALU_DEP_1)
	v_fma_f64 v[58:59], v[74:75], v[60:61], v[58:59]
	v_add_f64 v[56:57], v[56:57], -v[58:59]
	scratch_store_b64 off, v[56:57], off offset:128
	v_cmpx_lt_u32_e32 15, v0
	s_cbranch_execz .LBB89_135
; %bb.134:
	scratch_load_b64 v[56:57], off, off offset:120
	v_mov_b32_e32 v2, v1
	scratch_store_b64 off, v[1:2], off offset:120
	s_waitcnt vmcnt(0)
	ds_store_b64 v3, v[56:57]
.LBB89_135:
	s_or_b32 exec_lo, exec_lo, s0
	s_waitcnt lgkmcnt(0)
	s_waitcnt_vscnt null, 0x0
	s_barrier
	buffer_gl0_inv
	s_clause 0x4
	scratch_load_b128 v[56:59], off, off offset:120
	scratch_load_b128 v[60:63], off, off offset:136
	;; [unrolled: 1-line block ×5, first 2 shown]
	ds_load_b128 v[76:79], v1 offset:336
	ds_load_b128 v[80:83], v1 offset:352
	s_mov_b32 s0, exec_lo
	s_waitcnt vmcnt(4) lgkmcnt(1)
	v_fma_f64 v[58:59], v[58:59], v[76:77], 0
	scratch_load_b64 v[76:77], off, off offset:200
	s_waitcnt vmcnt(4)
	v_fma_f64 v[58:59], v[60:61], v[78:79], v[58:59]
	s_waitcnt lgkmcnt(0)
	s_delay_alu instid0(VALU_DEP_1) | instskip(SKIP_1) | instid1(VALU_DEP_1)
	v_fma_f64 v[58:59], v[62:63], v[80:81], v[58:59]
	s_waitcnt vmcnt(3)
	v_fma_f64 v[78:79], v[64:65], v[82:83], v[58:59]
	ds_load_b128 v[58:61], v1 offset:368
	ds_load_b128 v[62:65], v1 offset:384
	s_waitcnt lgkmcnt(1)
	v_fma_f64 v[58:59], v[66:67], v[58:59], v[78:79]
	s_waitcnt vmcnt(2)
	s_delay_alu instid0(VALU_DEP_1) | instskip(SKIP_1) | instid1(VALU_DEP_1)
	v_fma_f64 v[58:59], v[68:69], v[60:61], v[58:59]
	s_waitcnt lgkmcnt(0)
	v_fma_f64 v[58:59], v[70:71], v[62:63], v[58:59]
	s_waitcnt vmcnt(1)
	s_delay_alu instid0(VALU_DEP_1) | instskip(SKIP_4) | instid1(VALU_DEP_1)
	v_fma_f64 v[62:63], v[72:73], v[64:65], v[58:59]
	ds_load_b128 v[58:61], v1 offset:400
	s_waitcnt lgkmcnt(0)
	v_fma_f64 v[1:2], v[74:75], v[58:59], v[62:63]
	s_waitcnt vmcnt(0)
	v_fma_f64 v[1:2], v[76:77], v[60:61], v[1:2]
	s_delay_alu instid0(VALU_DEP_1)
	v_add_f64 v[1:2], v[56:57], -v[1:2]
	scratch_store_b64 off, v[1:2], off offset:120
	v_cmpx_lt_u32_e32 14, v0
	s_cbranch_execz .LBB89_137
; %bb.136:
	scratch_load_b64 v[1:2], off, off offset:112
	v_mov_b32_e32 v56, 0
	s_delay_alu instid0(VALU_DEP_1)
	v_mov_b32_e32 v57, v56
	scratch_store_b64 off, v[56:57], off offset:112
	s_waitcnt vmcnt(0)
	ds_store_b64 v3, v[1:2]
.LBB89_137:
	s_or_b32 exec_lo, exec_lo, s0
	s_waitcnt lgkmcnt(0)
	s_waitcnt_vscnt null, 0x0
	s_barrier
	buffer_gl0_inv
	s_clause 0x4
	scratch_load_b128 v[56:59], off, off offset:112
	scratch_load_b128 v[60:63], off, off offset:128
	;; [unrolled: 1-line block ×5, first 2 shown]
	v_mov_b32_e32 v1, 0
	ds_load_2addr_b64 v[76:79], v1 offset0:41 offset1:42
	ds_load_2addr_b64 v[80:83], v1 offset0:43 offset1:44
	scratch_load_b128 v[84:87], off, off offset:192
	s_mov_b32 s0, exec_lo
	s_waitcnt vmcnt(5) lgkmcnt(1)
	v_fma_f64 v[58:59], v[58:59], v[76:77], 0
	s_waitcnt vmcnt(4)
	s_delay_alu instid0(VALU_DEP_1) | instskip(SKIP_1) | instid1(VALU_DEP_1)
	v_fma_f64 v[58:59], v[60:61], v[78:79], v[58:59]
	s_waitcnt lgkmcnt(0)
	v_fma_f64 v[58:59], v[62:63], v[80:81], v[58:59]
	s_waitcnt vmcnt(3)
	s_delay_alu instid0(VALU_DEP_1)
	v_fma_f64 v[76:77], v[64:65], v[82:83], v[58:59]
	ds_load_2addr_b64 v[58:61], v1 offset0:45 offset1:46
	ds_load_2addr_b64 v[62:65], v1 offset0:47 offset1:48
	s_waitcnt lgkmcnt(1)
	v_fma_f64 v[58:59], v[66:67], v[58:59], v[76:77]
	s_waitcnt vmcnt(2)
	s_delay_alu instid0(VALU_DEP_1) | instskip(SKIP_1) | instid1(VALU_DEP_1)
	v_fma_f64 v[58:59], v[68:69], v[60:61], v[58:59]
	s_waitcnt lgkmcnt(0)
	v_fma_f64 v[58:59], v[70:71], v[62:63], v[58:59]
	s_waitcnt vmcnt(1)
	s_delay_alu instid0(VALU_DEP_1)
	v_fma_f64 v[62:63], v[72:73], v[64:65], v[58:59]
	ds_load_2addr_b64 v[58:61], v1 offset0:49 offset1:50
	ds_load_b64 v[64:65], v1 offset:408
	s_waitcnt lgkmcnt(1)
	v_fma_f64 v[58:59], v[74:75], v[58:59], v[62:63]
	s_waitcnt vmcnt(0)
	s_delay_alu instid0(VALU_DEP_1) | instskip(SKIP_1) | instid1(VALU_DEP_1)
	v_fma_f64 v[58:59], v[84:85], v[60:61], v[58:59]
	s_waitcnt lgkmcnt(0)
	v_fma_f64 v[58:59], v[86:87], v[64:65], v[58:59]
	s_delay_alu instid0(VALU_DEP_1)
	v_add_f64 v[56:57], v[56:57], -v[58:59]
	scratch_store_b64 off, v[56:57], off offset:112
	v_cmpx_lt_u32_e32 13, v0
	s_cbranch_execz .LBB89_139
; %bb.138:
	scratch_load_b64 v[56:57], off, off offset:104
	v_mov_b32_e32 v2, v1
	scratch_store_b64 off, v[1:2], off offset:104
	s_waitcnt vmcnt(0)
	ds_store_b64 v3, v[56:57]
.LBB89_139:
	s_or_b32 exec_lo, exec_lo, s0
	s_waitcnt lgkmcnt(0)
	s_waitcnt_vscnt null, 0x0
	s_barrier
	buffer_gl0_inv
	s_clause 0x4
	scratch_load_b128 v[56:59], off, off offset:104
	scratch_load_b128 v[60:63], off, off offset:120
	;; [unrolled: 1-line block ×5, first 2 shown]
	ds_load_b128 v[76:79], v1 offset:320
	ds_load_b128 v[80:83], v1 offset:336
	scratch_load_b128 v[84:87], off, off offset:184
	s_mov_b32 s0, exec_lo
	s_waitcnt vmcnt(5) lgkmcnt(1)
	v_fma_f64 v[58:59], v[58:59], v[76:77], 0
	scratch_load_b64 v[76:77], off, off offset:200
	s_waitcnt vmcnt(5)
	v_fma_f64 v[58:59], v[60:61], v[78:79], v[58:59]
	s_waitcnt lgkmcnt(0)
	s_delay_alu instid0(VALU_DEP_1) | instskip(SKIP_1) | instid1(VALU_DEP_1)
	v_fma_f64 v[58:59], v[62:63], v[80:81], v[58:59]
	s_waitcnt vmcnt(4)
	v_fma_f64 v[78:79], v[64:65], v[82:83], v[58:59]
	ds_load_b128 v[58:61], v1 offset:352
	ds_load_b128 v[62:65], v1 offset:368
	s_waitcnt lgkmcnt(1)
	v_fma_f64 v[58:59], v[66:67], v[58:59], v[78:79]
	s_waitcnt vmcnt(3)
	s_delay_alu instid0(VALU_DEP_1) | instskip(SKIP_1) | instid1(VALU_DEP_1)
	v_fma_f64 v[58:59], v[68:69], v[60:61], v[58:59]
	s_waitcnt lgkmcnt(0)
	v_fma_f64 v[58:59], v[70:71], v[62:63], v[58:59]
	s_waitcnt vmcnt(2)
	s_delay_alu instid0(VALU_DEP_1)
	v_fma_f64 v[66:67], v[72:73], v[64:65], v[58:59]
	ds_load_b128 v[58:61], v1 offset:384
	ds_load_b128 v[62:65], v1 offset:400
	s_waitcnt lgkmcnt(1)
	v_fma_f64 v[1:2], v[74:75], v[58:59], v[66:67]
	s_waitcnt vmcnt(1)
	s_delay_alu instid0(VALU_DEP_1) | instskip(SKIP_1) | instid1(VALU_DEP_1)
	v_fma_f64 v[1:2], v[84:85], v[60:61], v[1:2]
	s_waitcnt lgkmcnt(0)
	v_fma_f64 v[1:2], v[86:87], v[62:63], v[1:2]
	s_waitcnt vmcnt(0)
	s_delay_alu instid0(VALU_DEP_1) | instskip(NEXT) | instid1(VALU_DEP_1)
	v_fma_f64 v[1:2], v[76:77], v[64:65], v[1:2]
	v_add_f64 v[1:2], v[56:57], -v[1:2]
	scratch_store_b64 off, v[1:2], off offset:104
	v_cmpx_lt_u32_e32 12, v0
	s_cbranch_execz .LBB89_141
; %bb.140:
	scratch_load_b64 v[1:2], off, off offset:96
	v_mov_b32_e32 v56, 0
	s_delay_alu instid0(VALU_DEP_1)
	v_mov_b32_e32 v57, v56
	scratch_store_b64 off, v[56:57], off offset:96
	s_waitcnt vmcnt(0)
	ds_store_b64 v3, v[1:2]
.LBB89_141:
	s_or_b32 exec_lo, exec_lo, s0
	s_waitcnt lgkmcnt(0)
	s_waitcnt_vscnt null, 0x0
	s_barrier
	buffer_gl0_inv
	s_clause 0x4
	scratch_load_b128 v[56:59], off, off offset:96
	scratch_load_b128 v[60:63], off, off offset:112
	;; [unrolled: 1-line block ×5, first 2 shown]
	v_mov_b32_e32 v1, 0
	ds_load_2addr_b64 v[76:79], v1 offset0:39 offset1:40
	ds_load_2addr_b64 v[80:83], v1 offset0:41 offset1:42
	scratch_load_b128 v[84:87], off, off offset:176
	s_mov_b32 s0, exec_lo
	s_waitcnt vmcnt(5) lgkmcnt(1)
	v_fma_f64 v[58:59], v[58:59], v[76:77], 0
	s_waitcnt vmcnt(4)
	s_delay_alu instid0(VALU_DEP_1) | instskip(SKIP_1) | instid1(VALU_DEP_1)
	v_fma_f64 v[58:59], v[60:61], v[78:79], v[58:59]
	s_waitcnt lgkmcnt(0)
	v_fma_f64 v[62:63], v[62:63], v[80:81], v[58:59]
	scratch_load_b128 v[58:61], off, off offset:192
	s_waitcnt vmcnt(4)
	v_fma_f64 v[80:81], v[64:65], v[82:83], v[62:63]
	ds_load_2addr_b64 v[62:65], v1 offset0:43 offset1:44
	ds_load_2addr_b64 v[76:79], v1 offset0:45 offset1:46
	s_waitcnt lgkmcnt(1)
	v_fma_f64 v[62:63], v[66:67], v[62:63], v[80:81]
	s_waitcnt vmcnt(3)
	s_delay_alu instid0(VALU_DEP_1) | instskip(SKIP_1) | instid1(VALU_DEP_1)
	v_fma_f64 v[62:63], v[68:69], v[64:65], v[62:63]
	s_waitcnt lgkmcnt(0)
	v_fma_f64 v[62:63], v[70:71], v[76:77], v[62:63]
	s_waitcnt vmcnt(2)
	s_delay_alu instid0(VALU_DEP_1)
	v_fma_f64 v[70:71], v[72:73], v[78:79], v[62:63]
	ds_load_2addr_b64 v[62:65], v1 offset0:47 offset1:48
	ds_load_2addr_b64 v[66:69], v1 offset0:49 offset1:50
	s_waitcnt lgkmcnt(1)
	v_fma_f64 v[62:63], v[74:75], v[62:63], v[70:71]
	s_waitcnt vmcnt(1)
	s_delay_alu instid0(VALU_DEP_1) | instskip(SKIP_1) | instid1(VALU_DEP_1)
	v_fma_f64 v[62:63], v[84:85], v[64:65], v[62:63]
	s_waitcnt lgkmcnt(0)
	v_fma_f64 v[62:63], v[86:87], v[66:67], v[62:63]
	s_waitcnt vmcnt(0)
	s_delay_alu instid0(VALU_DEP_1) | instskip(SKIP_3) | instid1(VALU_DEP_1)
	v_fma_f64 v[58:59], v[58:59], v[68:69], v[62:63]
	ds_load_b64 v[62:63], v1 offset:408
	s_waitcnt lgkmcnt(0)
	v_fma_f64 v[58:59], v[60:61], v[62:63], v[58:59]
	v_add_f64 v[56:57], v[56:57], -v[58:59]
	scratch_store_b64 off, v[56:57], off offset:96
	v_cmpx_lt_u32_e32 11, v0
	s_cbranch_execz .LBB89_143
; %bb.142:
	scratch_load_b64 v[56:57], off, off offset:88
	v_mov_b32_e32 v2, v1
	scratch_store_b64 off, v[1:2], off offset:88
	s_waitcnt vmcnt(0)
	ds_store_b64 v3, v[56:57]
.LBB89_143:
	s_or_b32 exec_lo, exec_lo, s0
	s_waitcnt lgkmcnt(0)
	s_waitcnt_vscnt null, 0x0
	s_barrier
	buffer_gl0_inv
	s_clause 0x4
	scratch_load_b128 v[56:59], off, off offset:88
	scratch_load_b128 v[60:63], off, off offset:104
	;; [unrolled: 1-line block ×5, first 2 shown]
	ds_load_b128 v[76:79], v1 offset:304
	ds_load_b128 v[80:83], v1 offset:320
	scratch_load_b128 v[84:87], off, off offset:168
	s_mov_b32 s0, exec_lo
	s_waitcnt vmcnt(5) lgkmcnt(1)
	v_fma_f64 v[58:59], v[58:59], v[76:77], 0
	s_waitcnt vmcnt(4)
	s_delay_alu instid0(VALU_DEP_1) | instskip(SKIP_1) | instid1(VALU_DEP_1)
	v_fma_f64 v[58:59], v[60:61], v[78:79], v[58:59]
	s_waitcnt lgkmcnt(0)
	v_fma_f64 v[62:63], v[62:63], v[80:81], v[58:59]
	scratch_load_b128 v[58:61], off, off offset:184
	s_waitcnt vmcnt(4)
	v_fma_f64 v[80:81], v[64:65], v[82:83], v[62:63]
	ds_load_b128 v[62:65], v1 offset:336
	ds_load_b128 v[76:79], v1 offset:352
	s_waitcnt lgkmcnt(1)
	v_fma_f64 v[62:63], v[66:67], v[62:63], v[80:81]
	scratch_load_b64 v[80:81], off, off offset:200
	s_waitcnt vmcnt(4)
	v_fma_f64 v[62:63], v[68:69], v[64:65], v[62:63]
	s_waitcnt lgkmcnt(0)
	s_delay_alu instid0(VALU_DEP_1) | instskip(SKIP_1) | instid1(VALU_DEP_1)
	v_fma_f64 v[62:63], v[70:71], v[76:77], v[62:63]
	s_waitcnt vmcnt(3)
	v_fma_f64 v[70:71], v[72:73], v[78:79], v[62:63]
	ds_load_b128 v[62:65], v1 offset:368
	ds_load_b128 v[66:69], v1 offset:384
	s_waitcnt lgkmcnt(1)
	v_fma_f64 v[62:63], v[74:75], v[62:63], v[70:71]
	s_waitcnt vmcnt(2)
	s_delay_alu instid0(VALU_DEP_1) | instskip(SKIP_1) | instid1(VALU_DEP_1)
	v_fma_f64 v[62:63], v[84:85], v[64:65], v[62:63]
	s_waitcnt lgkmcnt(0)
	v_fma_f64 v[62:63], v[86:87], v[66:67], v[62:63]
	s_waitcnt vmcnt(1)
	s_delay_alu instid0(VALU_DEP_1) | instskip(SKIP_4) | instid1(VALU_DEP_1)
	v_fma_f64 v[58:59], v[58:59], v[68:69], v[62:63]
	ds_load_b128 v[62:65], v1 offset:400
	s_waitcnt lgkmcnt(0)
	v_fma_f64 v[1:2], v[60:61], v[62:63], v[58:59]
	s_waitcnt vmcnt(0)
	v_fma_f64 v[1:2], v[80:81], v[64:65], v[1:2]
	s_delay_alu instid0(VALU_DEP_1)
	v_add_f64 v[1:2], v[56:57], -v[1:2]
	scratch_store_b64 off, v[1:2], off offset:88
	v_cmpx_lt_u32_e32 10, v0
	s_cbranch_execz .LBB89_145
; %bb.144:
	scratch_load_b64 v[1:2], off, off offset:80
	v_mov_b32_e32 v56, 0
	s_delay_alu instid0(VALU_DEP_1)
	v_mov_b32_e32 v57, v56
	scratch_store_b64 off, v[56:57], off offset:80
	s_waitcnt vmcnt(0)
	ds_store_b64 v3, v[1:2]
.LBB89_145:
	s_or_b32 exec_lo, exec_lo, s0
	s_waitcnt lgkmcnt(0)
	s_waitcnt_vscnt null, 0x0
	s_barrier
	buffer_gl0_inv
	s_clause 0x4
	scratch_load_b128 v[56:59], off, off offset:80
	scratch_load_b128 v[60:63], off, off offset:96
	;; [unrolled: 1-line block ×5, first 2 shown]
	v_mov_b32_e32 v1, 0
	ds_load_2addr_b64 v[76:79], v1 offset0:37 offset1:38
	ds_load_2addr_b64 v[80:83], v1 offset0:39 offset1:40
	scratch_load_b128 v[84:87], off, off offset:160
	s_mov_b32 s0, exec_lo
	s_waitcnt vmcnt(5) lgkmcnt(1)
	v_fma_f64 v[58:59], v[58:59], v[76:77], 0
	s_waitcnt vmcnt(4)
	s_delay_alu instid0(VALU_DEP_1) | instskip(SKIP_1) | instid1(VALU_DEP_1)
	v_fma_f64 v[58:59], v[60:61], v[78:79], v[58:59]
	s_waitcnt lgkmcnt(0)
	v_fma_f64 v[62:63], v[62:63], v[80:81], v[58:59]
	scratch_load_b128 v[58:61], off, off offset:176
	s_waitcnt vmcnt(4)
	v_fma_f64 v[80:81], v[64:65], v[82:83], v[62:63]
	ds_load_2addr_b64 v[62:65], v1 offset0:41 offset1:42
	ds_load_2addr_b64 v[76:79], v1 offset0:43 offset1:44
	s_waitcnt lgkmcnt(1)
	v_fma_f64 v[62:63], v[66:67], v[62:63], v[80:81]
	scratch_load_b128 v[80:83], off, off offset:192
	s_waitcnt vmcnt(4)
	v_fma_f64 v[62:63], v[68:69], v[64:65], v[62:63]
	s_waitcnt lgkmcnt(0)
	s_delay_alu instid0(VALU_DEP_1) | instskip(SKIP_1) | instid1(VALU_DEP_1)
	v_fma_f64 v[62:63], v[70:71], v[76:77], v[62:63]
	s_waitcnt vmcnt(3)
	v_fma_f64 v[70:71], v[72:73], v[78:79], v[62:63]
	ds_load_2addr_b64 v[62:65], v1 offset0:45 offset1:46
	ds_load_2addr_b64 v[66:69], v1 offset0:47 offset1:48
	s_waitcnt lgkmcnt(1)
	v_fma_f64 v[62:63], v[74:75], v[62:63], v[70:71]
	s_waitcnt vmcnt(2)
	s_delay_alu instid0(VALU_DEP_1) | instskip(SKIP_1) | instid1(VALU_DEP_1)
	v_fma_f64 v[62:63], v[84:85], v[64:65], v[62:63]
	s_waitcnt lgkmcnt(0)
	v_fma_f64 v[62:63], v[86:87], v[66:67], v[62:63]
	s_waitcnt vmcnt(1)
	s_delay_alu instid0(VALU_DEP_1)
	v_fma_f64 v[58:59], v[58:59], v[68:69], v[62:63]
	ds_load_2addr_b64 v[62:65], v1 offset0:49 offset1:50
	ds_load_b64 v[66:67], v1 offset:408
	s_waitcnt lgkmcnt(1)
	v_fma_f64 v[58:59], v[60:61], v[62:63], v[58:59]
	s_waitcnt vmcnt(0)
	s_delay_alu instid0(VALU_DEP_1) | instskip(SKIP_1) | instid1(VALU_DEP_1)
	v_fma_f64 v[58:59], v[80:81], v[64:65], v[58:59]
	s_waitcnt lgkmcnt(0)
	v_fma_f64 v[58:59], v[82:83], v[66:67], v[58:59]
	s_delay_alu instid0(VALU_DEP_1)
	v_add_f64 v[56:57], v[56:57], -v[58:59]
	scratch_store_b64 off, v[56:57], off offset:80
	v_cmpx_lt_u32_e32 9, v0
	s_cbranch_execz .LBB89_147
; %bb.146:
	scratch_load_b64 v[56:57], off, off offset:72
	v_mov_b32_e32 v2, v1
	scratch_store_b64 off, v[1:2], off offset:72
	s_waitcnt vmcnt(0)
	ds_store_b64 v3, v[56:57]
.LBB89_147:
	s_or_b32 exec_lo, exec_lo, s0
	s_waitcnt lgkmcnt(0)
	s_waitcnt_vscnt null, 0x0
	s_barrier
	buffer_gl0_inv
	s_clause 0x4
	scratch_load_b128 v[56:59], off, off offset:72
	scratch_load_b128 v[60:63], off, off offset:88
	;; [unrolled: 1-line block ×5, first 2 shown]
	ds_load_b128 v[76:79], v1 offset:288
	ds_load_b128 v[80:83], v1 offset:304
	scratch_load_b128 v[84:87], off, off offset:152
	s_mov_b32 s0, exec_lo
	s_waitcnt vmcnt(5) lgkmcnt(1)
	v_fma_f64 v[58:59], v[58:59], v[76:77], 0
	s_waitcnt vmcnt(4)
	s_delay_alu instid0(VALU_DEP_1) | instskip(SKIP_1) | instid1(VALU_DEP_1)
	v_fma_f64 v[58:59], v[60:61], v[78:79], v[58:59]
	s_waitcnt lgkmcnt(0)
	v_fma_f64 v[62:63], v[62:63], v[80:81], v[58:59]
	scratch_load_b128 v[58:61], off, off offset:168
	s_waitcnt vmcnt(4)
	v_fma_f64 v[80:81], v[64:65], v[82:83], v[62:63]
	ds_load_b128 v[62:65], v1 offset:320
	ds_load_b128 v[76:79], v1 offset:336
	s_waitcnt lgkmcnt(1)
	v_fma_f64 v[62:63], v[66:67], v[62:63], v[80:81]
	scratch_load_b128 v[80:83], off, off offset:184
	s_waitcnt vmcnt(4)
	v_fma_f64 v[62:63], v[68:69], v[64:65], v[62:63]
	s_waitcnt lgkmcnt(0)
	s_delay_alu instid0(VALU_DEP_1)
	v_fma_f64 v[62:63], v[70:71], v[76:77], v[62:63]
	scratch_load_b64 v[70:71], off, off offset:200
	s_waitcnt vmcnt(4)
	v_fma_f64 v[72:73], v[72:73], v[78:79], v[62:63]
	ds_load_b128 v[62:65], v1 offset:352
	ds_load_b128 v[66:69], v1 offset:368
	s_waitcnt lgkmcnt(1)
	v_fma_f64 v[62:63], v[74:75], v[62:63], v[72:73]
	s_waitcnt vmcnt(3)
	s_delay_alu instid0(VALU_DEP_1) | instskip(SKIP_1) | instid1(VALU_DEP_1)
	v_fma_f64 v[62:63], v[84:85], v[64:65], v[62:63]
	s_waitcnt lgkmcnt(0)
	v_fma_f64 v[62:63], v[86:87], v[66:67], v[62:63]
	s_waitcnt vmcnt(2)
	s_delay_alu instid0(VALU_DEP_1)
	v_fma_f64 v[58:59], v[58:59], v[68:69], v[62:63]
	ds_load_b128 v[62:65], v1 offset:384
	ds_load_b128 v[66:69], v1 offset:400
	s_waitcnt lgkmcnt(1)
	v_fma_f64 v[1:2], v[60:61], v[62:63], v[58:59]
	s_waitcnt vmcnt(1)
	s_delay_alu instid0(VALU_DEP_1) | instskip(SKIP_1) | instid1(VALU_DEP_1)
	v_fma_f64 v[1:2], v[80:81], v[64:65], v[1:2]
	s_waitcnt lgkmcnt(0)
	v_fma_f64 v[1:2], v[82:83], v[66:67], v[1:2]
	s_waitcnt vmcnt(0)
	s_delay_alu instid0(VALU_DEP_1) | instskip(NEXT) | instid1(VALU_DEP_1)
	v_fma_f64 v[1:2], v[70:71], v[68:69], v[1:2]
	v_add_f64 v[1:2], v[56:57], -v[1:2]
	scratch_store_b64 off, v[1:2], off offset:72
	v_cmpx_lt_u32_e32 8, v0
	s_cbranch_execz .LBB89_149
; %bb.148:
	scratch_load_b64 v[1:2], off, off offset:64
	v_mov_b32_e32 v56, 0
	s_delay_alu instid0(VALU_DEP_1)
	v_mov_b32_e32 v57, v56
	scratch_store_b64 off, v[56:57], off offset:64
	s_waitcnt vmcnt(0)
	ds_store_b64 v3, v[1:2]
.LBB89_149:
	s_or_b32 exec_lo, exec_lo, s0
	s_waitcnt lgkmcnt(0)
	s_waitcnt_vscnt null, 0x0
	s_barrier
	buffer_gl0_inv
	s_clause 0x4
	scratch_load_b128 v[56:59], off, off offset:64
	scratch_load_b128 v[60:63], off, off offset:80
	;; [unrolled: 1-line block ×5, first 2 shown]
	v_mov_b32_e32 v1, 0
	ds_load_2addr_b64 v[76:79], v1 offset0:35 offset1:36
	ds_load_2addr_b64 v[80:83], v1 offset0:37 offset1:38
	scratch_load_b128 v[84:87], off, off offset:144
	s_mov_b32 s0, exec_lo
	s_waitcnt vmcnt(5) lgkmcnt(1)
	v_fma_f64 v[58:59], v[58:59], v[76:77], 0
	s_waitcnt vmcnt(4)
	s_delay_alu instid0(VALU_DEP_1) | instskip(SKIP_1) | instid1(VALU_DEP_1)
	v_fma_f64 v[58:59], v[60:61], v[78:79], v[58:59]
	s_waitcnt lgkmcnt(0)
	v_fma_f64 v[62:63], v[62:63], v[80:81], v[58:59]
	scratch_load_b128 v[58:61], off, off offset:160
	s_waitcnt vmcnt(4)
	v_fma_f64 v[80:81], v[64:65], v[82:83], v[62:63]
	ds_load_2addr_b64 v[62:65], v1 offset0:39 offset1:40
	ds_load_2addr_b64 v[76:79], v1 offset0:41 offset1:42
	s_waitcnt lgkmcnt(1)
	v_fma_f64 v[62:63], v[66:67], v[62:63], v[80:81]
	scratch_load_b128 v[80:83], off, off offset:176
	s_waitcnt vmcnt(4)
	v_fma_f64 v[62:63], v[68:69], v[64:65], v[62:63]
	s_waitcnt lgkmcnt(0)
	s_delay_alu instid0(VALU_DEP_1)
	v_fma_f64 v[66:67], v[70:71], v[76:77], v[62:63]
	scratch_load_b128 v[62:65], off, off offset:192
	s_waitcnt vmcnt(4)
	v_fma_f64 v[76:77], v[72:73], v[78:79], v[66:67]
	ds_load_2addr_b64 v[66:69], v1 offset0:43 offset1:44
	ds_load_2addr_b64 v[70:73], v1 offset0:45 offset1:46
	s_waitcnt lgkmcnt(1)
	v_fma_f64 v[66:67], v[74:75], v[66:67], v[76:77]
	s_waitcnt vmcnt(3)
	s_delay_alu instid0(VALU_DEP_1) | instskip(SKIP_1) | instid1(VALU_DEP_1)
	v_fma_f64 v[66:67], v[84:85], v[68:69], v[66:67]
	s_waitcnt lgkmcnt(0)
	v_fma_f64 v[66:67], v[86:87], v[70:71], v[66:67]
	s_waitcnt vmcnt(2)
	s_delay_alu instid0(VALU_DEP_1)
	v_fma_f64 v[58:59], v[58:59], v[72:73], v[66:67]
	ds_load_2addr_b64 v[66:69], v1 offset0:47 offset1:48
	ds_load_2addr_b64 v[70:73], v1 offset0:49 offset1:50
	s_waitcnt lgkmcnt(1)
	v_fma_f64 v[58:59], v[60:61], v[66:67], v[58:59]
	ds_load_b64 v[60:61], v1 offset:408
	s_waitcnt vmcnt(1)
	v_fma_f64 v[58:59], v[80:81], v[68:69], v[58:59]
	s_waitcnt lgkmcnt(1)
	s_delay_alu instid0(VALU_DEP_1) | instskip(SKIP_1) | instid1(VALU_DEP_1)
	v_fma_f64 v[58:59], v[82:83], v[70:71], v[58:59]
	s_waitcnt vmcnt(0)
	v_fma_f64 v[58:59], v[62:63], v[72:73], v[58:59]
	s_waitcnt lgkmcnt(0)
	s_delay_alu instid0(VALU_DEP_1) | instskip(NEXT) | instid1(VALU_DEP_1)
	v_fma_f64 v[58:59], v[64:65], v[60:61], v[58:59]
	v_add_f64 v[56:57], v[56:57], -v[58:59]
	scratch_store_b64 off, v[56:57], off offset:64
	v_cmpx_lt_u32_e32 7, v0
	s_cbranch_execz .LBB89_151
; %bb.150:
	scratch_load_b64 v[56:57], off, off offset:56
	v_mov_b32_e32 v2, v1
	scratch_store_b64 off, v[1:2], off offset:56
	s_waitcnt vmcnt(0)
	ds_store_b64 v3, v[56:57]
.LBB89_151:
	s_or_b32 exec_lo, exec_lo, s0
	s_waitcnt lgkmcnt(0)
	s_waitcnt_vscnt null, 0x0
	s_barrier
	buffer_gl0_inv
	s_clause 0x4
	scratch_load_b128 v[56:59], off, off offset:56
	scratch_load_b128 v[60:63], off, off offset:72
	;; [unrolled: 1-line block ×5, first 2 shown]
	ds_load_b128 v[76:79], v1 offset:272
	ds_load_b128 v[80:83], v1 offset:288
	scratch_load_b128 v[84:87], off, off offset:136
	s_mov_b32 s0, exec_lo
	s_waitcnt vmcnt(5) lgkmcnt(1)
	v_fma_f64 v[58:59], v[58:59], v[76:77], 0
	s_waitcnt vmcnt(4)
	s_delay_alu instid0(VALU_DEP_1) | instskip(SKIP_1) | instid1(VALU_DEP_1)
	v_fma_f64 v[58:59], v[60:61], v[78:79], v[58:59]
	s_waitcnt lgkmcnt(0)
	v_fma_f64 v[62:63], v[62:63], v[80:81], v[58:59]
	scratch_load_b128 v[58:61], off, off offset:152
	s_waitcnt vmcnt(4)
	v_fma_f64 v[80:81], v[64:65], v[82:83], v[62:63]
	ds_load_b128 v[62:65], v1 offset:304
	ds_load_b128 v[76:79], v1 offset:320
	s_waitcnt lgkmcnt(1)
	v_fma_f64 v[62:63], v[66:67], v[62:63], v[80:81]
	scratch_load_b128 v[80:83], off, off offset:168
	s_waitcnt vmcnt(4)
	v_fma_f64 v[62:63], v[68:69], v[64:65], v[62:63]
	s_waitcnt lgkmcnt(0)
	s_delay_alu instid0(VALU_DEP_1)
	v_fma_f64 v[66:67], v[70:71], v[76:77], v[62:63]
	scratch_load_b128 v[62:65], off, off offset:184
	s_waitcnt vmcnt(4)
	v_fma_f64 v[76:77], v[72:73], v[78:79], v[66:67]
	ds_load_b128 v[66:69], v1 offset:336
	ds_load_b128 v[70:73], v1 offset:352
	s_waitcnt lgkmcnt(1)
	v_fma_f64 v[66:67], v[74:75], v[66:67], v[76:77]
	scratch_load_b64 v[74:75], off, off offset:200
	s_waitcnt vmcnt(4)
	v_fma_f64 v[66:67], v[84:85], v[68:69], v[66:67]
	s_waitcnt lgkmcnt(0)
	s_delay_alu instid0(VALU_DEP_1) | instskip(SKIP_1) | instid1(VALU_DEP_1)
	v_fma_f64 v[66:67], v[86:87], v[70:71], v[66:67]
	s_waitcnt vmcnt(3)
	v_fma_f64 v[58:59], v[58:59], v[72:73], v[66:67]
	ds_load_b128 v[66:69], v1 offset:368
	ds_load_b128 v[70:73], v1 offset:384
	s_waitcnt lgkmcnt(1)
	v_fma_f64 v[58:59], v[60:61], v[66:67], v[58:59]
	s_waitcnt vmcnt(2)
	s_delay_alu instid0(VALU_DEP_1) | instskip(SKIP_1) | instid1(VALU_DEP_1)
	v_fma_f64 v[58:59], v[80:81], v[68:69], v[58:59]
	s_waitcnt lgkmcnt(0)
	v_fma_f64 v[58:59], v[82:83], v[70:71], v[58:59]
	s_waitcnt vmcnt(1)
	s_delay_alu instid0(VALU_DEP_1) | instskip(SKIP_4) | instid1(VALU_DEP_1)
	v_fma_f64 v[62:63], v[62:63], v[72:73], v[58:59]
	ds_load_b128 v[58:61], v1 offset:400
	s_waitcnt lgkmcnt(0)
	v_fma_f64 v[1:2], v[64:65], v[58:59], v[62:63]
	s_waitcnt vmcnt(0)
	v_fma_f64 v[1:2], v[74:75], v[60:61], v[1:2]
	s_delay_alu instid0(VALU_DEP_1)
	v_add_f64 v[1:2], v[56:57], -v[1:2]
	scratch_store_b64 off, v[1:2], off offset:56
	v_cmpx_lt_u32_e32 6, v0
	s_cbranch_execz .LBB89_153
; %bb.152:
	scratch_load_b64 v[1:2], off, off offset:48
	v_mov_b32_e32 v56, 0
	s_delay_alu instid0(VALU_DEP_1)
	v_mov_b32_e32 v57, v56
	scratch_store_b64 off, v[56:57], off offset:48
	s_waitcnt vmcnt(0)
	ds_store_b64 v3, v[1:2]
.LBB89_153:
	s_or_b32 exec_lo, exec_lo, s0
	s_waitcnt lgkmcnt(0)
	s_waitcnt_vscnt null, 0x0
	s_barrier
	buffer_gl0_inv
	s_clause 0x4
	scratch_load_b128 v[56:59], off, off offset:48
	scratch_load_b128 v[60:63], off, off offset:64
	;; [unrolled: 1-line block ×5, first 2 shown]
	v_mov_b32_e32 v1, 0
	ds_load_2addr_b64 v[76:79], v1 offset0:33 offset1:34
	ds_load_2addr_b64 v[80:83], v1 offset0:35 offset1:36
	scratch_load_b128 v[84:87], off, off offset:128
	s_mov_b32 s0, exec_lo
	s_waitcnt vmcnt(5) lgkmcnt(1)
	v_fma_f64 v[58:59], v[58:59], v[76:77], 0
	s_waitcnt vmcnt(4)
	s_delay_alu instid0(VALU_DEP_1) | instskip(SKIP_1) | instid1(VALU_DEP_1)
	v_fma_f64 v[58:59], v[60:61], v[78:79], v[58:59]
	s_waitcnt lgkmcnt(0)
	v_fma_f64 v[62:63], v[62:63], v[80:81], v[58:59]
	scratch_load_b128 v[58:61], off, off offset:144
	s_waitcnt vmcnt(4)
	v_fma_f64 v[80:81], v[64:65], v[82:83], v[62:63]
	ds_load_2addr_b64 v[62:65], v1 offset0:37 offset1:38
	ds_load_2addr_b64 v[76:79], v1 offset0:39 offset1:40
	s_waitcnt lgkmcnt(1)
	v_fma_f64 v[62:63], v[66:67], v[62:63], v[80:81]
	scratch_load_b128 v[80:83], off, off offset:160
	s_waitcnt vmcnt(4)
	v_fma_f64 v[62:63], v[68:69], v[64:65], v[62:63]
	s_waitcnt lgkmcnt(0)
	s_delay_alu instid0(VALU_DEP_1)
	v_fma_f64 v[66:67], v[70:71], v[76:77], v[62:63]
	scratch_load_b128 v[62:65], off, off offset:176
	s_waitcnt vmcnt(4)
	v_fma_f64 v[76:77], v[72:73], v[78:79], v[66:67]
	ds_load_2addr_b64 v[66:69], v1 offset0:41 offset1:42
	ds_load_2addr_b64 v[70:73], v1 offset0:43 offset1:44
	s_waitcnt lgkmcnt(1)
	v_fma_f64 v[66:67], v[74:75], v[66:67], v[76:77]
	scratch_load_b128 v[74:77], off, off offset:192
	s_waitcnt vmcnt(4)
	v_fma_f64 v[66:67], v[84:85], v[68:69], v[66:67]
	s_waitcnt lgkmcnt(0)
	s_delay_alu instid0(VALU_DEP_1) | instskip(SKIP_1) | instid1(VALU_DEP_1)
	v_fma_f64 v[66:67], v[86:87], v[70:71], v[66:67]
	s_waitcnt vmcnt(3)
	v_fma_f64 v[58:59], v[58:59], v[72:73], v[66:67]
	ds_load_2addr_b64 v[66:69], v1 offset0:45 offset1:46
	ds_load_2addr_b64 v[70:73], v1 offset0:47 offset1:48
	s_waitcnt lgkmcnt(1)
	v_fma_f64 v[58:59], v[60:61], v[66:67], v[58:59]
	s_waitcnt vmcnt(2)
	s_delay_alu instid0(VALU_DEP_1) | instskip(SKIP_1) | instid1(VALU_DEP_1)
	v_fma_f64 v[58:59], v[80:81], v[68:69], v[58:59]
	s_waitcnt lgkmcnt(0)
	v_fma_f64 v[58:59], v[82:83], v[70:71], v[58:59]
	s_waitcnt vmcnt(1)
	s_delay_alu instid0(VALU_DEP_1)
	v_fma_f64 v[62:63], v[62:63], v[72:73], v[58:59]
	ds_load_2addr_b64 v[58:61], v1 offset0:49 offset1:50
	ds_load_b64 v[66:67], v1 offset:408
	s_waitcnt lgkmcnt(1)
	v_fma_f64 v[58:59], v[64:65], v[58:59], v[62:63]
	s_waitcnt vmcnt(0)
	s_delay_alu instid0(VALU_DEP_1) | instskip(SKIP_1) | instid1(VALU_DEP_1)
	v_fma_f64 v[58:59], v[74:75], v[60:61], v[58:59]
	s_waitcnt lgkmcnt(0)
	v_fma_f64 v[58:59], v[76:77], v[66:67], v[58:59]
	s_delay_alu instid0(VALU_DEP_1)
	v_add_f64 v[56:57], v[56:57], -v[58:59]
	scratch_store_b64 off, v[56:57], off offset:48
	v_cmpx_lt_u32_e32 5, v0
	s_cbranch_execz .LBB89_155
; %bb.154:
	scratch_load_b64 v[56:57], off, off offset:40
	v_mov_b32_e32 v2, v1
	scratch_store_b64 off, v[1:2], off offset:40
	s_waitcnt vmcnt(0)
	ds_store_b64 v3, v[56:57]
.LBB89_155:
	s_or_b32 exec_lo, exec_lo, s0
	s_waitcnt lgkmcnt(0)
	s_waitcnt_vscnt null, 0x0
	s_barrier
	buffer_gl0_inv
	s_clause 0x4
	scratch_load_b128 v[56:59], off, off offset:40
	scratch_load_b128 v[60:63], off, off offset:56
	;; [unrolled: 1-line block ×5, first 2 shown]
	ds_load_b128 v[76:79], v1 offset:256
	ds_load_b128 v[80:83], v1 offset:272
	scratch_load_b128 v[84:87], off, off offset:120
	s_mov_b32 s0, exec_lo
	s_waitcnt vmcnt(5) lgkmcnt(1)
	v_fma_f64 v[58:59], v[58:59], v[76:77], 0
	s_waitcnt vmcnt(4)
	s_delay_alu instid0(VALU_DEP_1) | instskip(SKIP_1) | instid1(VALU_DEP_1)
	v_fma_f64 v[58:59], v[60:61], v[78:79], v[58:59]
	s_waitcnt lgkmcnt(0)
	v_fma_f64 v[62:63], v[62:63], v[80:81], v[58:59]
	scratch_load_b128 v[58:61], off, off offset:136
	s_waitcnt vmcnt(4)
	v_fma_f64 v[80:81], v[64:65], v[82:83], v[62:63]
	ds_load_b128 v[62:65], v1 offset:288
	ds_load_b128 v[76:79], v1 offset:304
	s_waitcnt lgkmcnt(1)
	v_fma_f64 v[62:63], v[66:67], v[62:63], v[80:81]
	scratch_load_b128 v[80:83], off, off offset:152
	s_waitcnt vmcnt(4)
	v_fma_f64 v[62:63], v[68:69], v[64:65], v[62:63]
	s_waitcnt lgkmcnt(0)
	s_delay_alu instid0(VALU_DEP_1)
	v_fma_f64 v[66:67], v[70:71], v[76:77], v[62:63]
	scratch_load_b128 v[62:65], off, off offset:168
	s_waitcnt vmcnt(4)
	v_fma_f64 v[76:77], v[72:73], v[78:79], v[66:67]
	ds_load_b128 v[66:69], v1 offset:320
	ds_load_b128 v[70:73], v1 offset:336
	scratch_load_b64 v[78:79], off, off offset:200
	s_waitcnt lgkmcnt(1)
	v_fma_f64 v[66:67], v[74:75], v[66:67], v[76:77]
	scratch_load_b128 v[74:77], off, off offset:184
	s_waitcnt vmcnt(5)
	v_fma_f64 v[66:67], v[84:85], v[68:69], v[66:67]
	s_waitcnt lgkmcnt(0)
	s_delay_alu instid0(VALU_DEP_1) | instskip(SKIP_1) | instid1(VALU_DEP_1)
	v_fma_f64 v[66:67], v[86:87], v[70:71], v[66:67]
	s_waitcnt vmcnt(4)
	v_fma_f64 v[58:59], v[58:59], v[72:73], v[66:67]
	ds_load_b128 v[66:69], v1 offset:352
	ds_load_b128 v[70:73], v1 offset:368
	s_waitcnt lgkmcnt(1)
	v_fma_f64 v[58:59], v[60:61], v[66:67], v[58:59]
	s_waitcnt vmcnt(3)
	s_delay_alu instid0(VALU_DEP_1) | instskip(SKIP_1) | instid1(VALU_DEP_1)
	v_fma_f64 v[58:59], v[80:81], v[68:69], v[58:59]
	s_waitcnt lgkmcnt(0)
	v_fma_f64 v[58:59], v[82:83], v[70:71], v[58:59]
	s_waitcnt vmcnt(2)
	s_delay_alu instid0(VALU_DEP_1)
	v_fma_f64 v[62:63], v[62:63], v[72:73], v[58:59]
	ds_load_b128 v[58:61], v1 offset:384
	ds_load_b128 v[66:69], v1 offset:400
	s_waitcnt lgkmcnt(1)
	v_fma_f64 v[1:2], v[64:65], v[58:59], v[62:63]
	s_waitcnt vmcnt(0)
	s_delay_alu instid0(VALU_DEP_1) | instskip(SKIP_1) | instid1(VALU_DEP_1)
	v_fma_f64 v[1:2], v[74:75], v[60:61], v[1:2]
	s_waitcnt lgkmcnt(0)
	v_fma_f64 v[1:2], v[76:77], v[66:67], v[1:2]
	s_delay_alu instid0(VALU_DEP_1) | instskip(NEXT) | instid1(VALU_DEP_1)
	v_fma_f64 v[1:2], v[78:79], v[68:69], v[1:2]
	v_add_f64 v[1:2], v[56:57], -v[1:2]
	scratch_store_b64 off, v[1:2], off offset:40
	v_cmpx_lt_u32_e32 4, v0
	s_cbranch_execz .LBB89_157
; %bb.156:
	scratch_load_b64 v[1:2], off, off offset:32
	v_mov_b32_e32 v56, 0
	s_delay_alu instid0(VALU_DEP_1)
	v_mov_b32_e32 v57, v56
	scratch_store_b64 off, v[56:57], off offset:32
	s_waitcnt vmcnt(0)
	ds_store_b64 v3, v[1:2]
.LBB89_157:
	s_or_b32 exec_lo, exec_lo, s0
	s_waitcnt lgkmcnt(0)
	s_waitcnt_vscnt null, 0x0
	s_barrier
	buffer_gl0_inv
	s_clause 0x4
	scratch_load_b128 v[56:59], off, off offset:32
	scratch_load_b128 v[60:63], off, off offset:48
	;; [unrolled: 1-line block ×5, first 2 shown]
	v_mov_b32_e32 v1, 0
	ds_load_2addr_b64 v[76:79], v1 offset0:31 offset1:32
	ds_load_2addr_b64 v[80:83], v1 offset0:33 offset1:34
	scratch_load_b128 v[84:87], off, off offset:112
	s_mov_b32 s0, exec_lo
	s_waitcnt vmcnt(5) lgkmcnt(1)
	v_fma_f64 v[58:59], v[58:59], v[76:77], 0
	s_waitcnt vmcnt(4)
	s_delay_alu instid0(VALU_DEP_1) | instskip(SKIP_1) | instid1(VALU_DEP_1)
	v_fma_f64 v[58:59], v[60:61], v[78:79], v[58:59]
	s_waitcnt lgkmcnt(0)
	v_fma_f64 v[62:63], v[62:63], v[80:81], v[58:59]
	scratch_load_b128 v[58:61], off, off offset:128
	s_waitcnt vmcnt(4)
	v_fma_f64 v[80:81], v[64:65], v[82:83], v[62:63]
	ds_load_2addr_b64 v[62:65], v1 offset0:35 offset1:36
	ds_load_2addr_b64 v[76:79], v1 offset0:37 offset1:38
	s_waitcnt lgkmcnt(1)
	v_fma_f64 v[62:63], v[66:67], v[62:63], v[80:81]
	scratch_load_b128 v[80:83], off, off offset:144
	s_waitcnt vmcnt(4)
	v_fma_f64 v[62:63], v[68:69], v[64:65], v[62:63]
	s_waitcnt lgkmcnt(0)
	s_delay_alu instid0(VALU_DEP_1)
	v_fma_f64 v[66:67], v[70:71], v[76:77], v[62:63]
	scratch_load_b128 v[62:65], off, off offset:160
	s_waitcnt vmcnt(4)
	v_fma_f64 v[76:77], v[72:73], v[78:79], v[66:67]
	ds_load_2addr_b64 v[66:69], v1 offset0:39 offset1:40
	ds_load_2addr_b64 v[70:73], v1 offset0:41 offset1:42
	s_waitcnt lgkmcnt(1)
	v_fma_f64 v[66:67], v[74:75], v[66:67], v[76:77]
	scratch_load_b128 v[74:77], off, off offset:176
	s_waitcnt vmcnt(4)
	v_fma_f64 v[66:67], v[84:85], v[68:69], v[66:67]
	s_waitcnt lgkmcnt(0)
	s_delay_alu instid0(VALU_DEP_1)
	v_fma_f64 v[70:71], v[86:87], v[70:71], v[66:67]
	scratch_load_b128 v[66:69], off, off offset:192
	s_waitcnt vmcnt(4)
	v_fma_f64 v[58:59], v[58:59], v[72:73], v[70:71]
	ds_load_2addr_b64 v[70:73], v1 offset0:43 offset1:44
	ds_load_2addr_b64 v[84:87], v1 offset0:45 offset1:46
	s_waitcnt lgkmcnt(1)
	v_fma_f64 v[58:59], v[60:61], v[70:71], v[58:59]
	s_waitcnt vmcnt(3)
	s_delay_alu instid0(VALU_DEP_1) | instskip(SKIP_1) | instid1(VALU_DEP_1)
	v_fma_f64 v[58:59], v[80:81], v[72:73], v[58:59]
	s_waitcnt lgkmcnt(0)
	v_fma_f64 v[58:59], v[82:83], v[84:85], v[58:59]
	s_waitcnt vmcnt(2)
	s_delay_alu instid0(VALU_DEP_1)
	v_fma_f64 v[62:63], v[62:63], v[86:87], v[58:59]
	ds_load_2addr_b64 v[58:61], v1 offset0:47 offset1:48
	ds_load_2addr_b64 v[70:73], v1 offset0:49 offset1:50
	s_waitcnt lgkmcnt(1)
	v_fma_f64 v[58:59], v[64:65], v[58:59], v[62:63]
	s_waitcnt vmcnt(1)
	s_delay_alu instid0(VALU_DEP_1) | instskip(SKIP_4) | instid1(VALU_DEP_1)
	v_fma_f64 v[58:59], v[74:75], v[60:61], v[58:59]
	ds_load_b64 v[60:61], v1 offset:408
	s_waitcnt lgkmcnt(1)
	v_fma_f64 v[58:59], v[76:77], v[70:71], v[58:59]
	s_waitcnt vmcnt(0)
	v_fma_f64 v[58:59], v[66:67], v[72:73], v[58:59]
	s_waitcnt lgkmcnt(0)
	s_delay_alu instid0(VALU_DEP_1) | instskip(NEXT) | instid1(VALU_DEP_1)
	v_fma_f64 v[58:59], v[68:69], v[60:61], v[58:59]
	v_add_f64 v[56:57], v[56:57], -v[58:59]
	scratch_store_b64 off, v[56:57], off offset:32
	v_cmpx_lt_u32_e32 3, v0
	s_cbranch_execz .LBB89_159
; %bb.158:
	scratch_load_b64 v[56:57], off, off offset:24
	v_mov_b32_e32 v2, v1
	scratch_store_b64 off, v[1:2], off offset:24
	s_waitcnt vmcnt(0)
	ds_store_b64 v3, v[56:57]
.LBB89_159:
	s_or_b32 exec_lo, exec_lo, s0
	s_waitcnt lgkmcnt(0)
	s_waitcnt_vscnt null, 0x0
	s_barrier
	buffer_gl0_inv
	s_clause 0x4
	scratch_load_b128 v[56:59], off, off offset:24
	scratch_load_b128 v[60:63], off, off offset:40
	;; [unrolled: 1-line block ×5, first 2 shown]
	ds_load_b128 v[76:79], v1 offset:240
	ds_load_b128 v[80:83], v1 offset:256
	scratch_load_b128 v[84:87], off, off offset:104
	s_mov_b32 s0, exec_lo
	s_waitcnt vmcnt(5) lgkmcnt(1)
	v_fma_f64 v[58:59], v[58:59], v[76:77], 0
	s_waitcnt vmcnt(4)
	s_delay_alu instid0(VALU_DEP_1) | instskip(SKIP_1) | instid1(VALU_DEP_1)
	v_fma_f64 v[58:59], v[60:61], v[78:79], v[58:59]
	s_waitcnt lgkmcnt(0)
	v_fma_f64 v[62:63], v[62:63], v[80:81], v[58:59]
	scratch_load_b128 v[58:61], off, off offset:120
	s_waitcnt vmcnt(4)
	v_fma_f64 v[80:81], v[64:65], v[82:83], v[62:63]
	ds_load_b128 v[62:65], v1 offset:272
	ds_load_b128 v[76:79], v1 offset:288
	s_waitcnt lgkmcnt(1)
	v_fma_f64 v[62:63], v[66:67], v[62:63], v[80:81]
	scratch_load_b128 v[80:83], off, off offset:136
	s_waitcnt vmcnt(4)
	v_fma_f64 v[62:63], v[68:69], v[64:65], v[62:63]
	s_waitcnt lgkmcnt(0)
	s_delay_alu instid0(VALU_DEP_1)
	v_fma_f64 v[66:67], v[70:71], v[76:77], v[62:63]
	scratch_load_b128 v[62:65], off, off offset:152
	s_waitcnt vmcnt(4)
	v_fma_f64 v[76:77], v[72:73], v[78:79], v[66:67]
	ds_load_b128 v[66:69], v1 offset:304
	ds_load_b128 v[70:73], v1 offset:320
	s_waitcnt lgkmcnt(1)
	v_fma_f64 v[66:67], v[74:75], v[66:67], v[76:77]
	scratch_load_b128 v[74:77], off, off offset:168
	s_waitcnt vmcnt(4)
	v_fma_f64 v[66:67], v[84:85], v[68:69], v[66:67]
	s_waitcnt lgkmcnt(0)
	s_delay_alu instid0(VALU_DEP_1)
	v_fma_f64 v[70:71], v[86:87], v[70:71], v[66:67]
	scratch_load_b128 v[66:69], off, off offset:184
	s_waitcnt vmcnt(4)
	v_fma_f64 v[58:59], v[58:59], v[72:73], v[70:71]
	ds_load_b128 v[70:73], v1 offset:336
	ds_load_b128 v[84:87], v1 offset:352
	scratch_load_b64 v[78:79], off, off offset:200
	s_waitcnt lgkmcnt(1)
	v_fma_f64 v[58:59], v[60:61], v[70:71], v[58:59]
	s_waitcnt vmcnt(4)
	s_delay_alu instid0(VALU_DEP_1) | instskip(SKIP_1) | instid1(VALU_DEP_1)
	v_fma_f64 v[58:59], v[80:81], v[72:73], v[58:59]
	s_waitcnt lgkmcnt(0)
	v_fma_f64 v[58:59], v[82:83], v[84:85], v[58:59]
	s_waitcnt vmcnt(3)
	s_delay_alu instid0(VALU_DEP_1)
	v_fma_f64 v[62:63], v[62:63], v[86:87], v[58:59]
	ds_load_b128 v[58:61], v1 offset:368
	ds_load_b128 v[70:73], v1 offset:384
	s_waitcnt lgkmcnt(1)
	v_fma_f64 v[58:59], v[64:65], v[58:59], v[62:63]
	s_waitcnt vmcnt(2)
	s_delay_alu instid0(VALU_DEP_1) | instskip(SKIP_1) | instid1(VALU_DEP_1)
	v_fma_f64 v[58:59], v[74:75], v[60:61], v[58:59]
	s_waitcnt lgkmcnt(0)
	v_fma_f64 v[58:59], v[76:77], v[70:71], v[58:59]
	s_waitcnt vmcnt(1)
	s_delay_alu instid0(VALU_DEP_1) | instskip(SKIP_4) | instid1(VALU_DEP_1)
	v_fma_f64 v[62:63], v[66:67], v[72:73], v[58:59]
	ds_load_b128 v[58:61], v1 offset:400
	s_waitcnt lgkmcnt(0)
	v_fma_f64 v[1:2], v[68:69], v[58:59], v[62:63]
	s_waitcnt vmcnt(0)
	v_fma_f64 v[1:2], v[78:79], v[60:61], v[1:2]
	s_delay_alu instid0(VALU_DEP_1)
	v_add_f64 v[1:2], v[56:57], -v[1:2]
	scratch_store_b64 off, v[1:2], off offset:24
	v_cmpx_lt_u32_e32 2, v0
	s_cbranch_execz .LBB89_161
; %bb.160:
	scratch_load_b64 v[1:2], off, off offset:16
	v_mov_b32_e32 v56, 0
	s_delay_alu instid0(VALU_DEP_1)
	v_mov_b32_e32 v57, v56
	scratch_store_b64 off, v[56:57], off offset:16
	s_waitcnt vmcnt(0)
	ds_store_b64 v3, v[1:2]
.LBB89_161:
	s_or_b32 exec_lo, exec_lo, s0
	s_waitcnt lgkmcnt(0)
	s_waitcnt_vscnt null, 0x0
	s_barrier
	buffer_gl0_inv
	s_clause 0x4
	scratch_load_b128 v[56:59], off, off offset:16
	scratch_load_b128 v[60:63], off, off offset:32
	;; [unrolled: 1-line block ×5, first 2 shown]
	v_mov_b32_e32 v1, 0
	ds_load_2addr_b64 v[76:79], v1 offset0:29 offset1:30
	ds_load_2addr_b64 v[80:83], v1 offset0:31 offset1:32
	scratch_load_b128 v[84:87], off, off offset:96
	s_mov_b32 s0, exec_lo
	s_waitcnt vmcnt(5) lgkmcnt(1)
	v_fma_f64 v[58:59], v[58:59], v[76:77], 0
	s_waitcnt vmcnt(4)
	s_delay_alu instid0(VALU_DEP_1) | instskip(SKIP_1) | instid1(VALU_DEP_1)
	v_fma_f64 v[58:59], v[60:61], v[78:79], v[58:59]
	s_waitcnt lgkmcnt(0)
	v_fma_f64 v[62:63], v[62:63], v[80:81], v[58:59]
	scratch_load_b128 v[58:61], off, off offset:112
	s_waitcnt vmcnt(4)
	v_fma_f64 v[80:81], v[64:65], v[82:83], v[62:63]
	ds_load_2addr_b64 v[62:65], v1 offset0:33 offset1:34
	ds_load_2addr_b64 v[76:79], v1 offset0:35 offset1:36
	s_waitcnt lgkmcnt(1)
	v_fma_f64 v[62:63], v[66:67], v[62:63], v[80:81]
	scratch_load_b128 v[80:83], off, off offset:128
	s_waitcnt vmcnt(4)
	v_fma_f64 v[62:63], v[68:69], v[64:65], v[62:63]
	s_waitcnt lgkmcnt(0)
	s_delay_alu instid0(VALU_DEP_1)
	v_fma_f64 v[66:67], v[70:71], v[76:77], v[62:63]
	scratch_load_b128 v[62:65], off, off offset:144
	s_waitcnt vmcnt(4)
	v_fma_f64 v[76:77], v[72:73], v[78:79], v[66:67]
	ds_load_2addr_b64 v[66:69], v1 offset0:37 offset1:38
	ds_load_2addr_b64 v[70:73], v1 offset0:39 offset1:40
	s_waitcnt lgkmcnt(1)
	v_fma_f64 v[66:67], v[74:75], v[66:67], v[76:77]
	scratch_load_b128 v[74:77], off, off offset:160
	s_waitcnt vmcnt(4)
	v_fma_f64 v[66:67], v[84:85], v[68:69], v[66:67]
	s_waitcnt lgkmcnt(0)
	s_delay_alu instid0(VALU_DEP_1)
	v_fma_f64 v[70:71], v[86:87], v[70:71], v[66:67]
	scratch_load_b128 v[66:69], off, off offset:176
	s_waitcnt vmcnt(4)
	v_fma_f64 v[58:59], v[58:59], v[72:73], v[70:71]
	ds_load_2addr_b64 v[70:73], v1 offset0:41 offset1:42
	ds_load_2addr_b64 v[84:87], v1 offset0:43 offset1:44
	s_waitcnt lgkmcnt(1)
	v_fma_f64 v[70:71], v[60:61], v[70:71], v[58:59]
	scratch_load_b128 v[58:61], off, off offset:192
	s_waitcnt vmcnt(4)
	v_fma_f64 v[70:71], v[80:81], v[72:73], v[70:71]
	s_waitcnt lgkmcnt(0)
	s_delay_alu instid0(VALU_DEP_1) | instskip(SKIP_1) | instid1(VALU_DEP_1)
	v_fma_f64 v[70:71], v[82:83], v[84:85], v[70:71]
	s_waitcnt vmcnt(3)
	v_fma_f64 v[62:63], v[62:63], v[86:87], v[70:71]
	ds_load_2addr_b64 v[70:73], v1 offset0:45 offset1:46
	ds_load_2addr_b64 v[78:81], v1 offset0:47 offset1:48
	s_waitcnt lgkmcnt(1)
	v_fma_f64 v[62:63], v[64:65], v[70:71], v[62:63]
	s_waitcnt vmcnt(2)
	s_delay_alu instid0(VALU_DEP_1) | instskip(SKIP_1) | instid1(VALU_DEP_1)
	v_fma_f64 v[62:63], v[74:75], v[72:73], v[62:63]
	s_waitcnt lgkmcnt(0)
	v_fma_f64 v[62:63], v[76:77], v[78:79], v[62:63]
	s_waitcnt vmcnt(1)
	s_delay_alu instid0(VALU_DEP_1)
	v_fma_f64 v[66:67], v[66:67], v[80:81], v[62:63]
	ds_load_2addr_b64 v[62:65], v1 offset0:49 offset1:50
	ds_load_b64 v[70:71], v1 offset:408
	s_waitcnt lgkmcnt(1)
	v_fma_f64 v[62:63], v[68:69], v[62:63], v[66:67]
	s_waitcnt vmcnt(0)
	s_delay_alu instid0(VALU_DEP_1) | instskip(SKIP_1) | instid1(VALU_DEP_1)
	v_fma_f64 v[58:59], v[58:59], v[64:65], v[62:63]
	s_waitcnt lgkmcnt(0)
	v_fma_f64 v[58:59], v[60:61], v[70:71], v[58:59]
	s_delay_alu instid0(VALU_DEP_1)
	v_add_f64 v[56:57], v[56:57], -v[58:59]
	scratch_store_b64 off, v[56:57], off offset:16
	v_cmpx_lt_u32_e32 1, v0
	s_cbranch_execz .LBB89_163
; %bb.162:
	scratch_load_b64 v[56:57], off, off offset:8
	v_mov_b32_e32 v2, v1
	scratch_store_b64 off, v[1:2], off offset:8
	s_waitcnt vmcnt(0)
	ds_store_b64 v3, v[56:57]
.LBB89_163:
	s_or_b32 exec_lo, exec_lo, s0
	s_waitcnt lgkmcnt(0)
	s_waitcnt_vscnt null, 0x0
	s_barrier
	buffer_gl0_inv
	s_clause 0x4
	scratch_load_b128 v[56:59], off, off offset:8
	scratch_load_b128 v[60:63], off, off offset:24
	;; [unrolled: 1-line block ×5, first 2 shown]
	ds_load_b128 v[76:79], v1 offset:224
	ds_load_b128 v[80:83], v1 offset:240
	scratch_load_b128 v[84:87], off, off offset:88
	s_mov_b32 s0, exec_lo
	s_waitcnt vmcnt(5) lgkmcnt(1)
	v_fma_f64 v[58:59], v[58:59], v[76:77], 0
	s_waitcnt vmcnt(4)
	s_delay_alu instid0(VALU_DEP_1) | instskip(SKIP_1) | instid1(VALU_DEP_1)
	v_fma_f64 v[58:59], v[60:61], v[78:79], v[58:59]
	s_waitcnt lgkmcnt(0)
	v_fma_f64 v[62:63], v[62:63], v[80:81], v[58:59]
	scratch_load_b128 v[58:61], off, off offset:104
	s_waitcnt vmcnt(4)
	v_fma_f64 v[80:81], v[64:65], v[82:83], v[62:63]
	ds_load_b128 v[62:65], v1 offset:256
	ds_load_b128 v[76:79], v1 offset:272
	s_waitcnt lgkmcnt(1)
	v_fma_f64 v[62:63], v[66:67], v[62:63], v[80:81]
	scratch_load_b128 v[80:83], off, off offset:120
	s_waitcnt vmcnt(4)
	v_fma_f64 v[62:63], v[68:69], v[64:65], v[62:63]
	s_waitcnt lgkmcnt(0)
	s_delay_alu instid0(VALU_DEP_1)
	v_fma_f64 v[66:67], v[70:71], v[76:77], v[62:63]
	scratch_load_b128 v[62:65], off, off offset:136
	s_waitcnt vmcnt(4)
	v_fma_f64 v[76:77], v[72:73], v[78:79], v[66:67]
	ds_load_b128 v[66:69], v1 offset:288
	ds_load_b128 v[70:73], v1 offset:304
	s_waitcnt lgkmcnt(1)
	v_fma_f64 v[66:67], v[74:75], v[66:67], v[76:77]
	scratch_load_b128 v[74:77], off, off offset:152
	s_waitcnt vmcnt(4)
	v_fma_f64 v[66:67], v[84:85], v[68:69], v[66:67]
	s_waitcnt lgkmcnt(0)
	s_delay_alu instid0(VALU_DEP_1)
	;; [unrolled: 13-line block ×3, first 2 shown]
	v_fma_f64 v[70:71], v[82:83], v[84:85], v[70:71]
	scratch_load_b64 v[82:83], off, off offset:200
	s_waitcnt vmcnt(4)
	v_fma_f64 v[62:63], v[62:63], v[86:87], v[70:71]
	ds_load_b128 v[70:73], v1 offset:352
	ds_load_b128 v[78:81], v1 offset:368
	s_waitcnt lgkmcnt(1)
	v_fma_f64 v[62:63], v[64:65], v[70:71], v[62:63]
	s_waitcnt vmcnt(3)
	s_delay_alu instid0(VALU_DEP_1) | instskip(SKIP_1) | instid1(VALU_DEP_1)
	v_fma_f64 v[62:63], v[74:75], v[72:73], v[62:63]
	s_waitcnt lgkmcnt(0)
	v_fma_f64 v[62:63], v[76:77], v[78:79], v[62:63]
	s_waitcnt vmcnt(2)
	s_delay_alu instid0(VALU_DEP_1)
	v_fma_f64 v[66:67], v[66:67], v[80:81], v[62:63]
	ds_load_b128 v[62:65], v1 offset:384
	ds_load_b128 v[70:73], v1 offset:400
	s_waitcnt lgkmcnt(1)
	v_fma_f64 v[1:2], v[68:69], v[62:63], v[66:67]
	s_waitcnt vmcnt(1)
	s_delay_alu instid0(VALU_DEP_1) | instskip(SKIP_1) | instid1(VALU_DEP_1)
	v_fma_f64 v[1:2], v[58:59], v[64:65], v[1:2]
	s_waitcnt lgkmcnt(0)
	v_fma_f64 v[1:2], v[60:61], v[70:71], v[1:2]
	s_waitcnt vmcnt(0)
	s_delay_alu instid0(VALU_DEP_1) | instskip(NEXT) | instid1(VALU_DEP_1)
	v_fma_f64 v[1:2], v[82:83], v[72:73], v[1:2]
	v_add_f64 v[1:2], v[56:57], -v[1:2]
	scratch_store_b64 off, v[1:2], off offset:8
	v_cmpx_ne_u32_e32 0, v0
	s_cbranch_execz .LBB89_165
; %bb.164:
	scratch_load_b64 v[0:1], off, off
	v_mov_b32_e32 v56, 0
	s_delay_alu instid0(VALU_DEP_1)
	v_mov_b32_e32 v57, v56
	scratch_store_b64 off, v[56:57], off
	s_waitcnt vmcnt(0)
	ds_store_b64 v3, v[0:1]
.LBB89_165:
	s_or_b32 exec_lo, exec_lo, s0
	s_waitcnt lgkmcnt(0)
	s_waitcnt_vscnt null, 0x0
	s_barrier
	buffer_gl0_inv
	s_clause 0x4
	scratch_load_b128 v[56:59], off, off
	scratch_load_b128 v[0:3], off, off offset:16
	scratch_load_b128 v[60:63], off, off offset:32
	scratch_load_b128 v[64:67], off, off offset:48
	scratch_load_b128 v[68:71], off, off offset:64
	v_mov_b32_e32 v88, 0
	ds_load_2addr_b64 v[72:75], v88 offset0:27 offset1:28
	ds_load_2addr_b64 v[76:79], v88 offset0:29 offset1:30
	scratch_load_b128 v[80:83], off, off offset:80
	s_and_b32 vcc_lo, exec_lo, s12
	s_waitcnt vmcnt(5) lgkmcnt(1)
	v_fma_f64 v[58:59], v[58:59], v[72:73], 0
	s_waitcnt vmcnt(4)
	s_delay_alu instid0(VALU_DEP_1) | instskip(SKIP_1) | instid1(VALU_DEP_1)
	v_fma_f64 v[0:1], v[0:1], v[74:75], v[58:59]
	s_waitcnt lgkmcnt(0)
	v_fma_f64 v[58:59], v[2:3], v[76:77], v[0:1]
	scratch_load_b128 v[0:3], off, off offset:96
	s_waitcnt vmcnt(4)
	v_fma_f64 v[76:77], v[60:61], v[78:79], v[58:59]
	ds_load_2addr_b64 v[58:61], v88 offset0:31 offset1:32
	ds_load_2addr_b64 v[72:75], v88 offset0:33 offset1:34
	s_waitcnt lgkmcnt(1)
	v_fma_f64 v[58:59], v[62:63], v[58:59], v[76:77]
	scratch_load_b128 v[76:79], off, off offset:112
	s_waitcnt vmcnt(4)
	v_fma_f64 v[58:59], v[64:65], v[60:61], v[58:59]
	s_waitcnt lgkmcnt(0)
	s_delay_alu instid0(VALU_DEP_1)
	v_fma_f64 v[62:63], v[66:67], v[72:73], v[58:59]
	scratch_load_b128 v[58:61], off, off offset:128
	s_waitcnt vmcnt(4)
	v_fma_f64 v[72:73], v[68:69], v[74:75], v[62:63]
	ds_load_2addr_b64 v[62:65], v88 offset0:35 offset1:36
	ds_load_2addr_b64 v[66:69], v88 offset0:37 offset1:38
	s_waitcnt lgkmcnt(1)
	v_fma_f64 v[62:63], v[70:71], v[62:63], v[72:73]
	scratch_load_b128 v[70:73], off, off offset:144
	s_waitcnt vmcnt(4)
	v_fma_f64 v[62:63], v[80:81], v[64:65], v[62:63]
	s_waitcnt lgkmcnt(0)
	s_delay_alu instid0(VALU_DEP_1)
	v_fma_f64 v[66:67], v[82:83], v[66:67], v[62:63]
	scratch_load_b128 v[62:65], off, off offset:160
	s_waitcnt vmcnt(4)
	v_fma_f64 v[0:1], v[0:1], v[68:69], v[66:67]
	ds_load_2addr_b64 v[66:69], v88 offset0:39 offset1:40
	ds_load_2addr_b64 v[80:83], v88 offset0:41 offset1:42
	scratch_load_b128 v[84:87], off, off offset:176
	s_waitcnt lgkmcnt(1)
	v_fma_f64 v[0:1], v[2:3], v[66:67], v[0:1]
	s_waitcnt vmcnt(4)
	s_delay_alu instid0(VALU_DEP_1) | instskip(SKIP_1) | instid1(VALU_DEP_1)
	v_fma_f64 v[0:1], v[76:77], v[68:69], v[0:1]
	s_waitcnt lgkmcnt(0)
	v_fma_f64 v[66:67], v[78:79], v[80:81], v[0:1]
	scratch_load_b128 v[0:3], off, off offset:192
	s_waitcnt vmcnt(4)
	v_fma_f64 v[58:59], v[58:59], v[82:83], v[66:67]
	ds_load_2addr_b64 v[66:69], v88 offset0:43 offset1:44
	ds_load_2addr_b64 v[74:77], v88 offset0:45 offset1:46
	s_waitcnt lgkmcnt(1)
	v_fma_f64 v[58:59], v[60:61], v[66:67], v[58:59]
	s_waitcnt vmcnt(3)
	s_delay_alu instid0(VALU_DEP_1) | instskip(SKIP_1) | instid1(VALU_DEP_1)
	v_fma_f64 v[58:59], v[70:71], v[68:69], v[58:59]
	s_waitcnt lgkmcnt(0)
	v_fma_f64 v[58:59], v[72:73], v[74:75], v[58:59]
	s_waitcnt vmcnt(2)
	s_delay_alu instid0(VALU_DEP_1)
	v_fma_f64 v[62:63], v[62:63], v[76:77], v[58:59]
	ds_load_2addr_b64 v[58:61], v88 offset0:47 offset1:48
	ds_load_2addr_b64 v[66:69], v88 offset0:49 offset1:50
	s_waitcnt lgkmcnt(1)
	v_fma_f64 v[58:59], v[64:65], v[58:59], v[62:63]
	s_waitcnt vmcnt(1)
	s_delay_alu instid0(VALU_DEP_1) | instskip(SKIP_4) | instid1(VALU_DEP_1)
	v_fma_f64 v[58:59], v[84:85], v[60:61], v[58:59]
	ds_load_b64 v[60:61], v88 offset:408
	s_waitcnt lgkmcnt(1)
	v_fma_f64 v[58:59], v[86:87], v[66:67], v[58:59]
	s_waitcnt vmcnt(0)
	v_fma_f64 v[58:59], v[0:1], v[68:69], v[58:59]
	s_waitcnt lgkmcnt(0)
	s_delay_alu instid0(VALU_DEP_1) | instskip(NEXT) | instid1(VALU_DEP_1)
	v_fma_f64 v[2:3], v[2:3], v[60:61], v[58:59]
	v_add_f64 v[2:3], v[56:57], -v[2:3]
	scratch_store_b64 off, v[2:3], off
	s_cbranch_vccz .LBB89_217
; %bb.166:
	v_dual_mov_b32 v2, s2 :: v_dual_mov_b32 v3, s3
	s_mov_b32 s0, exec_lo
	flat_load_b32 v2, v[2:3] offset:96
	s_waitcnt vmcnt(0) lgkmcnt(0)
	v_cmpx_ne_u32_e32 25, v2
	s_cbranch_execz .LBB89_168
; %bb.167:
	v_lshl_add_u32 v56, v2, 3, 0
	scratch_load_b64 v[2:3], v56, off offset:-8
	s_waitcnt vmcnt(0)
	scratch_store_b64 off, v[2:3], off offset:192
	scratch_store_b64 v56, v[0:1], off offset:-8
.LBB89_168:
	s_or_b32 exec_lo, exec_lo, s0
	v_dual_mov_b32 v0, s2 :: v_dual_mov_b32 v1, s3
	s_mov_b32 s0, exec_lo
	flat_load_b32 v0, v[0:1] offset:92
	s_waitcnt vmcnt(0) lgkmcnt(0)
	v_cmpx_ne_u32_e32 24, v0
	s_cbranch_execz .LBB89_170
; %bb.169:
	v_lshl_add_u32 v56, v0, 3, 0
	scratch_load_b64 v[0:1], v56, off offset:-8
	scratch_load_b64 v[2:3], off, off offset:184
	s_waitcnt vmcnt(1)
	scratch_store_b64 off, v[0:1], off offset:184
	s_waitcnt vmcnt(0)
	scratch_store_b64 v56, v[2:3], off offset:-8
.LBB89_170:
	s_or_b32 exec_lo, exec_lo, s0
	v_dual_mov_b32 v0, s2 :: v_dual_mov_b32 v1, s3
	s_mov_b32 s0, exec_lo
	flat_load_b32 v0, v[0:1] offset:88
	s_waitcnt vmcnt(0) lgkmcnt(0)
	v_cmpx_ne_u32_e32 23, v0
	s_cbranch_execz .LBB89_172
; %bb.171:
	v_lshl_add_u32 v56, v0, 3, 0
	scratch_load_b64 v[0:1], v56, off offset:-8
	scratch_load_b64 v[2:3], off, off offset:176
	s_waitcnt vmcnt(1)
	scratch_store_b64 off, v[0:1], off offset:176
	s_waitcnt vmcnt(0)
	scratch_store_b64 v56, v[2:3], off offset:-8
.LBB89_172:
	s_or_b32 exec_lo, exec_lo, s0
	v_dual_mov_b32 v0, s2 :: v_dual_mov_b32 v1, s3
	s_mov_b32 s0, exec_lo
	flat_load_b32 v0, v[0:1] offset:84
	s_waitcnt vmcnt(0) lgkmcnt(0)
	v_cmpx_ne_u32_e32 22, v0
	s_cbranch_execz .LBB89_174
; %bb.173:
	v_lshl_add_u32 v56, v0, 3, 0
	scratch_load_b64 v[0:1], v56, off offset:-8
	scratch_load_b64 v[2:3], off, off offset:168
	s_waitcnt vmcnt(1)
	scratch_store_b64 off, v[0:1], off offset:168
	s_waitcnt vmcnt(0)
	scratch_store_b64 v56, v[2:3], off offset:-8
.LBB89_174:
	s_or_b32 exec_lo, exec_lo, s0
	v_dual_mov_b32 v0, s2 :: v_dual_mov_b32 v1, s3
	s_mov_b32 s0, exec_lo
	flat_load_b32 v0, v[0:1] offset:80
	s_waitcnt vmcnt(0) lgkmcnt(0)
	v_cmpx_ne_u32_e32 21, v0
	s_cbranch_execz .LBB89_176
; %bb.175:
	v_lshl_add_u32 v56, v0, 3, 0
	scratch_load_b64 v[0:1], v56, off offset:-8
	scratch_load_b64 v[2:3], off, off offset:160
	s_waitcnt vmcnt(1)
	scratch_store_b64 off, v[0:1], off offset:160
	s_waitcnt vmcnt(0)
	scratch_store_b64 v56, v[2:3], off offset:-8
.LBB89_176:
	s_or_b32 exec_lo, exec_lo, s0
	v_dual_mov_b32 v0, s2 :: v_dual_mov_b32 v1, s3
	s_mov_b32 s0, exec_lo
	flat_load_b32 v0, v[0:1] offset:76
	s_waitcnt vmcnt(0) lgkmcnt(0)
	v_cmpx_ne_u32_e32 20, v0
	s_cbranch_execz .LBB89_178
; %bb.177:
	v_lshl_add_u32 v56, v0, 3, 0
	scratch_load_b64 v[0:1], v56, off offset:-8
	scratch_load_b64 v[2:3], off, off offset:152
	s_waitcnt vmcnt(1)
	scratch_store_b64 off, v[0:1], off offset:152
	s_waitcnt vmcnt(0)
	scratch_store_b64 v56, v[2:3], off offset:-8
.LBB89_178:
	s_or_b32 exec_lo, exec_lo, s0
	v_dual_mov_b32 v0, s2 :: v_dual_mov_b32 v1, s3
	s_mov_b32 s0, exec_lo
	flat_load_b32 v0, v[0:1] offset:72
	s_waitcnt vmcnt(0) lgkmcnt(0)
	v_cmpx_ne_u32_e32 19, v0
	s_cbranch_execz .LBB89_180
; %bb.179:
	v_lshl_add_u32 v56, v0, 3, 0
	scratch_load_b64 v[0:1], v56, off offset:-8
	scratch_load_b64 v[2:3], off, off offset:144
	s_waitcnt vmcnt(1)
	scratch_store_b64 off, v[0:1], off offset:144
	s_waitcnt vmcnt(0)
	scratch_store_b64 v56, v[2:3], off offset:-8
.LBB89_180:
	s_or_b32 exec_lo, exec_lo, s0
	v_dual_mov_b32 v0, s2 :: v_dual_mov_b32 v1, s3
	s_mov_b32 s0, exec_lo
	flat_load_b32 v0, v[0:1] offset:68
	s_waitcnt vmcnt(0) lgkmcnt(0)
	v_cmpx_ne_u32_e32 18, v0
	s_cbranch_execz .LBB89_182
; %bb.181:
	v_lshl_add_u32 v56, v0, 3, 0
	scratch_load_b64 v[0:1], v56, off offset:-8
	scratch_load_b64 v[2:3], off, off offset:136
	s_waitcnt vmcnt(1)
	scratch_store_b64 off, v[0:1], off offset:136
	s_waitcnt vmcnt(0)
	scratch_store_b64 v56, v[2:3], off offset:-8
.LBB89_182:
	s_or_b32 exec_lo, exec_lo, s0
	v_dual_mov_b32 v0, s2 :: v_dual_mov_b32 v1, s3
	s_mov_b32 s0, exec_lo
	flat_load_b32 v0, v[0:1] offset:64
	s_waitcnt vmcnt(0) lgkmcnt(0)
	v_cmpx_ne_u32_e32 17, v0
	s_cbranch_execz .LBB89_184
; %bb.183:
	v_lshl_add_u32 v56, v0, 3, 0
	scratch_load_b64 v[0:1], v56, off offset:-8
	scratch_load_b64 v[2:3], off, off offset:128
	s_waitcnt vmcnt(1)
	scratch_store_b64 off, v[0:1], off offset:128
	s_waitcnt vmcnt(0)
	scratch_store_b64 v56, v[2:3], off offset:-8
.LBB89_184:
	s_or_b32 exec_lo, exec_lo, s0
	v_dual_mov_b32 v0, s2 :: v_dual_mov_b32 v1, s3
	s_mov_b32 s0, exec_lo
	flat_load_b32 v0, v[0:1] offset:60
	s_waitcnt vmcnt(0) lgkmcnt(0)
	v_cmpx_ne_u32_e32 16, v0
	s_cbranch_execz .LBB89_186
; %bb.185:
	v_lshl_add_u32 v56, v0, 3, 0
	scratch_load_b64 v[0:1], v56, off offset:-8
	scratch_load_b64 v[2:3], off, off offset:120
	s_waitcnt vmcnt(1)
	scratch_store_b64 off, v[0:1], off offset:120
	s_waitcnt vmcnt(0)
	scratch_store_b64 v56, v[2:3], off offset:-8
.LBB89_186:
	s_or_b32 exec_lo, exec_lo, s0
	v_dual_mov_b32 v0, s2 :: v_dual_mov_b32 v1, s3
	s_mov_b32 s0, exec_lo
	flat_load_b32 v0, v[0:1] offset:56
	s_waitcnt vmcnt(0) lgkmcnt(0)
	v_cmpx_ne_u32_e32 15, v0
	s_cbranch_execz .LBB89_188
; %bb.187:
	v_lshl_add_u32 v56, v0, 3, 0
	scratch_load_b64 v[0:1], v56, off offset:-8
	scratch_load_b64 v[2:3], off, off offset:112
	s_waitcnt vmcnt(1)
	scratch_store_b64 off, v[0:1], off offset:112
	s_waitcnt vmcnt(0)
	scratch_store_b64 v56, v[2:3], off offset:-8
.LBB89_188:
	s_or_b32 exec_lo, exec_lo, s0
	v_dual_mov_b32 v0, s2 :: v_dual_mov_b32 v1, s3
	s_mov_b32 s0, exec_lo
	flat_load_b32 v0, v[0:1] offset:52
	s_waitcnt vmcnt(0) lgkmcnt(0)
	v_cmpx_ne_u32_e32 14, v0
	s_cbranch_execz .LBB89_190
; %bb.189:
	v_lshl_add_u32 v56, v0, 3, 0
	scratch_load_b64 v[0:1], v56, off offset:-8
	scratch_load_b64 v[2:3], off, off offset:104
	s_waitcnt vmcnt(1)
	scratch_store_b64 off, v[0:1], off offset:104
	s_waitcnt vmcnt(0)
	scratch_store_b64 v56, v[2:3], off offset:-8
.LBB89_190:
	s_or_b32 exec_lo, exec_lo, s0
	v_dual_mov_b32 v0, s2 :: v_dual_mov_b32 v1, s3
	s_mov_b32 s0, exec_lo
	flat_load_b32 v0, v[0:1] offset:48
	s_waitcnt vmcnt(0) lgkmcnt(0)
	v_cmpx_ne_u32_e32 13, v0
	s_cbranch_execz .LBB89_192
; %bb.191:
	v_lshl_add_u32 v56, v0, 3, 0
	scratch_load_b64 v[0:1], v56, off offset:-8
	scratch_load_b64 v[2:3], off, off offset:96
	s_waitcnt vmcnt(1)
	scratch_store_b64 off, v[0:1], off offset:96
	s_waitcnt vmcnt(0)
	scratch_store_b64 v56, v[2:3], off offset:-8
.LBB89_192:
	s_or_b32 exec_lo, exec_lo, s0
	v_dual_mov_b32 v0, s2 :: v_dual_mov_b32 v1, s3
	s_mov_b32 s0, exec_lo
	flat_load_b32 v0, v[0:1] offset:44
	s_waitcnt vmcnt(0) lgkmcnt(0)
	v_cmpx_ne_u32_e32 12, v0
	s_cbranch_execz .LBB89_194
; %bb.193:
	v_lshl_add_u32 v56, v0, 3, 0
	scratch_load_b64 v[0:1], v56, off offset:-8
	scratch_load_b64 v[2:3], off, off offset:88
	s_waitcnt vmcnt(1)
	scratch_store_b64 off, v[0:1], off offset:88
	s_waitcnt vmcnt(0)
	scratch_store_b64 v56, v[2:3], off offset:-8
.LBB89_194:
	s_or_b32 exec_lo, exec_lo, s0
	v_dual_mov_b32 v0, s2 :: v_dual_mov_b32 v1, s3
	s_mov_b32 s0, exec_lo
	flat_load_b32 v0, v[0:1] offset:40
	s_waitcnt vmcnt(0) lgkmcnt(0)
	v_cmpx_ne_u32_e32 11, v0
	s_cbranch_execz .LBB89_196
; %bb.195:
	v_lshl_add_u32 v56, v0, 3, 0
	scratch_load_b64 v[0:1], v56, off offset:-8
	scratch_load_b64 v[2:3], off, off offset:80
	s_waitcnt vmcnt(1)
	scratch_store_b64 off, v[0:1], off offset:80
	s_waitcnt vmcnt(0)
	scratch_store_b64 v56, v[2:3], off offset:-8
.LBB89_196:
	s_or_b32 exec_lo, exec_lo, s0
	v_dual_mov_b32 v0, s2 :: v_dual_mov_b32 v1, s3
	s_mov_b32 s0, exec_lo
	flat_load_b32 v0, v[0:1] offset:36
	s_waitcnt vmcnt(0) lgkmcnt(0)
	v_cmpx_ne_u32_e32 10, v0
	s_cbranch_execz .LBB89_198
; %bb.197:
	v_lshl_add_u32 v56, v0, 3, 0
	scratch_load_b64 v[0:1], v56, off offset:-8
	scratch_load_b64 v[2:3], off, off offset:72
	s_waitcnt vmcnt(1)
	scratch_store_b64 off, v[0:1], off offset:72
	s_waitcnt vmcnt(0)
	scratch_store_b64 v56, v[2:3], off offset:-8
.LBB89_198:
	s_or_b32 exec_lo, exec_lo, s0
	v_dual_mov_b32 v0, s2 :: v_dual_mov_b32 v1, s3
	s_mov_b32 s0, exec_lo
	flat_load_b32 v0, v[0:1] offset:32
	s_waitcnt vmcnt(0) lgkmcnt(0)
	v_cmpx_ne_u32_e32 9, v0
	s_cbranch_execz .LBB89_200
; %bb.199:
	v_lshl_add_u32 v56, v0, 3, 0
	scratch_load_b64 v[0:1], v56, off offset:-8
	scratch_load_b64 v[2:3], off, off offset:64
	s_waitcnt vmcnt(1)
	scratch_store_b64 off, v[0:1], off offset:64
	s_waitcnt vmcnt(0)
	scratch_store_b64 v56, v[2:3], off offset:-8
.LBB89_200:
	s_or_b32 exec_lo, exec_lo, s0
	v_dual_mov_b32 v0, s2 :: v_dual_mov_b32 v1, s3
	s_mov_b32 s0, exec_lo
	flat_load_b32 v0, v[0:1] offset:28
	s_waitcnt vmcnt(0) lgkmcnt(0)
	v_cmpx_ne_u32_e32 8, v0
	s_cbranch_execz .LBB89_202
; %bb.201:
	v_lshl_add_u32 v56, v0, 3, 0
	scratch_load_b64 v[0:1], v56, off offset:-8
	scratch_load_b64 v[2:3], off, off offset:56
	s_waitcnt vmcnt(1)
	scratch_store_b64 off, v[0:1], off offset:56
	s_waitcnt vmcnt(0)
	scratch_store_b64 v56, v[2:3], off offset:-8
.LBB89_202:
	s_or_b32 exec_lo, exec_lo, s0
	v_dual_mov_b32 v0, s2 :: v_dual_mov_b32 v1, s3
	s_mov_b32 s0, exec_lo
	flat_load_b32 v0, v[0:1] offset:24
	s_waitcnt vmcnt(0) lgkmcnt(0)
	v_cmpx_ne_u32_e32 7, v0
	s_cbranch_execz .LBB89_204
; %bb.203:
	v_lshl_add_u32 v56, v0, 3, 0
	scratch_load_b64 v[0:1], v56, off offset:-8
	scratch_load_b64 v[2:3], off, off offset:48
	s_waitcnt vmcnt(1)
	scratch_store_b64 off, v[0:1], off offset:48
	s_waitcnt vmcnt(0)
	scratch_store_b64 v56, v[2:3], off offset:-8
.LBB89_204:
	s_or_b32 exec_lo, exec_lo, s0
	v_dual_mov_b32 v0, s2 :: v_dual_mov_b32 v1, s3
	s_mov_b32 s0, exec_lo
	flat_load_b32 v0, v[0:1] offset:20
	s_waitcnt vmcnt(0) lgkmcnt(0)
	v_cmpx_ne_u32_e32 6, v0
	s_cbranch_execz .LBB89_206
; %bb.205:
	v_lshl_add_u32 v56, v0, 3, 0
	scratch_load_b64 v[0:1], v56, off offset:-8
	scratch_load_b64 v[2:3], off, off offset:40
	s_waitcnt vmcnt(1)
	scratch_store_b64 off, v[0:1], off offset:40
	s_waitcnt vmcnt(0)
	scratch_store_b64 v56, v[2:3], off offset:-8
.LBB89_206:
	s_or_b32 exec_lo, exec_lo, s0
	v_dual_mov_b32 v0, s2 :: v_dual_mov_b32 v1, s3
	s_mov_b32 s0, exec_lo
	flat_load_b32 v0, v[0:1] offset:16
	s_waitcnt vmcnt(0) lgkmcnt(0)
	v_cmpx_ne_u32_e32 5, v0
	s_cbranch_execz .LBB89_208
; %bb.207:
	v_lshl_add_u32 v56, v0, 3, 0
	scratch_load_b64 v[0:1], v56, off offset:-8
	scratch_load_b64 v[2:3], off, off offset:32
	s_waitcnt vmcnt(1)
	scratch_store_b64 off, v[0:1], off offset:32
	s_waitcnt vmcnt(0)
	scratch_store_b64 v56, v[2:3], off offset:-8
.LBB89_208:
	s_or_b32 exec_lo, exec_lo, s0
	v_dual_mov_b32 v0, s2 :: v_dual_mov_b32 v1, s3
	s_mov_b32 s0, exec_lo
	flat_load_b32 v0, v[0:1] offset:12
	s_waitcnt vmcnt(0) lgkmcnt(0)
	v_cmpx_ne_u32_e32 4, v0
	s_cbranch_execz .LBB89_210
; %bb.209:
	v_lshl_add_u32 v56, v0, 3, 0
	scratch_load_b64 v[0:1], v56, off offset:-8
	scratch_load_b64 v[2:3], off, off offset:24
	s_waitcnt vmcnt(1)
	scratch_store_b64 off, v[0:1], off offset:24
	s_waitcnt vmcnt(0)
	scratch_store_b64 v56, v[2:3], off offset:-8
.LBB89_210:
	s_or_b32 exec_lo, exec_lo, s0
	v_dual_mov_b32 v0, s2 :: v_dual_mov_b32 v1, s3
	s_mov_b32 s0, exec_lo
	flat_load_b32 v0, v[0:1] offset:8
	s_waitcnt vmcnt(0) lgkmcnt(0)
	v_cmpx_ne_u32_e32 3, v0
	s_cbranch_execz .LBB89_212
; %bb.211:
	v_lshl_add_u32 v56, v0, 3, 0
	scratch_load_b64 v[0:1], v56, off offset:-8
	scratch_load_b64 v[2:3], off, off offset:16
	s_waitcnt vmcnt(1)
	scratch_store_b64 off, v[0:1], off offset:16
	s_waitcnt vmcnt(0)
	scratch_store_b64 v56, v[2:3], off offset:-8
.LBB89_212:
	s_or_b32 exec_lo, exec_lo, s0
	v_dual_mov_b32 v0, s2 :: v_dual_mov_b32 v1, s3
	s_mov_b32 s0, exec_lo
	flat_load_b32 v0, v[0:1] offset:4
	s_waitcnt vmcnt(0) lgkmcnt(0)
	v_cmpx_ne_u32_e32 2, v0
	s_cbranch_execz .LBB89_214
; %bb.213:
	v_lshl_add_u32 v56, v0, 3, 0
	scratch_load_b64 v[0:1], v56, off offset:-8
	scratch_load_b64 v[2:3], off, off offset:8
	s_waitcnt vmcnt(1)
	scratch_store_b64 off, v[0:1], off offset:8
	s_waitcnt vmcnt(0)
	scratch_store_b64 v56, v[2:3], off offset:-8
.LBB89_214:
	s_or_b32 exec_lo, exec_lo, s0
	v_dual_mov_b32 v0, s2 :: v_dual_mov_b32 v1, s3
	s_mov_b32 s0, exec_lo
	flat_load_b32 v0, v[0:1]
	scratch_load_b64 v[2:3], off, off
	s_waitcnt vmcnt(1) lgkmcnt(0)
	v_cmpx_ne_u32_e32 1, v0
	s_cbranch_execz .LBB89_216
; %bb.215:
	v_lshl_add_u32 v56, v0, 3, 0
	scratch_load_b64 v[0:1], v56, off offset:-8
	s_waitcnt vmcnt(0)
	scratch_store_b64 off, v[0:1], off
	scratch_store_b64 v56, v[2:3], off offset:-8
	scratch_load_b64 v[2:3], off, off
.LBB89_216:
	s_or_b32 exec_lo, exec_lo, s0
.LBB89_217:
	s_clause 0x8
	scratch_load_b128 v[56:59], off, off offset:8
	scratch_load_b128 v[60:63], off, off offset:24
	scratch_load_b128 v[64:67], off, off offset:40
	scratch_load_b128 v[68:71], off, off offset:56
	scratch_load_b128 v[72:75], off, off offset:72
	scratch_load_b128 v[76:79], off, off offset:88
	scratch_load_b128 v[80:83], off, off offset:104
	scratch_load_b128 v[84:87], off, off offset:120
	scratch_load_b128 v[88:91], off, off offset:136
	s_waitcnt vmcnt(9)
	global_store_b64 v[8:9], v[2:3], off
	s_clause 0x1
	scratch_load_b128 v[0:3], off, off offset:152
	scratch_load_b128 v[92:95], off, off offset:168
	s_waitcnt vmcnt(10)
	s_clause 0x1
	global_store_b64 v[4:5], v[56:57], off
	global_store_b64 v[14:15], v[58:59], off
	s_clause 0x1
	scratch_load_b128 v[56:59], off, off offset:184
	scratch_load_b64 v[4:5], off, off offset:200
	s_waitcnt vmcnt(11)
	s_clause 0x1
	global_store_b64 v[6:7], v[60:61], off
	global_store_b64 v[10:11], v[62:63], off
	s_waitcnt vmcnt(10)
	s_clause 0x1
	global_store_b64 v[12:13], v[64:65], off
	global_store_b64 v[16:17], v[66:67], off
	;; [unrolled: 4-line block ×11, first 2 shown]
	s_waitcnt vmcnt(0)
	global_store_b64 v[34:35], v[4:5], off
	s_endpgm
	.section	.rodata,"a",@progbits
	.p2align	6, 0x0
	.amdhsa_kernel _ZN9rocsolver6v33100L18getri_kernel_smallILi26EdPKPdEEvT1_iilPiilS6_bb
		.amdhsa_group_segment_fixed_size 424
		.amdhsa_private_segment_fixed_size 224
		.amdhsa_kernarg_size 60
		.amdhsa_user_sgpr_count 15
		.amdhsa_user_sgpr_dispatch_ptr 0
		.amdhsa_user_sgpr_queue_ptr 0
		.amdhsa_user_sgpr_kernarg_segment_ptr 1
		.amdhsa_user_sgpr_dispatch_id 0
		.amdhsa_user_sgpr_private_segment_size 0
		.amdhsa_wavefront_size32 1
		.amdhsa_uses_dynamic_stack 0
		.amdhsa_enable_private_segment 1
		.amdhsa_system_sgpr_workgroup_id_x 1
		.amdhsa_system_sgpr_workgroup_id_y 0
		.amdhsa_system_sgpr_workgroup_id_z 0
		.amdhsa_system_sgpr_workgroup_info 0
		.amdhsa_system_vgpr_workitem_id 0
		.amdhsa_next_free_vgpr 96
		.amdhsa_next_free_sgpr 17
		.amdhsa_reserve_vcc 1
		.amdhsa_float_round_mode_32 0
		.amdhsa_float_round_mode_16_64 0
		.amdhsa_float_denorm_mode_32 3
		.amdhsa_float_denorm_mode_16_64 3
		.amdhsa_dx10_clamp 1
		.amdhsa_ieee_mode 1
		.amdhsa_fp16_overflow 0
		.amdhsa_workgroup_processor_mode 1
		.amdhsa_memory_ordered 1
		.amdhsa_forward_progress 0
		.amdhsa_shared_vgpr_count 0
		.amdhsa_exception_fp_ieee_invalid_op 0
		.amdhsa_exception_fp_denorm_src 0
		.amdhsa_exception_fp_ieee_div_zero 0
		.amdhsa_exception_fp_ieee_overflow 0
		.amdhsa_exception_fp_ieee_underflow 0
		.amdhsa_exception_fp_ieee_inexact 0
		.amdhsa_exception_int_div_zero 0
	.end_amdhsa_kernel
	.section	.text._ZN9rocsolver6v33100L18getri_kernel_smallILi26EdPKPdEEvT1_iilPiilS6_bb,"axG",@progbits,_ZN9rocsolver6v33100L18getri_kernel_smallILi26EdPKPdEEvT1_iilPiilS6_bb,comdat
.Lfunc_end89:
	.size	_ZN9rocsolver6v33100L18getri_kernel_smallILi26EdPKPdEEvT1_iilPiilS6_bb, .Lfunc_end89-_ZN9rocsolver6v33100L18getri_kernel_smallILi26EdPKPdEEvT1_iilPiilS6_bb
                                        ; -- End function
	.section	.AMDGPU.csdata,"",@progbits
; Kernel info:
; codeLenInByte = 18688
; NumSgprs: 19
; NumVgprs: 96
; ScratchSize: 224
; MemoryBound: 0
; FloatMode: 240
; IeeeMode: 1
; LDSByteSize: 424 bytes/workgroup (compile time only)
; SGPRBlocks: 2
; VGPRBlocks: 11
; NumSGPRsForWavesPerEU: 19
; NumVGPRsForWavesPerEU: 96
; Occupancy: 16
; WaveLimiterHint : 1
; COMPUTE_PGM_RSRC2:SCRATCH_EN: 1
; COMPUTE_PGM_RSRC2:USER_SGPR: 15
; COMPUTE_PGM_RSRC2:TRAP_HANDLER: 0
; COMPUTE_PGM_RSRC2:TGID_X_EN: 1
; COMPUTE_PGM_RSRC2:TGID_Y_EN: 0
; COMPUTE_PGM_RSRC2:TGID_Z_EN: 0
; COMPUTE_PGM_RSRC2:TIDIG_COMP_CNT: 0
	.section	.text._ZN9rocsolver6v33100L18getri_kernel_smallILi27EdPKPdEEvT1_iilPiilS6_bb,"axG",@progbits,_ZN9rocsolver6v33100L18getri_kernel_smallILi27EdPKPdEEvT1_iilPiilS6_bb,comdat
	.globl	_ZN9rocsolver6v33100L18getri_kernel_smallILi27EdPKPdEEvT1_iilPiilS6_bb ; -- Begin function _ZN9rocsolver6v33100L18getri_kernel_smallILi27EdPKPdEEvT1_iilPiilS6_bb
	.p2align	8
	.type	_ZN9rocsolver6v33100L18getri_kernel_smallILi27EdPKPdEEvT1_iilPiilS6_bb,@function
_ZN9rocsolver6v33100L18getri_kernel_smallILi27EdPKPdEEvT1_iilPiilS6_bb: ; @_ZN9rocsolver6v33100L18getri_kernel_smallILi27EdPKPdEEvT1_iilPiilS6_bb
; %bb.0:
	s_mov_b32 s2, exec_lo
	v_cmpx_gt_u32_e32 27, v0
	s_cbranch_execz .LBB90_118
; %bb.1:
	s_clause 0x1
	s_load_b32 s13, s[0:1], 0x38
	s_load_b64 s[2:3], s[0:1], 0x0
	s_mov_b32 s8, s15
	s_load_b128 s[4:7], s[0:1], 0x28
	s_waitcnt lgkmcnt(0)
	s_bitcmp1_b32 s13, 8
	s_cselect_b32 s12, -1, 0
	s_ashr_i32 s9, s15, 31
	s_delay_alu instid0(SALU_CYCLE_1) | instskip(NEXT) | instid1(SALU_CYCLE_1)
	s_lshl_b64 s[10:11], s[8:9], 3
	s_add_u32 s2, s2, s10
	s_addc_u32 s3, s3, s11
	s_load_b64 s[10:11], s[2:3], 0x0
	s_bfe_u32 s2, s13, 0x10008
	s_delay_alu instid0(SALU_CYCLE_1)
	s_cmp_eq_u32 s2, 0
                                        ; implicit-def: $sgpr2_sgpr3
	s_cbranch_scc1 .LBB90_3
; %bb.2:
	s_clause 0x1
	s_load_b32 s2, s[0:1], 0x20
	s_load_b64 s[14:15], s[0:1], 0x18
	s_mul_i32 s3, s8, s5
	s_mul_hi_u32 s5, s8, s4
	s_mul_i32 s16, s9, s4
	s_add_i32 s3, s5, s3
	s_mul_i32 s4, s8, s4
	s_add_i32 s5, s3, s16
	s_delay_alu instid0(SALU_CYCLE_1)
	s_lshl_b64 s[4:5], s[4:5], 2
	s_waitcnt lgkmcnt(0)
	s_ashr_i32 s3, s2, 31
	s_add_u32 s4, s14, s4
	s_addc_u32 s5, s15, s5
	s_lshl_b64 s[2:3], s[2:3], 2
	s_delay_alu instid0(SALU_CYCLE_1)
	s_add_u32 s2, s4, s2
	s_addc_u32 s3, s5, s3
.LBB90_3:
	s_load_b64 s[4:5], s[0:1], 0x8
	v_lshlrev_b32_e32 v3, 3, v0
	s_waitcnt lgkmcnt(0)
	v_add3_u32 v1, s5, s5, v0
	s_ashr_i32 s1, s4, 31
	s_mov_b32 s0, s4
	s_mov_b32 s14, s5
	s_lshl_b64 s[0:1], s[0:1], 3
	v_add_nc_u32_e32 v8, s5, v1
	s_add_u32 s0, s10, s0
	v_ashrrev_i32_e32 v2, 31, v1
	s_addc_u32 s1, s11, s1
	v_add_co_u32 v6, s4, s0, v3
	s_ashr_i32 s15, s5, 31
	v_add_co_ci_u32_e64 v7, null, s1, 0, s4
	v_add_nc_u32_e32 v10, s5, v8
	s_lshl_b64 s[10:11], s[14:15], 3
	v_ashrrev_i32_e32 v9, 31, v8
	v_lshlrev_b64 v[1:2], 3, v[1:2]
	v_add_co_u32 v4, vcc_lo, v6, s10
	v_add_co_ci_u32_e32 v5, vcc_lo, s11, v7, vcc_lo
	v_ashrrev_i32_e32 v11, 31, v10
	v_add_nc_u32_e32 v14, s5, v10
	v_lshlrev_b64 v[8:9], 3, v[8:9]
	v_add_co_u32 v12, vcc_lo, s0, v1
	s_clause 0x1
	global_load_b64 v[40:41], v3, s[0:1]
	global_load_b64 v[42:43], v[4:5], off
	v_add_co_ci_u32_e32 v13, vcc_lo, s1, v2, vcc_lo
	v_lshlrev_b64 v[1:2], 3, v[10:11]
	v_ashrrev_i32_e32 v15, 31, v14
	v_add_nc_u32_e32 v16, s5, v14
	v_add_co_u32 v10, vcc_lo, s0, v8
	v_add_co_ci_u32_e32 v11, vcc_lo, s1, v9, vcc_lo
	s_delay_alu instid0(VALU_DEP_4)
	v_lshlrev_b64 v[8:9], 3, v[14:15]
	v_add_co_u32 v14, vcc_lo, s0, v1
	v_add_nc_u32_e32 v1, s5, v16
	v_ashrrev_i32_e32 v17, 31, v16
	v_add_co_ci_u32_e32 v15, vcc_lo, s1, v2, vcc_lo
	v_add_co_u32 v8, vcc_lo, s0, v8
	s_delay_alu instid0(VALU_DEP_4)
	v_add_nc_u32_e32 v18, s5, v1
	v_ashrrev_i32_e32 v2, 31, v1
	v_add_co_ci_u32_e32 v9, vcc_lo, s1, v9, vcc_lo
	v_lshlrev_b64 v[16:17], 3, v[16:17]
	s_clause 0x3
	global_load_b64 v[48:49], v[12:13], off
	global_load_b64 v[50:51], v[10:11], off
	;; [unrolled: 1-line block ×4, first 2 shown]
	v_add_nc_u32_e32 v24, s5, v18
	v_lshlrev_b64 v[1:2], 3, v[1:2]
	v_ashrrev_i32_e32 v19, 31, v18
	s_bitcmp0_b32 s13, 0
	v_add_co_u32 v16, vcc_lo, s0, v16
	v_ashrrev_i32_e32 v25, 31, v24
	v_add_co_ci_u32_e32 v17, vcc_lo, s1, v17, vcc_lo
	v_lshlrev_b64 v[20:21], 3, v[18:19]
	v_add_co_u32 v18, vcc_lo, s0, v1
	v_add_co_ci_u32_e32 v19, vcc_lo, s1, v2, vcc_lo
	v_lshlrev_b64 v[1:2], 3, v[24:25]
	s_delay_alu instid0(VALU_DEP_4) | instskip(SKIP_1) | instid1(VALU_DEP_3)
	v_add_co_u32 v20, vcc_lo, s0, v20
	v_add_co_ci_u32_e32 v21, vcc_lo, s1, v21, vcc_lo
	v_add_co_u32 v22, vcc_lo, s0, v1
	s_delay_alu instid0(VALU_DEP_4)
	v_add_co_ci_u32_e32 v23, vcc_lo, s1, v2, vcc_lo
	s_clause 0x3
	global_load_b64 v[58:59], v[16:17], off
	global_load_b64 v[60:61], v[18:19], off
	;; [unrolled: 1-line block ×4, first 2 shown]
	v_add_nc_u32_e32 v1, s5, v24
	s_delay_alu instid0(VALU_DEP_1) | instskip(SKIP_1) | instid1(VALU_DEP_2)
	v_add_nc_u32_e32 v24, s5, v1
	v_ashrrev_i32_e32 v2, 31, v1
	v_add_nc_u32_e32 v26, s5, v24
	v_ashrrev_i32_e32 v25, 31, v24
	s_delay_alu instid0(VALU_DEP_3) | instskip(NEXT) | instid1(VALU_DEP_3)
	v_lshlrev_b64 v[1:2], 3, v[1:2]
	v_add_nc_u32_e32 v28, s5, v26
	v_ashrrev_i32_e32 v27, 31, v26
	s_delay_alu instid0(VALU_DEP_4) | instskip(NEXT) | instid1(VALU_DEP_4)
	v_lshlrev_b64 v[31:32], 3, v[24:25]
	v_add_co_u32 v24, vcc_lo, s0, v1
	s_delay_alu instid0(VALU_DEP_4) | instskip(SKIP_3) | instid1(VALU_DEP_4)
	v_add_nc_u32_e32 v30, s5, v28
	v_add_co_ci_u32_e32 v25, vcc_lo, s1, v2, vcc_lo
	v_lshlrev_b64 v[1:2], 3, v[26:27]
	v_ashrrev_i32_e32 v29, 31, v28
	v_add_nc_u32_e32 v34, s5, v30
	v_add_co_u32 v26, vcc_lo, s0, v31
	v_ashrrev_i32_e32 v31, 31, v30
	v_add_co_ci_u32_e32 v27, vcc_lo, s1, v32, vcc_lo
	s_delay_alu instid0(VALU_DEP_4) | instskip(SKIP_3) | instid1(VALU_DEP_4)
	v_add_nc_u32_e32 v36, s5, v34
	v_lshlrev_b64 v[32:33], 3, v[28:29]
	v_add_co_u32 v28, vcc_lo, s0, v1
	v_add_co_ci_u32_e32 v29, vcc_lo, s1, v2, vcc_lo
	v_add_nc_u32_e32 v38, s5, v36
	v_lshlrev_b64 v[1:2], 3, v[30:31]
	v_ashrrev_i32_e32 v35, 31, v34
	v_add_co_u32 v32, vcc_lo, s0, v32
	s_delay_alu instid0(VALU_DEP_4) | instskip(SKIP_1) | instid1(VALU_DEP_4)
	v_add_nc_u32_e32 v44, s5, v38
	v_ashrrev_i32_e32 v37, 31, v36
	v_lshlrev_b64 v[72:73], 3, v[34:35]
	v_add_co_ci_u32_e32 v33, vcc_lo, s1, v33, vcc_lo
	s_delay_alu instid0(VALU_DEP_4) | instskip(SKIP_2) | instid1(VALU_DEP_3)
	v_add_nc_u32_e32 v46, s5, v44
	v_add_co_u32 v34, vcc_lo, s0, v1
	v_add_co_ci_u32_e32 v35, vcc_lo, s1, v2, vcc_lo
	v_add_nc_u32_e32 v56, s5, v46
	v_lshlrev_b64 v[1:2], 3, v[36:37]
	v_ashrrev_i32_e32 v39, 31, v38
	v_add_co_u32 v36, vcc_lo, s0, v72
	s_delay_alu instid0(VALU_DEP_4) | instskip(SKIP_3) | instid1(VALU_DEP_4)
	v_add_nc_u32_e32 v80, s5, v56
	v_add_co_ci_u32_e32 v37, vcc_lo, s1, v73, vcc_lo
	v_ashrrev_i32_e32 v45, 31, v44
	v_lshlrev_b64 v[83:84], 3, v[38:39]
	v_add_nc_u32_e32 v82, s5, v80
	v_ashrrev_i32_e32 v47, 31, v46
	s_clause 0x2
	global_load_b64 v[66:67], v[24:25], off
	global_load_b64 v[68:69], v[26:27], off
	;; [unrolled: 1-line block ×3, first 2 shown]
	v_ashrrev_i32_e32 v57, 31, v56
	v_ashrrev_i32_e32 v81, 31, v80
	v_add_nc_u32_e32 v88, s5, v82
	s_delay_alu instid0(VALU_DEP_1) | instskip(SKIP_1) | instid1(VALU_DEP_2)
	v_add_nc_u32_e32 v90, s5, v88
	v_ashrrev_i32_e32 v89, 31, v88
	v_add_nc_u32_e32 v92, s5, v90
	v_ashrrev_i32_e32 v91, 31, v90
	s_delay_alu instid0(VALU_DEP_2) | instskip(SKIP_1) | instid1(VALU_DEP_2)
	v_add_nc_u32_e32 v30, s5, v92
	v_ashrrev_i32_e32 v93, 31, v92
	v_ashrrev_i32_e32 v31, 31, v30
	s_delay_alu instid0(VALU_DEP_1) | instskip(NEXT) | instid1(VALU_DEP_1)
	v_lshlrev_b64 v[30:31], 3, v[30:31]
	v_add_co_u32 v30, vcc_lo, s0, v30
	s_delay_alu instid0(VALU_DEP_2)
	v_add_co_ci_u32_e32 v31, vcc_lo, s1, v31, vcc_lo
	v_add_co_u32 v38, vcc_lo, s0, v1
	v_add_co_ci_u32_e32 v39, vcc_lo, s1, v2, vcc_lo
	v_lshlrev_b64 v[1:2], 3, v[44:45]
	v_lshlrev_b64 v[44:45], 3, v[46:47]
	global_load_b64 v[94:95], v[30:31], off
	s_waitcnt vmcnt(12)
	scratch_store_b128 off, v[40:43], off
	v_add_co_u32 v40, vcc_lo, s0, v83
	v_add_co_ci_u32_e32 v41, vcc_lo, s1, v84, vcc_lo
	v_add_co_u32 v42, vcc_lo, s0, v1
	v_add_co_ci_u32_e32 v43, vcc_lo, s1, v2, vcc_lo
	v_lshlrev_b64 v[1:2], 3, v[56:57]
	v_add_co_u32 v44, vcc_lo, s0, v44
	v_ashrrev_i32_e32 v83, 31, v82
	v_add_co_ci_u32_e32 v45, vcc_lo, s1, v45, vcc_lo
	v_lshlrev_b64 v[56:57], 3, v[80:81]
	v_add_co_u32 v46, vcc_lo, s0, v1
	v_add_co_ci_u32_e32 v47, vcc_lo, s1, v2, vcc_lo
	v_lshlrev_b64 v[1:2], 3, v[82:83]
	s_clause 0x3
	global_load_b64 v[72:73], v[32:33], off
	global_load_b64 v[74:75], v[34:35], off
	;; [unrolled: 1-line block ×4, first 2 shown]
	s_waitcnt vmcnt(14)
	scratch_store_b128 off, v[48:51], off offset:16
	s_waitcnt vmcnt(12)
	scratch_store_b128 off, v[52:55], off offset:32
	v_add_co_u32 v48, vcc_lo, s0, v56
	v_lshlrev_b64 v[50:51], 3, v[88:89]
	v_add_co_ci_u32_e32 v49, vcc_lo, s1, v57, vcc_lo
	v_add_co_u32 v52, vcc_lo, s0, v1
	v_add_co_ci_u32_e32 v53, vcc_lo, s1, v2, vcc_lo
	v_lshlrev_b64 v[1:2], 3, v[90:91]
	v_add_co_u32 v54, vcc_lo, s0, v50
	v_add_co_ci_u32_e32 v55, vcc_lo, s1, v51, vcc_lo
	v_lshlrev_b64 v[50:51], 3, v[92:93]
	s_delay_alu instid0(VALU_DEP_4)
	v_add_co_u32 v56, vcc_lo, s0, v1
	v_add_co_ci_u32_e32 v57, vcc_lo, s1, v2, vcc_lo
	s_clause 0x3
	global_load_b64 v[80:81], v[40:41], off
	global_load_b64 v[82:83], v[42:43], off
	;; [unrolled: 1-line block ×4, first 2 shown]
	v_add_co_u32 v50, vcc_lo, s0, v50
	v_add_co_ci_u32_e32 v51, vcc_lo, s1, v51, vcc_lo
	s_waitcnt vmcnt(14)
	scratch_store_b128 off, v[58:61], off offset:48
	s_clause 0x2
	global_load_b64 v[88:89], v[48:49], off
	global_load_b64 v[58:59], v[52:53], off
	;; [unrolled: 1-line block ×3, first 2 shown]
	s_waitcnt vmcnt(15)
	scratch_store_b128 off, v[62:65], off offset:64
	s_clause 0x1
	global_load_b64 v[64:65], v[50:51], off
	global_load_b64 v[62:63], v[56:57], off
	s_mov_b32 s1, -1
	s_waitcnt vmcnt(15)
	scratch_store_b128 off, v[66:69], off offset:80
	s_waitcnt vmcnt(12)
	scratch_store_b128 off, v[70:73], off offset:96
	;; [unrolled: 2-line block ×7, first 2 shown]
	s_waitcnt vmcnt(0)
	s_clause 0x1
	scratch_store_b128 off, v[62:65], off offset:192
	scratch_store_b64 off, v[94:95], off offset:208
	s_cbranch_scc1 .LBB90_116
; %bb.4:
	v_cmp_eq_u32_e64 s0, 0, v0
	s_delay_alu instid0(VALU_DEP_1)
	s_and_saveexec_b32 s1, s0
	s_cbranch_execz .LBB90_6
; %bb.5:
	v_mov_b32_e32 v1, 0
	ds_store_b32 v1, v1 offset:216
.LBB90_6:
	s_or_b32 exec_lo, exec_lo, s1
	s_waitcnt lgkmcnt(0)
	s_waitcnt_vscnt null, 0x0
	s_barrier
	buffer_gl0_inv
	scratch_load_b64 v[1:2], v3, off
	s_mov_b32 s4, exec_lo
	s_waitcnt vmcnt(0)
	v_cmpx_eq_f64_e32 0, v[1:2]
	s_cbranch_execz .LBB90_10
; %bb.7:
	v_mov_b32_e32 v1, 0
	s_mov_b32 s5, 0
	ds_load_b32 v2, v1 offset:216
	s_waitcnt lgkmcnt(0)
	v_readfirstlane_b32 s1, v2
	v_add_nc_u32_e32 v2, 1, v0
	s_delay_alu instid0(VALU_DEP_2) | instskip(NEXT) | instid1(VALU_DEP_1)
	s_cmp_eq_u32 s1, 0
	v_cmp_gt_i32_e32 vcc_lo, s1, v2
	s_cselect_b32 s10, -1, 0
	s_delay_alu instid0(SALU_CYCLE_1) | instskip(NEXT) | instid1(SALU_CYCLE_1)
	s_or_b32 s10, s10, vcc_lo
	s_and_b32 exec_lo, exec_lo, s10
	s_cbranch_execz .LBB90_10
; %bb.8:
	v_mov_b32_e32 v58, s1
.LBB90_9:                               ; =>This Inner Loop Header: Depth=1
	ds_cmpstore_rtn_b32 v58, v1, v2, v58 offset:216
	s_waitcnt lgkmcnt(0)
	v_cmp_ne_u32_e32 vcc_lo, 0, v58
	v_cmp_le_i32_e64 s1, v58, v2
	s_delay_alu instid0(VALU_DEP_1) | instskip(NEXT) | instid1(SALU_CYCLE_1)
	s_and_b32 s1, vcc_lo, s1
	s_and_b32 s1, exec_lo, s1
	s_delay_alu instid0(SALU_CYCLE_1) | instskip(NEXT) | instid1(SALU_CYCLE_1)
	s_or_b32 s5, s1, s5
	s_and_not1_b32 exec_lo, exec_lo, s5
	s_cbranch_execnz .LBB90_9
.LBB90_10:
	s_or_b32 exec_lo, exec_lo, s4
	v_mov_b32_e32 v1, 0
	s_barrier
	buffer_gl0_inv
	ds_load_b32 v2, v1 offset:216
	s_and_saveexec_b32 s1, s0
	s_cbranch_execz .LBB90_12
; %bb.11:
	s_lshl_b64 s[4:5], s[8:9], 2
	s_delay_alu instid0(SALU_CYCLE_1)
	s_add_u32 s4, s6, s4
	s_addc_u32 s5, s7, s5
	s_waitcnt lgkmcnt(0)
	global_store_b32 v1, v2, s[4:5]
.LBB90_12:
	s_or_b32 exec_lo, exec_lo, s1
	s_waitcnt lgkmcnt(0)
	v_cmp_ne_u32_e32 vcc_lo, 0, v2
	s_mov_b32 s1, 0
	s_cbranch_vccnz .LBB90_116
; %bb.13:
	v_add_nc_u32_e32 v58, 0, v3
	scratch_load_b64 v[1:2], v58, off
	s_waitcnt vmcnt(0)
	v_div_scale_f64 v[59:60], null, v[1:2], v[1:2], 1.0
	v_div_scale_f64 v[65:66], vcc_lo, 1.0, v[1:2], 1.0
	s_delay_alu instid0(VALU_DEP_2) | instskip(SKIP_2) | instid1(VALU_DEP_1)
	v_rcp_f64_e32 v[61:62], v[59:60]
	s_waitcnt_depctr 0xfff
	v_fma_f64 v[63:64], -v[59:60], v[61:62], 1.0
	v_fma_f64 v[61:62], v[61:62], v[63:64], v[61:62]
	s_delay_alu instid0(VALU_DEP_1) | instskip(NEXT) | instid1(VALU_DEP_1)
	v_fma_f64 v[63:64], -v[59:60], v[61:62], 1.0
	v_fma_f64 v[61:62], v[61:62], v[63:64], v[61:62]
	s_delay_alu instid0(VALU_DEP_1) | instskip(NEXT) | instid1(VALU_DEP_1)
	v_mul_f64 v[63:64], v[65:66], v[61:62]
	v_fma_f64 v[59:60], -v[59:60], v[63:64], v[65:66]
	s_delay_alu instid0(VALU_DEP_1) | instskip(NEXT) | instid1(VALU_DEP_1)
	v_div_fmas_f64 v[59:60], v[59:60], v[61:62], v[63:64]
	v_div_fixup_f64 v[1:2], v[59:60], v[1:2], 1.0
	v_add_nc_u32_e32 v59, 0xe0, v3
	scratch_store_b64 v58, v[1:2], off
	scratch_load_b64 v[60:61], off, off offset:8
	v_xor_b32_e32 v2, 0x80000000, v2
	s_waitcnt vmcnt(0)
	ds_store_2addr_b64 v3, v[1:2], v[60:61] offset1:28
	s_waitcnt lgkmcnt(0)
	s_waitcnt_vscnt null, 0x0
	s_barrier
	buffer_gl0_inv
	s_and_saveexec_b32 s1, s0
	s_cbranch_execz .LBB90_15
; %bb.14:
	scratch_load_b64 v[1:2], v58, off
	ds_load_b64 v[60:61], v59
	s_waitcnt vmcnt(0) lgkmcnt(0)
	v_fma_f64 v[1:2], v[1:2], v[60:61], 0
	v_mov_b32_e32 v60, 0
	ds_load_b64 v[60:61], v60 offset:8
	s_waitcnt lgkmcnt(0)
	v_mul_f64 v[1:2], v[1:2], v[60:61]
	scratch_store_b64 off, v[1:2], off offset:8
.LBB90_15:
	s_or_b32 exec_lo, exec_lo, s1
	s_waitcnt_vscnt null, 0x0
	s_barrier
	buffer_gl0_inv
	scratch_load_b64 v[1:2], off, off offset:16
	s_mov_b32 s1, exec_lo
	s_waitcnt vmcnt(0)
	ds_store_b64 v59, v[1:2]
	s_waitcnt lgkmcnt(0)
	s_barrier
	buffer_gl0_inv
	v_cmpx_gt_u32_e32 2, v0
	s_cbranch_execz .LBB90_19
; %bb.16:
	scratch_load_b64 v[1:2], v58, off
	ds_load_b64 v[60:61], v59
	s_waitcnt vmcnt(0) lgkmcnt(0)
	v_fma_f64 v[1:2], v[1:2], v[60:61], 0
	s_and_saveexec_b32 s4, s0
	s_cbranch_execz .LBB90_18
; %bb.17:
	scratch_load_b64 v[60:61], off, off offset:8
	v_mov_b32_e32 v62, 0
	ds_load_b64 v[62:63], v62 offset:232
	s_waitcnt vmcnt(0) lgkmcnt(0)
	v_fma_f64 v[1:2], v[60:61], v[62:63], v[1:2]
.LBB90_18:
	s_or_b32 exec_lo, exec_lo, s4
	v_mov_b32_e32 v60, 0
	ds_load_b64 v[60:61], v60 offset:16
	s_waitcnt lgkmcnt(0)
	v_mul_f64 v[1:2], v[1:2], v[60:61]
	scratch_store_b64 off, v[1:2], off offset:16
.LBB90_19:
	s_or_b32 exec_lo, exec_lo, s1
	s_waitcnt_vscnt null, 0x0
	s_barrier
	buffer_gl0_inv
	scratch_load_b64 v[1:2], off, off offset:24
	v_add_nc_u32_e32 v60, -1, v0
	s_mov_b32 s0, exec_lo
	s_waitcnt vmcnt(0)
	ds_store_b64 v59, v[1:2]
	s_waitcnt lgkmcnt(0)
	s_barrier
	buffer_gl0_inv
	v_cmpx_gt_u32_e32 3, v0
	s_cbranch_execz .LBB90_23
; %bb.20:
	v_dual_mov_b32 v1, 0 :: v_dual_add_nc_u32 v62, 0xe0, v3
	v_dual_mov_b32 v2, 0 :: v_dual_add_nc_u32 v61, -1, v0
	v_add_nc_u32_e32 v63, 0, v3
	s_mov_b32 s1, 0
.LBB90_21:                              ; =>This Inner Loop Header: Depth=1
	scratch_load_b64 v[64:65], v63, off
	ds_load_b64 v[66:67], v62
	v_add_nc_u32_e32 v61, 1, v61
	v_add_nc_u32_e32 v62, 8, v62
	v_add_nc_u32_e32 v63, 8, v63
	s_delay_alu instid0(VALU_DEP_3)
	v_cmp_lt_u32_e32 vcc_lo, 1, v61
	s_or_b32 s1, vcc_lo, s1
	s_waitcnt vmcnt(0) lgkmcnt(0)
	v_fma_f64 v[1:2], v[64:65], v[66:67], v[1:2]
	s_and_not1_b32 exec_lo, exec_lo, s1
	s_cbranch_execnz .LBB90_21
; %bb.22:
	s_or_b32 exec_lo, exec_lo, s1
	v_mov_b32_e32 v61, 0
	ds_load_b64 v[61:62], v61 offset:24
	s_waitcnt lgkmcnt(0)
	v_mul_f64 v[1:2], v[1:2], v[61:62]
	scratch_store_b64 off, v[1:2], off offset:24
.LBB90_23:
	s_or_b32 exec_lo, exec_lo, s0
	s_waitcnt_vscnt null, 0x0
	s_barrier
	buffer_gl0_inv
	scratch_load_b64 v[1:2], off, off offset:32
	s_mov_b32 s0, exec_lo
	s_waitcnt vmcnt(0)
	ds_store_b64 v59, v[1:2]
	s_waitcnt lgkmcnt(0)
	s_barrier
	buffer_gl0_inv
	v_cmpx_gt_u32_e32 4, v0
	s_cbranch_execz .LBB90_27
; %bb.24:
	v_dual_mov_b32 v1, 0 :: v_dual_add_nc_u32 v62, 0xe0, v3
	v_dual_mov_b32 v2, 0 :: v_dual_add_nc_u32 v61, -1, v0
	v_add_nc_u32_e32 v63, 0, v3
	s_mov_b32 s1, 0
.LBB90_25:                              ; =>This Inner Loop Header: Depth=1
	scratch_load_b64 v[64:65], v63, off
	ds_load_b64 v[66:67], v62
	v_add_nc_u32_e32 v61, 1, v61
	v_add_nc_u32_e32 v62, 8, v62
	v_add_nc_u32_e32 v63, 8, v63
	s_delay_alu instid0(VALU_DEP_3)
	v_cmp_lt_u32_e32 vcc_lo, 2, v61
	s_or_b32 s1, vcc_lo, s1
	s_waitcnt vmcnt(0) lgkmcnt(0)
	v_fma_f64 v[1:2], v[64:65], v[66:67], v[1:2]
	s_and_not1_b32 exec_lo, exec_lo, s1
	s_cbranch_execnz .LBB90_25
; %bb.26:
	s_or_b32 exec_lo, exec_lo, s1
	v_mov_b32_e32 v61, 0
	ds_load_b64 v[61:62], v61 offset:32
	s_waitcnt lgkmcnt(0)
	v_mul_f64 v[1:2], v[1:2], v[61:62]
	scratch_store_b64 off, v[1:2], off offset:32
.LBB90_27:
	s_or_b32 exec_lo, exec_lo, s0
	s_waitcnt_vscnt null, 0x0
	s_barrier
	buffer_gl0_inv
	scratch_load_b64 v[1:2], off, off offset:40
	;; [unrolled: 39-line block ×20, first 2 shown]
	s_mov_b32 s0, exec_lo
	s_waitcnt vmcnt(0)
	ds_store_b64 v59, v[1:2]
	s_waitcnt lgkmcnt(0)
	s_barrier
	buffer_gl0_inv
	v_cmpx_gt_u32_e32 23, v0
	s_cbranch_execz .LBB90_103
; %bb.100:
	v_dual_mov_b32 v1, 0 :: v_dual_add_nc_u32 v62, 0xe0, v3
	v_dual_mov_b32 v2, 0 :: v_dual_add_nc_u32 v61, -1, v0
	v_add_nc_u32_e32 v63, 0, v3
	s_mov_b32 s1, 0
.LBB90_101:                             ; =>This Inner Loop Header: Depth=1
	scratch_load_b64 v[64:65], v63, off
	ds_load_b64 v[66:67], v62
	v_add_nc_u32_e32 v61, 1, v61
	v_add_nc_u32_e32 v62, 8, v62
	v_add_nc_u32_e32 v63, 8, v63
	s_delay_alu instid0(VALU_DEP_3)
	v_cmp_lt_u32_e32 vcc_lo, 21, v61
	s_or_b32 s1, vcc_lo, s1
	s_waitcnt vmcnt(0) lgkmcnt(0)
	v_fma_f64 v[1:2], v[64:65], v[66:67], v[1:2]
	s_and_not1_b32 exec_lo, exec_lo, s1
	s_cbranch_execnz .LBB90_101
; %bb.102:
	s_or_b32 exec_lo, exec_lo, s1
	v_mov_b32_e32 v61, 0
	ds_load_b64 v[61:62], v61 offset:184
	s_waitcnt lgkmcnt(0)
	v_mul_f64 v[1:2], v[1:2], v[61:62]
	scratch_store_b64 off, v[1:2], off offset:184
.LBB90_103:
	s_or_b32 exec_lo, exec_lo, s0
	s_waitcnt_vscnt null, 0x0
	s_barrier
	buffer_gl0_inv
	scratch_load_b64 v[1:2], off, off offset:192
	s_mov_b32 s0, exec_lo
	s_waitcnt vmcnt(0)
	ds_store_b64 v59, v[1:2]
	s_waitcnt lgkmcnt(0)
	s_barrier
	buffer_gl0_inv
	v_cmpx_gt_u32_e32 24, v0
	s_cbranch_execz .LBB90_107
; %bb.104:
	v_dual_mov_b32 v1, 0 :: v_dual_add_nc_u32 v62, 0xe0, v3
	v_dual_mov_b32 v2, 0 :: v_dual_add_nc_u32 v61, -1, v0
	v_add_nc_u32_e32 v63, 0, v3
	s_mov_b32 s1, 0
.LBB90_105:                             ; =>This Inner Loop Header: Depth=1
	scratch_load_b64 v[64:65], v63, off
	ds_load_b64 v[66:67], v62
	v_add_nc_u32_e32 v61, 1, v61
	v_add_nc_u32_e32 v62, 8, v62
	v_add_nc_u32_e32 v63, 8, v63
	s_delay_alu instid0(VALU_DEP_3)
	v_cmp_lt_u32_e32 vcc_lo, 22, v61
	s_or_b32 s1, vcc_lo, s1
	s_waitcnt vmcnt(0) lgkmcnt(0)
	v_fma_f64 v[1:2], v[64:65], v[66:67], v[1:2]
	s_and_not1_b32 exec_lo, exec_lo, s1
	s_cbranch_execnz .LBB90_105
; %bb.106:
	s_or_b32 exec_lo, exec_lo, s1
	v_mov_b32_e32 v61, 0
	ds_load_b64 v[61:62], v61 offset:192
	s_waitcnt lgkmcnt(0)
	v_mul_f64 v[1:2], v[1:2], v[61:62]
	scratch_store_b64 off, v[1:2], off offset:192
.LBB90_107:
	s_or_b32 exec_lo, exec_lo, s0
	s_waitcnt_vscnt null, 0x0
	s_barrier
	buffer_gl0_inv
	scratch_load_b64 v[1:2], off, off offset:200
	;; [unrolled: 39-line block ×3, first 2 shown]
	s_mov_b32 s0, exec_lo
	s_waitcnt vmcnt(0)
	ds_store_b64 v59, v[1:2]
	s_waitcnt lgkmcnt(0)
	s_barrier
	buffer_gl0_inv
	v_cmpx_ne_u32_e32 26, v0
	s_cbranch_execz .LBB90_115
; %bb.112:
	v_mov_b32_e32 v1, 0
	v_mov_b32_e32 v2, 0
	s_mov_b32 s1, 0
.LBB90_113:                             ; =>This Inner Loop Header: Depth=1
	scratch_load_b64 v[61:62], v58, off
	ds_load_b64 v[63:64], v59
	v_add_nc_u32_e32 v60, 1, v60
	v_add_nc_u32_e32 v59, 8, v59
	;; [unrolled: 1-line block ×3, first 2 shown]
	s_delay_alu instid0(VALU_DEP_3)
	v_cmp_lt_u32_e32 vcc_lo, 24, v60
	s_or_b32 s1, vcc_lo, s1
	s_waitcnt vmcnt(0) lgkmcnt(0)
	v_fma_f64 v[1:2], v[61:62], v[63:64], v[1:2]
	s_and_not1_b32 exec_lo, exec_lo, s1
	s_cbranch_execnz .LBB90_113
; %bb.114:
	s_or_b32 exec_lo, exec_lo, s1
	v_mov_b32_e32 v3, 0
	ds_load_b64 v[58:59], v3 offset:208
	s_waitcnt lgkmcnt(0)
	v_mul_f64 v[1:2], v[1:2], v[58:59]
	scratch_store_b64 off, v[1:2], off offset:208
.LBB90_115:
	s_or_b32 exec_lo, exec_lo, s0
	s_mov_b32 s1, -1
	s_waitcnt_vscnt null, 0x0
	s_barrier
	buffer_gl0_inv
.LBB90_116:
	s_and_b32 vcc_lo, exec_lo, s1
	s_cbranch_vccz .LBB90_118
; %bb.117:
	s_lshl_b64 s[0:1], s[8:9], 2
	v_mov_b32_e32 v1, 0
	s_add_u32 s0, s6, s0
	s_addc_u32 s1, s7, s1
	global_load_b32 v1, v1, s[0:1]
	s_waitcnt vmcnt(0)
	v_cmp_ne_u32_e32 vcc_lo, 0, v1
	s_cbranch_vccz .LBB90_119
.LBB90_118:
	s_endpgm
.LBB90_119:
	v_lshl_add_u32 v3, v0, 3, 0xe0
	s_mov_b32 s0, exec_lo
	v_cmpx_eq_u32_e32 26, v0
	s_cbranch_execz .LBB90_121
; %bb.120:
	scratch_load_b64 v[1:2], off, off offset:200
	v_mov_b32_e32 v58, 0
	s_delay_alu instid0(VALU_DEP_1)
	v_mov_b32_e32 v59, v58
	scratch_store_b64 off, v[58:59], off offset:200
	s_waitcnt vmcnt(0)
	ds_store_b64 v3, v[1:2]
.LBB90_121:
	s_or_b32 exec_lo, exec_lo, s0
	s_waitcnt lgkmcnt(0)
	s_waitcnt_vscnt null, 0x0
	s_barrier
	buffer_gl0_inv
	scratch_load_b128 v[58:61], off, off offset:200
	v_mov_b32_e32 v1, 0
	s_mov_b32 s0, exec_lo
	ds_load_b64 v[62:63], v1 offset:432
	s_waitcnt vmcnt(0) lgkmcnt(0)
	v_fma_f64 v[60:61], v[60:61], v[62:63], 0
	s_delay_alu instid0(VALU_DEP_1)
	v_add_f64 v[58:59], v[58:59], -v[60:61]
	scratch_store_b64 off, v[58:59], off offset:200
	v_cmpx_lt_u32_e32 24, v0
	s_cbranch_execz .LBB90_123
; %bb.122:
	scratch_load_b64 v[58:59], off, off offset:192
	v_mov_b32_e32 v2, v1
	scratch_store_b64 off, v[1:2], off offset:192
	s_waitcnt vmcnt(0)
	ds_store_b64 v3, v[58:59]
.LBB90_123:
	s_or_b32 exec_lo, exec_lo, s0
	s_waitcnt lgkmcnt(0)
	s_waitcnt_vscnt null, 0x0
	s_barrier
	buffer_gl0_inv
	s_clause 0x1
	scratch_load_b128 v[58:61], off, off offset:192
	scratch_load_b64 v[66:67], off, off offset:208
	ds_load_2addr_b64 v[62:65], v1 offset0:53 offset1:54
	s_mov_b32 s0, exec_lo
	s_waitcnt vmcnt(1) lgkmcnt(0)
	v_fma_f64 v[1:2], v[60:61], v[62:63], 0
	s_waitcnt vmcnt(0)
	s_delay_alu instid0(VALU_DEP_1) | instskip(NEXT) | instid1(VALU_DEP_1)
	v_fma_f64 v[1:2], v[66:67], v[64:65], v[1:2]
	v_add_f64 v[1:2], v[58:59], -v[1:2]
	scratch_store_b64 off, v[1:2], off offset:192
	v_cmpx_lt_u32_e32 23, v0
	s_cbranch_execz .LBB90_125
; %bb.124:
	scratch_load_b64 v[1:2], off, off offset:184
	v_mov_b32_e32 v58, 0
	s_delay_alu instid0(VALU_DEP_1)
	v_mov_b32_e32 v59, v58
	scratch_store_b64 off, v[58:59], off offset:184
	s_waitcnt vmcnt(0)
	ds_store_b64 v3, v[1:2]
.LBB90_125:
	s_or_b32 exec_lo, exec_lo, s0
	s_waitcnt lgkmcnt(0)
	s_waitcnt_vscnt null, 0x0
	s_barrier
	buffer_gl0_inv
	s_clause 0x1
	scratch_load_b128 v[58:61], off, off offset:184
	scratch_load_b128 v[62:65], off, off offset:200
	v_mov_b32_e32 v1, 0
	ds_load_b128 v[66:69], v1 offset:416
	ds_load_b64 v[70:71], v1 offset:432
	s_mov_b32 s0, exec_lo
	s_waitcnt vmcnt(1) lgkmcnt(1)
	v_fma_f64 v[60:61], v[60:61], v[66:67], 0
	s_waitcnt vmcnt(0)
	s_delay_alu instid0(VALU_DEP_1) | instskip(SKIP_1) | instid1(VALU_DEP_1)
	v_fma_f64 v[60:61], v[62:63], v[68:69], v[60:61]
	s_waitcnt lgkmcnt(0)
	v_fma_f64 v[60:61], v[64:65], v[70:71], v[60:61]
	s_delay_alu instid0(VALU_DEP_1)
	v_add_f64 v[58:59], v[58:59], -v[60:61]
	scratch_store_b64 off, v[58:59], off offset:184
	v_cmpx_lt_u32_e32 22, v0
	s_cbranch_execz .LBB90_127
; %bb.126:
	scratch_load_b64 v[58:59], off, off offset:176
	v_mov_b32_e32 v2, v1
	scratch_store_b64 off, v[1:2], off offset:176
	s_waitcnt vmcnt(0)
	ds_store_b64 v3, v[58:59]
.LBB90_127:
	s_or_b32 exec_lo, exec_lo, s0
	s_waitcnt lgkmcnt(0)
	s_waitcnt_vscnt null, 0x0
	s_barrier
	buffer_gl0_inv
	s_clause 0x2
	scratch_load_b128 v[58:61], off, off offset:176
	scratch_load_b128 v[62:65], off, off offset:192
	scratch_load_b64 v[74:75], off, off offset:208
	ds_load_2addr_b64 v[66:69], v1 offset0:51 offset1:52
	ds_load_2addr_b64 v[70:73], v1 offset0:53 offset1:54
	s_mov_b32 s0, exec_lo
	s_waitcnt vmcnt(2) lgkmcnt(1)
	v_fma_f64 v[1:2], v[60:61], v[66:67], 0
	s_waitcnt vmcnt(1)
	s_delay_alu instid0(VALU_DEP_1) | instskip(SKIP_1) | instid1(VALU_DEP_1)
	v_fma_f64 v[1:2], v[62:63], v[68:69], v[1:2]
	s_waitcnt lgkmcnt(0)
	v_fma_f64 v[1:2], v[64:65], v[70:71], v[1:2]
	s_waitcnt vmcnt(0)
	s_delay_alu instid0(VALU_DEP_1) | instskip(NEXT) | instid1(VALU_DEP_1)
	v_fma_f64 v[1:2], v[74:75], v[72:73], v[1:2]
	v_add_f64 v[1:2], v[58:59], -v[1:2]
	scratch_store_b64 off, v[1:2], off offset:176
	v_cmpx_lt_u32_e32 21, v0
	s_cbranch_execz .LBB90_129
; %bb.128:
	scratch_load_b64 v[1:2], off, off offset:168
	v_mov_b32_e32 v58, 0
	s_delay_alu instid0(VALU_DEP_1)
	v_mov_b32_e32 v59, v58
	scratch_store_b64 off, v[58:59], off offset:168
	s_waitcnt vmcnt(0)
	ds_store_b64 v3, v[1:2]
.LBB90_129:
	s_or_b32 exec_lo, exec_lo, s0
	s_waitcnt lgkmcnt(0)
	s_waitcnt_vscnt null, 0x0
	s_barrier
	buffer_gl0_inv
	s_clause 0x2
	scratch_load_b128 v[58:61], off, off offset:168
	scratch_load_b128 v[62:65], off, off offset:184
	;; [unrolled: 1-line block ×3, first 2 shown]
	v_mov_b32_e32 v1, 0
	ds_load_b128 v[70:73], v1 offset:400
	ds_load_b128 v[74:77], v1 offset:416
	s_mov_b32 s0, exec_lo
	s_waitcnt vmcnt(2) lgkmcnt(1)
	v_fma_f64 v[60:61], v[60:61], v[70:71], 0
	s_waitcnt vmcnt(1)
	s_delay_alu instid0(VALU_DEP_1) | instskip(SKIP_4) | instid1(VALU_DEP_1)
	v_fma_f64 v[60:61], v[62:63], v[72:73], v[60:61]
	ds_load_b64 v[62:63], v1 offset:432
	s_waitcnt lgkmcnt(1)
	v_fma_f64 v[60:61], v[64:65], v[74:75], v[60:61]
	s_waitcnt vmcnt(0)
	v_fma_f64 v[60:61], v[66:67], v[76:77], v[60:61]
	s_waitcnt lgkmcnt(0)
	s_delay_alu instid0(VALU_DEP_1) | instskip(NEXT) | instid1(VALU_DEP_1)
	v_fma_f64 v[60:61], v[68:69], v[62:63], v[60:61]
	v_add_f64 v[58:59], v[58:59], -v[60:61]
	scratch_store_b64 off, v[58:59], off offset:168
	v_cmpx_lt_u32_e32 20, v0
	s_cbranch_execz .LBB90_131
; %bb.130:
	scratch_load_b64 v[58:59], off, off offset:160
	v_mov_b32_e32 v2, v1
	scratch_store_b64 off, v[1:2], off offset:160
	s_waitcnt vmcnt(0)
	ds_store_b64 v3, v[58:59]
.LBB90_131:
	s_or_b32 exec_lo, exec_lo, s0
	s_waitcnt lgkmcnt(0)
	s_waitcnt_vscnt null, 0x0
	s_barrier
	buffer_gl0_inv
	s_clause 0x3
	scratch_load_b128 v[58:61], off, off offset:160
	scratch_load_b128 v[62:65], off, off offset:176
	;; [unrolled: 1-line block ×3, first 2 shown]
	scratch_load_b64 v[78:79], off, off offset:208
	ds_load_2addr_b64 v[70:73], v1 offset0:49 offset1:50
	ds_load_2addr_b64 v[74:77], v1 offset0:51 offset1:52
	s_mov_b32 s0, exec_lo
	s_waitcnt vmcnt(3) lgkmcnt(1)
	v_fma_f64 v[60:61], v[60:61], v[70:71], 0
	s_waitcnt vmcnt(2)
	s_delay_alu instid0(VALU_DEP_1) | instskip(SKIP_1) | instid1(VALU_DEP_1)
	v_fma_f64 v[60:61], v[62:63], v[72:73], v[60:61]
	s_waitcnt lgkmcnt(0)
	v_fma_f64 v[60:61], v[64:65], v[74:75], v[60:61]
	s_waitcnt vmcnt(1)
	s_delay_alu instid0(VALU_DEP_1) | instskip(SKIP_4) | instid1(VALU_DEP_1)
	v_fma_f64 v[64:65], v[66:67], v[76:77], v[60:61]
	ds_load_2addr_b64 v[60:63], v1 offset0:53 offset1:54
	s_waitcnt lgkmcnt(0)
	v_fma_f64 v[1:2], v[68:69], v[60:61], v[64:65]
	s_waitcnt vmcnt(0)
	v_fma_f64 v[1:2], v[78:79], v[62:63], v[1:2]
	s_delay_alu instid0(VALU_DEP_1)
	v_add_f64 v[1:2], v[58:59], -v[1:2]
	scratch_store_b64 off, v[1:2], off offset:160
	v_cmpx_lt_u32_e32 19, v0
	s_cbranch_execz .LBB90_133
; %bb.132:
	scratch_load_b64 v[1:2], off, off offset:152
	v_mov_b32_e32 v58, 0
	s_delay_alu instid0(VALU_DEP_1)
	v_mov_b32_e32 v59, v58
	scratch_store_b64 off, v[58:59], off offset:152
	s_waitcnt vmcnt(0)
	ds_store_b64 v3, v[1:2]
.LBB90_133:
	s_or_b32 exec_lo, exec_lo, s0
	s_waitcnt lgkmcnt(0)
	s_waitcnt_vscnt null, 0x0
	s_barrier
	buffer_gl0_inv
	s_clause 0x3
	scratch_load_b128 v[58:61], off, off offset:152
	scratch_load_b128 v[62:65], off, off offset:168
	;; [unrolled: 1-line block ×4, first 2 shown]
	v_mov_b32_e32 v1, 0
	ds_load_b128 v[74:77], v1 offset:384
	ds_load_b128 v[78:81], v1 offset:400
	s_mov_b32 s0, exec_lo
	s_waitcnt vmcnt(3) lgkmcnt(1)
	v_fma_f64 v[60:61], v[60:61], v[74:75], 0
	s_waitcnt vmcnt(2)
	s_delay_alu instid0(VALU_DEP_1) | instskip(SKIP_1) | instid1(VALU_DEP_1)
	v_fma_f64 v[60:61], v[62:63], v[76:77], v[60:61]
	s_waitcnt lgkmcnt(0)
	v_fma_f64 v[60:61], v[64:65], v[78:79], v[60:61]
	s_waitcnt vmcnt(1)
	s_delay_alu instid0(VALU_DEP_1)
	v_fma_f64 v[64:65], v[66:67], v[80:81], v[60:61]
	ds_load_b128 v[60:63], v1 offset:416
	ds_load_b64 v[66:67], v1 offset:432
	s_waitcnt lgkmcnt(1)
	v_fma_f64 v[60:61], v[68:69], v[60:61], v[64:65]
	s_waitcnt vmcnt(0)
	s_delay_alu instid0(VALU_DEP_1) | instskip(SKIP_1) | instid1(VALU_DEP_1)
	v_fma_f64 v[60:61], v[70:71], v[62:63], v[60:61]
	s_waitcnt lgkmcnt(0)
	v_fma_f64 v[60:61], v[72:73], v[66:67], v[60:61]
	s_delay_alu instid0(VALU_DEP_1)
	v_add_f64 v[58:59], v[58:59], -v[60:61]
	scratch_store_b64 off, v[58:59], off offset:152
	v_cmpx_lt_u32_e32 18, v0
	s_cbranch_execz .LBB90_135
; %bb.134:
	scratch_load_b64 v[58:59], off, off offset:144
	v_mov_b32_e32 v2, v1
	scratch_store_b64 off, v[1:2], off offset:144
	s_waitcnt vmcnt(0)
	ds_store_b64 v3, v[58:59]
.LBB90_135:
	s_or_b32 exec_lo, exec_lo, s0
	s_waitcnt lgkmcnt(0)
	s_waitcnt_vscnt null, 0x0
	s_barrier
	buffer_gl0_inv
	s_clause 0x4
	scratch_load_b128 v[58:61], off, off offset:144
	scratch_load_b128 v[62:65], off, off offset:160
	;; [unrolled: 1-line block ×4, first 2 shown]
	scratch_load_b64 v[82:83], off, off offset:208
	ds_load_2addr_b64 v[74:77], v1 offset0:47 offset1:48
	ds_load_2addr_b64 v[78:81], v1 offset0:49 offset1:50
	s_mov_b32 s0, exec_lo
	s_waitcnt vmcnt(4) lgkmcnt(1)
	v_fma_f64 v[60:61], v[60:61], v[74:75], 0
	s_waitcnt vmcnt(3)
	s_delay_alu instid0(VALU_DEP_1) | instskip(SKIP_1) | instid1(VALU_DEP_1)
	v_fma_f64 v[60:61], v[62:63], v[76:77], v[60:61]
	s_waitcnt lgkmcnt(0)
	v_fma_f64 v[60:61], v[64:65], v[78:79], v[60:61]
	s_waitcnt vmcnt(2)
	s_delay_alu instid0(VALU_DEP_1)
	v_fma_f64 v[74:75], v[66:67], v[80:81], v[60:61]
	ds_load_2addr_b64 v[60:63], v1 offset0:51 offset1:52
	ds_load_2addr_b64 v[64:67], v1 offset0:53 offset1:54
	s_waitcnt lgkmcnt(1)
	v_fma_f64 v[1:2], v[68:69], v[60:61], v[74:75]
	s_waitcnt vmcnt(1)
	s_delay_alu instid0(VALU_DEP_1) | instskip(SKIP_1) | instid1(VALU_DEP_1)
	v_fma_f64 v[1:2], v[70:71], v[62:63], v[1:2]
	s_waitcnt lgkmcnt(0)
	v_fma_f64 v[1:2], v[72:73], v[64:65], v[1:2]
	s_waitcnt vmcnt(0)
	s_delay_alu instid0(VALU_DEP_1) | instskip(NEXT) | instid1(VALU_DEP_1)
	v_fma_f64 v[1:2], v[82:83], v[66:67], v[1:2]
	v_add_f64 v[1:2], v[58:59], -v[1:2]
	scratch_store_b64 off, v[1:2], off offset:144
	v_cmpx_lt_u32_e32 17, v0
	s_cbranch_execz .LBB90_137
; %bb.136:
	scratch_load_b64 v[1:2], off, off offset:136
	v_mov_b32_e32 v58, 0
	s_delay_alu instid0(VALU_DEP_1)
	v_mov_b32_e32 v59, v58
	scratch_store_b64 off, v[58:59], off offset:136
	s_waitcnt vmcnt(0)
	ds_store_b64 v3, v[1:2]
.LBB90_137:
	s_or_b32 exec_lo, exec_lo, s0
	s_waitcnt lgkmcnt(0)
	s_waitcnt_vscnt null, 0x0
	s_barrier
	buffer_gl0_inv
	s_clause 0x4
	scratch_load_b128 v[58:61], off, off offset:136
	scratch_load_b128 v[62:65], off, off offset:152
	scratch_load_b128 v[66:69], off, off offset:168
	scratch_load_b128 v[70:73], off, off offset:184
	scratch_load_b128 v[74:77], off, off offset:200
	v_mov_b32_e32 v1, 0
	ds_load_b128 v[78:81], v1 offset:368
	ds_load_b128 v[82:85], v1 offset:384
	s_mov_b32 s0, exec_lo
	s_waitcnt vmcnt(4) lgkmcnt(1)
	v_fma_f64 v[60:61], v[60:61], v[78:79], 0
	s_waitcnt vmcnt(3)
	s_delay_alu instid0(VALU_DEP_1) | instskip(SKIP_1) | instid1(VALU_DEP_1)
	v_fma_f64 v[60:61], v[62:63], v[80:81], v[60:61]
	s_waitcnt lgkmcnt(0)
	v_fma_f64 v[60:61], v[64:65], v[82:83], v[60:61]
	s_waitcnt vmcnt(2)
	s_delay_alu instid0(VALU_DEP_1)
	v_fma_f64 v[78:79], v[66:67], v[84:85], v[60:61]
	ds_load_b128 v[60:63], v1 offset:400
	ds_load_b128 v[64:67], v1 offset:416
	s_waitcnt lgkmcnt(1)
	v_fma_f64 v[60:61], v[68:69], v[60:61], v[78:79]
	s_waitcnt vmcnt(1)
	s_delay_alu instid0(VALU_DEP_1) | instskip(SKIP_4) | instid1(VALU_DEP_1)
	v_fma_f64 v[60:61], v[70:71], v[62:63], v[60:61]
	ds_load_b64 v[62:63], v1 offset:432
	s_waitcnt lgkmcnt(1)
	v_fma_f64 v[60:61], v[72:73], v[64:65], v[60:61]
	s_waitcnt vmcnt(0)
	v_fma_f64 v[60:61], v[74:75], v[66:67], v[60:61]
	s_waitcnt lgkmcnt(0)
	s_delay_alu instid0(VALU_DEP_1) | instskip(NEXT) | instid1(VALU_DEP_1)
	v_fma_f64 v[60:61], v[76:77], v[62:63], v[60:61]
	v_add_f64 v[58:59], v[58:59], -v[60:61]
	scratch_store_b64 off, v[58:59], off offset:136
	v_cmpx_lt_u32_e32 16, v0
	s_cbranch_execz .LBB90_139
; %bb.138:
	scratch_load_b64 v[58:59], off, off offset:128
	v_mov_b32_e32 v2, v1
	scratch_store_b64 off, v[1:2], off offset:128
	s_waitcnt vmcnt(0)
	ds_store_b64 v3, v[58:59]
.LBB90_139:
	s_or_b32 exec_lo, exec_lo, s0
	s_waitcnt lgkmcnt(0)
	s_waitcnt_vscnt null, 0x0
	s_barrier
	buffer_gl0_inv
	s_clause 0x4
	scratch_load_b128 v[58:61], off, off offset:128
	scratch_load_b128 v[62:65], off, off offset:144
	;; [unrolled: 1-line block ×5, first 2 shown]
	ds_load_2addr_b64 v[78:81], v1 offset0:45 offset1:46
	ds_load_2addr_b64 v[82:85], v1 offset0:47 offset1:48
	s_mov_b32 s0, exec_lo
	s_waitcnt vmcnt(4) lgkmcnt(1)
	v_fma_f64 v[60:61], v[60:61], v[78:79], 0
	scratch_load_b64 v[78:79], off, off offset:208
	s_waitcnt vmcnt(4)
	v_fma_f64 v[60:61], v[62:63], v[80:81], v[60:61]
	s_waitcnt lgkmcnt(0)
	s_delay_alu instid0(VALU_DEP_1) | instskip(SKIP_1) | instid1(VALU_DEP_1)
	v_fma_f64 v[60:61], v[64:65], v[82:83], v[60:61]
	s_waitcnt vmcnt(3)
	v_fma_f64 v[80:81], v[66:67], v[84:85], v[60:61]
	ds_load_2addr_b64 v[60:63], v1 offset0:49 offset1:50
	ds_load_2addr_b64 v[64:67], v1 offset0:51 offset1:52
	s_waitcnt lgkmcnt(1)
	v_fma_f64 v[60:61], v[68:69], v[60:61], v[80:81]
	s_waitcnt vmcnt(2)
	s_delay_alu instid0(VALU_DEP_1) | instskip(SKIP_1) | instid1(VALU_DEP_1)
	v_fma_f64 v[60:61], v[70:71], v[62:63], v[60:61]
	s_waitcnt lgkmcnt(0)
	v_fma_f64 v[60:61], v[72:73], v[64:65], v[60:61]
	s_waitcnt vmcnt(1)
	s_delay_alu instid0(VALU_DEP_1) | instskip(SKIP_4) | instid1(VALU_DEP_1)
	v_fma_f64 v[64:65], v[74:75], v[66:67], v[60:61]
	ds_load_2addr_b64 v[60:63], v1 offset0:53 offset1:54
	s_waitcnt lgkmcnt(0)
	v_fma_f64 v[1:2], v[76:77], v[60:61], v[64:65]
	s_waitcnt vmcnt(0)
	v_fma_f64 v[1:2], v[78:79], v[62:63], v[1:2]
	s_delay_alu instid0(VALU_DEP_1)
	v_add_f64 v[1:2], v[58:59], -v[1:2]
	scratch_store_b64 off, v[1:2], off offset:128
	v_cmpx_lt_u32_e32 15, v0
	s_cbranch_execz .LBB90_141
; %bb.140:
	scratch_load_b64 v[1:2], off, off offset:120
	v_mov_b32_e32 v58, 0
	s_delay_alu instid0(VALU_DEP_1)
	v_mov_b32_e32 v59, v58
	scratch_store_b64 off, v[58:59], off offset:120
	s_waitcnt vmcnt(0)
	ds_store_b64 v3, v[1:2]
.LBB90_141:
	s_or_b32 exec_lo, exec_lo, s0
	s_waitcnt lgkmcnt(0)
	s_waitcnt_vscnt null, 0x0
	s_barrier
	buffer_gl0_inv
	s_clause 0x4
	scratch_load_b128 v[58:61], off, off offset:120
	scratch_load_b128 v[62:65], off, off offset:136
	;; [unrolled: 1-line block ×5, first 2 shown]
	v_mov_b32_e32 v1, 0
	ds_load_b128 v[78:81], v1 offset:352
	ds_load_b128 v[82:85], v1 offset:368
	scratch_load_b128 v[86:89], off, off offset:200
	s_mov_b32 s0, exec_lo
	s_waitcnt vmcnt(5) lgkmcnt(1)
	v_fma_f64 v[60:61], v[60:61], v[78:79], 0
	s_waitcnt vmcnt(4)
	s_delay_alu instid0(VALU_DEP_1) | instskip(SKIP_1) | instid1(VALU_DEP_1)
	v_fma_f64 v[60:61], v[62:63], v[80:81], v[60:61]
	s_waitcnt lgkmcnt(0)
	v_fma_f64 v[60:61], v[64:65], v[82:83], v[60:61]
	s_waitcnt vmcnt(3)
	s_delay_alu instid0(VALU_DEP_1)
	v_fma_f64 v[78:79], v[66:67], v[84:85], v[60:61]
	ds_load_b128 v[60:63], v1 offset:384
	ds_load_b128 v[64:67], v1 offset:400
	s_waitcnt lgkmcnt(1)
	v_fma_f64 v[60:61], v[68:69], v[60:61], v[78:79]
	s_waitcnt vmcnt(2)
	s_delay_alu instid0(VALU_DEP_1) | instskip(SKIP_1) | instid1(VALU_DEP_1)
	v_fma_f64 v[60:61], v[70:71], v[62:63], v[60:61]
	s_waitcnt lgkmcnt(0)
	v_fma_f64 v[60:61], v[72:73], v[64:65], v[60:61]
	s_waitcnt vmcnt(1)
	s_delay_alu instid0(VALU_DEP_1)
	v_fma_f64 v[64:65], v[74:75], v[66:67], v[60:61]
	ds_load_b128 v[60:63], v1 offset:416
	ds_load_b64 v[66:67], v1 offset:432
	s_waitcnt lgkmcnt(1)
	v_fma_f64 v[60:61], v[76:77], v[60:61], v[64:65]
	s_waitcnt vmcnt(0)
	s_delay_alu instid0(VALU_DEP_1) | instskip(SKIP_1) | instid1(VALU_DEP_1)
	v_fma_f64 v[60:61], v[86:87], v[62:63], v[60:61]
	s_waitcnt lgkmcnt(0)
	v_fma_f64 v[60:61], v[88:89], v[66:67], v[60:61]
	s_delay_alu instid0(VALU_DEP_1)
	v_add_f64 v[58:59], v[58:59], -v[60:61]
	scratch_store_b64 off, v[58:59], off offset:120
	v_cmpx_lt_u32_e32 14, v0
	s_cbranch_execz .LBB90_143
; %bb.142:
	scratch_load_b64 v[58:59], off, off offset:112
	v_mov_b32_e32 v2, v1
	scratch_store_b64 off, v[1:2], off offset:112
	s_waitcnt vmcnt(0)
	ds_store_b64 v3, v[58:59]
.LBB90_143:
	s_or_b32 exec_lo, exec_lo, s0
	s_waitcnt lgkmcnt(0)
	s_waitcnt_vscnt null, 0x0
	s_barrier
	buffer_gl0_inv
	s_clause 0x4
	scratch_load_b128 v[58:61], off, off offset:112
	scratch_load_b128 v[62:65], off, off offset:128
	;; [unrolled: 1-line block ×5, first 2 shown]
	ds_load_2addr_b64 v[78:81], v1 offset0:43 offset1:44
	ds_load_2addr_b64 v[82:85], v1 offset0:45 offset1:46
	scratch_load_b128 v[86:89], off, off offset:192
	s_mov_b32 s0, exec_lo
	s_waitcnt vmcnt(5) lgkmcnt(1)
	v_fma_f64 v[60:61], v[60:61], v[78:79], 0
	scratch_load_b64 v[78:79], off, off offset:208
	s_waitcnt vmcnt(5)
	v_fma_f64 v[60:61], v[62:63], v[80:81], v[60:61]
	s_waitcnt lgkmcnt(0)
	s_delay_alu instid0(VALU_DEP_1) | instskip(SKIP_1) | instid1(VALU_DEP_1)
	v_fma_f64 v[60:61], v[64:65], v[82:83], v[60:61]
	s_waitcnt vmcnt(4)
	v_fma_f64 v[80:81], v[66:67], v[84:85], v[60:61]
	ds_load_2addr_b64 v[60:63], v1 offset0:47 offset1:48
	ds_load_2addr_b64 v[64:67], v1 offset0:49 offset1:50
	s_waitcnt lgkmcnt(1)
	v_fma_f64 v[60:61], v[68:69], v[60:61], v[80:81]
	s_waitcnt vmcnt(3)
	s_delay_alu instid0(VALU_DEP_1) | instskip(SKIP_1) | instid1(VALU_DEP_1)
	v_fma_f64 v[60:61], v[70:71], v[62:63], v[60:61]
	s_waitcnt lgkmcnt(0)
	v_fma_f64 v[60:61], v[72:73], v[64:65], v[60:61]
	s_waitcnt vmcnt(2)
	s_delay_alu instid0(VALU_DEP_1)
	v_fma_f64 v[68:69], v[74:75], v[66:67], v[60:61]
	ds_load_2addr_b64 v[60:63], v1 offset0:51 offset1:52
	ds_load_2addr_b64 v[64:67], v1 offset0:53 offset1:54
	s_waitcnt lgkmcnt(1)
	v_fma_f64 v[1:2], v[76:77], v[60:61], v[68:69]
	s_waitcnt vmcnt(1)
	s_delay_alu instid0(VALU_DEP_1) | instskip(SKIP_1) | instid1(VALU_DEP_1)
	v_fma_f64 v[1:2], v[86:87], v[62:63], v[1:2]
	s_waitcnt lgkmcnt(0)
	v_fma_f64 v[1:2], v[88:89], v[64:65], v[1:2]
	s_waitcnt vmcnt(0)
	s_delay_alu instid0(VALU_DEP_1) | instskip(NEXT) | instid1(VALU_DEP_1)
	v_fma_f64 v[1:2], v[78:79], v[66:67], v[1:2]
	v_add_f64 v[1:2], v[58:59], -v[1:2]
	scratch_store_b64 off, v[1:2], off offset:112
	v_cmpx_lt_u32_e32 13, v0
	s_cbranch_execz .LBB90_145
; %bb.144:
	scratch_load_b64 v[1:2], off, off offset:104
	v_mov_b32_e32 v58, 0
	s_delay_alu instid0(VALU_DEP_1)
	v_mov_b32_e32 v59, v58
	scratch_store_b64 off, v[58:59], off offset:104
	s_waitcnt vmcnt(0)
	ds_store_b64 v3, v[1:2]
.LBB90_145:
	s_or_b32 exec_lo, exec_lo, s0
	s_waitcnt lgkmcnt(0)
	s_waitcnt_vscnt null, 0x0
	s_barrier
	buffer_gl0_inv
	s_clause 0x4
	scratch_load_b128 v[58:61], off, off offset:104
	scratch_load_b128 v[62:65], off, off offset:120
	;; [unrolled: 1-line block ×5, first 2 shown]
	v_mov_b32_e32 v1, 0
	ds_load_b128 v[78:81], v1 offset:336
	ds_load_b128 v[82:85], v1 offset:352
	scratch_load_b128 v[86:89], off, off offset:184
	s_mov_b32 s0, exec_lo
	s_waitcnt vmcnt(5) lgkmcnt(1)
	v_fma_f64 v[60:61], v[60:61], v[78:79], 0
	s_waitcnt vmcnt(4)
	s_delay_alu instid0(VALU_DEP_1) | instskip(SKIP_1) | instid1(VALU_DEP_1)
	v_fma_f64 v[60:61], v[62:63], v[80:81], v[60:61]
	s_waitcnt lgkmcnt(0)
	v_fma_f64 v[64:65], v[64:65], v[82:83], v[60:61]
	scratch_load_b128 v[60:63], off, off offset:200
	s_waitcnt vmcnt(4)
	v_fma_f64 v[82:83], v[66:67], v[84:85], v[64:65]
	ds_load_b128 v[64:67], v1 offset:368
	ds_load_b128 v[78:81], v1 offset:384
	s_waitcnt lgkmcnt(1)
	v_fma_f64 v[64:65], v[68:69], v[64:65], v[82:83]
	s_waitcnt vmcnt(3)
	s_delay_alu instid0(VALU_DEP_1) | instskip(SKIP_1) | instid1(VALU_DEP_1)
	v_fma_f64 v[64:65], v[70:71], v[66:67], v[64:65]
	s_waitcnt lgkmcnt(0)
	v_fma_f64 v[64:65], v[72:73], v[78:79], v[64:65]
	s_waitcnt vmcnt(2)
	s_delay_alu instid0(VALU_DEP_1)
	v_fma_f64 v[72:73], v[74:75], v[80:81], v[64:65]
	ds_load_b128 v[64:67], v1 offset:400
	ds_load_b128 v[68:71], v1 offset:416
	s_waitcnt lgkmcnt(1)
	v_fma_f64 v[64:65], v[76:77], v[64:65], v[72:73]
	s_waitcnt vmcnt(1)
	s_delay_alu instid0(VALU_DEP_1) | instskip(SKIP_1) | instid1(VALU_DEP_1)
	v_fma_f64 v[64:65], v[86:87], v[66:67], v[64:65]
	s_waitcnt lgkmcnt(0)
	v_fma_f64 v[64:65], v[88:89], v[68:69], v[64:65]
	s_waitcnt vmcnt(0)
	s_delay_alu instid0(VALU_DEP_1) | instskip(SKIP_3) | instid1(VALU_DEP_1)
	v_fma_f64 v[60:61], v[60:61], v[70:71], v[64:65]
	ds_load_b64 v[64:65], v1 offset:432
	s_waitcnt lgkmcnt(0)
	v_fma_f64 v[60:61], v[62:63], v[64:65], v[60:61]
	v_add_f64 v[58:59], v[58:59], -v[60:61]
	scratch_store_b64 off, v[58:59], off offset:104
	v_cmpx_lt_u32_e32 12, v0
	s_cbranch_execz .LBB90_147
; %bb.146:
	scratch_load_b64 v[58:59], off, off offset:96
	v_mov_b32_e32 v2, v1
	scratch_store_b64 off, v[1:2], off offset:96
	s_waitcnt vmcnt(0)
	ds_store_b64 v3, v[58:59]
.LBB90_147:
	s_or_b32 exec_lo, exec_lo, s0
	s_waitcnt lgkmcnt(0)
	s_waitcnt_vscnt null, 0x0
	s_barrier
	buffer_gl0_inv
	s_clause 0x4
	scratch_load_b128 v[58:61], off, off offset:96
	scratch_load_b128 v[62:65], off, off offset:112
	;; [unrolled: 1-line block ×5, first 2 shown]
	ds_load_2addr_b64 v[78:81], v1 offset0:41 offset1:42
	ds_load_2addr_b64 v[82:85], v1 offset0:43 offset1:44
	scratch_load_b128 v[86:89], off, off offset:176
	s_mov_b32 s0, exec_lo
	s_waitcnt vmcnt(5) lgkmcnt(1)
	v_fma_f64 v[60:61], v[60:61], v[78:79], 0
	s_waitcnt vmcnt(4)
	s_delay_alu instid0(VALU_DEP_1) | instskip(SKIP_1) | instid1(VALU_DEP_1)
	v_fma_f64 v[60:61], v[62:63], v[80:81], v[60:61]
	s_waitcnt lgkmcnt(0)
	v_fma_f64 v[64:65], v[64:65], v[82:83], v[60:61]
	scratch_load_b128 v[60:63], off, off offset:192
	s_waitcnt vmcnt(4)
	v_fma_f64 v[82:83], v[66:67], v[84:85], v[64:65]
	ds_load_2addr_b64 v[64:67], v1 offset0:45 offset1:46
	ds_load_2addr_b64 v[78:81], v1 offset0:47 offset1:48
	s_waitcnt lgkmcnt(1)
	v_fma_f64 v[64:65], v[68:69], v[64:65], v[82:83]
	scratch_load_b64 v[82:83], off, off offset:208
	s_waitcnt vmcnt(4)
	v_fma_f64 v[64:65], v[70:71], v[66:67], v[64:65]
	s_waitcnt lgkmcnt(0)
	s_delay_alu instid0(VALU_DEP_1) | instskip(SKIP_1) | instid1(VALU_DEP_1)
	v_fma_f64 v[64:65], v[72:73], v[78:79], v[64:65]
	s_waitcnt vmcnt(3)
	v_fma_f64 v[72:73], v[74:75], v[80:81], v[64:65]
	ds_load_2addr_b64 v[64:67], v1 offset0:49 offset1:50
	ds_load_2addr_b64 v[68:71], v1 offset0:51 offset1:52
	s_waitcnt lgkmcnt(1)
	v_fma_f64 v[64:65], v[76:77], v[64:65], v[72:73]
	s_waitcnt vmcnt(2)
	s_delay_alu instid0(VALU_DEP_1) | instskip(SKIP_1) | instid1(VALU_DEP_1)
	v_fma_f64 v[64:65], v[86:87], v[66:67], v[64:65]
	s_waitcnt lgkmcnt(0)
	v_fma_f64 v[64:65], v[88:89], v[68:69], v[64:65]
	s_waitcnt vmcnt(1)
	s_delay_alu instid0(VALU_DEP_1) | instskip(SKIP_4) | instid1(VALU_DEP_1)
	v_fma_f64 v[60:61], v[60:61], v[70:71], v[64:65]
	ds_load_2addr_b64 v[64:67], v1 offset0:53 offset1:54
	s_waitcnt lgkmcnt(0)
	v_fma_f64 v[1:2], v[62:63], v[64:65], v[60:61]
	s_waitcnt vmcnt(0)
	v_fma_f64 v[1:2], v[82:83], v[66:67], v[1:2]
	s_delay_alu instid0(VALU_DEP_1)
	v_add_f64 v[1:2], v[58:59], -v[1:2]
	scratch_store_b64 off, v[1:2], off offset:96
	v_cmpx_lt_u32_e32 11, v0
	s_cbranch_execz .LBB90_149
; %bb.148:
	scratch_load_b64 v[1:2], off, off offset:88
	v_mov_b32_e32 v58, 0
	s_delay_alu instid0(VALU_DEP_1)
	v_mov_b32_e32 v59, v58
	scratch_store_b64 off, v[58:59], off offset:88
	s_waitcnt vmcnt(0)
	ds_store_b64 v3, v[1:2]
.LBB90_149:
	s_or_b32 exec_lo, exec_lo, s0
	s_waitcnt lgkmcnt(0)
	s_waitcnt_vscnt null, 0x0
	s_barrier
	buffer_gl0_inv
	s_clause 0x4
	scratch_load_b128 v[58:61], off, off offset:88
	scratch_load_b128 v[62:65], off, off offset:104
	scratch_load_b128 v[66:69], off, off offset:120
	scratch_load_b128 v[70:73], off, off offset:136
	scratch_load_b128 v[74:77], off, off offset:152
	v_mov_b32_e32 v1, 0
	ds_load_b128 v[78:81], v1 offset:320
	ds_load_b128 v[82:85], v1 offset:336
	scratch_load_b128 v[86:89], off, off offset:168
	s_mov_b32 s0, exec_lo
	s_waitcnt vmcnt(5) lgkmcnt(1)
	v_fma_f64 v[60:61], v[60:61], v[78:79], 0
	s_waitcnt vmcnt(4)
	s_delay_alu instid0(VALU_DEP_1) | instskip(SKIP_1) | instid1(VALU_DEP_1)
	v_fma_f64 v[60:61], v[62:63], v[80:81], v[60:61]
	s_waitcnt lgkmcnt(0)
	v_fma_f64 v[64:65], v[64:65], v[82:83], v[60:61]
	scratch_load_b128 v[60:63], off, off offset:184
	s_waitcnt vmcnt(4)
	v_fma_f64 v[82:83], v[66:67], v[84:85], v[64:65]
	ds_load_b128 v[64:67], v1 offset:352
	ds_load_b128 v[78:81], v1 offset:368
	s_waitcnt lgkmcnt(1)
	v_fma_f64 v[64:65], v[68:69], v[64:65], v[82:83]
	scratch_load_b128 v[82:85], off, off offset:200
	s_waitcnt vmcnt(4)
	v_fma_f64 v[64:65], v[70:71], v[66:67], v[64:65]
	s_waitcnt lgkmcnt(0)
	s_delay_alu instid0(VALU_DEP_1) | instskip(SKIP_1) | instid1(VALU_DEP_1)
	v_fma_f64 v[64:65], v[72:73], v[78:79], v[64:65]
	s_waitcnt vmcnt(3)
	v_fma_f64 v[72:73], v[74:75], v[80:81], v[64:65]
	ds_load_b128 v[64:67], v1 offset:384
	ds_load_b128 v[68:71], v1 offset:400
	s_waitcnt lgkmcnt(1)
	v_fma_f64 v[64:65], v[76:77], v[64:65], v[72:73]
	s_waitcnt vmcnt(2)
	s_delay_alu instid0(VALU_DEP_1) | instskip(SKIP_1) | instid1(VALU_DEP_1)
	v_fma_f64 v[64:65], v[86:87], v[66:67], v[64:65]
	s_waitcnt lgkmcnt(0)
	v_fma_f64 v[64:65], v[88:89], v[68:69], v[64:65]
	s_waitcnt vmcnt(1)
	s_delay_alu instid0(VALU_DEP_1)
	v_fma_f64 v[60:61], v[60:61], v[70:71], v[64:65]
	ds_load_b128 v[64:67], v1 offset:416
	ds_load_b64 v[68:69], v1 offset:432
	s_waitcnt lgkmcnt(1)
	v_fma_f64 v[60:61], v[62:63], v[64:65], v[60:61]
	s_waitcnt vmcnt(0)
	s_delay_alu instid0(VALU_DEP_1) | instskip(SKIP_1) | instid1(VALU_DEP_1)
	v_fma_f64 v[60:61], v[82:83], v[66:67], v[60:61]
	s_waitcnt lgkmcnt(0)
	v_fma_f64 v[60:61], v[84:85], v[68:69], v[60:61]
	s_delay_alu instid0(VALU_DEP_1)
	v_add_f64 v[58:59], v[58:59], -v[60:61]
	scratch_store_b64 off, v[58:59], off offset:88
	v_cmpx_lt_u32_e32 10, v0
	s_cbranch_execz .LBB90_151
; %bb.150:
	scratch_load_b64 v[58:59], off, off offset:80
	v_mov_b32_e32 v2, v1
	scratch_store_b64 off, v[1:2], off offset:80
	s_waitcnt vmcnt(0)
	ds_store_b64 v3, v[58:59]
.LBB90_151:
	s_or_b32 exec_lo, exec_lo, s0
	s_waitcnt lgkmcnt(0)
	s_waitcnt_vscnt null, 0x0
	s_barrier
	buffer_gl0_inv
	s_clause 0x4
	scratch_load_b128 v[58:61], off, off offset:80
	scratch_load_b128 v[62:65], off, off offset:96
	;; [unrolled: 1-line block ×5, first 2 shown]
	ds_load_2addr_b64 v[78:81], v1 offset0:39 offset1:40
	ds_load_2addr_b64 v[82:85], v1 offset0:41 offset1:42
	scratch_load_b128 v[86:89], off, off offset:160
	s_mov_b32 s0, exec_lo
	s_waitcnt vmcnt(5) lgkmcnt(1)
	v_fma_f64 v[60:61], v[60:61], v[78:79], 0
	s_waitcnt vmcnt(4)
	s_delay_alu instid0(VALU_DEP_1) | instskip(SKIP_1) | instid1(VALU_DEP_1)
	v_fma_f64 v[60:61], v[62:63], v[80:81], v[60:61]
	s_waitcnt lgkmcnt(0)
	v_fma_f64 v[64:65], v[64:65], v[82:83], v[60:61]
	scratch_load_b128 v[60:63], off, off offset:176
	s_waitcnt vmcnt(4)
	v_fma_f64 v[82:83], v[66:67], v[84:85], v[64:65]
	ds_load_2addr_b64 v[64:67], v1 offset0:43 offset1:44
	ds_load_2addr_b64 v[78:81], v1 offset0:45 offset1:46
	s_waitcnt lgkmcnt(1)
	v_fma_f64 v[64:65], v[68:69], v[64:65], v[82:83]
	scratch_load_b128 v[82:85], off, off offset:192
	s_waitcnt vmcnt(4)
	v_fma_f64 v[64:65], v[70:71], v[66:67], v[64:65]
	s_waitcnt lgkmcnt(0)
	s_delay_alu instid0(VALU_DEP_1)
	v_fma_f64 v[64:65], v[72:73], v[78:79], v[64:65]
	scratch_load_b64 v[72:73], off, off offset:208
	s_waitcnt vmcnt(4)
	v_fma_f64 v[74:75], v[74:75], v[80:81], v[64:65]
	ds_load_2addr_b64 v[64:67], v1 offset0:47 offset1:48
	ds_load_2addr_b64 v[68:71], v1 offset0:49 offset1:50
	s_waitcnt lgkmcnt(1)
	v_fma_f64 v[64:65], v[76:77], v[64:65], v[74:75]
	s_waitcnt vmcnt(3)
	s_delay_alu instid0(VALU_DEP_1) | instskip(SKIP_1) | instid1(VALU_DEP_1)
	v_fma_f64 v[64:65], v[86:87], v[66:67], v[64:65]
	s_waitcnt lgkmcnt(0)
	v_fma_f64 v[64:65], v[88:89], v[68:69], v[64:65]
	s_waitcnt vmcnt(2)
	s_delay_alu instid0(VALU_DEP_1)
	v_fma_f64 v[60:61], v[60:61], v[70:71], v[64:65]
	ds_load_2addr_b64 v[64:67], v1 offset0:51 offset1:52
	ds_load_2addr_b64 v[68:71], v1 offset0:53 offset1:54
	s_waitcnt lgkmcnt(1)
	v_fma_f64 v[1:2], v[62:63], v[64:65], v[60:61]
	s_waitcnt vmcnt(1)
	s_delay_alu instid0(VALU_DEP_1) | instskip(SKIP_1) | instid1(VALU_DEP_1)
	v_fma_f64 v[1:2], v[82:83], v[66:67], v[1:2]
	s_waitcnt lgkmcnt(0)
	v_fma_f64 v[1:2], v[84:85], v[68:69], v[1:2]
	s_waitcnt vmcnt(0)
	s_delay_alu instid0(VALU_DEP_1) | instskip(NEXT) | instid1(VALU_DEP_1)
	v_fma_f64 v[1:2], v[72:73], v[70:71], v[1:2]
	v_add_f64 v[1:2], v[58:59], -v[1:2]
	scratch_store_b64 off, v[1:2], off offset:80
	v_cmpx_lt_u32_e32 9, v0
	s_cbranch_execz .LBB90_153
; %bb.152:
	scratch_load_b64 v[1:2], off, off offset:72
	v_mov_b32_e32 v58, 0
	s_delay_alu instid0(VALU_DEP_1)
	v_mov_b32_e32 v59, v58
	scratch_store_b64 off, v[58:59], off offset:72
	s_waitcnt vmcnt(0)
	ds_store_b64 v3, v[1:2]
.LBB90_153:
	s_or_b32 exec_lo, exec_lo, s0
	s_waitcnt lgkmcnt(0)
	s_waitcnt_vscnt null, 0x0
	s_barrier
	buffer_gl0_inv
	s_clause 0x4
	scratch_load_b128 v[58:61], off, off offset:72
	scratch_load_b128 v[62:65], off, off offset:88
	;; [unrolled: 1-line block ×5, first 2 shown]
	v_mov_b32_e32 v1, 0
	ds_load_b128 v[78:81], v1 offset:304
	ds_load_b128 v[82:85], v1 offset:320
	scratch_load_b128 v[86:89], off, off offset:152
	s_mov_b32 s0, exec_lo
	s_waitcnt vmcnt(5) lgkmcnt(1)
	v_fma_f64 v[60:61], v[60:61], v[78:79], 0
	s_waitcnt vmcnt(4)
	s_delay_alu instid0(VALU_DEP_1) | instskip(SKIP_1) | instid1(VALU_DEP_1)
	v_fma_f64 v[60:61], v[62:63], v[80:81], v[60:61]
	s_waitcnt lgkmcnt(0)
	v_fma_f64 v[64:65], v[64:65], v[82:83], v[60:61]
	scratch_load_b128 v[60:63], off, off offset:168
	s_waitcnt vmcnt(4)
	v_fma_f64 v[82:83], v[66:67], v[84:85], v[64:65]
	ds_load_b128 v[64:67], v1 offset:336
	ds_load_b128 v[78:81], v1 offset:352
	s_waitcnt lgkmcnt(1)
	v_fma_f64 v[64:65], v[68:69], v[64:65], v[82:83]
	scratch_load_b128 v[82:85], off, off offset:184
	s_waitcnt vmcnt(4)
	v_fma_f64 v[64:65], v[70:71], v[66:67], v[64:65]
	s_waitcnt lgkmcnt(0)
	s_delay_alu instid0(VALU_DEP_1)
	v_fma_f64 v[68:69], v[72:73], v[78:79], v[64:65]
	scratch_load_b128 v[64:67], off, off offset:200
	s_waitcnt vmcnt(4)
	v_fma_f64 v[78:79], v[74:75], v[80:81], v[68:69]
	ds_load_b128 v[68:71], v1 offset:368
	ds_load_b128 v[72:75], v1 offset:384
	s_waitcnt lgkmcnt(1)
	v_fma_f64 v[68:69], v[76:77], v[68:69], v[78:79]
	s_waitcnt vmcnt(3)
	s_delay_alu instid0(VALU_DEP_1) | instskip(SKIP_1) | instid1(VALU_DEP_1)
	v_fma_f64 v[68:69], v[86:87], v[70:71], v[68:69]
	s_waitcnt lgkmcnt(0)
	v_fma_f64 v[68:69], v[88:89], v[72:73], v[68:69]
	s_waitcnt vmcnt(2)
	s_delay_alu instid0(VALU_DEP_1)
	v_fma_f64 v[60:61], v[60:61], v[74:75], v[68:69]
	ds_load_b128 v[68:71], v1 offset:400
	ds_load_b128 v[72:75], v1 offset:416
	s_waitcnt lgkmcnt(1)
	v_fma_f64 v[60:61], v[62:63], v[68:69], v[60:61]
	ds_load_b64 v[62:63], v1 offset:432
	s_waitcnt vmcnt(1)
	v_fma_f64 v[60:61], v[82:83], v[70:71], v[60:61]
	s_waitcnt lgkmcnt(1)
	s_delay_alu instid0(VALU_DEP_1) | instskip(SKIP_1) | instid1(VALU_DEP_1)
	v_fma_f64 v[60:61], v[84:85], v[72:73], v[60:61]
	s_waitcnt vmcnt(0)
	v_fma_f64 v[60:61], v[64:65], v[74:75], v[60:61]
	s_waitcnt lgkmcnt(0)
	s_delay_alu instid0(VALU_DEP_1) | instskip(NEXT) | instid1(VALU_DEP_1)
	v_fma_f64 v[60:61], v[66:67], v[62:63], v[60:61]
	v_add_f64 v[58:59], v[58:59], -v[60:61]
	scratch_store_b64 off, v[58:59], off offset:72
	v_cmpx_lt_u32_e32 8, v0
	s_cbranch_execz .LBB90_155
; %bb.154:
	scratch_load_b64 v[58:59], off, off offset:64
	v_mov_b32_e32 v2, v1
	scratch_store_b64 off, v[1:2], off offset:64
	s_waitcnt vmcnt(0)
	ds_store_b64 v3, v[58:59]
.LBB90_155:
	s_or_b32 exec_lo, exec_lo, s0
	s_waitcnt lgkmcnt(0)
	s_waitcnt_vscnt null, 0x0
	s_barrier
	buffer_gl0_inv
	s_clause 0x4
	scratch_load_b128 v[58:61], off, off offset:64
	scratch_load_b128 v[62:65], off, off offset:80
	;; [unrolled: 1-line block ×5, first 2 shown]
	ds_load_2addr_b64 v[78:81], v1 offset0:37 offset1:38
	ds_load_2addr_b64 v[82:85], v1 offset0:39 offset1:40
	scratch_load_b128 v[86:89], off, off offset:144
	s_mov_b32 s0, exec_lo
	s_waitcnt vmcnt(5) lgkmcnt(1)
	v_fma_f64 v[60:61], v[60:61], v[78:79], 0
	s_waitcnt vmcnt(4)
	s_delay_alu instid0(VALU_DEP_1) | instskip(SKIP_1) | instid1(VALU_DEP_1)
	v_fma_f64 v[60:61], v[62:63], v[80:81], v[60:61]
	s_waitcnt lgkmcnt(0)
	v_fma_f64 v[64:65], v[64:65], v[82:83], v[60:61]
	scratch_load_b128 v[60:63], off, off offset:160
	s_waitcnt vmcnt(4)
	v_fma_f64 v[82:83], v[66:67], v[84:85], v[64:65]
	ds_load_2addr_b64 v[64:67], v1 offset0:41 offset1:42
	ds_load_2addr_b64 v[78:81], v1 offset0:43 offset1:44
	s_waitcnt lgkmcnt(1)
	v_fma_f64 v[64:65], v[68:69], v[64:65], v[82:83]
	scratch_load_b128 v[82:85], off, off offset:176
	s_waitcnt vmcnt(4)
	v_fma_f64 v[64:65], v[70:71], v[66:67], v[64:65]
	s_waitcnt lgkmcnt(0)
	s_delay_alu instid0(VALU_DEP_1)
	v_fma_f64 v[68:69], v[72:73], v[78:79], v[64:65]
	scratch_load_b128 v[64:67], off, off offset:192
	s_waitcnt vmcnt(4)
	v_fma_f64 v[78:79], v[74:75], v[80:81], v[68:69]
	ds_load_2addr_b64 v[68:71], v1 offset0:45 offset1:46
	ds_load_2addr_b64 v[72:75], v1 offset0:47 offset1:48
	s_waitcnt lgkmcnt(1)
	v_fma_f64 v[68:69], v[76:77], v[68:69], v[78:79]
	scratch_load_b64 v[76:77], off, off offset:208
	s_waitcnt vmcnt(4)
	v_fma_f64 v[68:69], v[86:87], v[70:71], v[68:69]
	s_waitcnt lgkmcnt(0)
	s_delay_alu instid0(VALU_DEP_1) | instskip(SKIP_1) | instid1(VALU_DEP_1)
	v_fma_f64 v[68:69], v[88:89], v[72:73], v[68:69]
	s_waitcnt vmcnt(3)
	v_fma_f64 v[60:61], v[60:61], v[74:75], v[68:69]
	ds_load_2addr_b64 v[68:71], v1 offset0:49 offset1:50
	ds_load_2addr_b64 v[72:75], v1 offset0:51 offset1:52
	s_waitcnt lgkmcnt(1)
	v_fma_f64 v[60:61], v[62:63], v[68:69], v[60:61]
	s_waitcnt vmcnt(2)
	s_delay_alu instid0(VALU_DEP_1) | instskip(SKIP_1) | instid1(VALU_DEP_1)
	v_fma_f64 v[60:61], v[82:83], v[70:71], v[60:61]
	s_waitcnt lgkmcnt(0)
	v_fma_f64 v[60:61], v[84:85], v[72:73], v[60:61]
	s_waitcnt vmcnt(1)
	s_delay_alu instid0(VALU_DEP_1) | instskip(SKIP_4) | instid1(VALU_DEP_1)
	v_fma_f64 v[64:65], v[64:65], v[74:75], v[60:61]
	ds_load_2addr_b64 v[60:63], v1 offset0:53 offset1:54
	s_waitcnt lgkmcnt(0)
	v_fma_f64 v[1:2], v[66:67], v[60:61], v[64:65]
	s_waitcnt vmcnt(0)
	v_fma_f64 v[1:2], v[76:77], v[62:63], v[1:2]
	s_delay_alu instid0(VALU_DEP_1)
	v_add_f64 v[1:2], v[58:59], -v[1:2]
	scratch_store_b64 off, v[1:2], off offset:64
	v_cmpx_lt_u32_e32 7, v0
	s_cbranch_execz .LBB90_157
; %bb.156:
	scratch_load_b64 v[1:2], off, off offset:56
	v_mov_b32_e32 v58, 0
	s_delay_alu instid0(VALU_DEP_1)
	v_mov_b32_e32 v59, v58
	scratch_store_b64 off, v[58:59], off offset:56
	s_waitcnt vmcnt(0)
	ds_store_b64 v3, v[1:2]
.LBB90_157:
	s_or_b32 exec_lo, exec_lo, s0
	s_waitcnt lgkmcnt(0)
	s_waitcnt_vscnt null, 0x0
	s_barrier
	buffer_gl0_inv
	s_clause 0x4
	scratch_load_b128 v[58:61], off, off offset:56
	scratch_load_b128 v[62:65], off, off offset:72
	;; [unrolled: 1-line block ×5, first 2 shown]
	v_mov_b32_e32 v1, 0
	ds_load_b128 v[78:81], v1 offset:288
	ds_load_b128 v[82:85], v1 offset:304
	scratch_load_b128 v[86:89], off, off offset:136
	s_mov_b32 s0, exec_lo
	s_waitcnt vmcnt(5) lgkmcnt(1)
	v_fma_f64 v[60:61], v[60:61], v[78:79], 0
	s_waitcnt vmcnt(4)
	s_delay_alu instid0(VALU_DEP_1) | instskip(SKIP_1) | instid1(VALU_DEP_1)
	v_fma_f64 v[60:61], v[62:63], v[80:81], v[60:61]
	s_waitcnt lgkmcnt(0)
	v_fma_f64 v[64:65], v[64:65], v[82:83], v[60:61]
	scratch_load_b128 v[60:63], off, off offset:152
	s_waitcnt vmcnt(4)
	v_fma_f64 v[82:83], v[66:67], v[84:85], v[64:65]
	ds_load_b128 v[64:67], v1 offset:320
	ds_load_b128 v[78:81], v1 offset:336
	s_waitcnt lgkmcnt(1)
	v_fma_f64 v[64:65], v[68:69], v[64:65], v[82:83]
	scratch_load_b128 v[82:85], off, off offset:168
	s_waitcnt vmcnt(4)
	v_fma_f64 v[64:65], v[70:71], v[66:67], v[64:65]
	s_waitcnt lgkmcnt(0)
	s_delay_alu instid0(VALU_DEP_1)
	v_fma_f64 v[68:69], v[72:73], v[78:79], v[64:65]
	scratch_load_b128 v[64:67], off, off offset:184
	s_waitcnt vmcnt(4)
	v_fma_f64 v[78:79], v[74:75], v[80:81], v[68:69]
	ds_load_b128 v[68:71], v1 offset:352
	ds_load_b128 v[72:75], v1 offset:368
	s_waitcnt lgkmcnt(1)
	v_fma_f64 v[68:69], v[76:77], v[68:69], v[78:79]
	scratch_load_b128 v[76:79], off, off offset:200
	s_waitcnt vmcnt(4)
	v_fma_f64 v[68:69], v[86:87], v[70:71], v[68:69]
	s_waitcnt lgkmcnt(0)
	s_delay_alu instid0(VALU_DEP_1) | instskip(SKIP_1) | instid1(VALU_DEP_1)
	v_fma_f64 v[68:69], v[88:89], v[72:73], v[68:69]
	s_waitcnt vmcnt(3)
	v_fma_f64 v[60:61], v[60:61], v[74:75], v[68:69]
	ds_load_b128 v[68:71], v1 offset:384
	ds_load_b128 v[72:75], v1 offset:400
	s_waitcnt lgkmcnt(1)
	v_fma_f64 v[60:61], v[62:63], v[68:69], v[60:61]
	s_waitcnt vmcnt(2)
	s_delay_alu instid0(VALU_DEP_1) | instskip(SKIP_1) | instid1(VALU_DEP_1)
	v_fma_f64 v[60:61], v[82:83], v[70:71], v[60:61]
	s_waitcnt lgkmcnt(0)
	v_fma_f64 v[60:61], v[84:85], v[72:73], v[60:61]
	s_waitcnt vmcnt(1)
	s_delay_alu instid0(VALU_DEP_1)
	v_fma_f64 v[64:65], v[64:65], v[74:75], v[60:61]
	ds_load_b128 v[60:63], v1 offset:416
	ds_load_b64 v[68:69], v1 offset:432
	s_waitcnt lgkmcnt(1)
	v_fma_f64 v[60:61], v[66:67], v[60:61], v[64:65]
	s_waitcnt vmcnt(0)
	s_delay_alu instid0(VALU_DEP_1) | instskip(SKIP_1) | instid1(VALU_DEP_1)
	v_fma_f64 v[60:61], v[76:77], v[62:63], v[60:61]
	s_waitcnt lgkmcnt(0)
	v_fma_f64 v[60:61], v[78:79], v[68:69], v[60:61]
	s_delay_alu instid0(VALU_DEP_1)
	v_add_f64 v[58:59], v[58:59], -v[60:61]
	scratch_store_b64 off, v[58:59], off offset:56
	v_cmpx_lt_u32_e32 6, v0
	s_cbranch_execz .LBB90_159
; %bb.158:
	scratch_load_b64 v[58:59], off, off offset:48
	v_mov_b32_e32 v2, v1
	scratch_store_b64 off, v[1:2], off offset:48
	s_waitcnt vmcnt(0)
	ds_store_b64 v3, v[58:59]
.LBB90_159:
	s_or_b32 exec_lo, exec_lo, s0
	s_waitcnt lgkmcnt(0)
	s_waitcnt_vscnt null, 0x0
	s_barrier
	buffer_gl0_inv
	s_clause 0x4
	scratch_load_b128 v[58:61], off, off offset:48
	scratch_load_b128 v[62:65], off, off offset:64
	;; [unrolled: 1-line block ×5, first 2 shown]
	ds_load_2addr_b64 v[78:81], v1 offset0:35 offset1:36
	ds_load_2addr_b64 v[82:85], v1 offset0:37 offset1:38
	scratch_load_b128 v[86:89], off, off offset:128
	s_mov_b32 s0, exec_lo
	s_waitcnt vmcnt(5) lgkmcnt(1)
	v_fma_f64 v[60:61], v[60:61], v[78:79], 0
	s_waitcnt vmcnt(4)
	s_delay_alu instid0(VALU_DEP_1) | instskip(SKIP_1) | instid1(VALU_DEP_1)
	v_fma_f64 v[60:61], v[62:63], v[80:81], v[60:61]
	s_waitcnt lgkmcnt(0)
	v_fma_f64 v[64:65], v[64:65], v[82:83], v[60:61]
	scratch_load_b128 v[60:63], off, off offset:144
	s_waitcnt vmcnt(4)
	v_fma_f64 v[82:83], v[66:67], v[84:85], v[64:65]
	ds_load_2addr_b64 v[64:67], v1 offset0:39 offset1:40
	ds_load_2addr_b64 v[78:81], v1 offset0:41 offset1:42
	s_waitcnt lgkmcnt(1)
	v_fma_f64 v[64:65], v[68:69], v[64:65], v[82:83]
	scratch_load_b128 v[82:85], off, off offset:160
	s_waitcnt vmcnt(4)
	v_fma_f64 v[64:65], v[70:71], v[66:67], v[64:65]
	s_waitcnt lgkmcnt(0)
	s_delay_alu instid0(VALU_DEP_1)
	v_fma_f64 v[68:69], v[72:73], v[78:79], v[64:65]
	scratch_load_b128 v[64:67], off, off offset:176
	s_waitcnt vmcnt(4)
	v_fma_f64 v[78:79], v[74:75], v[80:81], v[68:69]
	ds_load_2addr_b64 v[68:71], v1 offset0:43 offset1:44
	ds_load_2addr_b64 v[72:75], v1 offset0:45 offset1:46
	scratch_load_b64 v[80:81], off, off offset:208
	s_waitcnt lgkmcnt(1)
	v_fma_f64 v[68:69], v[76:77], v[68:69], v[78:79]
	scratch_load_b128 v[76:79], off, off offset:192
	s_waitcnt vmcnt(5)
	v_fma_f64 v[68:69], v[86:87], v[70:71], v[68:69]
	s_waitcnt lgkmcnt(0)
	s_delay_alu instid0(VALU_DEP_1) | instskip(SKIP_1) | instid1(VALU_DEP_1)
	v_fma_f64 v[68:69], v[88:89], v[72:73], v[68:69]
	s_waitcnt vmcnt(4)
	v_fma_f64 v[60:61], v[60:61], v[74:75], v[68:69]
	ds_load_2addr_b64 v[68:71], v1 offset0:47 offset1:48
	ds_load_2addr_b64 v[72:75], v1 offset0:49 offset1:50
	s_waitcnt lgkmcnt(1)
	v_fma_f64 v[60:61], v[62:63], v[68:69], v[60:61]
	s_waitcnt vmcnt(3)
	s_delay_alu instid0(VALU_DEP_1) | instskip(SKIP_1) | instid1(VALU_DEP_1)
	v_fma_f64 v[60:61], v[82:83], v[70:71], v[60:61]
	s_waitcnt lgkmcnt(0)
	v_fma_f64 v[60:61], v[84:85], v[72:73], v[60:61]
	s_waitcnt vmcnt(2)
	s_delay_alu instid0(VALU_DEP_1)
	v_fma_f64 v[64:65], v[64:65], v[74:75], v[60:61]
	ds_load_2addr_b64 v[60:63], v1 offset0:51 offset1:52
	ds_load_2addr_b64 v[68:71], v1 offset0:53 offset1:54
	s_waitcnt lgkmcnt(1)
	v_fma_f64 v[1:2], v[66:67], v[60:61], v[64:65]
	s_waitcnt vmcnt(0)
	s_delay_alu instid0(VALU_DEP_1) | instskip(SKIP_1) | instid1(VALU_DEP_1)
	v_fma_f64 v[1:2], v[76:77], v[62:63], v[1:2]
	s_waitcnt lgkmcnt(0)
	v_fma_f64 v[1:2], v[78:79], v[68:69], v[1:2]
	s_delay_alu instid0(VALU_DEP_1) | instskip(NEXT) | instid1(VALU_DEP_1)
	v_fma_f64 v[1:2], v[80:81], v[70:71], v[1:2]
	v_add_f64 v[1:2], v[58:59], -v[1:2]
	scratch_store_b64 off, v[1:2], off offset:48
	v_cmpx_lt_u32_e32 5, v0
	s_cbranch_execz .LBB90_161
; %bb.160:
	scratch_load_b64 v[1:2], off, off offset:40
	v_mov_b32_e32 v58, 0
	s_delay_alu instid0(VALU_DEP_1)
	v_mov_b32_e32 v59, v58
	scratch_store_b64 off, v[58:59], off offset:40
	s_waitcnt vmcnt(0)
	ds_store_b64 v3, v[1:2]
.LBB90_161:
	s_or_b32 exec_lo, exec_lo, s0
	s_waitcnt lgkmcnt(0)
	s_waitcnt_vscnt null, 0x0
	s_barrier
	buffer_gl0_inv
	s_clause 0x4
	scratch_load_b128 v[58:61], off, off offset:40
	scratch_load_b128 v[62:65], off, off offset:56
	;; [unrolled: 1-line block ×5, first 2 shown]
	v_mov_b32_e32 v1, 0
	ds_load_b128 v[78:81], v1 offset:272
	ds_load_b128 v[82:85], v1 offset:288
	scratch_load_b128 v[86:89], off, off offset:120
	s_mov_b32 s0, exec_lo
	s_waitcnt vmcnt(5) lgkmcnt(1)
	v_fma_f64 v[60:61], v[60:61], v[78:79], 0
	s_waitcnt vmcnt(4)
	s_delay_alu instid0(VALU_DEP_1) | instskip(SKIP_1) | instid1(VALU_DEP_1)
	v_fma_f64 v[60:61], v[62:63], v[80:81], v[60:61]
	s_waitcnt lgkmcnt(0)
	v_fma_f64 v[64:65], v[64:65], v[82:83], v[60:61]
	scratch_load_b128 v[60:63], off, off offset:136
	s_waitcnt vmcnt(4)
	v_fma_f64 v[82:83], v[66:67], v[84:85], v[64:65]
	ds_load_b128 v[64:67], v1 offset:304
	ds_load_b128 v[78:81], v1 offset:320
	s_waitcnt lgkmcnt(1)
	v_fma_f64 v[64:65], v[68:69], v[64:65], v[82:83]
	scratch_load_b128 v[82:85], off, off offset:152
	s_waitcnt vmcnt(4)
	v_fma_f64 v[64:65], v[70:71], v[66:67], v[64:65]
	s_waitcnt lgkmcnt(0)
	s_delay_alu instid0(VALU_DEP_1)
	v_fma_f64 v[68:69], v[72:73], v[78:79], v[64:65]
	scratch_load_b128 v[64:67], off, off offset:168
	s_waitcnt vmcnt(4)
	v_fma_f64 v[78:79], v[74:75], v[80:81], v[68:69]
	ds_load_b128 v[68:71], v1 offset:336
	ds_load_b128 v[72:75], v1 offset:352
	s_waitcnt lgkmcnt(1)
	v_fma_f64 v[68:69], v[76:77], v[68:69], v[78:79]
	scratch_load_b128 v[76:79], off, off offset:184
	s_waitcnt vmcnt(4)
	v_fma_f64 v[68:69], v[86:87], v[70:71], v[68:69]
	s_waitcnt lgkmcnt(0)
	s_delay_alu instid0(VALU_DEP_1)
	v_fma_f64 v[72:73], v[88:89], v[72:73], v[68:69]
	scratch_load_b128 v[68:71], off, off offset:200
	s_waitcnt vmcnt(4)
	v_fma_f64 v[60:61], v[60:61], v[74:75], v[72:73]
	ds_load_b128 v[72:75], v1 offset:368
	ds_load_b128 v[86:89], v1 offset:384
	s_waitcnt lgkmcnt(1)
	v_fma_f64 v[60:61], v[62:63], v[72:73], v[60:61]
	s_waitcnt vmcnt(3)
	s_delay_alu instid0(VALU_DEP_1) | instskip(SKIP_1) | instid1(VALU_DEP_1)
	v_fma_f64 v[60:61], v[82:83], v[74:75], v[60:61]
	s_waitcnt lgkmcnt(0)
	v_fma_f64 v[60:61], v[84:85], v[86:87], v[60:61]
	s_waitcnt vmcnt(2)
	s_delay_alu instid0(VALU_DEP_1)
	v_fma_f64 v[64:65], v[64:65], v[88:89], v[60:61]
	ds_load_b128 v[60:63], v1 offset:400
	ds_load_b128 v[72:75], v1 offset:416
	s_waitcnt lgkmcnt(1)
	v_fma_f64 v[60:61], v[66:67], v[60:61], v[64:65]
	s_waitcnt vmcnt(1)
	s_delay_alu instid0(VALU_DEP_1) | instskip(SKIP_4) | instid1(VALU_DEP_1)
	v_fma_f64 v[60:61], v[76:77], v[62:63], v[60:61]
	ds_load_b64 v[62:63], v1 offset:432
	s_waitcnt lgkmcnt(1)
	v_fma_f64 v[60:61], v[78:79], v[72:73], v[60:61]
	s_waitcnt vmcnt(0)
	v_fma_f64 v[60:61], v[68:69], v[74:75], v[60:61]
	s_waitcnt lgkmcnt(0)
	s_delay_alu instid0(VALU_DEP_1) | instskip(NEXT) | instid1(VALU_DEP_1)
	v_fma_f64 v[60:61], v[70:71], v[62:63], v[60:61]
	v_add_f64 v[58:59], v[58:59], -v[60:61]
	scratch_store_b64 off, v[58:59], off offset:40
	v_cmpx_lt_u32_e32 4, v0
	s_cbranch_execz .LBB90_163
; %bb.162:
	scratch_load_b64 v[58:59], off, off offset:32
	v_mov_b32_e32 v2, v1
	scratch_store_b64 off, v[1:2], off offset:32
	s_waitcnt vmcnt(0)
	ds_store_b64 v3, v[58:59]
.LBB90_163:
	s_or_b32 exec_lo, exec_lo, s0
	s_waitcnt lgkmcnt(0)
	s_waitcnt_vscnt null, 0x0
	s_barrier
	buffer_gl0_inv
	s_clause 0x4
	scratch_load_b128 v[58:61], off, off offset:32
	scratch_load_b128 v[62:65], off, off offset:48
	;; [unrolled: 1-line block ×5, first 2 shown]
	ds_load_2addr_b64 v[78:81], v1 offset0:33 offset1:34
	ds_load_2addr_b64 v[82:85], v1 offset0:35 offset1:36
	scratch_load_b128 v[86:89], off, off offset:112
	s_mov_b32 s0, exec_lo
	s_waitcnt vmcnt(5) lgkmcnt(1)
	v_fma_f64 v[60:61], v[60:61], v[78:79], 0
	s_waitcnt vmcnt(4)
	s_delay_alu instid0(VALU_DEP_1) | instskip(SKIP_1) | instid1(VALU_DEP_1)
	v_fma_f64 v[60:61], v[62:63], v[80:81], v[60:61]
	s_waitcnt lgkmcnt(0)
	v_fma_f64 v[64:65], v[64:65], v[82:83], v[60:61]
	scratch_load_b128 v[60:63], off, off offset:128
	s_waitcnt vmcnt(4)
	v_fma_f64 v[82:83], v[66:67], v[84:85], v[64:65]
	ds_load_2addr_b64 v[64:67], v1 offset0:37 offset1:38
	ds_load_2addr_b64 v[78:81], v1 offset0:39 offset1:40
	s_waitcnt lgkmcnt(1)
	v_fma_f64 v[64:65], v[68:69], v[64:65], v[82:83]
	scratch_load_b128 v[82:85], off, off offset:144
	s_waitcnt vmcnt(4)
	v_fma_f64 v[64:65], v[70:71], v[66:67], v[64:65]
	s_waitcnt lgkmcnt(0)
	s_delay_alu instid0(VALU_DEP_1)
	v_fma_f64 v[68:69], v[72:73], v[78:79], v[64:65]
	scratch_load_b128 v[64:67], off, off offset:160
	s_waitcnt vmcnt(4)
	v_fma_f64 v[78:79], v[74:75], v[80:81], v[68:69]
	ds_load_2addr_b64 v[68:71], v1 offset0:41 offset1:42
	ds_load_2addr_b64 v[72:75], v1 offset0:43 offset1:44
	s_waitcnt lgkmcnt(1)
	v_fma_f64 v[68:69], v[76:77], v[68:69], v[78:79]
	scratch_load_b128 v[76:79], off, off offset:176
	s_waitcnt vmcnt(4)
	v_fma_f64 v[68:69], v[86:87], v[70:71], v[68:69]
	s_waitcnt lgkmcnt(0)
	s_delay_alu instid0(VALU_DEP_1)
	v_fma_f64 v[72:73], v[88:89], v[72:73], v[68:69]
	scratch_load_b128 v[68:71], off, off offset:192
	s_waitcnt vmcnt(4)
	v_fma_f64 v[60:61], v[60:61], v[74:75], v[72:73]
	ds_load_2addr_b64 v[72:75], v1 offset0:45 offset1:46
	ds_load_2addr_b64 v[86:89], v1 offset0:47 offset1:48
	scratch_load_b64 v[80:81], off, off offset:208
	s_waitcnt lgkmcnt(1)
	v_fma_f64 v[60:61], v[62:63], v[72:73], v[60:61]
	s_waitcnt vmcnt(4)
	s_delay_alu instid0(VALU_DEP_1) | instskip(SKIP_1) | instid1(VALU_DEP_1)
	v_fma_f64 v[60:61], v[82:83], v[74:75], v[60:61]
	s_waitcnt lgkmcnt(0)
	v_fma_f64 v[60:61], v[84:85], v[86:87], v[60:61]
	s_waitcnt vmcnt(3)
	s_delay_alu instid0(VALU_DEP_1)
	v_fma_f64 v[64:65], v[64:65], v[88:89], v[60:61]
	ds_load_2addr_b64 v[60:63], v1 offset0:49 offset1:50
	ds_load_2addr_b64 v[72:75], v1 offset0:51 offset1:52
	s_waitcnt lgkmcnt(1)
	v_fma_f64 v[60:61], v[66:67], v[60:61], v[64:65]
	s_waitcnt vmcnt(2)
	s_delay_alu instid0(VALU_DEP_1) | instskip(SKIP_1) | instid1(VALU_DEP_1)
	v_fma_f64 v[60:61], v[76:77], v[62:63], v[60:61]
	s_waitcnt lgkmcnt(0)
	v_fma_f64 v[60:61], v[78:79], v[72:73], v[60:61]
	s_waitcnt vmcnt(1)
	s_delay_alu instid0(VALU_DEP_1) | instskip(SKIP_4) | instid1(VALU_DEP_1)
	v_fma_f64 v[64:65], v[68:69], v[74:75], v[60:61]
	ds_load_2addr_b64 v[60:63], v1 offset0:53 offset1:54
	s_waitcnt lgkmcnt(0)
	v_fma_f64 v[1:2], v[70:71], v[60:61], v[64:65]
	s_waitcnt vmcnt(0)
	v_fma_f64 v[1:2], v[80:81], v[62:63], v[1:2]
	s_delay_alu instid0(VALU_DEP_1)
	v_add_f64 v[1:2], v[58:59], -v[1:2]
	scratch_store_b64 off, v[1:2], off offset:32
	v_cmpx_lt_u32_e32 3, v0
	s_cbranch_execz .LBB90_165
; %bb.164:
	scratch_load_b64 v[1:2], off, off offset:24
	v_mov_b32_e32 v58, 0
	s_delay_alu instid0(VALU_DEP_1)
	v_mov_b32_e32 v59, v58
	scratch_store_b64 off, v[58:59], off offset:24
	s_waitcnt vmcnt(0)
	ds_store_b64 v3, v[1:2]
.LBB90_165:
	s_or_b32 exec_lo, exec_lo, s0
	s_waitcnt lgkmcnt(0)
	s_waitcnt_vscnt null, 0x0
	s_barrier
	buffer_gl0_inv
	s_clause 0x4
	scratch_load_b128 v[58:61], off, off offset:24
	scratch_load_b128 v[62:65], off, off offset:40
	;; [unrolled: 1-line block ×5, first 2 shown]
	v_mov_b32_e32 v1, 0
	ds_load_b128 v[78:81], v1 offset:256
	ds_load_b128 v[82:85], v1 offset:272
	scratch_load_b128 v[86:89], off, off offset:104
	s_mov_b32 s0, exec_lo
	s_waitcnt vmcnt(5) lgkmcnt(1)
	v_fma_f64 v[60:61], v[60:61], v[78:79], 0
	s_waitcnt vmcnt(4)
	s_delay_alu instid0(VALU_DEP_1) | instskip(SKIP_1) | instid1(VALU_DEP_1)
	v_fma_f64 v[60:61], v[62:63], v[80:81], v[60:61]
	s_waitcnt lgkmcnt(0)
	v_fma_f64 v[64:65], v[64:65], v[82:83], v[60:61]
	scratch_load_b128 v[60:63], off, off offset:120
	s_waitcnt vmcnt(4)
	v_fma_f64 v[82:83], v[66:67], v[84:85], v[64:65]
	ds_load_b128 v[64:67], v1 offset:288
	ds_load_b128 v[78:81], v1 offset:304
	s_waitcnt lgkmcnt(1)
	v_fma_f64 v[64:65], v[68:69], v[64:65], v[82:83]
	scratch_load_b128 v[82:85], off, off offset:136
	s_waitcnt vmcnt(4)
	v_fma_f64 v[64:65], v[70:71], v[66:67], v[64:65]
	s_waitcnt lgkmcnt(0)
	s_delay_alu instid0(VALU_DEP_1)
	v_fma_f64 v[68:69], v[72:73], v[78:79], v[64:65]
	scratch_load_b128 v[64:67], off, off offset:152
	s_waitcnt vmcnt(4)
	v_fma_f64 v[78:79], v[74:75], v[80:81], v[68:69]
	ds_load_b128 v[68:71], v1 offset:320
	ds_load_b128 v[72:75], v1 offset:336
	s_waitcnt lgkmcnt(1)
	v_fma_f64 v[68:69], v[76:77], v[68:69], v[78:79]
	scratch_load_b128 v[76:79], off, off offset:168
	s_waitcnt vmcnt(4)
	v_fma_f64 v[68:69], v[86:87], v[70:71], v[68:69]
	s_waitcnt lgkmcnt(0)
	s_delay_alu instid0(VALU_DEP_1)
	v_fma_f64 v[72:73], v[88:89], v[72:73], v[68:69]
	scratch_load_b128 v[68:71], off, off offset:184
	s_waitcnt vmcnt(4)
	v_fma_f64 v[60:61], v[60:61], v[74:75], v[72:73]
	ds_load_b128 v[72:75], v1 offset:352
	ds_load_b128 v[86:89], v1 offset:368
	s_waitcnt lgkmcnt(1)
	v_fma_f64 v[72:73], v[62:63], v[72:73], v[60:61]
	scratch_load_b128 v[60:63], off, off offset:200
	s_waitcnt vmcnt(4)
	v_fma_f64 v[72:73], v[82:83], v[74:75], v[72:73]
	s_waitcnt lgkmcnt(0)
	s_delay_alu instid0(VALU_DEP_1) | instskip(SKIP_1) | instid1(VALU_DEP_1)
	v_fma_f64 v[72:73], v[84:85], v[86:87], v[72:73]
	s_waitcnt vmcnt(3)
	v_fma_f64 v[64:65], v[64:65], v[88:89], v[72:73]
	ds_load_b128 v[72:75], v1 offset:384
	ds_load_b128 v[80:83], v1 offset:400
	s_waitcnt lgkmcnt(1)
	v_fma_f64 v[64:65], v[66:67], v[72:73], v[64:65]
	s_waitcnt vmcnt(2)
	s_delay_alu instid0(VALU_DEP_1) | instskip(SKIP_1) | instid1(VALU_DEP_1)
	v_fma_f64 v[64:65], v[76:77], v[74:75], v[64:65]
	s_waitcnt lgkmcnt(0)
	v_fma_f64 v[64:65], v[78:79], v[80:81], v[64:65]
	s_waitcnt vmcnt(1)
	s_delay_alu instid0(VALU_DEP_1)
	v_fma_f64 v[68:69], v[68:69], v[82:83], v[64:65]
	ds_load_b128 v[64:67], v1 offset:416
	ds_load_b64 v[72:73], v1 offset:432
	s_waitcnt lgkmcnt(1)
	v_fma_f64 v[64:65], v[70:71], v[64:65], v[68:69]
	s_waitcnt vmcnt(0)
	s_delay_alu instid0(VALU_DEP_1) | instskip(SKIP_1) | instid1(VALU_DEP_1)
	v_fma_f64 v[60:61], v[60:61], v[66:67], v[64:65]
	s_waitcnt lgkmcnt(0)
	v_fma_f64 v[60:61], v[62:63], v[72:73], v[60:61]
	s_delay_alu instid0(VALU_DEP_1)
	v_add_f64 v[58:59], v[58:59], -v[60:61]
	scratch_store_b64 off, v[58:59], off offset:24
	v_cmpx_lt_u32_e32 2, v0
	s_cbranch_execz .LBB90_167
; %bb.166:
	scratch_load_b64 v[58:59], off, off offset:16
	v_mov_b32_e32 v2, v1
	scratch_store_b64 off, v[1:2], off offset:16
	s_waitcnt vmcnt(0)
	ds_store_b64 v3, v[58:59]
.LBB90_167:
	s_or_b32 exec_lo, exec_lo, s0
	s_waitcnt lgkmcnt(0)
	s_waitcnt_vscnt null, 0x0
	s_barrier
	buffer_gl0_inv
	s_clause 0x4
	scratch_load_b128 v[58:61], off, off offset:16
	scratch_load_b128 v[62:65], off, off offset:32
	;; [unrolled: 1-line block ×5, first 2 shown]
	ds_load_2addr_b64 v[78:81], v1 offset0:31 offset1:32
	ds_load_2addr_b64 v[82:85], v1 offset0:33 offset1:34
	scratch_load_b128 v[86:89], off, off offset:96
	s_mov_b32 s0, exec_lo
	s_waitcnt vmcnt(5) lgkmcnt(1)
	v_fma_f64 v[60:61], v[60:61], v[78:79], 0
	s_waitcnt vmcnt(4)
	s_delay_alu instid0(VALU_DEP_1) | instskip(SKIP_1) | instid1(VALU_DEP_1)
	v_fma_f64 v[60:61], v[62:63], v[80:81], v[60:61]
	s_waitcnt lgkmcnt(0)
	v_fma_f64 v[64:65], v[64:65], v[82:83], v[60:61]
	scratch_load_b128 v[60:63], off, off offset:112
	s_waitcnt vmcnt(4)
	v_fma_f64 v[82:83], v[66:67], v[84:85], v[64:65]
	ds_load_2addr_b64 v[64:67], v1 offset0:35 offset1:36
	ds_load_2addr_b64 v[78:81], v1 offset0:37 offset1:38
	s_waitcnt lgkmcnt(1)
	v_fma_f64 v[64:65], v[68:69], v[64:65], v[82:83]
	scratch_load_b128 v[82:85], off, off offset:128
	s_waitcnt vmcnt(4)
	v_fma_f64 v[64:65], v[70:71], v[66:67], v[64:65]
	s_waitcnt lgkmcnt(0)
	s_delay_alu instid0(VALU_DEP_1)
	v_fma_f64 v[68:69], v[72:73], v[78:79], v[64:65]
	scratch_load_b128 v[64:67], off, off offset:144
	s_waitcnt vmcnt(4)
	v_fma_f64 v[78:79], v[74:75], v[80:81], v[68:69]
	ds_load_2addr_b64 v[68:71], v1 offset0:39 offset1:40
	ds_load_2addr_b64 v[72:75], v1 offset0:41 offset1:42
	s_waitcnt lgkmcnt(1)
	v_fma_f64 v[68:69], v[76:77], v[68:69], v[78:79]
	scratch_load_b128 v[76:79], off, off offset:160
	s_waitcnt vmcnt(4)
	v_fma_f64 v[68:69], v[86:87], v[70:71], v[68:69]
	s_waitcnt lgkmcnt(0)
	s_delay_alu instid0(VALU_DEP_1)
	;; [unrolled: 13-line block ×3, first 2 shown]
	v_fma_f64 v[72:73], v[84:85], v[86:87], v[72:73]
	scratch_load_b64 v[84:85], off, off offset:208
	s_waitcnt vmcnt(4)
	v_fma_f64 v[64:65], v[64:65], v[88:89], v[72:73]
	ds_load_2addr_b64 v[72:75], v1 offset0:47 offset1:48
	ds_load_2addr_b64 v[80:83], v1 offset0:49 offset1:50
	s_waitcnt lgkmcnt(1)
	v_fma_f64 v[64:65], v[66:67], v[72:73], v[64:65]
	s_waitcnt vmcnt(3)
	s_delay_alu instid0(VALU_DEP_1) | instskip(SKIP_1) | instid1(VALU_DEP_1)
	v_fma_f64 v[64:65], v[76:77], v[74:75], v[64:65]
	s_waitcnt lgkmcnt(0)
	v_fma_f64 v[64:65], v[78:79], v[80:81], v[64:65]
	s_waitcnt vmcnt(2)
	s_delay_alu instid0(VALU_DEP_1)
	v_fma_f64 v[68:69], v[68:69], v[82:83], v[64:65]
	ds_load_2addr_b64 v[64:67], v1 offset0:51 offset1:52
	ds_load_2addr_b64 v[72:75], v1 offset0:53 offset1:54
	s_waitcnt lgkmcnt(1)
	v_fma_f64 v[1:2], v[70:71], v[64:65], v[68:69]
	s_waitcnt vmcnt(1)
	s_delay_alu instid0(VALU_DEP_1) | instskip(SKIP_1) | instid1(VALU_DEP_1)
	v_fma_f64 v[1:2], v[60:61], v[66:67], v[1:2]
	s_waitcnt lgkmcnt(0)
	v_fma_f64 v[1:2], v[62:63], v[72:73], v[1:2]
	s_waitcnt vmcnt(0)
	s_delay_alu instid0(VALU_DEP_1) | instskip(NEXT) | instid1(VALU_DEP_1)
	v_fma_f64 v[1:2], v[84:85], v[74:75], v[1:2]
	v_add_f64 v[1:2], v[58:59], -v[1:2]
	scratch_store_b64 off, v[1:2], off offset:16
	v_cmpx_lt_u32_e32 1, v0
	s_cbranch_execz .LBB90_169
; %bb.168:
	scratch_load_b64 v[1:2], off, off offset:8
	v_mov_b32_e32 v58, 0
	s_delay_alu instid0(VALU_DEP_1)
	v_mov_b32_e32 v59, v58
	scratch_store_b64 off, v[58:59], off offset:8
	s_waitcnt vmcnt(0)
	ds_store_b64 v3, v[1:2]
.LBB90_169:
	s_or_b32 exec_lo, exec_lo, s0
	s_waitcnt lgkmcnt(0)
	s_waitcnt_vscnt null, 0x0
	s_barrier
	buffer_gl0_inv
	s_clause 0x4
	scratch_load_b128 v[59:62], off, off offset:8
	scratch_load_b128 v[63:66], off, off offset:24
	;; [unrolled: 1-line block ×5, first 2 shown]
	v_mov_b32_e32 v58, 0
	ds_load_b128 v[79:82], v58 offset:240
	ds_load_b128 v[83:86], v58 offset:256
	scratch_load_b128 v[87:90], off, off offset:88
	s_mov_b32 s0, exec_lo
	s_waitcnt vmcnt(5) lgkmcnt(1)
	v_fma_f64 v[1:2], v[61:62], v[79:80], 0
	s_waitcnt vmcnt(4)
	s_delay_alu instid0(VALU_DEP_1) | instskip(SKIP_4) | instid1(VALU_DEP_1)
	v_fma_f64 v[1:2], v[63:64], v[81:82], v[1:2]
	scratch_load_b128 v[61:64], off, off offset:104
	s_waitcnt lgkmcnt(0)
	v_fma_f64 v[1:2], v[65:66], v[83:84], v[1:2]
	s_waitcnt vmcnt(4)
	v_fma_f64 v[1:2], v[67:68], v[85:86], v[1:2]
	ds_load_b128 v[65:68], v58 offset:272
	ds_load_b128 v[79:82], v58 offset:288
	scratch_load_b128 v[83:86], off, off offset:120
	s_waitcnt lgkmcnt(1)
	v_fma_f64 v[1:2], v[69:70], v[65:66], v[1:2]
	s_waitcnt vmcnt(4)
	s_delay_alu instid0(VALU_DEP_1) | instskip(SKIP_4) | instid1(VALU_DEP_1)
	v_fma_f64 v[1:2], v[71:72], v[67:68], v[1:2]
	scratch_load_b128 v[65:68], off, off offset:136
	s_waitcnt lgkmcnt(0)
	v_fma_f64 v[1:2], v[73:74], v[79:80], v[1:2]
	s_waitcnt vmcnt(4)
	v_fma_f64 v[1:2], v[75:76], v[81:82], v[1:2]
	ds_load_b128 v[69:72], v58 offset:304
	ds_load_b128 v[73:76], v58 offset:320
	s_waitcnt lgkmcnt(1)
	v_fma_f64 v[1:2], v[77:78], v[69:70], v[1:2]
	scratch_load_b128 v[77:80], off, off offset:152
	s_waitcnt vmcnt(4)
	v_fma_f64 v[1:2], v[87:88], v[71:72], v[1:2]
	scratch_load_b128 v[69:72], off, off offset:168
	s_waitcnt lgkmcnt(0)
	v_fma_f64 v[1:2], v[89:90], v[73:74], v[1:2]
	s_waitcnt vmcnt(4)
	s_delay_alu instid0(VALU_DEP_1)
	v_fma_f64 v[1:2], v[61:62], v[75:76], v[1:2]
	ds_load_b128 v[73:76], v58 offset:336
	ds_load_b128 v[87:90], v58 offset:352
	s_waitcnt lgkmcnt(1)
	v_fma_f64 v[1:2], v[63:64], v[73:74], v[1:2]
	scratch_load_b128 v[61:64], off, off offset:184
	s_waitcnt vmcnt(4)
	v_fma_f64 v[1:2], v[83:84], v[75:76], v[1:2]
	scratch_load_b128 v[73:76], off, off offset:200
	s_waitcnt lgkmcnt(0)
	v_fma_f64 v[1:2], v[85:86], v[87:88], v[1:2]
	ds_load_b128 v[81:84], v58 offset:368
	ds_load_b128 v[85:88], v58 offset:384
	s_waitcnt vmcnt(4)
	v_fma_f64 v[1:2], v[65:66], v[89:90], v[1:2]
	s_waitcnt lgkmcnt(1)
	s_delay_alu instid0(VALU_DEP_1) | instskip(SKIP_1) | instid1(VALU_DEP_1)
	v_fma_f64 v[1:2], v[67:68], v[81:82], v[1:2]
	s_waitcnt vmcnt(3)
	v_fma_f64 v[1:2], v[77:78], v[83:84], v[1:2]
	s_waitcnt lgkmcnt(0)
	s_delay_alu instid0(VALU_DEP_1)
	v_fma_f64 v[1:2], v[79:80], v[85:86], v[1:2]
	ds_load_b128 v[65:68], v58 offset:400
	ds_load_b128 v[77:80], v58 offset:416
	s_waitcnt vmcnt(2)
	v_fma_f64 v[1:2], v[69:70], v[87:88], v[1:2]
	s_waitcnt lgkmcnt(1)
	s_delay_alu instid0(VALU_DEP_1) | instskip(SKIP_1) | instid1(VALU_DEP_1)
	v_fma_f64 v[1:2], v[71:72], v[65:66], v[1:2]
	s_waitcnt vmcnt(1)
	v_fma_f64 v[1:2], v[61:62], v[67:68], v[1:2]
	ds_load_b64 v[61:62], v58 offset:432
	s_waitcnt lgkmcnt(1)
	v_fma_f64 v[1:2], v[63:64], v[77:78], v[1:2]
	s_waitcnt vmcnt(0)
	s_delay_alu instid0(VALU_DEP_1) | instskip(SKIP_1) | instid1(VALU_DEP_1)
	v_fma_f64 v[1:2], v[73:74], v[79:80], v[1:2]
	s_waitcnt lgkmcnt(0)
	v_fma_f64 v[1:2], v[75:76], v[61:62], v[1:2]
	s_delay_alu instid0(VALU_DEP_1)
	v_add_f64 v[1:2], v[59:60], -v[1:2]
	scratch_store_b64 off, v[1:2], off offset:8
	v_cmpx_ne_u32_e32 0, v0
	s_cbranch_execz .LBB90_171
; %bb.170:
	scratch_load_b64 v[0:1], off, off
	v_mov_b32_e32 v59, v58
	scratch_store_b64 off, v[58:59], off
	s_waitcnt vmcnt(0)
	ds_store_b64 v3, v[0:1]
.LBB90_171:
	s_or_b32 exec_lo, exec_lo, s0
	s_waitcnt lgkmcnt(0)
	s_waitcnt_vscnt null, 0x0
	s_barrier
	buffer_gl0_inv
	s_clause 0x4
	scratch_load_b128 v[59:62], off, off
	scratch_load_b128 v[0:3], off, off offset:16
	scratch_load_b128 v[63:66], off, off offset:32
	;; [unrolled: 1-line block ×4, first 2 shown]
	ds_load_2addr_b64 v[75:78], v58 offset0:29 offset1:30
	ds_load_2addr_b64 v[79:82], v58 offset0:31 offset1:32
	scratch_load_b128 v[83:86], off, off offset:80
	s_and_b32 vcc_lo, exec_lo, s12
	s_waitcnt vmcnt(5) lgkmcnt(1)
	v_fma_f64 v[61:62], v[61:62], v[75:76], 0
	s_waitcnt vmcnt(4)
	s_delay_alu instid0(VALU_DEP_1) | instskip(SKIP_1) | instid1(VALU_DEP_1)
	v_fma_f64 v[0:1], v[0:1], v[77:78], v[61:62]
	s_waitcnt lgkmcnt(0)
	v_fma_f64 v[61:62], v[2:3], v[79:80], v[0:1]
	scratch_load_b128 v[0:3], off, off offset:96
	s_waitcnt vmcnt(4)
	v_fma_f64 v[79:80], v[63:64], v[81:82], v[61:62]
	ds_load_2addr_b64 v[61:64], v58 offset0:33 offset1:34
	ds_load_2addr_b64 v[75:78], v58 offset0:35 offset1:36
	s_waitcnt lgkmcnt(1)
	v_fma_f64 v[61:62], v[65:66], v[61:62], v[79:80]
	scratch_load_b128 v[79:82], off, off offset:112
	s_waitcnt vmcnt(4)
	v_fma_f64 v[61:62], v[67:68], v[63:64], v[61:62]
	s_waitcnt lgkmcnt(0)
	s_delay_alu instid0(VALU_DEP_1)
	v_fma_f64 v[65:66], v[69:70], v[75:76], v[61:62]
	scratch_load_b128 v[61:64], off, off offset:128
	s_waitcnt vmcnt(4)
	v_fma_f64 v[75:76], v[71:72], v[77:78], v[65:66]
	ds_load_2addr_b64 v[65:68], v58 offset0:37 offset1:38
	ds_load_2addr_b64 v[69:72], v58 offset0:39 offset1:40
	s_waitcnt lgkmcnt(1)
	v_fma_f64 v[65:66], v[73:74], v[65:66], v[75:76]
	scratch_load_b128 v[73:76], off, off offset:144
	s_waitcnt vmcnt(4)
	v_fma_f64 v[65:66], v[83:84], v[67:68], v[65:66]
	s_waitcnt lgkmcnt(0)
	s_delay_alu instid0(VALU_DEP_1)
	v_fma_f64 v[69:70], v[85:86], v[69:70], v[65:66]
	scratch_load_b128 v[65:68], off, off offset:160
	s_waitcnt vmcnt(4)
	v_fma_f64 v[0:1], v[0:1], v[71:72], v[69:70]
	ds_load_2addr_b64 v[69:72], v58 offset0:41 offset1:42
	ds_load_2addr_b64 v[83:86], v58 offset0:43 offset1:44
	scratch_load_b128 v[87:90], off, off offset:176
	s_waitcnt lgkmcnt(1)
	v_fma_f64 v[0:1], v[2:3], v[69:70], v[0:1]
	s_waitcnt vmcnt(4)
	s_delay_alu instid0(VALU_DEP_1) | instskip(SKIP_1) | instid1(VALU_DEP_1)
	v_fma_f64 v[0:1], v[79:80], v[71:72], v[0:1]
	s_waitcnt lgkmcnt(0)
	v_fma_f64 v[69:70], v[81:82], v[83:84], v[0:1]
	scratch_load_b128 v[0:3], off, off offset:192
	s_waitcnt vmcnt(4)
	v_fma_f64 v[61:62], v[61:62], v[85:86], v[69:70]
	ds_load_2addr_b64 v[69:72], v58 offset0:45 offset1:46
	ds_load_2addr_b64 v[77:80], v58 offset0:47 offset1:48
	scratch_load_b64 v[81:82], off, off offset:208
	s_waitcnt lgkmcnt(1)
	v_fma_f64 v[61:62], v[63:64], v[69:70], v[61:62]
	s_waitcnt vmcnt(4)
	s_delay_alu instid0(VALU_DEP_1) | instskip(SKIP_1) | instid1(VALU_DEP_1)
	v_fma_f64 v[61:62], v[73:74], v[71:72], v[61:62]
	s_waitcnt lgkmcnt(0)
	v_fma_f64 v[61:62], v[75:76], v[77:78], v[61:62]
	s_waitcnt vmcnt(3)
	s_delay_alu instid0(VALU_DEP_1)
	v_fma_f64 v[65:66], v[65:66], v[79:80], v[61:62]
	ds_load_2addr_b64 v[61:64], v58 offset0:49 offset1:50
	ds_load_2addr_b64 v[69:72], v58 offset0:51 offset1:52
	s_waitcnt lgkmcnt(1)
	v_fma_f64 v[61:62], v[67:68], v[61:62], v[65:66]
	s_waitcnt vmcnt(2)
	s_delay_alu instid0(VALU_DEP_1) | instskip(SKIP_1) | instid1(VALU_DEP_1)
	v_fma_f64 v[61:62], v[87:88], v[63:64], v[61:62]
	s_waitcnt lgkmcnt(0)
	v_fma_f64 v[61:62], v[89:90], v[69:70], v[61:62]
	s_waitcnt vmcnt(1)
	s_delay_alu instid0(VALU_DEP_1) | instskip(SKIP_4) | instid1(VALU_DEP_1)
	v_fma_f64 v[0:1], v[0:1], v[71:72], v[61:62]
	ds_load_2addr_b64 v[61:64], v58 offset0:53 offset1:54
	s_waitcnt lgkmcnt(0)
	v_fma_f64 v[0:1], v[2:3], v[61:62], v[0:1]
	s_waitcnt vmcnt(0)
	v_fma_f64 v[0:1], v[81:82], v[63:64], v[0:1]
	s_delay_alu instid0(VALU_DEP_1)
	v_add_f64 v[0:1], v[59:60], -v[0:1]
	scratch_store_b64 off, v[0:1], off
	s_cbranch_vccz .LBB90_225
; %bb.172:
	v_dual_mov_b32 v0, s2 :: v_dual_mov_b32 v1, s3
	s_mov_b32 s0, exec_lo
	flat_load_b32 v0, v[0:1] offset:100
	s_waitcnt vmcnt(0) lgkmcnt(0)
	v_cmpx_ne_u32_e32 26, v0
	s_cbranch_execz .LBB90_174
; %bb.173:
	v_lshl_add_u32 v58, v0, 3, 0
	scratch_load_b64 v[0:1], v58, off offset:-8
	s_waitcnt vmcnt(0)
	scratch_store_b64 off, v[0:1], off offset:200
	scratch_store_b64 v58, v[2:3], off offset:-8
.LBB90_174:
	s_or_b32 exec_lo, exec_lo, s0
	v_dual_mov_b32 v0, s2 :: v_dual_mov_b32 v1, s3
	s_mov_b32 s0, exec_lo
	flat_load_b32 v0, v[0:1] offset:96
	s_waitcnt vmcnt(0) lgkmcnt(0)
	v_cmpx_ne_u32_e32 25, v0
	s_cbranch_execz .LBB90_176
; %bb.175:
	v_lshl_add_u32 v58, v0, 3, 0
	scratch_load_b64 v[0:1], v58, off offset:-8
	scratch_load_b64 v[2:3], off, off offset:192
	s_waitcnt vmcnt(1)
	scratch_store_b64 off, v[0:1], off offset:192
	s_waitcnt vmcnt(0)
	scratch_store_b64 v58, v[2:3], off offset:-8
.LBB90_176:
	s_or_b32 exec_lo, exec_lo, s0
	v_dual_mov_b32 v0, s2 :: v_dual_mov_b32 v1, s3
	s_mov_b32 s0, exec_lo
	flat_load_b32 v0, v[0:1] offset:92
	s_waitcnt vmcnt(0) lgkmcnt(0)
	v_cmpx_ne_u32_e32 24, v0
	s_cbranch_execz .LBB90_178
; %bb.177:
	v_lshl_add_u32 v58, v0, 3, 0
	scratch_load_b64 v[0:1], v58, off offset:-8
	scratch_load_b64 v[2:3], off, off offset:184
	s_waitcnt vmcnt(1)
	scratch_store_b64 off, v[0:1], off offset:184
	s_waitcnt vmcnt(0)
	scratch_store_b64 v58, v[2:3], off offset:-8
.LBB90_178:
	;; [unrolled: 16-line block ×24, first 2 shown]
	s_or_b32 exec_lo, exec_lo, s0
	v_dual_mov_b32 v0, s2 :: v_dual_mov_b32 v1, s3
	s_mov_b32 s0, exec_lo
	flat_load_b32 v2, v[0:1]
	scratch_load_b64 v[0:1], off, off
	s_waitcnt vmcnt(1) lgkmcnt(0)
	v_cmpx_ne_u32_e32 1, v2
	s_cbranch_execz .LBB90_224
; %bb.223:
	v_lshl_add_u32 v58, v2, 3, 0
	scratch_load_b64 v[2:3], v58, off offset:-8
	s_waitcnt vmcnt(0)
	scratch_store_b64 off, v[2:3], off
	scratch_store_b64 v58, v[0:1], off offset:-8
	scratch_load_b64 v[0:1], off, off
.LBB90_224:
	s_or_b32 exec_lo, exec_lo, s0
.LBB90_225:
	s_clause 0x7
	scratch_load_b128 v[58:61], off, off offset:8
	scratch_load_b128 v[62:65], off, off offset:24
	;; [unrolled: 1-line block ×8, first 2 shown]
	s_waitcnt vmcnt(8)
	global_store_b64 v[6:7], v[0:1], off
	s_clause 0x1
	scratch_load_b128 v[0:3], off, off offset:136
	scratch_load_b128 v[90:93], off, off offset:152
	s_waitcnt vmcnt(9)
	s_clause 0x1
	global_store_b64 v[4:5], v[58:59], off
	global_store_b64 v[12:13], v[60:61], off
	s_clause 0x1
	scratch_load_b128 v[4:7], off, off offset:168
	scratch_load_b128 v[58:61], off, off offset:184
	s_waitcnt vmcnt(10)
	s_clause 0x1
	global_store_b64 v[10:11], v[62:63], off
	global_store_b64 v[14:15], v[64:65], off
	scratch_load_b128 v[10:13], off, off offset:200
	s_waitcnt vmcnt(10)
	s_clause 0x1
	global_store_b64 v[8:9], v[66:67], off
	global_store_b64 v[16:17], v[68:69], off
	s_waitcnt vmcnt(9)
	s_clause 0x1
	global_store_b64 v[18:19], v[70:71], off
	global_store_b64 v[20:21], v[72:73], off
	;; [unrolled: 4-line block ×11, first 2 shown]
	s_endpgm
	.section	.rodata,"a",@progbits
	.p2align	6, 0x0
	.amdhsa_kernel _ZN9rocsolver6v33100L18getri_kernel_smallILi27EdPKPdEEvT1_iilPiilS6_bb
		.amdhsa_group_segment_fixed_size 440
		.amdhsa_private_segment_fixed_size 224
		.amdhsa_kernarg_size 60
		.amdhsa_user_sgpr_count 15
		.amdhsa_user_sgpr_dispatch_ptr 0
		.amdhsa_user_sgpr_queue_ptr 0
		.amdhsa_user_sgpr_kernarg_segment_ptr 1
		.amdhsa_user_sgpr_dispatch_id 0
		.amdhsa_user_sgpr_private_segment_size 0
		.amdhsa_wavefront_size32 1
		.amdhsa_uses_dynamic_stack 0
		.amdhsa_enable_private_segment 1
		.amdhsa_system_sgpr_workgroup_id_x 1
		.amdhsa_system_sgpr_workgroup_id_y 0
		.amdhsa_system_sgpr_workgroup_id_z 0
		.amdhsa_system_sgpr_workgroup_info 0
		.amdhsa_system_vgpr_workitem_id 0
		.amdhsa_next_free_vgpr 96
		.amdhsa_next_free_sgpr 17
		.amdhsa_reserve_vcc 1
		.amdhsa_float_round_mode_32 0
		.amdhsa_float_round_mode_16_64 0
		.amdhsa_float_denorm_mode_32 3
		.amdhsa_float_denorm_mode_16_64 3
		.amdhsa_dx10_clamp 1
		.amdhsa_ieee_mode 1
		.amdhsa_fp16_overflow 0
		.amdhsa_workgroup_processor_mode 1
		.amdhsa_memory_ordered 1
		.amdhsa_forward_progress 0
		.amdhsa_shared_vgpr_count 0
		.amdhsa_exception_fp_ieee_invalid_op 0
		.amdhsa_exception_fp_denorm_src 0
		.amdhsa_exception_fp_ieee_div_zero 0
		.amdhsa_exception_fp_ieee_overflow 0
		.amdhsa_exception_fp_ieee_underflow 0
		.amdhsa_exception_fp_ieee_inexact 0
		.amdhsa_exception_int_div_zero 0
	.end_amdhsa_kernel
	.section	.text._ZN9rocsolver6v33100L18getri_kernel_smallILi27EdPKPdEEvT1_iilPiilS6_bb,"axG",@progbits,_ZN9rocsolver6v33100L18getri_kernel_smallILi27EdPKPdEEvT1_iilPiilS6_bb,comdat
.Lfunc_end90:
	.size	_ZN9rocsolver6v33100L18getri_kernel_smallILi27EdPKPdEEvT1_iilPiilS6_bb, .Lfunc_end90-_ZN9rocsolver6v33100L18getri_kernel_smallILi27EdPKPdEEvT1_iilPiilS6_bb
                                        ; -- End function
	.section	.AMDGPU.csdata,"",@progbits
; Kernel info:
; codeLenInByte = 19676
; NumSgprs: 19
; NumVgprs: 96
; ScratchSize: 224
; MemoryBound: 0
; FloatMode: 240
; IeeeMode: 1
; LDSByteSize: 440 bytes/workgroup (compile time only)
; SGPRBlocks: 2
; VGPRBlocks: 11
; NumSGPRsForWavesPerEU: 19
; NumVGPRsForWavesPerEU: 96
; Occupancy: 16
; WaveLimiterHint : 1
; COMPUTE_PGM_RSRC2:SCRATCH_EN: 1
; COMPUTE_PGM_RSRC2:USER_SGPR: 15
; COMPUTE_PGM_RSRC2:TRAP_HANDLER: 0
; COMPUTE_PGM_RSRC2:TGID_X_EN: 1
; COMPUTE_PGM_RSRC2:TGID_Y_EN: 0
; COMPUTE_PGM_RSRC2:TGID_Z_EN: 0
; COMPUTE_PGM_RSRC2:TIDIG_COMP_CNT: 0
	.section	.text._ZN9rocsolver6v33100L18getri_kernel_smallILi28EdPKPdEEvT1_iilPiilS6_bb,"axG",@progbits,_ZN9rocsolver6v33100L18getri_kernel_smallILi28EdPKPdEEvT1_iilPiilS6_bb,comdat
	.globl	_ZN9rocsolver6v33100L18getri_kernel_smallILi28EdPKPdEEvT1_iilPiilS6_bb ; -- Begin function _ZN9rocsolver6v33100L18getri_kernel_smallILi28EdPKPdEEvT1_iilPiilS6_bb
	.p2align	8
	.type	_ZN9rocsolver6v33100L18getri_kernel_smallILi28EdPKPdEEvT1_iilPiilS6_bb,@function
_ZN9rocsolver6v33100L18getri_kernel_smallILi28EdPKPdEEvT1_iilPiilS6_bb: ; @_ZN9rocsolver6v33100L18getri_kernel_smallILi28EdPKPdEEvT1_iilPiilS6_bb
; %bb.0:
	s_mov_b32 s2, exec_lo
	v_cmpx_gt_u32_e32 28, v0
	s_cbranch_execz .LBB91_122
; %bb.1:
	s_clause 0x1
	s_load_b32 s13, s[0:1], 0x38
	s_load_b64 s[2:3], s[0:1], 0x0
	s_mov_b32 s8, s15
	s_load_b128 s[4:7], s[0:1], 0x28
	s_waitcnt lgkmcnt(0)
	s_bitcmp1_b32 s13, 8
	s_cselect_b32 s12, -1, 0
	s_ashr_i32 s9, s15, 31
	s_delay_alu instid0(SALU_CYCLE_1) | instskip(NEXT) | instid1(SALU_CYCLE_1)
	s_lshl_b64 s[10:11], s[8:9], 3
	s_add_u32 s2, s2, s10
	s_addc_u32 s3, s3, s11
	s_load_b64 s[10:11], s[2:3], 0x0
	s_bfe_u32 s2, s13, 0x10008
	s_delay_alu instid0(SALU_CYCLE_1)
	s_cmp_eq_u32 s2, 0
                                        ; implicit-def: $sgpr2_sgpr3
	s_cbranch_scc1 .LBB91_3
; %bb.2:
	s_clause 0x1
	s_load_b32 s2, s[0:1], 0x20
	s_load_b64 s[14:15], s[0:1], 0x18
	s_mul_i32 s3, s8, s5
	s_mul_hi_u32 s5, s8, s4
	s_mul_i32 s16, s9, s4
	s_add_i32 s3, s5, s3
	s_mul_i32 s4, s8, s4
	s_add_i32 s5, s3, s16
	s_delay_alu instid0(SALU_CYCLE_1)
	s_lshl_b64 s[4:5], s[4:5], 2
	s_waitcnt lgkmcnt(0)
	s_ashr_i32 s3, s2, 31
	s_add_u32 s4, s14, s4
	s_addc_u32 s5, s15, s5
	s_lshl_b64 s[2:3], s[2:3], 2
	s_delay_alu instid0(SALU_CYCLE_1)
	s_add_u32 s2, s4, s2
	s_addc_u32 s3, s5, s3
.LBB91_3:
	s_load_b64 s[4:5], s[0:1], 0x8
	v_lshlrev_b32_e32 v3, 3, v0
	s_waitcnt lgkmcnt(0)
	v_add3_u32 v1, s5, s5, v0
	s_ashr_i32 s1, s4, 31
	s_mov_b32 s0, s4
	s_mov_b32 s14, s5
	s_lshl_b64 s[0:1], s[0:1], 3
	v_add_nc_u32_e32 v6, s5, v1
	v_ashrrev_i32_e32 v2, 31, v1
	s_add_u32 s0, s10, s0
	s_addc_u32 s1, s11, s1
	v_add_co_u32 v4, s4, s0, v3
	v_add_nc_u32_e32 v8, s5, v6
	s_ashr_i32 s15, s5, 31
	v_add_co_ci_u32_e64 v5, null, s1, 0, s4
	v_lshlrev_b64 v[1:2], 3, v[1:2]
	s_lshl_b64 s[10:11], s[14:15], 3
	v_add_nc_u32_e32 v12, s5, v8
	v_ashrrev_i32_e32 v7, 31, v6
	v_add_co_u32 v10, vcc_lo, v4, s10
	v_add_co_ci_u32_e32 v11, vcc_lo, s11, v5, vcc_lo
	v_ashrrev_i32_e32 v9, 31, v8
	v_add_co_u32 v14, vcc_lo, s0, v1
	v_add_nc_u32_e32 v1, s5, v12
	v_lshlrev_b64 v[6:7], 3, v[6:7]
	v_ashrrev_i32_e32 v13, 31, v12
	v_lshlrev_b64 v[8:9], 3, v[8:9]
	v_add_co_ci_u32_e32 v15, vcc_lo, s1, v2, vcc_lo
	v_ashrrev_i32_e32 v2, 31, v1
	v_add_co_u32 v6, vcc_lo, s0, v6
	v_lshlrev_b64 v[12:13], 3, v[12:13]
	v_add_co_ci_u32_e32 v7, vcc_lo, s1, v7, vcc_lo
	v_add_nc_u32_e32 v20, s5, v1
	v_add_co_u32 v18, vcc_lo, s0, v8
	v_lshlrev_b64 v[1:2], 3, v[1:2]
	v_add_co_ci_u32_e32 v19, vcc_lo, s1, v9, vcc_lo
	v_add_co_u32 v8, vcc_lo, s0, v12
	v_add_co_ci_u32_e32 v9, vcc_lo, s1, v13, vcc_lo
	s_delay_alu instid0(VALU_DEP_4)
	v_add_co_u32 v12, vcc_lo, s0, v1
	v_add_nc_u32_e32 v1, s5, v20
	v_ashrrev_i32_e32 v21, 31, v20
	v_add_co_ci_u32_e32 v13, vcc_lo, s1, v2, vcc_lo
	global_load_b64 v[40:41], v3, s[0:1]
	v_ashrrev_i32_e32 v2, 31, v1
	s_clause 0x2
	global_load_b64 v[42:43], v[10:11], off
	global_load_b64 v[44:45], v[14:15], off
	;; [unrolled: 1-line block ×3, first 2 shown]
	v_add_nc_u32_e32 v22, s5, v1
	v_lshlrev_b64 v[16:17], 3, v[20:21]
	s_bitcmp0_b32 s13, 0
	v_lshlrev_b64 v[1:2], 3, v[1:2]
	s_delay_alu instid0(VALU_DEP_3) | instskip(SKIP_1) | instid1(VALU_DEP_4)
	v_add_nc_u32_e32 v24, s5, v22
	v_ashrrev_i32_e32 v23, 31, v22
	v_add_co_u32 v16, vcc_lo, s0, v16
	v_add_co_ci_u32_e32 v17, vcc_lo, s1, v17, vcc_lo
	s_delay_alu instid0(VALU_DEP_4)
	v_add_nc_u32_e32 v28, s5, v24
	v_add_co_u32 v20, vcc_lo, s0, v1
	s_clause 0x3
	global_load_b64 v[48:49], v[18:19], off
	global_load_b64 v[50:51], v[8:9], off
	;; [unrolled: 1-line block ×4, first 2 shown]
	v_ashrrev_i32_e32 v25, 31, v24
	v_add_co_ci_u32_e32 v21, vcc_lo, s1, v2, vcc_lo
	v_lshlrev_b64 v[1:2], 3, v[22:23]
	v_ashrrev_i32_e32 v29, 31, v28
	s_delay_alu instid0(VALU_DEP_4)
	v_lshlrev_b64 v[24:25], 3, v[24:25]
	global_load_b64 v[60:61], v[20:21], off
	v_add_co_u32 v22, vcc_lo, s0, v1
	v_add_co_ci_u32_e32 v23, vcc_lo, s1, v2, vcc_lo
	v_lshlrev_b64 v[1:2], 3, v[28:29]
	v_add_co_u32 v24, vcc_lo, s0, v24
	v_add_co_ci_u32_e32 v25, vcc_lo, s1, v25, vcc_lo
	s_delay_alu instid0(VALU_DEP_3) | instskip(NEXT) | instid1(VALU_DEP_4)
	v_add_co_u32 v26, vcc_lo, s0, v1
	v_add_co_ci_u32_e32 v27, vcc_lo, s1, v2, vcc_lo
	s_clause 0x2
	global_load_b64 v[62:63], v[22:23], off
	global_load_b64 v[64:65], v[24:25], off
	;; [unrolled: 1-line block ×3, first 2 shown]
	v_add_nc_u32_e32 v1, s5, v28
	s_delay_alu instid0(VALU_DEP_1) | instskip(SKIP_1) | instid1(VALU_DEP_2)
	v_add_nc_u32_e32 v30, s5, v1
	v_ashrrev_i32_e32 v2, 31, v1
	v_add_nc_u32_e32 v32, s5, v30
	s_delay_alu instid0(VALU_DEP_2) | instskip(SKIP_1) | instid1(VALU_DEP_3)
	v_lshlrev_b64 v[1:2], 3, v[1:2]
	v_ashrrev_i32_e32 v31, 31, v30
	v_add_nc_u32_e32 v34, s5, v32
	v_ashrrev_i32_e32 v33, 31, v32
	s_delay_alu instid0(VALU_DEP_4) | instskip(NEXT) | instid1(VALU_DEP_4)
	v_add_co_u32 v28, vcc_lo, s0, v1
	v_lshlrev_b64 v[30:31], 3, v[30:31]
	s_delay_alu instid0(VALU_DEP_4) | instskip(NEXT) | instid1(VALU_DEP_4)
	v_add_nc_u32_e32 v36, s5, v34
	v_lshlrev_b64 v[32:33], 3, v[32:33]
	v_ashrrev_i32_e32 v35, 31, v34
	v_add_co_ci_u32_e32 v29, vcc_lo, s1, v2, vcc_lo
	s_delay_alu instid0(VALU_DEP_4) | instskip(SKIP_2) | instid1(VALU_DEP_3)
	v_add_nc_u32_e32 v38, s5, v36
	v_add_co_u32 v30, vcc_lo, s0, v30
	v_add_co_ci_u32_e32 v31, vcc_lo, s1, v31, vcc_lo
	v_add_nc_u32_e32 v56, s5, v38
	v_lshlrev_b64 v[73:74], 3, v[34:35]
	v_ashrrev_i32_e32 v37, 31, v36
	v_add_co_u32 v34, vcc_lo, s0, v32
	s_delay_alu instid0(VALU_DEP_4) | instskip(SKIP_3) | instid1(VALU_DEP_4)
	v_add_nc_u32_e32 v58, s5, v56
	v_add_co_ci_u32_e32 v35, vcc_lo, s1, v33, vcc_lo
	v_ashrrev_i32_e32 v39, 31, v38
	v_lshlrev_b64 v[75:76], 3, v[36:37]
	v_add_nc_u32_e32 v72, s5, v58
	v_add_co_u32 v36, vcc_lo, s0, v73
	v_add_co_ci_u32_e32 v37, vcc_lo, s1, v74, vcc_lo
	s_delay_alu instid0(VALU_DEP_3)
	v_add_nc_u32_e32 v82, s5, v72
	v_ashrrev_i32_e32 v57, 31, v56
	v_lshlrev_b64 v[85:86], 3, v[38:39]
	v_ashrrev_i32_e32 v59, 31, v58
	v_ashrrev_i32_e32 v73, 31, v72
	v_add_nc_u32_e32 v84, s5, v82
	v_lshlrev_b64 v[56:57], 3, v[56:57]
	global_load_b64 v[68:69], v[28:29], off
	v_ashrrev_i32_e32 v83, 31, v82
	v_add_nc_u32_e32 v90, s5, v84
	s_delay_alu instid0(VALU_DEP_1) | instskip(SKIP_1) | instid1(VALU_DEP_2)
	v_add_nc_u32_e32 v92, s5, v90
	v_ashrrev_i32_e32 v91, 31, v90
	v_add_nc_u32_e32 v94, s5, v92
	v_ashrrev_i32_e32 v93, 31, v92
	s_delay_alu instid0(VALU_DEP_2) | instskip(SKIP_1) | instid1(VALU_DEP_2)
	v_add_nc_u32_e32 v1, s5, v94
	v_ashrrev_i32_e32 v95, 31, v94
	v_add_nc_u32_e32 v70, s5, v1
	v_ashrrev_i32_e32 v2, 31, v1
	s_delay_alu instid0(VALU_DEP_2) | instskip(NEXT) | instid1(VALU_DEP_2)
	v_ashrrev_i32_e32 v71, 31, v70
	v_lshlrev_b64 v[1:2], 3, v[1:2]
	s_delay_alu instid0(VALU_DEP_2) | instskip(NEXT) | instid1(VALU_DEP_1)
	v_lshlrev_b64 v[32:33], 3, v[70:71]
	v_add_co_u32 v32, vcc_lo, s0, v32
	s_delay_alu instid0(VALU_DEP_2)
	v_add_co_ci_u32_e32 v33, vcc_lo, s1, v33, vcc_lo
	v_add_co_u32 v38, vcc_lo, s0, v75
	v_add_co_ci_u32_e32 v39, vcc_lo, s1, v76, vcc_lo
	global_load_b64 v[74:75], v[32:33], off
	s_waitcnt vmcnt(12)
	scratch_store_b128 off, v[40:43], off
	s_waitcnt vmcnt(10)
	scratch_store_b128 off, v[44:47], off offset:16
	v_add_co_u32 v40, vcc_lo, s0, v85
	v_lshlrev_b64 v[44:45], 3, v[58:59]
	v_add_co_ci_u32_e32 v41, vcc_lo, s1, v86, vcc_lo
	v_add_co_u32 v42, vcc_lo, s0, v56
	v_lshlrev_b64 v[46:47], 3, v[72:73]
	v_ashrrev_i32_e32 v85, 31, v84
	v_add_co_ci_u32_e32 v43, vcc_lo, s1, v57, vcc_lo
	v_add_co_u32 v44, vcc_lo, s0, v44
	v_lshlrev_b64 v[56:57], 3, v[82:83]
	v_add_co_ci_u32_e32 v45, vcc_lo, s1, v45, vcc_lo
	v_add_co_u32 v46, vcc_lo, s0, v46
	v_lshlrev_b64 v[58:59], 3, v[84:85]
	v_add_co_ci_u32_e32 v47, vcc_lo, s1, v47, vcc_lo
	s_clause 0x3
	global_load_b64 v[70:71], v[30:31], off
	global_load_b64 v[76:77], v[34:35], off
	;; [unrolled: 1-line block ×4, first 2 shown]
	s_waitcnt vmcnt(12)
	scratch_store_b128 off, v[48:51], off offset:32
	s_waitcnt vmcnt(10)
	scratch_store_b128 off, v[52:55], off offset:48
	v_add_co_u32 v48, vcc_lo, s0, v56
	v_lshlrev_b64 v[52:53], 3, v[90:91]
	v_add_co_ci_u32_e32 v49, vcc_lo, s1, v57, vcc_lo
	v_add_co_u32 v50, vcc_lo, s0, v58
	v_lshlrev_b64 v[54:55], 3, v[92:93]
	v_add_co_ci_u32_e32 v51, vcc_lo, s1, v59, vcc_lo
	;; [unrolled: 3-line block ×3, first 2 shown]
	v_add_co_u32 v54, vcc_lo, s0, v54
	v_add_co_ci_u32_e32 v55, vcc_lo, s1, v55, vcc_lo
	s_delay_alu instid0(VALU_DEP_4)
	v_add_co_u32 v56, vcc_lo, s0, v56
	v_add_co_ci_u32_e32 v57, vcc_lo, s1, v57, vcc_lo
	v_add_co_u32 v58, vcc_lo, s0, v1
	v_add_co_ci_u32_e32 v59, vcc_lo, s1, v2, vcc_lo
	s_clause 0x3
	global_load_b64 v[82:83], v[40:41], off
	global_load_b64 v[84:85], v[42:43], off
	;; [unrolled: 1-line block ×4, first 2 shown]
	s_waitcnt vmcnt(12)
	scratch_store_b128 off, v[60:63], off offset:64
	s_clause 0x2
	global_load_b64 v[90:91], v[48:49], off
	global_load_b64 v[60:61], v[50:51], off
	;; [unrolled: 1-line block ×3, first 2 shown]
	s_waitcnt vmcnt(13)
	scratch_store_b128 off, v[64:67], off offset:80
	s_clause 0x2
	global_load_b64 v[64:65], v[54:55], off
	global_load_b64 v[66:67], v[56:57], off
	;; [unrolled: 1-line block ×3, first 2 shown]
	s_mov_b32 s1, -1
	s_waitcnt vmcnt(13)
	scratch_store_b128 off, v[68:71], off offset:96
	s_waitcnt vmcnt(11)
	scratch_store_b128 off, v[76:79], off offset:112
	;; [unrolled: 2-line block ×8, first 2 shown]
	s_cbranch_scc1 .LBB91_120
; %bb.4:
	v_cmp_eq_u32_e64 s0, 0, v0
	s_delay_alu instid0(VALU_DEP_1)
	s_and_saveexec_b32 s1, s0
	s_cbranch_execz .LBB91_6
; %bb.5:
	v_mov_b32_e32 v1, 0
	ds_store_b32 v1, v1 offset:448
.LBB91_6:
	s_or_b32 exec_lo, exec_lo, s1
	s_waitcnt lgkmcnt(0)
	s_waitcnt_vscnt null, 0x0
	s_barrier
	buffer_gl0_inv
	scratch_load_b64 v[1:2], v3, off
	s_mov_b32 s4, exec_lo
	s_waitcnt vmcnt(0)
	v_cmpx_eq_f64_e32 0, v[1:2]
	s_cbranch_execz .LBB91_10
; %bb.7:
	v_mov_b32_e32 v1, 0
	s_mov_b32 s5, 0
	ds_load_b32 v2, v1 offset:448
	s_waitcnt lgkmcnt(0)
	v_readfirstlane_b32 s1, v2
	v_add_nc_u32_e32 v2, 1, v0
	s_delay_alu instid0(VALU_DEP_2) | instskip(NEXT) | instid1(VALU_DEP_1)
	s_cmp_eq_u32 s1, 0
	v_cmp_gt_i32_e32 vcc_lo, s1, v2
	s_cselect_b32 s10, -1, 0
	s_delay_alu instid0(SALU_CYCLE_1) | instskip(NEXT) | instid1(SALU_CYCLE_1)
	s_or_b32 s10, s10, vcc_lo
	s_and_b32 exec_lo, exec_lo, s10
	s_cbranch_execz .LBB91_10
; %bb.8:
	v_mov_b32_e32 v60, s1
.LBB91_9:                               ; =>This Inner Loop Header: Depth=1
	ds_cmpstore_rtn_b32 v60, v1, v2, v60 offset:448
	s_waitcnt lgkmcnt(0)
	v_cmp_ne_u32_e32 vcc_lo, 0, v60
	v_cmp_le_i32_e64 s1, v60, v2
	s_delay_alu instid0(VALU_DEP_1) | instskip(NEXT) | instid1(SALU_CYCLE_1)
	s_and_b32 s1, vcc_lo, s1
	s_and_b32 s1, exec_lo, s1
	s_delay_alu instid0(SALU_CYCLE_1) | instskip(NEXT) | instid1(SALU_CYCLE_1)
	s_or_b32 s5, s1, s5
	s_and_not1_b32 exec_lo, exec_lo, s5
	s_cbranch_execnz .LBB91_9
.LBB91_10:
	s_or_b32 exec_lo, exec_lo, s4
	v_mov_b32_e32 v1, 0
	s_barrier
	buffer_gl0_inv
	ds_load_b32 v2, v1 offset:448
	s_and_saveexec_b32 s1, s0
	s_cbranch_execz .LBB91_12
; %bb.11:
	s_lshl_b64 s[4:5], s[8:9], 2
	s_delay_alu instid0(SALU_CYCLE_1)
	s_add_u32 s4, s6, s4
	s_addc_u32 s5, s7, s5
	s_waitcnt lgkmcnt(0)
	global_store_b32 v1, v2, s[4:5]
.LBB91_12:
	s_or_b32 exec_lo, exec_lo, s1
	s_waitcnt lgkmcnt(0)
	v_cmp_ne_u32_e32 vcc_lo, 0, v2
	s_mov_b32 s1, 0
	s_cbranch_vccnz .LBB91_120
; %bb.13:
	v_add_nc_u32_e32 v60, 0, v3
	scratch_load_b64 v[1:2], v60, off
	s_waitcnt vmcnt(0)
	v_div_scale_f64 v[61:62], null, v[1:2], v[1:2], 1.0
	v_div_scale_f64 v[67:68], vcc_lo, 1.0, v[1:2], 1.0
	s_delay_alu instid0(VALU_DEP_2) | instskip(SKIP_2) | instid1(VALU_DEP_1)
	v_rcp_f64_e32 v[63:64], v[61:62]
	s_waitcnt_depctr 0xfff
	v_fma_f64 v[65:66], -v[61:62], v[63:64], 1.0
	v_fma_f64 v[63:64], v[63:64], v[65:66], v[63:64]
	s_delay_alu instid0(VALU_DEP_1) | instskip(NEXT) | instid1(VALU_DEP_1)
	v_fma_f64 v[65:66], -v[61:62], v[63:64], 1.0
	v_fma_f64 v[63:64], v[63:64], v[65:66], v[63:64]
	s_delay_alu instid0(VALU_DEP_1) | instskip(NEXT) | instid1(VALU_DEP_1)
	v_mul_f64 v[65:66], v[67:68], v[63:64]
	v_fma_f64 v[61:62], -v[61:62], v[65:66], v[67:68]
	s_delay_alu instid0(VALU_DEP_1) | instskip(NEXT) | instid1(VALU_DEP_1)
	v_div_fmas_f64 v[61:62], v[61:62], v[63:64], v[65:66]
	v_div_fixup_f64 v[1:2], v[61:62], v[1:2], 1.0
	v_add_nc_u32_e32 v61, 0xe0, v3
	scratch_store_b64 v60, v[1:2], off
	scratch_load_b64 v[62:63], off, off offset:8
	v_xor_b32_e32 v2, 0x80000000, v2
	s_waitcnt vmcnt(0)
	ds_store_2addr_b64 v3, v[1:2], v[62:63] offset1:28
	s_waitcnt lgkmcnt(0)
	s_waitcnt_vscnt null, 0x0
	s_barrier
	buffer_gl0_inv
	s_and_saveexec_b32 s1, s0
	s_cbranch_execz .LBB91_15
; %bb.14:
	scratch_load_b64 v[1:2], v60, off
	ds_load_b64 v[62:63], v61
	s_waitcnt vmcnt(0) lgkmcnt(0)
	v_fma_f64 v[1:2], v[1:2], v[62:63], 0
	v_mov_b32_e32 v62, 0
	ds_load_b64 v[62:63], v62 offset:8
	s_waitcnt lgkmcnt(0)
	v_mul_f64 v[1:2], v[1:2], v[62:63]
	scratch_store_b64 off, v[1:2], off offset:8
.LBB91_15:
	s_or_b32 exec_lo, exec_lo, s1
	s_waitcnt_vscnt null, 0x0
	s_barrier
	buffer_gl0_inv
	scratch_load_b64 v[1:2], off, off offset:16
	s_mov_b32 s1, exec_lo
	s_waitcnt vmcnt(0)
	ds_store_b64 v61, v[1:2]
	s_waitcnt lgkmcnt(0)
	s_barrier
	buffer_gl0_inv
	v_cmpx_gt_u32_e32 2, v0
	s_cbranch_execz .LBB91_19
; %bb.16:
	scratch_load_b64 v[1:2], v60, off
	ds_load_b64 v[62:63], v61
	s_waitcnt vmcnt(0) lgkmcnt(0)
	v_fma_f64 v[1:2], v[1:2], v[62:63], 0
	s_and_saveexec_b32 s4, s0
	s_cbranch_execz .LBB91_18
; %bb.17:
	scratch_load_b64 v[62:63], off, off offset:8
	v_mov_b32_e32 v64, 0
	ds_load_b64 v[64:65], v64 offset:232
	s_waitcnt vmcnt(0) lgkmcnt(0)
	v_fma_f64 v[1:2], v[62:63], v[64:65], v[1:2]
.LBB91_18:
	s_or_b32 exec_lo, exec_lo, s4
	v_mov_b32_e32 v62, 0
	ds_load_b64 v[62:63], v62 offset:16
	s_waitcnt lgkmcnt(0)
	v_mul_f64 v[1:2], v[1:2], v[62:63]
	scratch_store_b64 off, v[1:2], off offset:16
.LBB91_19:
	s_or_b32 exec_lo, exec_lo, s1
	s_waitcnt_vscnt null, 0x0
	s_barrier
	buffer_gl0_inv
	scratch_load_b64 v[1:2], off, off offset:24
	v_add_nc_u32_e32 v62, -1, v0
	s_mov_b32 s0, exec_lo
	s_waitcnt vmcnt(0)
	ds_store_b64 v61, v[1:2]
	s_waitcnt lgkmcnt(0)
	s_barrier
	buffer_gl0_inv
	v_cmpx_gt_u32_e32 3, v0
	s_cbranch_execz .LBB91_23
; %bb.20:
	v_dual_mov_b32 v1, 0 :: v_dual_add_nc_u32 v64, 0xe0, v3
	v_dual_mov_b32 v2, 0 :: v_dual_add_nc_u32 v63, -1, v0
	v_add_nc_u32_e32 v65, 0, v3
	s_mov_b32 s1, 0
.LBB91_21:                              ; =>This Inner Loop Header: Depth=1
	scratch_load_b64 v[66:67], v65, off
	ds_load_b64 v[68:69], v64
	v_add_nc_u32_e32 v63, 1, v63
	v_add_nc_u32_e32 v64, 8, v64
	v_add_nc_u32_e32 v65, 8, v65
	s_delay_alu instid0(VALU_DEP_3)
	v_cmp_lt_u32_e32 vcc_lo, 1, v63
	s_or_b32 s1, vcc_lo, s1
	s_waitcnt vmcnt(0) lgkmcnt(0)
	v_fma_f64 v[1:2], v[66:67], v[68:69], v[1:2]
	s_and_not1_b32 exec_lo, exec_lo, s1
	s_cbranch_execnz .LBB91_21
; %bb.22:
	s_or_b32 exec_lo, exec_lo, s1
	v_mov_b32_e32 v63, 0
	ds_load_b64 v[63:64], v63 offset:24
	s_waitcnt lgkmcnt(0)
	v_mul_f64 v[1:2], v[1:2], v[63:64]
	scratch_store_b64 off, v[1:2], off offset:24
.LBB91_23:
	s_or_b32 exec_lo, exec_lo, s0
	s_waitcnt_vscnt null, 0x0
	s_barrier
	buffer_gl0_inv
	scratch_load_b64 v[1:2], off, off offset:32
	s_mov_b32 s0, exec_lo
	s_waitcnt vmcnt(0)
	ds_store_b64 v61, v[1:2]
	s_waitcnt lgkmcnt(0)
	s_barrier
	buffer_gl0_inv
	v_cmpx_gt_u32_e32 4, v0
	s_cbranch_execz .LBB91_27
; %bb.24:
	v_dual_mov_b32 v1, 0 :: v_dual_add_nc_u32 v64, 0xe0, v3
	v_dual_mov_b32 v2, 0 :: v_dual_add_nc_u32 v63, -1, v0
	v_add_nc_u32_e32 v65, 0, v3
	s_mov_b32 s1, 0
.LBB91_25:                              ; =>This Inner Loop Header: Depth=1
	scratch_load_b64 v[66:67], v65, off
	ds_load_b64 v[68:69], v64
	v_add_nc_u32_e32 v63, 1, v63
	v_add_nc_u32_e32 v64, 8, v64
	v_add_nc_u32_e32 v65, 8, v65
	s_delay_alu instid0(VALU_DEP_3)
	v_cmp_lt_u32_e32 vcc_lo, 2, v63
	s_or_b32 s1, vcc_lo, s1
	s_waitcnt vmcnt(0) lgkmcnt(0)
	v_fma_f64 v[1:2], v[66:67], v[68:69], v[1:2]
	s_and_not1_b32 exec_lo, exec_lo, s1
	s_cbranch_execnz .LBB91_25
; %bb.26:
	s_or_b32 exec_lo, exec_lo, s1
	v_mov_b32_e32 v63, 0
	ds_load_b64 v[63:64], v63 offset:32
	s_waitcnt lgkmcnt(0)
	v_mul_f64 v[1:2], v[1:2], v[63:64]
	scratch_store_b64 off, v[1:2], off offset:32
.LBB91_27:
	s_or_b32 exec_lo, exec_lo, s0
	s_waitcnt_vscnt null, 0x0
	s_barrier
	buffer_gl0_inv
	scratch_load_b64 v[1:2], off, off offset:40
	;; [unrolled: 39-line block ×20, first 2 shown]
	s_mov_b32 s0, exec_lo
	s_waitcnt vmcnt(0)
	ds_store_b64 v61, v[1:2]
	s_waitcnt lgkmcnt(0)
	s_barrier
	buffer_gl0_inv
	v_cmpx_gt_u32_e32 23, v0
	s_cbranch_execz .LBB91_103
; %bb.100:
	v_dual_mov_b32 v1, 0 :: v_dual_add_nc_u32 v64, 0xe0, v3
	v_dual_mov_b32 v2, 0 :: v_dual_add_nc_u32 v63, -1, v0
	v_add_nc_u32_e32 v65, 0, v3
	s_mov_b32 s1, 0
.LBB91_101:                             ; =>This Inner Loop Header: Depth=1
	scratch_load_b64 v[66:67], v65, off
	ds_load_b64 v[68:69], v64
	v_add_nc_u32_e32 v63, 1, v63
	v_add_nc_u32_e32 v64, 8, v64
	v_add_nc_u32_e32 v65, 8, v65
	s_delay_alu instid0(VALU_DEP_3)
	v_cmp_lt_u32_e32 vcc_lo, 21, v63
	s_or_b32 s1, vcc_lo, s1
	s_waitcnt vmcnt(0) lgkmcnt(0)
	v_fma_f64 v[1:2], v[66:67], v[68:69], v[1:2]
	s_and_not1_b32 exec_lo, exec_lo, s1
	s_cbranch_execnz .LBB91_101
; %bb.102:
	s_or_b32 exec_lo, exec_lo, s1
	v_mov_b32_e32 v63, 0
	ds_load_b64 v[63:64], v63 offset:184
	s_waitcnt lgkmcnt(0)
	v_mul_f64 v[1:2], v[1:2], v[63:64]
	scratch_store_b64 off, v[1:2], off offset:184
.LBB91_103:
	s_or_b32 exec_lo, exec_lo, s0
	s_waitcnt_vscnt null, 0x0
	s_barrier
	buffer_gl0_inv
	scratch_load_b64 v[1:2], off, off offset:192
	s_mov_b32 s0, exec_lo
	s_waitcnt vmcnt(0)
	ds_store_b64 v61, v[1:2]
	s_waitcnt lgkmcnt(0)
	s_barrier
	buffer_gl0_inv
	v_cmpx_gt_u32_e32 24, v0
	s_cbranch_execz .LBB91_107
; %bb.104:
	v_dual_mov_b32 v1, 0 :: v_dual_add_nc_u32 v64, 0xe0, v3
	v_dual_mov_b32 v2, 0 :: v_dual_add_nc_u32 v63, -1, v0
	v_add_nc_u32_e32 v65, 0, v3
	s_mov_b32 s1, 0
.LBB91_105:                             ; =>This Inner Loop Header: Depth=1
	scratch_load_b64 v[66:67], v65, off
	ds_load_b64 v[68:69], v64
	v_add_nc_u32_e32 v63, 1, v63
	v_add_nc_u32_e32 v64, 8, v64
	v_add_nc_u32_e32 v65, 8, v65
	s_delay_alu instid0(VALU_DEP_3)
	v_cmp_lt_u32_e32 vcc_lo, 22, v63
	s_or_b32 s1, vcc_lo, s1
	s_waitcnt vmcnt(0) lgkmcnt(0)
	v_fma_f64 v[1:2], v[66:67], v[68:69], v[1:2]
	s_and_not1_b32 exec_lo, exec_lo, s1
	s_cbranch_execnz .LBB91_105
; %bb.106:
	s_or_b32 exec_lo, exec_lo, s1
	v_mov_b32_e32 v63, 0
	ds_load_b64 v[63:64], v63 offset:192
	s_waitcnt lgkmcnt(0)
	v_mul_f64 v[1:2], v[1:2], v[63:64]
	scratch_store_b64 off, v[1:2], off offset:192
.LBB91_107:
	s_or_b32 exec_lo, exec_lo, s0
	s_waitcnt_vscnt null, 0x0
	s_barrier
	buffer_gl0_inv
	scratch_load_b64 v[1:2], off, off offset:200
	;; [unrolled: 39-line block ×4, first 2 shown]
	s_mov_b32 s0, exec_lo
	s_waitcnt vmcnt(0)
	ds_store_b64 v61, v[1:2]
	s_waitcnt lgkmcnt(0)
	s_barrier
	buffer_gl0_inv
	v_cmpx_ne_u32_e32 27, v0
	s_cbranch_execz .LBB91_119
; %bb.116:
	v_mov_b32_e32 v1, 0
	v_mov_b32_e32 v2, 0
	s_mov_b32 s1, 0
.LBB91_117:                             ; =>This Inner Loop Header: Depth=1
	scratch_load_b64 v[63:64], v60, off
	ds_load_b64 v[65:66], v61
	v_add_nc_u32_e32 v62, 1, v62
	v_add_nc_u32_e32 v61, 8, v61
	;; [unrolled: 1-line block ×3, first 2 shown]
	s_delay_alu instid0(VALU_DEP_3)
	v_cmp_lt_u32_e32 vcc_lo, 25, v62
	s_or_b32 s1, vcc_lo, s1
	s_waitcnt vmcnt(0) lgkmcnt(0)
	v_fma_f64 v[1:2], v[63:64], v[65:66], v[1:2]
	s_and_not1_b32 exec_lo, exec_lo, s1
	s_cbranch_execnz .LBB91_117
; %bb.118:
	s_or_b32 exec_lo, exec_lo, s1
	v_mov_b32_e32 v3, 0
	ds_load_b64 v[60:61], v3 offset:216
	s_waitcnt lgkmcnt(0)
	v_mul_f64 v[1:2], v[1:2], v[60:61]
	scratch_store_b64 off, v[1:2], off offset:216
.LBB91_119:
	s_or_b32 exec_lo, exec_lo, s0
	s_mov_b32 s1, -1
	s_waitcnt_vscnt null, 0x0
	s_barrier
	buffer_gl0_inv
.LBB91_120:
	s_and_b32 vcc_lo, exec_lo, s1
	s_cbranch_vccz .LBB91_122
; %bb.121:
	s_lshl_b64 s[0:1], s[8:9], 2
	v_mov_b32_e32 v1, 0
	s_add_u32 s0, s6, s0
	s_addc_u32 s1, s7, s1
	global_load_b32 v1, v1, s[0:1]
	s_waitcnt vmcnt(0)
	v_cmp_ne_u32_e32 vcc_lo, 0, v1
	s_cbranch_vccz .LBB91_123
.LBB91_122:
	s_endpgm
.LBB91_123:
	v_lshl_add_u32 v3, v0, 3, 0xe0
	s_mov_b32 s0, exec_lo
	v_cmpx_eq_u32_e32 27, v0
	s_cbranch_execz .LBB91_125
; %bb.124:
	scratch_load_b64 v[1:2], off, off offset:208
	v_mov_b32_e32 v60, 0
	s_delay_alu instid0(VALU_DEP_1)
	v_mov_b32_e32 v61, v60
	scratch_store_b64 off, v[60:61], off offset:208
	s_waitcnt vmcnt(0)
	ds_store_b64 v3, v[1:2]
.LBB91_125:
	s_or_b32 exec_lo, exec_lo, s0
	s_waitcnt lgkmcnt(0)
	s_waitcnt_vscnt null, 0x0
	s_barrier
	buffer_gl0_inv
	scratch_load_b128 v[60:63], off, off offset:208
	v_mov_b32_e32 v1, 0
	s_mov_b32 s0, exec_lo
	ds_load_b64 v[64:65], v1 offset:440
	s_waitcnt vmcnt(0) lgkmcnt(0)
	v_fma_f64 v[62:63], v[62:63], v[64:65], 0
	s_delay_alu instid0(VALU_DEP_1)
	v_add_f64 v[60:61], v[60:61], -v[62:63]
	scratch_store_b64 off, v[60:61], off offset:208
	v_cmpx_lt_u32_e32 25, v0
	s_cbranch_execz .LBB91_127
; %bb.126:
	scratch_load_b64 v[60:61], off, off offset:200
	v_mov_b32_e32 v2, v1
	scratch_store_b64 off, v[1:2], off offset:200
	s_waitcnt vmcnt(0)
	ds_store_b64 v3, v[60:61]
.LBB91_127:
	s_or_b32 exec_lo, exec_lo, s0
	s_waitcnt lgkmcnt(0)
	s_waitcnt_vscnt null, 0x0
	s_barrier
	buffer_gl0_inv
	s_clause 0x1
	scratch_load_b128 v[60:63], off, off offset:200
	scratch_load_b64 v[68:69], off, off offset:216
	ds_load_b128 v[64:67], v1 offset:432
	s_mov_b32 s0, exec_lo
	s_waitcnt vmcnt(1) lgkmcnt(0)
	v_fma_f64 v[1:2], v[62:63], v[64:65], 0
	s_waitcnt vmcnt(0)
	s_delay_alu instid0(VALU_DEP_1) | instskip(NEXT) | instid1(VALU_DEP_1)
	v_fma_f64 v[1:2], v[68:69], v[66:67], v[1:2]
	v_add_f64 v[1:2], v[60:61], -v[1:2]
	scratch_store_b64 off, v[1:2], off offset:200
	v_cmpx_lt_u32_e32 24, v0
	s_cbranch_execz .LBB91_129
; %bb.128:
	scratch_load_b64 v[1:2], off, off offset:192
	v_mov_b32_e32 v60, 0
	s_delay_alu instid0(VALU_DEP_1)
	v_mov_b32_e32 v61, v60
	scratch_store_b64 off, v[60:61], off offset:192
	s_waitcnt vmcnt(0)
	ds_store_b64 v3, v[1:2]
.LBB91_129:
	s_or_b32 exec_lo, exec_lo, s0
	s_waitcnt lgkmcnt(0)
	s_waitcnt_vscnt null, 0x0
	s_barrier
	buffer_gl0_inv
	s_clause 0x1
	scratch_load_b128 v[60:63], off, off offset:192
	scratch_load_b128 v[64:67], off, off offset:208
	v_mov_b32_e32 v1, 0
	ds_load_2addr_b64 v[68:71], v1 offset0:53 offset1:54
	ds_load_b64 v[72:73], v1 offset:440
	s_mov_b32 s0, exec_lo
	s_waitcnt vmcnt(1) lgkmcnt(1)
	v_fma_f64 v[62:63], v[62:63], v[68:69], 0
	s_waitcnt vmcnt(0)
	s_delay_alu instid0(VALU_DEP_1) | instskip(SKIP_1) | instid1(VALU_DEP_1)
	v_fma_f64 v[62:63], v[64:65], v[70:71], v[62:63]
	s_waitcnt lgkmcnt(0)
	v_fma_f64 v[62:63], v[66:67], v[72:73], v[62:63]
	s_delay_alu instid0(VALU_DEP_1)
	v_add_f64 v[60:61], v[60:61], -v[62:63]
	scratch_store_b64 off, v[60:61], off offset:192
	v_cmpx_lt_u32_e32 23, v0
	s_cbranch_execz .LBB91_131
; %bb.130:
	scratch_load_b64 v[60:61], off, off offset:184
	v_mov_b32_e32 v2, v1
	scratch_store_b64 off, v[1:2], off offset:184
	s_waitcnt vmcnt(0)
	ds_store_b64 v3, v[60:61]
.LBB91_131:
	s_or_b32 exec_lo, exec_lo, s0
	s_waitcnt lgkmcnt(0)
	s_waitcnt_vscnt null, 0x0
	s_barrier
	buffer_gl0_inv
	s_clause 0x2
	scratch_load_b128 v[60:63], off, off offset:184
	scratch_load_b128 v[64:67], off, off offset:200
	scratch_load_b64 v[76:77], off, off offset:216
	ds_load_b128 v[68:71], v1 offset:416
	ds_load_b128 v[72:75], v1 offset:432
	s_mov_b32 s0, exec_lo
	s_waitcnt vmcnt(2) lgkmcnt(1)
	v_fma_f64 v[1:2], v[62:63], v[68:69], 0
	s_waitcnt vmcnt(1)
	s_delay_alu instid0(VALU_DEP_1) | instskip(SKIP_1) | instid1(VALU_DEP_1)
	v_fma_f64 v[1:2], v[64:65], v[70:71], v[1:2]
	s_waitcnt lgkmcnt(0)
	v_fma_f64 v[1:2], v[66:67], v[72:73], v[1:2]
	s_waitcnt vmcnt(0)
	s_delay_alu instid0(VALU_DEP_1) | instskip(NEXT) | instid1(VALU_DEP_1)
	v_fma_f64 v[1:2], v[76:77], v[74:75], v[1:2]
	v_add_f64 v[1:2], v[60:61], -v[1:2]
	scratch_store_b64 off, v[1:2], off offset:184
	v_cmpx_lt_u32_e32 22, v0
	s_cbranch_execz .LBB91_133
; %bb.132:
	scratch_load_b64 v[1:2], off, off offset:176
	v_mov_b32_e32 v60, 0
	s_delay_alu instid0(VALU_DEP_1)
	v_mov_b32_e32 v61, v60
	scratch_store_b64 off, v[60:61], off offset:176
	s_waitcnt vmcnt(0)
	ds_store_b64 v3, v[1:2]
.LBB91_133:
	s_or_b32 exec_lo, exec_lo, s0
	s_waitcnt lgkmcnt(0)
	s_waitcnt_vscnt null, 0x0
	s_barrier
	buffer_gl0_inv
	s_clause 0x2
	scratch_load_b128 v[60:63], off, off offset:176
	scratch_load_b128 v[64:67], off, off offset:192
	;; [unrolled: 1-line block ×3, first 2 shown]
	v_mov_b32_e32 v1, 0
	ds_load_2addr_b64 v[72:75], v1 offset0:51 offset1:52
	ds_load_2addr_b64 v[76:79], v1 offset0:53 offset1:54
	s_mov_b32 s0, exec_lo
	s_waitcnt vmcnt(2) lgkmcnt(1)
	v_fma_f64 v[62:63], v[62:63], v[72:73], 0
	s_waitcnt vmcnt(1)
	s_delay_alu instid0(VALU_DEP_1) | instskip(SKIP_4) | instid1(VALU_DEP_1)
	v_fma_f64 v[62:63], v[64:65], v[74:75], v[62:63]
	ds_load_b64 v[64:65], v1 offset:440
	s_waitcnt lgkmcnt(1)
	v_fma_f64 v[62:63], v[66:67], v[76:77], v[62:63]
	s_waitcnt vmcnt(0)
	v_fma_f64 v[62:63], v[68:69], v[78:79], v[62:63]
	s_waitcnt lgkmcnt(0)
	s_delay_alu instid0(VALU_DEP_1) | instskip(NEXT) | instid1(VALU_DEP_1)
	v_fma_f64 v[62:63], v[70:71], v[64:65], v[62:63]
	v_add_f64 v[60:61], v[60:61], -v[62:63]
	scratch_store_b64 off, v[60:61], off offset:176
	v_cmpx_lt_u32_e32 21, v0
	s_cbranch_execz .LBB91_135
; %bb.134:
	scratch_load_b64 v[60:61], off, off offset:168
	v_mov_b32_e32 v2, v1
	scratch_store_b64 off, v[1:2], off offset:168
	s_waitcnt vmcnt(0)
	ds_store_b64 v3, v[60:61]
.LBB91_135:
	s_or_b32 exec_lo, exec_lo, s0
	s_waitcnt lgkmcnt(0)
	s_waitcnt_vscnt null, 0x0
	s_barrier
	buffer_gl0_inv
	s_clause 0x3
	scratch_load_b128 v[60:63], off, off offset:168
	scratch_load_b128 v[64:67], off, off offset:184
	;; [unrolled: 1-line block ×3, first 2 shown]
	scratch_load_b64 v[80:81], off, off offset:216
	ds_load_b128 v[72:75], v1 offset:400
	ds_load_b128 v[76:79], v1 offset:416
	s_mov_b32 s0, exec_lo
	s_waitcnt vmcnt(3) lgkmcnt(1)
	v_fma_f64 v[62:63], v[62:63], v[72:73], 0
	s_waitcnt vmcnt(2)
	s_delay_alu instid0(VALU_DEP_1) | instskip(SKIP_1) | instid1(VALU_DEP_1)
	v_fma_f64 v[62:63], v[64:65], v[74:75], v[62:63]
	s_waitcnt lgkmcnt(0)
	v_fma_f64 v[62:63], v[66:67], v[76:77], v[62:63]
	s_waitcnt vmcnt(1)
	s_delay_alu instid0(VALU_DEP_1) | instskip(SKIP_4) | instid1(VALU_DEP_1)
	v_fma_f64 v[66:67], v[68:69], v[78:79], v[62:63]
	ds_load_b128 v[62:65], v1 offset:432
	s_waitcnt lgkmcnt(0)
	v_fma_f64 v[1:2], v[70:71], v[62:63], v[66:67]
	s_waitcnt vmcnt(0)
	v_fma_f64 v[1:2], v[80:81], v[64:65], v[1:2]
	s_delay_alu instid0(VALU_DEP_1)
	v_add_f64 v[1:2], v[60:61], -v[1:2]
	scratch_store_b64 off, v[1:2], off offset:168
	v_cmpx_lt_u32_e32 20, v0
	s_cbranch_execz .LBB91_137
; %bb.136:
	scratch_load_b64 v[1:2], off, off offset:160
	v_mov_b32_e32 v60, 0
	s_delay_alu instid0(VALU_DEP_1)
	v_mov_b32_e32 v61, v60
	scratch_store_b64 off, v[60:61], off offset:160
	s_waitcnt vmcnt(0)
	ds_store_b64 v3, v[1:2]
.LBB91_137:
	s_or_b32 exec_lo, exec_lo, s0
	s_waitcnt lgkmcnt(0)
	s_waitcnt_vscnt null, 0x0
	s_barrier
	buffer_gl0_inv
	s_clause 0x3
	scratch_load_b128 v[60:63], off, off offset:160
	scratch_load_b128 v[64:67], off, off offset:176
	;; [unrolled: 1-line block ×4, first 2 shown]
	v_mov_b32_e32 v1, 0
	ds_load_2addr_b64 v[76:79], v1 offset0:49 offset1:50
	ds_load_2addr_b64 v[80:83], v1 offset0:51 offset1:52
	s_mov_b32 s0, exec_lo
	s_waitcnt vmcnt(3) lgkmcnt(1)
	v_fma_f64 v[62:63], v[62:63], v[76:77], 0
	s_waitcnt vmcnt(2)
	s_delay_alu instid0(VALU_DEP_1) | instskip(SKIP_1) | instid1(VALU_DEP_1)
	v_fma_f64 v[62:63], v[64:65], v[78:79], v[62:63]
	s_waitcnt lgkmcnt(0)
	v_fma_f64 v[62:63], v[66:67], v[80:81], v[62:63]
	s_waitcnt vmcnt(1)
	s_delay_alu instid0(VALU_DEP_1)
	v_fma_f64 v[66:67], v[68:69], v[82:83], v[62:63]
	ds_load_2addr_b64 v[62:65], v1 offset0:53 offset1:54
	ds_load_b64 v[68:69], v1 offset:440
	s_waitcnt lgkmcnt(1)
	v_fma_f64 v[62:63], v[70:71], v[62:63], v[66:67]
	s_waitcnt vmcnt(0)
	s_delay_alu instid0(VALU_DEP_1) | instskip(SKIP_1) | instid1(VALU_DEP_1)
	v_fma_f64 v[62:63], v[72:73], v[64:65], v[62:63]
	s_waitcnt lgkmcnt(0)
	v_fma_f64 v[62:63], v[74:75], v[68:69], v[62:63]
	s_delay_alu instid0(VALU_DEP_1)
	v_add_f64 v[60:61], v[60:61], -v[62:63]
	scratch_store_b64 off, v[60:61], off offset:160
	v_cmpx_lt_u32_e32 19, v0
	s_cbranch_execz .LBB91_139
; %bb.138:
	scratch_load_b64 v[60:61], off, off offset:152
	v_mov_b32_e32 v2, v1
	scratch_store_b64 off, v[1:2], off offset:152
	s_waitcnt vmcnt(0)
	ds_store_b64 v3, v[60:61]
.LBB91_139:
	s_or_b32 exec_lo, exec_lo, s0
	s_waitcnt lgkmcnt(0)
	s_waitcnt_vscnt null, 0x0
	s_barrier
	buffer_gl0_inv
	s_clause 0x4
	scratch_load_b128 v[60:63], off, off offset:152
	scratch_load_b128 v[64:67], off, off offset:168
	;; [unrolled: 1-line block ×4, first 2 shown]
	scratch_load_b64 v[84:85], off, off offset:216
	ds_load_b128 v[76:79], v1 offset:384
	ds_load_b128 v[80:83], v1 offset:400
	s_mov_b32 s0, exec_lo
	s_waitcnt vmcnt(4) lgkmcnt(1)
	v_fma_f64 v[62:63], v[62:63], v[76:77], 0
	s_waitcnt vmcnt(3)
	s_delay_alu instid0(VALU_DEP_1) | instskip(SKIP_1) | instid1(VALU_DEP_1)
	v_fma_f64 v[62:63], v[64:65], v[78:79], v[62:63]
	s_waitcnt lgkmcnt(0)
	v_fma_f64 v[62:63], v[66:67], v[80:81], v[62:63]
	s_waitcnt vmcnt(2)
	s_delay_alu instid0(VALU_DEP_1)
	v_fma_f64 v[76:77], v[68:69], v[82:83], v[62:63]
	ds_load_b128 v[62:65], v1 offset:416
	ds_load_b128 v[66:69], v1 offset:432
	s_waitcnt lgkmcnt(1)
	v_fma_f64 v[1:2], v[70:71], v[62:63], v[76:77]
	s_waitcnt vmcnt(1)
	s_delay_alu instid0(VALU_DEP_1) | instskip(SKIP_1) | instid1(VALU_DEP_1)
	v_fma_f64 v[1:2], v[72:73], v[64:65], v[1:2]
	s_waitcnt lgkmcnt(0)
	v_fma_f64 v[1:2], v[74:75], v[66:67], v[1:2]
	s_waitcnt vmcnt(0)
	s_delay_alu instid0(VALU_DEP_1) | instskip(NEXT) | instid1(VALU_DEP_1)
	v_fma_f64 v[1:2], v[84:85], v[68:69], v[1:2]
	v_add_f64 v[1:2], v[60:61], -v[1:2]
	scratch_store_b64 off, v[1:2], off offset:152
	v_cmpx_lt_u32_e32 18, v0
	s_cbranch_execz .LBB91_141
; %bb.140:
	scratch_load_b64 v[1:2], off, off offset:144
	v_mov_b32_e32 v60, 0
	s_delay_alu instid0(VALU_DEP_1)
	v_mov_b32_e32 v61, v60
	scratch_store_b64 off, v[60:61], off offset:144
	s_waitcnt vmcnt(0)
	ds_store_b64 v3, v[1:2]
.LBB91_141:
	s_or_b32 exec_lo, exec_lo, s0
	s_waitcnt lgkmcnt(0)
	s_waitcnt_vscnt null, 0x0
	s_barrier
	buffer_gl0_inv
	s_clause 0x4
	scratch_load_b128 v[60:63], off, off offset:144
	scratch_load_b128 v[64:67], off, off offset:160
	;; [unrolled: 1-line block ×5, first 2 shown]
	v_mov_b32_e32 v1, 0
	ds_load_2addr_b64 v[80:83], v1 offset0:47 offset1:48
	ds_load_2addr_b64 v[84:87], v1 offset0:49 offset1:50
	s_mov_b32 s0, exec_lo
	s_waitcnt vmcnt(4) lgkmcnt(1)
	v_fma_f64 v[62:63], v[62:63], v[80:81], 0
	s_waitcnt vmcnt(3)
	s_delay_alu instid0(VALU_DEP_1) | instskip(SKIP_1) | instid1(VALU_DEP_1)
	v_fma_f64 v[62:63], v[64:65], v[82:83], v[62:63]
	s_waitcnt lgkmcnt(0)
	v_fma_f64 v[62:63], v[66:67], v[84:85], v[62:63]
	s_waitcnt vmcnt(2)
	s_delay_alu instid0(VALU_DEP_1)
	v_fma_f64 v[80:81], v[68:69], v[86:87], v[62:63]
	ds_load_2addr_b64 v[62:65], v1 offset0:51 offset1:52
	ds_load_2addr_b64 v[66:69], v1 offset0:53 offset1:54
	s_waitcnt lgkmcnt(1)
	v_fma_f64 v[62:63], v[70:71], v[62:63], v[80:81]
	s_waitcnt vmcnt(1)
	s_delay_alu instid0(VALU_DEP_1) | instskip(SKIP_4) | instid1(VALU_DEP_1)
	v_fma_f64 v[62:63], v[72:73], v[64:65], v[62:63]
	ds_load_b64 v[64:65], v1 offset:440
	s_waitcnt lgkmcnt(1)
	v_fma_f64 v[62:63], v[74:75], v[66:67], v[62:63]
	s_waitcnt vmcnt(0)
	v_fma_f64 v[62:63], v[76:77], v[68:69], v[62:63]
	s_waitcnt lgkmcnt(0)
	s_delay_alu instid0(VALU_DEP_1) | instskip(NEXT) | instid1(VALU_DEP_1)
	v_fma_f64 v[62:63], v[78:79], v[64:65], v[62:63]
	v_add_f64 v[60:61], v[60:61], -v[62:63]
	scratch_store_b64 off, v[60:61], off offset:144
	v_cmpx_lt_u32_e32 17, v0
	s_cbranch_execz .LBB91_143
; %bb.142:
	scratch_load_b64 v[60:61], off, off offset:136
	v_mov_b32_e32 v2, v1
	scratch_store_b64 off, v[1:2], off offset:136
	s_waitcnt vmcnt(0)
	ds_store_b64 v3, v[60:61]
.LBB91_143:
	s_or_b32 exec_lo, exec_lo, s0
	s_waitcnt lgkmcnt(0)
	s_waitcnt_vscnt null, 0x0
	s_barrier
	buffer_gl0_inv
	s_clause 0x4
	scratch_load_b128 v[60:63], off, off offset:136
	scratch_load_b128 v[64:67], off, off offset:152
	;; [unrolled: 1-line block ×5, first 2 shown]
	ds_load_b128 v[80:83], v1 offset:368
	ds_load_b128 v[84:87], v1 offset:384
	s_mov_b32 s0, exec_lo
	s_waitcnt vmcnt(4) lgkmcnt(1)
	v_fma_f64 v[62:63], v[62:63], v[80:81], 0
	scratch_load_b64 v[80:81], off, off offset:216
	s_waitcnt vmcnt(4)
	v_fma_f64 v[62:63], v[64:65], v[82:83], v[62:63]
	s_waitcnt lgkmcnt(0)
	s_delay_alu instid0(VALU_DEP_1) | instskip(SKIP_1) | instid1(VALU_DEP_1)
	v_fma_f64 v[62:63], v[66:67], v[84:85], v[62:63]
	s_waitcnt vmcnt(3)
	v_fma_f64 v[82:83], v[68:69], v[86:87], v[62:63]
	ds_load_b128 v[62:65], v1 offset:400
	ds_load_b128 v[66:69], v1 offset:416
	s_waitcnt lgkmcnt(1)
	v_fma_f64 v[62:63], v[70:71], v[62:63], v[82:83]
	s_waitcnt vmcnt(2)
	s_delay_alu instid0(VALU_DEP_1) | instskip(SKIP_1) | instid1(VALU_DEP_1)
	v_fma_f64 v[62:63], v[72:73], v[64:65], v[62:63]
	s_waitcnt lgkmcnt(0)
	v_fma_f64 v[62:63], v[74:75], v[66:67], v[62:63]
	s_waitcnt vmcnt(1)
	s_delay_alu instid0(VALU_DEP_1) | instskip(SKIP_4) | instid1(VALU_DEP_1)
	v_fma_f64 v[66:67], v[76:77], v[68:69], v[62:63]
	ds_load_b128 v[62:65], v1 offset:432
	s_waitcnt lgkmcnt(0)
	v_fma_f64 v[1:2], v[78:79], v[62:63], v[66:67]
	s_waitcnt vmcnt(0)
	v_fma_f64 v[1:2], v[80:81], v[64:65], v[1:2]
	s_delay_alu instid0(VALU_DEP_1)
	v_add_f64 v[1:2], v[60:61], -v[1:2]
	scratch_store_b64 off, v[1:2], off offset:136
	v_cmpx_lt_u32_e32 16, v0
	s_cbranch_execz .LBB91_145
; %bb.144:
	scratch_load_b64 v[1:2], off, off offset:128
	v_mov_b32_e32 v60, 0
	s_delay_alu instid0(VALU_DEP_1)
	v_mov_b32_e32 v61, v60
	scratch_store_b64 off, v[60:61], off offset:128
	s_waitcnt vmcnt(0)
	ds_store_b64 v3, v[1:2]
.LBB91_145:
	s_or_b32 exec_lo, exec_lo, s0
	s_waitcnt lgkmcnt(0)
	s_waitcnt_vscnt null, 0x0
	s_barrier
	buffer_gl0_inv
	s_clause 0x4
	scratch_load_b128 v[60:63], off, off offset:128
	scratch_load_b128 v[64:67], off, off offset:144
	;; [unrolled: 1-line block ×5, first 2 shown]
	v_mov_b32_e32 v1, 0
	ds_load_2addr_b64 v[80:83], v1 offset0:45 offset1:46
	ds_load_2addr_b64 v[84:87], v1 offset0:47 offset1:48
	scratch_load_b128 v[88:91], off, off offset:208
	s_mov_b32 s0, exec_lo
	s_waitcnt vmcnt(5) lgkmcnt(1)
	v_fma_f64 v[62:63], v[62:63], v[80:81], 0
	s_waitcnt vmcnt(4)
	s_delay_alu instid0(VALU_DEP_1) | instskip(SKIP_1) | instid1(VALU_DEP_1)
	v_fma_f64 v[62:63], v[64:65], v[82:83], v[62:63]
	s_waitcnt lgkmcnt(0)
	v_fma_f64 v[62:63], v[66:67], v[84:85], v[62:63]
	s_waitcnt vmcnt(3)
	s_delay_alu instid0(VALU_DEP_1)
	v_fma_f64 v[80:81], v[68:69], v[86:87], v[62:63]
	ds_load_2addr_b64 v[62:65], v1 offset0:49 offset1:50
	ds_load_2addr_b64 v[66:69], v1 offset0:51 offset1:52
	s_waitcnt lgkmcnt(1)
	v_fma_f64 v[62:63], v[70:71], v[62:63], v[80:81]
	s_waitcnt vmcnt(2)
	s_delay_alu instid0(VALU_DEP_1) | instskip(SKIP_1) | instid1(VALU_DEP_1)
	v_fma_f64 v[62:63], v[72:73], v[64:65], v[62:63]
	s_waitcnt lgkmcnt(0)
	v_fma_f64 v[62:63], v[74:75], v[66:67], v[62:63]
	s_waitcnt vmcnt(1)
	s_delay_alu instid0(VALU_DEP_1)
	v_fma_f64 v[66:67], v[76:77], v[68:69], v[62:63]
	ds_load_2addr_b64 v[62:65], v1 offset0:53 offset1:54
	ds_load_b64 v[68:69], v1 offset:440
	s_waitcnt lgkmcnt(1)
	v_fma_f64 v[62:63], v[78:79], v[62:63], v[66:67]
	s_waitcnt vmcnt(0)
	s_delay_alu instid0(VALU_DEP_1) | instskip(SKIP_1) | instid1(VALU_DEP_1)
	v_fma_f64 v[62:63], v[88:89], v[64:65], v[62:63]
	s_waitcnt lgkmcnt(0)
	v_fma_f64 v[62:63], v[90:91], v[68:69], v[62:63]
	s_delay_alu instid0(VALU_DEP_1)
	v_add_f64 v[60:61], v[60:61], -v[62:63]
	scratch_store_b64 off, v[60:61], off offset:128
	v_cmpx_lt_u32_e32 15, v0
	s_cbranch_execz .LBB91_147
; %bb.146:
	scratch_load_b64 v[60:61], off, off offset:120
	v_mov_b32_e32 v2, v1
	scratch_store_b64 off, v[1:2], off offset:120
	s_waitcnt vmcnt(0)
	ds_store_b64 v3, v[60:61]
.LBB91_147:
	s_or_b32 exec_lo, exec_lo, s0
	s_waitcnt lgkmcnt(0)
	s_waitcnt_vscnt null, 0x0
	s_barrier
	buffer_gl0_inv
	s_clause 0x4
	scratch_load_b128 v[60:63], off, off offset:120
	scratch_load_b128 v[64:67], off, off offset:136
	;; [unrolled: 1-line block ×5, first 2 shown]
	ds_load_b128 v[80:83], v1 offset:352
	ds_load_b128 v[84:87], v1 offset:368
	scratch_load_b128 v[88:91], off, off offset:200
	s_mov_b32 s0, exec_lo
	s_waitcnt vmcnt(5) lgkmcnt(1)
	v_fma_f64 v[62:63], v[62:63], v[80:81], 0
	scratch_load_b64 v[80:81], off, off offset:216
	s_waitcnt vmcnt(5)
	v_fma_f64 v[62:63], v[64:65], v[82:83], v[62:63]
	s_waitcnt lgkmcnt(0)
	s_delay_alu instid0(VALU_DEP_1) | instskip(SKIP_1) | instid1(VALU_DEP_1)
	v_fma_f64 v[62:63], v[66:67], v[84:85], v[62:63]
	s_waitcnt vmcnt(4)
	v_fma_f64 v[82:83], v[68:69], v[86:87], v[62:63]
	ds_load_b128 v[62:65], v1 offset:384
	ds_load_b128 v[66:69], v1 offset:400
	s_waitcnt lgkmcnt(1)
	v_fma_f64 v[62:63], v[70:71], v[62:63], v[82:83]
	s_waitcnt vmcnt(3)
	s_delay_alu instid0(VALU_DEP_1) | instskip(SKIP_1) | instid1(VALU_DEP_1)
	v_fma_f64 v[62:63], v[72:73], v[64:65], v[62:63]
	s_waitcnt lgkmcnt(0)
	v_fma_f64 v[62:63], v[74:75], v[66:67], v[62:63]
	s_waitcnt vmcnt(2)
	s_delay_alu instid0(VALU_DEP_1)
	v_fma_f64 v[70:71], v[76:77], v[68:69], v[62:63]
	ds_load_b128 v[62:65], v1 offset:416
	ds_load_b128 v[66:69], v1 offset:432
	s_waitcnt lgkmcnt(1)
	v_fma_f64 v[1:2], v[78:79], v[62:63], v[70:71]
	s_waitcnt vmcnt(1)
	s_delay_alu instid0(VALU_DEP_1) | instskip(SKIP_1) | instid1(VALU_DEP_1)
	v_fma_f64 v[1:2], v[88:89], v[64:65], v[1:2]
	s_waitcnt lgkmcnt(0)
	v_fma_f64 v[1:2], v[90:91], v[66:67], v[1:2]
	s_waitcnt vmcnt(0)
	s_delay_alu instid0(VALU_DEP_1) | instskip(NEXT) | instid1(VALU_DEP_1)
	v_fma_f64 v[1:2], v[80:81], v[68:69], v[1:2]
	v_add_f64 v[1:2], v[60:61], -v[1:2]
	scratch_store_b64 off, v[1:2], off offset:120
	v_cmpx_lt_u32_e32 14, v0
	s_cbranch_execz .LBB91_149
; %bb.148:
	scratch_load_b64 v[1:2], off, off offset:112
	v_mov_b32_e32 v60, 0
	s_delay_alu instid0(VALU_DEP_1)
	v_mov_b32_e32 v61, v60
	scratch_store_b64 off, v[60:61], off offset:112
	s_waitcnt vmcnt(0)
	ds_store_b64 v3, v[1:2]
.LBB91_149:
	s_or_b32 exec_lo, exec_lo, s0
	s_waitcnt lgkmcnt(0)
	s_waitcnt_vscnt null, 0x0
	s_barrier
	buffer_gl0_inv
	s_clause 0x4
	scratch_load_b128 v[60:63], off, off offset:112
	scratch_load_b128 v[64:67], off, off offset:128
	;; [unrolled: 1-line block ×5, first 2 shown]
	v_mov_b32_e32 v1, 0
	ds_load_2addr_b64 v[80:83], v1 offset0:43 offset1:44
	ds_load_2addr_b64 v[84:87], v1 offset0:45 offset1:46
	scratch_load_b128 v[88:91], off, off offset:192
	s_mov_b32 s0, exec_lo
	s_waitcnt vmcnt(5) lgkmcnt(1)
	v_fma_f64 v[62:63], v[62:63], v[80:81], 0
	s_waitcnt vmcnt(4)
	s_delay_alu instid0(VALU_DEP_1) | instskip(SKIP_1) | instid1(VALU_DEP_1)
	v_fma_f64 v[62:63], v[64:65], v[82:83], v[62:63]
	s_waitcnt lgkmcnt(0)
	v_fma_f64 v[66:67], v[66:67], v[84:85], v[62:63]
	scratch_load_b128 v[62:65], off, off offset:208
	s_waitcnt vmcnt(4)
	v_fma_f64 v[84:85], v[68:69], v[86:87], v[66:67]
	ds_load_2addr_b64 v[66:69], v1 offset0:47 offset1:48
	ds_load_2addr_b64 v[80:83], v1 offset0:49 offset1:50
	s_waitcnt lgkmcnt(1)
	v_fma_f64 v[66:67], v[70:71], v[66:67], v[84:85]
	s_waitcnt vmcnt(3)
	s_delay_alu instid0(VALU_DEP_1) | instskip(SKIP_1) | instid1(VALU_DEP_1)
	v_fma_f64 v[66:67], v[72:73], v[68:69], v[66:67]
	s_waitcnt lgkmcnt(0)
	v_fma_f64 v[66:67], v[74:75], v[80:81], v[66:67]
	s_waitcnt vmcnt(2)
	s_delay_alu instid0(VALU_DEP_1)
	v_fma_f64 v[74:75], v[76:77], v[82:83], v[66:67]
	ds_load_2addr_b64 v[66:69], v1 offset0:51 offset1:52
	ds_load_2addr_b64 v[70:73], v1 offset0:53 offset1:54
	s_waitcnt lgkmcnt(1)
	v_fma_f64 v[66:67], v[78:79], v[66:67], v[74:75]
	s_waitcnt vmcnt(1)
	s_delay_alu instid0(VALU_DEP_1) | instskip(SKIP_1) | instid1(VALU_DEP_1)
	v_fma_f64 v[66:67], v[88:89], v[68:69], v[66:67]
	s_waitcnt lgkmcnt(0)
	v_fma_f64 v[66:67], v[90:91], v[70:71], v[66:67]
	s_waitcnt vmcnt(0)
	s_delay_alu instid0(VALU_DEP_1) | instskip(SKIP_3) | instid1(VALU_DEP_1)
	v_fma_f64 v[62:63], v[62:63], v[72:73], v[66:67]
	ds_load_b64 v[66:67], v1 offset:440
	s_waitcnt lgkmcnt(0)
	v_fma_f64 v[62:63], v[64:65], v[66:67], v[62:63]
	v_add_f64 v[60:61], v[60:61], -v[62:63]
	scratch_store_b64 off, v[60:61], off offset:112
	v_cmpx_lt_u32_e32 13, v0
	s_cbranch_execz .LBB91_151
; %bb.150:
	scratch_load_b64 v[60:61], off, off offset:104
	v_mov_b32_e32 v2, v1
	scratch_store_b64 off, v[1:2], off offset:104
	s_waitcnt vmcnt(0)
	ds_store_b64 v3, v[60:61]
.LBB91_151:
	s_or_b32 exec_lo, exec_lo, s0
	s_waitcnt lgkmcnt(0)
	s_waitcnt_vscnt null, 0x0
	s_barrier
	buffer_gl0_inv
	s_clause 0x4
	scratch_load_b128 v[60:63], off, off offset:104
	scratch_load_b128 v[64:67], off, off offset:120
	;; [unrolled: 1-line block ×5, first 2 shown]
	ds_load_b128 v[80:83], v1 offset:336
	ds_load_b128 v[84:87], v1 offset:352
	scratch_load_b128 v[88:91], off, off offset:184
	s_mov_b32 s0, exec_lo
	s_waitcnt vmcnt(5) lgkmcnt(1)
	v_fma_f64 v[62:63], v[62:63], v[80:81], 0
	s_waitcnt vmcnt(4)
	s_delay_alu instid0(VALU_DEP_1) | instskip(SKIP_1) | instid1(VALU_DEP_1)
	v_fma_f64 v[62:63], v[64:65], v[82:83], v[62:63]
	s_waitcnt lgkmcnt(0)
	v_fma_f64 v[66:67], v[66:67], v[84:85], v[62:63]
	scratch_load_b128 v[62:65], off, off offset:200
	s_waitcnt vmcnt(4)
	v_fma_f64 v[84:85], v[68:69], v[86:87], v[66:67]
	ds_load_b128 v[66:69], v1 offset:368
	ds_load_b128 v[80:83], v1 offset:384
	s_waitcnt lgkmcnt(1)
	v_fma_f64 v[66:67], v[70:71], v[66:67], v[84:85]
	scratch_load_b64 v[84:85], off, off offset:216
	s_waitcnt vmcnt(4)
	v_fma_f64 v[66:67], v[72:73], v[68:69], v[66:67]
	s_waitcnt lgkmcnt(0)
	s_delay_alu instid0(VALU_DEP_1) | instskip(SKIP_1) | instid1(VALU_DEP_1)
	v_fma_f64 v[66:67], v[74:75], v[80:81], v[66:67]
	s_waitcnt vmcnt(3)
	v_fma_f64 v[74:75], v[76:77], v[82:83], v[66:67]
	ds_load_b128 v[66:69], v1 offset:400
	ds_load_b128 v[70:73], v1 offset:416
	s_waitcnt lgkmcnt(1)
	v_fma_f64 v[66:67], v[78:79], v[66:67], v[74:75]
	s_waitcnt vmcnt(2)
	s_delay_alu instid0(VALU_DEP_1) | instskip(SKIP_1) | instid1(VALU_DEP_1)
	v_fma_f64 v[66:67], v[88:89], v[68:69], v[66:67]
	s_waitcnt lgkmcnt(0)
	v_fma_f64 v[66:67], v[90:91], v[70:71], v[66:67]
	s_waitcnt vmcnt(1)
	s_delay_alu instid0(VALU_DEP_1) | instskip(SKIP_4) | instid1(VALU_DEP_1)
	v_fma_f64 v[62:63], v[62:63], v[72:73], v[66:67]
	ds_load_b128 v[66:69], v1 offset:432
	s_waitcnt lgkmcnt(0)
	v_fma_f64 v[1:2], v[64:65], v[66:67], v[62:63]
	s_waitcnt vmcnt(0)
	v_fma_f64 v[1:2], v[84:85], v[68:69], v[1:2]
	s_delay_alu instid0(VALU_DEP_1)
	v_add_f64 v[1:2], v[60:61], -v[1:2]
	scratch_store_b64 off, v[1:2], off offset:104
	v_cmpx_lt_u32_e32 12, v0
	s_cbranch_execz .LBB91_153
; %bb.152:
	scratch_load_b64 v[1:2], off, off offset:96
	v_mov_b32_e32 v60, 0
	s_delay_alu instid0(VALU_DEP_1)
	v_mov_b32_e32 v61, v60
	scratch_store_b64 off, v[60:61], off offset:96
	s_waitcnt vmcnt(0)
	ds_store_b64 v3, v[1:2]
.LBB91_153:
	s_or_b32 exec_lo, exec_lo, s0
	s_waitcnt lgkmcnt(0)
	s_waitcnt_vscnt null, 0x0
	s_barrier
	buffer_gl0_inv
	s_clause 0x4
	scratch_load_b128 v[60:63], off, off offset:96
	scratch_load_b128 v[64:67], off, off offset:112
	;; [unrolled: 1-line block ×5, first 2 shown]
	v_mov_b32_e32 v1, 0
	ds_load_2addr_b64 v[80:83], v1 offset0:41 offset1:42
	ds_load_2addr_b64 v[84:87], v1 offset0:43 offset1:44
	scratch_load_b128 v[88:91], off, off offset:176
	s_mov_b32 s0, exec_lo
	s_waitcnt vmcnt(5) lgkmcnt(1)
	v_fma_f64 v[62:63], v[62:63], v[80:81], 0
	s_waitcnt vmcnt(4)
	s_delay_alu instid0(VALU_DEP_1) | instskip(SKIP_1) | instid1(VALU_DEP_1)
	v_fma_f64 v[62:63], v[64:65], v[82:83], v[62:63]
	s_waitcnt lgkmcnt(0)
	v_fma_f64 v[66:67], v[66:67], v[84:85], v[62:63]
	scratch_load_b128 v[62:65], off, off offset:192
	s_waitcnt vmcnt(4)
	v_fma_f64 v[84:85], v[68:69], v[86:87], v[66:67]
	ds_load_2addr_b64 v[66:69], v1 offset0:45 offset1:46
	ds_load_2addr_b64 v[80:83], v1 offset0:47 offset1:48
	s_waitcnt lgkmcnt(1)
	v_fma_f64 v[66:67], v[70:71], v[66:67], v[84:85]
	scratch_load_b128 v[84:87], off, off offset:208
	s_waitcnt vmcnt(4)
	v_fma_f64 v[66:67], v[72:73], v[68:69], v[66:67]
	s_waitcnt lgkmcnt(0)
	s_delay_alu instid0(VALU_DEP_1) | instskip(SKIP_1) | instid1(VALU_DEP_1)
	v_fma_f64 v[66:67], v[74:75], v[80:81], v[66:67]
	s_waitcnt vmcnt(3)
	v_fma_f64 v[74:75], v[76:77], v[82:83], v[66:67]
	ds_load_2addr_b64 v[66:69], v1 offset0:49 offset1:50
	ds_load_2addr_b64 v[70:73], v1 offset0:51 offset1:52
	s_waitcnt lgkmcnt(1)
	v_fma_f64 v[66:67], v[78:79], v[66:67], v[74:75]
	s_waitcnt vmcnt(2)
	s_delay_alu instid0(VALU_DEP_1) | instskip(SKIP_1) | instid1(VALU_DEP_1)
	v_fma_f64 v[66:67], v[88:89], v[68:69], v[66:67]
	s_waitcnt lgkmcnt(0)
	v_fma_f64 v[66:67], v[90:91], v[70:71], v[66:67]
	s_waitcnt vmcnt(1)
	s_delay_alu instid0(VALU_DEP_1)
	v_fma_f64 v[62:63], v[62:63], v[72:73], v[66:67]
	ds_load_2addr_b64 v[66:69], v1 offset0:53 offset1:54
	ds_load_b64 v[70:71], v1 offset:440
	s_waitcnt lgkmcnt(1)
	v_fma_f64 v[62:63], v[64:65], v[66:67], v[62:63]
	s_waitcnt vmcnt(0)
	s_delay_alu instid0(VALU_DEP_1) | instskip(SKIP_1) | instid1(VALU_DEP_1)
	v_fma_f64 v[62:63], v[84:85], v[68:69], v[62:63]
	s_waitcnt lgkmcnt(0)
	v_fma_f64 v[62:63], v[86:87], v[70:71], v[62:63]
	s_delay_alu instid0(VALU_DEP_1)
	v_add_f64 v[60:61], v[60:61], -v[62:63]
	scratch_store_b64 off, v[60:61], off offset:96
	v_cmpx_lt_u32_e32 11, v0
	s_cbranch_execz .LBB91_155
; %bb.154:
	scratch_load_b64 v[60:61], off, off offset:88
	v_mov_b32_e32 v2, v1
	scratch_store_b64 off, v[1:2], off offset:88
	s_waitcnt vmcnt(0)
	ds_store_b64 v3, v[60:61]
.LBB91_155:
	s_or_b32 exec_lo, exec_lo, s0
	s_waitcnt lgkmcnt(0)
	s_waitcnt_vscnt null, 0x0
	s_barrier
	buffer_gl0_inv
	s_clause 0x4
	scratch_load_b128 v[60:63], off, off offset:88
	scratch_load_b128 v[64:67], off, off offset:104
	;; [unrolled: 1-line block ×5, first 2 shown]
	ds_load_b128 v[80:83], v1 offset:320
	ds_load_b128 v[84:87], v1 offset:336
	scratch_load_b128 v[88:91], off, off offset:168
	s_mov_b32 s0, exec_lo
	s_waitcnt vmcnt(5) lgkmcnt(1)
	v_fma_f64 v[62:63], v[62:63], v[80:81], 0
	s_waitcnt vmcnt(4)
	s_delay_alu instid0(VALU_DEP_1) | instskip(SKIP_1) | instid1(VALU_DEP_1)
	v_fma_f64 v[62:63], v[64:65], v[82:83], v[62:63]
	s_waitcnt lgkmcnt(0)
	v_fma_f64 v[66:67], v[66:67], v[84:85], v[62:63]
	scratch_load_b128 v[62:65], off, off offset:184
	s_waitcnt vmcnt(4)
	v_fma_f64 v[84:85], v[68:69], v[86:87], v[66:67]
	ds_load_b128 v[66:69], v1 offset:352
	ds_load_b128 v[80:83], v1 offset:368
	s_waitcnt lgkmcnt(1)
	v_fma_f64 v[66:67], v[70:71], v[66:67], v[84:85]
	scratch_load_b128 v[84:87], off, off offset:200
	s_waitcnt vmcnt(4)
	v_fma_f64 v[66:67], v[72:73], v[68:69], v[66:67]
	s_waitcnt lgkmcnt(0)
	s_delay_alu instid0(VALU_DEP_1)
	v_fma_f64 v[66:67], v[74:75], v[80:81], v[66:67]
	scratch_load_b64 v[74:75], off, off offset:216
	s_waitcnt vmcnt(4)
	v_fma_f64 v[76:77], v[76:77], v[82:83], v[66:67]
	ds_load_b128 v[66:69], v1 offset:384
	ds_load_b128 v[70:73], v1 offset:400
	s_waitcnt lgkmcnt(1)
	v_fma_f64 v[66:67], v[78:79], v[66:67], v[76:77]
	s_waitcnt vmcnt(3)
	s_delay_alu instid0(VALU_DEP_1) | instskip(SKIP_1) | instid1(VALU_DEP_1)
	v_fma_f64 v[66:67], v[88:89], v[68:69], v[66:67]
	s_waitcnt lgkmcnt(0)
	v_fma_f64 v[66:67], v[90:91], v[70:71], v[66:67]
	s_waitcnt vmcnt(2)
	s_delay_alu instid0(VALU_DEP_1)
	v_fma_f64 v[62:63], v[62:63], v[72:73], v[66:67]
	ds_load_b128 v[66:69], v1 offset:416
	ds_load_b128 v[70:73], v1 offset:432
	s_waitcnt lgkmcnt(1)
	v_fma_f64 v[1:2], v[64:65], v[66:67], v[62:63]
	s_waitcnt vmcnt(1)
	s_delay_alu instid0(VALU_DEP_1) | instskip(SKIP_1) | instid1(VALU_DEP_1)
	v_fma_f64 v[1:2], v[84:85], v[68:69], v[1:2]
	s_waitcnt lgkmcnt(0)
	v_fma_f64 v[1:2], v[86:87], v[70:71], v[1:2]
	s_waitcnt vmcnt(0)
	s_delay_alu instid0(VALU_DEP_1) | instskip(NEXT) | instid1(VALU_DEP_1)
	v_fma_f64 v[1:2], v[74:75], v[72:73], v[1:2]
	v_add_f64 v[1:2], v[60:61], -v[1:2]
	scratch_store_b64 off, v[1:2], off offset:88
	v_cmpx_lt_u32_e32 10, v0
	s_cbranch_execz .LBB91_157
; %bb.156:
	scratch_load_b64 v[1:2], off, off offset:80
	v_mov_b32_e32 v60, 0
	s_delay_alu instid0(VALU_DEP_1)
	v_mov_b32_e32 v61, v60
	scratch_store_b64 off, v[60:61], off offset:80
	s_waitcnt vmcnt(0)
	ds_store_b64 v3, v[1:2]
.LBB91_157:
	s_or_b32 exec_lo, exec_lo, s0
	s_waitcnt lgkmcnt(0)
	s_waitcnt_vscnt null, 0x0
	s_barrier
	buffer_gl0_inv
	s_clause 0x4
	scratch_load_b128 v[60:63], off, off offset:80
	scratch_load_b128 v[64:67], off, off offset:96
	;; [unrolled: 1-line block ×5, first 2 shown]
	v_mov_b32_e32 v1, 0
	ds_load_2addr_b64 v[80:83], v1 offset0:39 offset1:40
	ds_load_2addr_b64 v[84:87], v1 offset0:41 offset1:42
	scratch_load_b128 v[88:91], off, off offset:160
	s_mov_b32 s0, exec_lo
	s_waitcnt vmcnt(5) lgkmcnt(1)
	v_fma_f64 v[62:63], v[62:63], v[80:81], 0
	s_waitcnt vmcnt(4)
	s_delay_alu instid0(VALU_DEP_1) | instskip(SKIP_1) | instid1(VALU_DEP_1)
	v_fma_f64 v[62:63], v[64:65], v[82:83], v[62:63]
	s_waitcnt lgkmcnt(0)
	v_fma_f64 v[66:67], v[66:67], v[84:85], v[62:63]
	scratch_load_b128 v[62:65], off, off offset:176
	s_waitcnt vmcnt(4)
	v_fma_f64 v[84:85], v[68:69], v[86:87], v[66:67]
	ds_load_2addr_b64 v[66:69], v1 offset0:43 offset1:44
	ds_load_2addr_b64 v[80:83], v1 offset0:45 offset1:46
	s_waitcnt lgkmcnt(1)
	v_fma_f64 v[66:67], v[70:71], v[66:67], v[84:85]
	scratch_load_b128 v[84:87], off, off offset:192
	s_waitcnt vmcnt(4)
	v_fma_f64 v[66:67], v[72:73], v[68:69], v[66:67]
	s_waitcnt lgkmcnt(0)
	s_delay_alu instid0(VALU_DEP_1)
	v_fma_f64 v[70:71], v[74:75], v[80:81], v[66:67]
	scratch_load_b128 v[66:69], off, off offset:208
	s_waitcnt vmcnt(4)
	v_fma_f64 v[80:81], v[76:77], v[82:83], v[70:71]
	ds_load_2addr_b64 v[70:73], v1 offset0:47 offset1:48
	ds_load_2addr_b64 v[74:77], v1 offset0:49 offset1:50
	s_waitcnt lgkmcnt(1)
	v_fma_f64 v[70:71], v[78:79], v[70:71], v[80:81]
	s_waitcnt vmcnt(3)
	s_delay_alu instid0(VALU_DEP_1) | instskip(SKIP_1) | instid1(VALU_DEP_1)
	v_fma_f64 v[70:71], v[88:89], v[72:73], v[70:71]
	s_waitcnt lgkmcnt(0)
	v_fma_f64 v[70:71], v[90:91], v[74:75], v[70:71]
	s_waitcnt vmcnt(2)
	s_delay_alu instid0(VALU_DEP_1)
	v_fma_f64 v[62:63], v[62:63], v[76:77], v[70:71]
	ds_load_2addr_b64 v[70:73], v1 offset0:51 offset1:52
	ds_load_2addr_b64 v[74:77], v1 offset0:53 offset1:54
	s_waitcnt lgkmcnt(1)
	v_fma_f64 v[62:63], v[64:65], v[70:71], v[62:63]
	ds_load_b64 v[64:65], v1 offset:440
	s_waitcnt vmcnt(1)
	v_fma_f64 v[62:63], v[84:85], v[72:73], v[62:63]
	s_waitcnt lgkmcnt(1)
	s_delay_alu instid0(VALU_DEP_1) | instskip(SKIP_1) | instid1(VALU_DEP_1)
	v_fma_f64 v[62:63], v[86:87], v[74:75], v[62:63]
	s_waitcnt vmcnt(0)
	v_fma_f64 v[62:63], v[66:67], v[76:77], v[62:63]
	s_waitcnt lgkmcnt(0)
	s_delay_alu instid0(VALU_DEP_1) | instskip(NEXT) | instid1(VALU_DEP_1)
	v_fma_f64 v[62:63], v[68:69], v[64:65], v[62:63]
	v_add_f64 v[60:61], v[60:61], -v[62:63]
	scratch_store_b64 off, v[60:61], off offset:80
	v_cmpx_lt_u32_e32 9, v0
	s_cbranch_execz .LBB91_159
; %bb.158:
	scratch_load_b64 v[60:61], off, off offset:72
	v_mov_b32_e32 v2, v1
	scratch_store_b64 off, v[1:2], off offset:72
	s_waitcnt vmcnt(0)
	ds_store_b64 v3, v[60:61]
.LBB91_159:
	s_or_b32 exec_lo, exec_lo, s0
	s_waitcnt lgkmcnt(0)
	s_waitcnt_vscnt null, 0x0
	s_barrier
	buffer_gl0_inv
	s_clause 0x4
	scratch_load_b128 v[60:63], off, off offset:72
	scratch_load_b128 v[64:67], off, off offset:88
	;; [unrolled: 1-line block ×5, first 2 shown]
	ds_load_b128 v[80:83], v1 offset:304
	ds_load_b128 v[84:87], v1 offset:320
	scratch_load_b128 v[88:91], off, off offset:152
	s_mov_b32 s0, exec_lo
	s_waitcnt vmcnt(5) lgkmcnt(1)
	v_fma_f64 v[62:63], v[62:63], v[80:81], 0
	s_waitcnt vmcnt(4)
	s_delay_alu instid0(VALU_DEP_1) | instskip(SKIP_1) | instid1(VALU_DEP_1)
	v_fma_f64 v[62:63], v[64:65], v[82:83], v[62:63]
	s_waitcnt lgkmcnt(0)
	v_fma_f64 v[66:67], v[66:67], v[84:85], v[62:63]
	scratch_load_b128 v[62:65], off, off offset:168
	s_waitcnt vmcnt(4)
	v_fma_f64 v[84:85], v[68:69], v[86:87], v[66:67]
	ds_load_b128 v[66:69], v1 offset:336
	ds_load_b128 v[80:83], v1 offset:352
	s_waitcnt lgkmcnt(1)
	v_fma_f64 v[66:67], v[70:71], v[66:67], v[84:85]
	scratch_load_b128 v[84:87], off, off offset:184
	s_waitcnt vmcnt(4)
	v_fma_f64 v[66:67], v[72:73], v[68:69], v[66:67]
	s_waitcnt lgkmcnt(0)
	s_delay_alu instid0(VALU_DEP_1)
	v_fma_f64 v[70:71], v[74:75], v[80:81], v[66:67]
	scratch_load_b128 v[66:69], off, off offset:200
	s_waitcnt vmcnt(4)
	v_fma_f64 v[80:81], v[76:77], v[82:83], v[70:71]
	ds_load_b128 v[70:73], v1 offset:368
	ds_load_b128 v[74:77], v1 offset:384
	s_waitcnt lgkmcnt(1)
	v_fma_f64 v[70:71], v[78:79], v[70:71], v[80:81]
	scratch_load_b64 v[78:79], off, off offset:216
	s_waitcnt vmcnt(4)
	v_fma_f64 v[70:71], v[88:89], v[72:73], v[70:71]
	s_waitcnt lgkmcnt(0)
	s_delay_alu instid0(VALU_DEP_1) | instskip(SKIP_1) | instid1(VALU_DEP_1)
	v_fma_f64 v[70:71], v[90:91], v[74:75], v[70:71]
	s_waitcnt vmcnt(3)
	v_fma_f64 v[62:63], v[62:63], v[76:77], v[70:71]
	ds_load_b128 v[70:73], v1 offset:400
	ds_load_b128 v[74:77], v1 offset:416
	s_waitcnt lgkmcnt(1)
	v_fma_f64 v[62:63], v[64:65], v[70:71], v[62:63]
	s_waitcnt vmcnt(2)
	s_delay_alu instid0(VALU_DEP_1) | instskip(SKIP_1) | instid1(VALU_DEP_1)
	v_fma_f64 v[62:63], v[84:85], v[72:73], v[62:63]
	s_waitcnt lgkmcnt(0)
	v_fma_f64 v[62:63], v[86:87], v[74:75], v[62:63]
	s_waitcnt vmcnt(1)
	s_delay_alu instid0(VALU_DEP_1) | instskip(SKIP_4) | instid1(VALU_DEP_1)
	v_fma_f64 v[66:67], v[66:67], v[76:77], v[62:63]
	ds_load_b128 v[62:65], v1 offset:432
	s_waitcnt lgkmcnt(0)
	v_fma_f64 v[1:2], v[68:69], v[62:63], v[66:67]
	s_waitcnt vmcnt(0)
	v_fma_f64 v[1:2], v[78:79], v[64:65], v[1:2]
	s_delay_alu instid0(VALU_DEP_1)
	v_add_f64 v[1:2], v[60:61], -v[1:2]
	scratch_store_b64 off, v[1:2], off offset:72
	v_cmpx_lt_u32_e32 8, v0
	s_cbranch_execz .LBB91_161
; %bb.160:
	scratch_load_b64 v[1:2], off, off offset:64
	v_mov_b32_e32 v60, 0
	s_delay_alu instid0(VALU_DEP_1)
	v_mov_b32_e32 v61, v60
	scratch_store_b64 off, v[60:61], off offset:64
	s_waitcnt vmcnt(0)
	ds_store_b64 v3, v[1:2]
.LBB91_161:
	s_or_b32 exec_lo, exec_lo, s0
	s_waitcnt lgkmcnt(0)
	s_waitcnt_vscnt null, 0x0
	s_barrier
	buffer_gl0_inv
	s_clause 0x4
	scratch_load_b128 v[60:63], off, off offset:64
	scratch_load_b128 v[64:67], off, off offset:80
	scratch_load_b128 v[68:71], off, off offset:96
	scratch_load_b128 v[72:75], off, off offset:112
	scratch_load_b128 v[76:79], off, off offset:128
	v_mov_b32_e32 v1, 0
	ds_load_2addr_b64 v[80:83], v1 offset0:37 offset1:38
	ds_load_2addr_b64 v[84:87], v1 offset0:39 offset1:40
	scratch_load_b128 v[88:91], off, off offset:144
	s_mov_b32 s0, exec_lo
	s_waitcnt vmcnt(5) lgkmcnt(1)
	v_fma_f64 v[62:63], v[62:63], v[80:81], 0
	s_waitcnt vmcnt(4)
	s_delay_alu instid0(VALU_DEP_1) | instskip(SKIP_1) | instid1(VALU_DEP_1)
	v_fma_f64 v[62:63], v[64:65], v[82:83], v[62:63]
	s_waitcnt lgkmcnt(0)
	v_fma_f64 v[66:67], v[66:67], v[84:85], v[62:63]
	scratch_load_b128 v[62:65], off, off offset:160
	s_waitcnt vmcnt(4)
	v_fma_f64 v[84:85], v[68:69], v[86:87], v[66:67]
	ds_load_2addr_b64 v[66:69], v1 offset0:41 offset1:42
	ds_load_2addr_b64 v[80:83], v1 offset0:43 offset1:44
	s_waitcnt lgkmcnt(1)
	v_fma_f64 v[66:67], v[70:71], v[66:67], v[84:85]
	scratch_load_b128 v[84:87], off, off offset:176
	s_waitcnt vmcnt(4)
	v_fma_f64 v[66:67], v[72:73], v[68:69], v[66:67]
	s_waitcnt lgkmcnt(0)
	s_delay_alu instid0(VALU_DEP_1)
	v_fma_f64 v[70:71], v[74:75], v[80:81], v[66:67]
	scratch_load_b128 v[66:69], off, off offset:192
	s_waitcnt vmcnt(4)
	v_fma_f64 v[80:81], v[76:77], v[82:83], v[70:71]
	ds_load_2addr_b64 v[70:73], v1 offset0:45 offset1:46
	ds_load_2addr_b64 v[74:77], v1 offset0:47 offset1:48
	s_waitcnt lgkmcnt(1)
	v_fma_f64 v[70:71], v[78:79], v[70:71], v[80:81]
	scratch_load_b128 v[78:81], off, off offset:208
	s_waitcnt vmcnt(4)
	v_fma_f64 v[70:71], v[88:89], v[72:73], v[70:71]
	s_waitcnt lgkmcnt(0)
	s_delay_alu instid0(VALU_DEP_1) | instskip(SKIP_1) | instid1(VALU_DEP_1)
	v_fma_f64 v[70:71], v[90:91], v[74:75], v[70:71]
	s_waitcnt vmcnt(3)
	v_fma_f64 v[62:63], v[62:63], v[76:77], v[70:71]
	ds_load_2addr_b64 v[70:73], v1 offset0:49 offset1:50
	ds_load_2addr_b64 v[74:77], v1 offset0:51 offset1:52
	s_waitcnt lgkmcnt(1)
	v_fma_f64 v[62:63], v[64:65], v[70:71], v[62:63]
	s_waitcnt vmcnt(2)
	s_delay_alu instid0(VALU_DEP_1) | instskip(SKIP_1) | instid1(VALU_DEP_1)
	v_fma_f64 v[62:63], v[84:85], v[72:73], v[62:63]
	s_waitcnt lgkmcnt(0)
	v_fma_f64 v[62:63], v[86:87], v[74:75], v[62:63]
	s_waitcnt vmcnt(1)
	s_delay_alu instid0(VALU_DEP_1)
	v_fma_f64 v[66:67], v[66:67], v[76:77], v[62:63]
	ds_load_2addr_b64 v[62:65], v1 offset0:53 offset1:54
	ds_load_b64 v[70:71], v1 offset:440
	s_waitcnt lgkmcnt(1)
	v_fma_f64 v[62:63], v[68:69], v[62:63], v[66:67]
	s_waitcnt vmcnt(0)
	s_delay_alu instid0(VALU_DEP_1) | instskip(SKIP_1) | instid1(VALU_DEP_1)
	v_fma_f64 v[62:63], v[78:79], v[64:65], v[62:63]
	s_waitcnt lgkmcnt(0)
	v_fma_f64 v[62:63], v[80:81], v[70:71], v[62:63]
	s_delay_alu instid0(VALU_DEP_1)
	v_add_f64 v[60:61], v[60:61], -v[62:63]
	scratch_store_b64 off, v[60:61], off offset:64
	v_cmpx_lt_u32_e32 7, v0
	s_cbranch_execz .LBB91_163
; %bb.162:
	scratch_load_b64 v[60:61], off, off offset:56
	v_mov_b32_e32 v2, v1
	scratch_store_b64 off, v[1:2], off offset:56
	s_waitcnt vmcnt(0)
	ds_store_b64 v3, v[60:61]
.LBB91_163:
	s_or_b32 exec_lo, exec_lo, s0
	s_waitcnt lgkmcnt(0)
	s_waitcnt_vscnt null, 0x0
	s_barrier
	buffer_gl0_inv
	s_clause 0x4
	scratch_load_b128 v[60:63], off, off offset:56
	scratch_load_b128 v[64:67], off, off offset:72
	;; [unrolled: 1-line block ×5, first 2 shown]
	ds_load_b128 v[80:83], v1 offset:288
	ds_load_b128 v[84:87], v1 offset:304
	scratch_load_b128 v[88:91], off, off offset:136
	s_mov_b32 s0, exec_lo
	s_waitcnt vmcnt(5) lgkmcnt(1)
	v_fma_f64 v[62:63], v[62:63], v[80:81], 0
	s_waitcnt vmcnt(4)
	s_delay_alu instid0(VALU_DEP_1) | instskip(SKIP_1) | instid1(VALU_DEP_1)
	v_fma_f64 v[62:63], v[64:65], v[82:83], v[62:63]
	s_waitcnt lgkmcnt(0)
	v_fma_f64 v[66:67], v[66:67], v[84:85], v[62:63]
	scratch_load_b128 v[62:65], off, off offset:152
	s_waitcnt vmcnt(4)
	v_fma_f64 v[84:85], v[68:69], v[86:87], v[66:67]
	ds_load_b128 v[66:69], v1 offset:320
	ds_load_b128 v[80:83], v1 offset:336
	s_waitcnt lgkmcnt(1)
	v_fma_f64 v[66:67], v[70:71], v[66:67], v[84:85]
	scratch_load_b128 v[84:87], off, off offset:168
	s_waitcnt vmcnt(4)
	v_fma_f64 v[66:67], v[72:73], v[68:69], v[66:67]
	s_waitcnt lgkmcnt(0)
	s_delay_alu instid0(VALU_DEP_1)
	v_fma_f64 v[70:71], v[74:75], v[80:81], v[66:67]
	scratch_load_b128 v[66:69], off, off offset:184
	s_waitcnt vmcnt(4)
	v_fma_f64 v[80:81], v[76:77], v[82:83], v[70:71]
	ds_load_b128 v[70:73], v1 offset:352
	ds_load_b128 v[74:77], v1 offset:368
	scratch_load_b64 v[82:83], off, off offset:216
	s_waitcnt lgkmcnt(1)
	v_fma_f64 v[70:71], v[78:79], v[70:71], v[80:81]
	scratch_load_b128 v[78:81], off, off offset:200
	s_waitcnt vmcnt(5)
	v_fma_f64 v[70:71], v[88:89], v[72:73], v[70:71]
	s_waitcnt lgkmcnt(0)
	s_delay_alu instid0(VALU_DEP_1) | instskip(SKIP_1) | instid1(VALU_DEP_1)
	v_fma_f64 v[70:71], v[90:91], v[74:75], v[70:71]
	s_waitcnt vmcnt(4)
	v_fma_f64 v[62:63], v[62:63], v[76:77], v[70:71]
	ds_load_b128 v[70:73], v1 offset:384
	ds_load_b128 v[74:77], v1 offset:400
	s_waitcnt lgkmcnt(1)
	v_fma_f64 v[62:63], v[64:65], v[70:71], v[62:63]
	s_waitcnt vmcnt(3)
	s_delay_alu instid0(VALU_DEP_1) | instskip(SKIP_1) | instid1(VALU_DEP_1)
	v_fma_f64 v[62:63], v[84:85], v[72:73], v[62:63]
	s_waitcnt lgkmcnt(0)
	v_fma_f64 v[62:63], v[86:87], v[74:75], v[62:63]
	s_waitcnt vmcnt(2)
	s_delay_alu instid0(VALU_DEP_1)
	v_fma_f64 v[66:67], v[66:67], v[76:77], v[62:63]
	ds_load_b128 v[62:65], v1 offset:416
	ds_load_b128 v[70:73], v1 offset:432
	s_waitcnt lgkmcnt(1)
	v_fma_f64 v[1:2], v[68:69], v[62:63], v[66:67]
	s_waitcnt vmcnt(0)
	s_delay_alu instid0(VALU_DEP_1) | instskip(SKIP_1) | instid1(VALU_DEP_1)
	v_fma_f64 v[1:2], v[78:79], v[64:65], v[1:2]
	s_waitcnt lgkmcnt(0)
	v_fma_f64 v[1:2], v[80:81], v[70:71], v[1:2]
	s_delay_alu instid0(VALU_DEP_1) | instskip(NEXT) | instid1(VALU_DEP_1)
	v_fma_f64 v[1:2], v[82:83], v[72:73], v[1:2]
	v_add_f64 v[1:2], v[60:61], -v[1:2]
	scratch_store_b64 off, v[1:2], off offset:56
	v_cmpx_lt_u32_e32 6, v0
	s_cbranch_execz .LBB91_165
; %bb.164:
	scratch_load_b64 v[1:2], off, off offset:48
	v_mov_b32_e32 v60, 0
	s_delay_alu instid0(VALU_DEP_1)
	v_mov_b32_e32 v61, v60
	scratch_store_b64 off, v[60:61], off offset:48
	s_waitcnt vmcnt(0)
	ds_store_b64 v3, v[1:2]
.LBB91_165:
	s_or_b32 exec_lo, exec_lo, s0
	s_waitcnt lgkmcnt(0)
	s_waitcnt_vscnt null, 0x0
	s_barrier
	buffer_gl0_inv
	s_clause 0x4
	scratch_load_b128 v[60:63], off, off offset:48
	scratch_load_b128 v[64:67], off, off offset:64
	;; [unrolled: 1-line block ×5, first 2 shown]
	v_mov_b32_e32 v1, 0
	ds_load_2addr_b64 v[80:83], v1 offset0:35 offset1:36
	ds_load_2addr_b64 v[84:87], v1 offset0:37 offset1:38
	scratch_load_b128 v[88:91], off, off offset:128
	s_mov_b32 s0, exec_lo
	s_waitcnt vmcnt(5) lgkmcnt(1)
	v_fma_f64 v[62:63], v[62:63], v[80:81], 0
	s_waitcnt vmcnt(4)
	s_delay_alu instid0(VALU_DEP_1) | instskip(SKIP_1) | instid1(VALU_DEP_1)
	v_fma_f64 v[62:63], v[64:65], v[82:83], v[62:63]
	s_waitcnt lgkmcnt(0)
	v_fma_f64 v[66:67], v[66:67], v[84:85], v[62:63]
	scratch_load_b128 v[62:65], off, off offset:144
	s_waitcnt vmcnt(4)
	v_fma_f64 v[84:85], v[68:69], v[86:87], v[66:67]
	ds_load_2addr_b64 v[66:69], v1 offset0:39 offset1:40
	ds_load_2addr_b64 v[80:83], v1 offset0:41 offset1:42
	s_waitcnt lgkmcnt(1)
	v_fma_f64 v[66:67], v[70:71], v[66:67], v[84:85]
	scratch_load_b128 v[84:87], off, off offset:160
	s_waitcnt vmcnt(4)
	v_fma_f64 v[66:67], v[72:73], v[68:69], v[66:67]
	s_waitcnt lgkmcnt(0)
	s_delay_alu instid0(VALU_DEP_1)
	v_fma_f64 v[70:71], v[74:75], v[80:81], v[66:67]
	scratch_load_b128 v[66:69], off, off offset:176
	s_waitcnt vmcnt(4)
	v_fma_f64 v[80:81], v[76:77], v[82:83], v[70:71]
	ds_load_2addr_b64 v[70:73], v1 offset0:43 offset1:44
	ds_load_2addr_b64 v[74:77], v1 offset0:45 offset1:46
	s_waitcnt lgkmcnt(1)
	v_fma_f64 v[70:71], v[78:79], v[70:71], v[80:81]
	scratch_load_b128 v[78:81], off, off offset:192
	s_waitcnt vmcnt(4)
	v_fma_f64 v[70:71], v[88:89], v[72:73], v[70:71]
	s_waitcnt lgkmcnt(0)
	s_delay_alu instid0(VALU_DEP_1)
	v_fma_f64 v[74:75], v[90:91], v[74:75], v[70:71]
	scratch_load_b128 v[70:73], off, off offset:208
	s_waitcnt vmcnt(4)
	v_fma_f64 v[62:63], v[62:63], v[76:77], v[74:75]
	ds_load_2addr_b64 v[74:77], v1 offset0:47 offset1:48
	ds_load_2addr_b64 v[88:91], v1 offset0:49 offset1:50
	s_waitcnt lgkmcnt(1)
	v_fma_f64 v[62:63], v[64:65], v[74:75], v[62:63]
	s_waitcnt vmcnt(3)
	s_delay_alu instid0(VALU_DEP_1) | instskip(SKIP_1) | instid1(VALU_DEP_1)
	v_fma_f64 v[62:63], v[84:85], v[76:77], v[62:63]
	s_waitcnt lgkmcnt(0)
	v_fma_f64 v[62:63], v[86:87], v[88:89], v[62:63]
	s_waitcnt vmcnt(2)
	s_delay_alu instid0(VALU_DEP_1)
	v_fma_f64 v[66:67], v[66:67], v[90:91], v[62:63]
	ds_load_2addr_b64 v[62:65], v1 offset0:51 offset1:52
	ds_load_2addr_b64 v[74:77], v1 offset0:53 offset1:54
	s_waitcnt lgkmcnt(1)
	v_fma_f64 v[62:63], v[68:69], v[62:63], v[66:67]
	s_waitcnt vmcnt(1)
	s_delay_alu instid0(VALU_DEP_1) | instskip(SKIP_4) | instid1(VALU_DEP_1)
	v_fma_f64 v[62:63], v[78:79], v[64:65], v[62:63]
	ds_load_b64 v[64:65], v1 offset:440
	s_waitcnt lgkmcnt(1)
	v_fma_f64 v[62:63], v[80:81], v[74:75], v[62:63]
	s_waitcnt vmcnt(0)
	v_fma_f64 v[62:63], v[70:71], v[76:77], v[62:63]
	s_waitcnt lgkmcnt(0)
	s_delay_alu instid0(VALU_DEP_1) | instskip(NEXT) | instid1(VALU_DEP_1)
	v_fma_f64 v[62:63], v[72:73], v[64:65], v[62:63]
	v_add_f64 v[60:61], v[60:61], -v[62:63]
	scratch_store_b64 off, v[60:61], off offset:48
	v_cmpx_lt_u32_e32 5, v0
	s_cbranch_execz .LBB91_167
; %bb.166:
	scratch_load_b64 v[60:61], off, off offset:40
	v_mov_b32_e32 v2, v1
	scratch_store_b64 off, v[1:2], off offset:40
	s_waitcnt vmcnt(0)
	ds_store_b64 v3, v[60:61]
.LBB91_167:
	s_or_b32 exec_lo, exec_lo, s0
	s_waitcnt lgkmcnt(0)
	s_waitcnt_vscnt null, 0x0
	s_barrier
	buffer_gl0_inv
	s_clause 0x4
	scratch_load_b128 v[60:63], off, off offset:40
	scratch_load_b128 v[64:67], off, off offset:56
	scratch_load_b128 v[68:71], off, off offset:72
	scratch_load_b128 v[72:75], off, off offset:88
	scratch_load_b128 v[76:79], off, off offset:104
	ds_load_b128 v[80:83], v1 offset:272
	ds_load_b128 v[84:87], v1 offset:288
	scratch_load_b128 v[88:91], off, off offset:120
	s_mov_b32 s0, exec_lo
	s_waitcnt vmcnt(5) lgkmcnt(1)
	v_fma_f64 v[62:63], v[62:63], v[80:81], 0
	s_waitcnt vmcnt(4)
	s_delay_alu instid0(VALU_DEP_1) | instskip(SKIP_1) | instid1(VALU_DEP_1)
	v_fma_f64 v[62:63], v[64:65], v[82:83], v[62:63]
	s_waitcnt lgkmcnt(0)
	v_fma_f64 v[66:67], v[66:67], v[84:85], v[62:63]
	scratch_load_b128 v[62:65], off, off offset:136
	s_waitcnt vmcnt(4)
	v_fma_f64 v[84:85], v[68:69], v[86:87], v[66:67]
	ds_load_b128 v[66:69], v1 offset:304
	ds_load_b128 v[80:83], v1 offset:320
	s_waitcnt lgkmcnt(1)
	v_fma_f64 v[66:67], v[70:71], v[66:67], v[84:85]
	scratch_load_b128 v[84:87], off, off offset:152
	s_waitcnt vmcnt(4)
	v_fma_f64 v[66:67], v[72:73], v[68:69], v[66:67]
	s_waitcnt lgkmcnt(0)
	s_delay_alu instid0(VALU_DEP_1)
	v_fma_f64 v[70:71], v[74:75], v[80:81], v[66:67]
	scratch_load_b128 v[66:69], off, off offset:168
	s_waitcnt vmcnt(4)
	v_fma_f64 v[80:81], v[76:77], v[82:83], v[70:71]
	ds_load_b128 v[70:73], v1 offset:336
	ds_load_b128 v[74:77], v1 offset:352
	s_waitcnt lgkmcnt(1)
	v_fma_f64 v[70:71], v[78:79], v[70:71], v[80:81]
	scratch_load_b128 v[78:81], off, off offset:184
	s_waitcnt vmcnt(4)
	v_fma_f64 v[70:71], v[88:89], v[72:73], v[70:71]
	s_waitcnt lgkmcnt(0)
	s_delay_alu instid0(VALU_DEP_1)
	v_fma_f64 v[74:75], v[90:91], v[74:75], v[70:71]
	scratch_load_b128 v[70:73], off, off offset:200
	s_waitcnt vmcnt(4)
	v_fma_f64 v[62:63], v[62:63], v[76:77], v[74:75]
	ds_load_b128 v[74:77], v1 offset:368
	ds_load_b128 v[88:91], v1 offset:384
	scratch_load_b64 v[82:83], off, off offset:216
	s_waitcnt lgkmcnt(1)
	v_fma_f64 v[62:63], v[64:65], v[74:75], v[62:63]
	s_waitcnt vmcnt(4)
	s_delay_alu instid0(VALU_DEP_1) | instskip(SKIP_1) | instid1(VALU_DEP_1)
	v_fma_f64 v[62:63], v[84:85], v[76:77], v[62:63]
	s_waitcnt lgkmcnt(0)
	v_fma_f64 v[62:63], v[86:87], v[88:89], v[62:63]
	s_waitcnt vmcnt(3)
	s_delay_alu instid0(VALU_DEP_1)
	v_fma_f64 v[66:67], v[66:67], v[90:91], v[62:63]
	ds_load_b128 v[62:65], v1 offset:400
	ds_load_b128 v[74:77], v1 offset:416
	s_waitcnt lgkmcnt(1)
	v_fma_f64 v[62:63], v[68:69], v[62:63], v[66:67]
	s_waitcnt vmcnt(2)
	s_delay_alu instid0(VALU_DEP_1) | instskip(SKIP_1) | instid1(VALU_DEP_1)
	v_fma_f64 v[62:63], v[78:79], v[64:65], v[62:63]
	s_waitcnt lgkmcnt(0)
	v_fma_f64 v[62:63], v[80:81], v[74:75], v[62:63]
	s_waitcnt vmcnt(1)
	s_delay_alu instid0(VALU_DEP_1) | instskip(SKIP_4) | instid1(VALU_DEP_1)
	v_fma_f64 v[66:67], v[70:71], v[76:77], v[62:63]
	ds_load_b128 v[62:65], v1 offset:432
	s_waitcnt lgkmcnt(0)
	v_fma_f64 v[1:2], v[72:73], v[62:63], v[66:67]
	s_waitcnt vmcnt(0)
	v_fma_f64 v[1:2], v[82:83], v[64:65], v[1:2]
	s_delay_alu instid0(VALU_DEP_1)
	v_add_f64 v[1:2], v[60:61], -v[1:2]
	scratch_store_b64 off, v[1:2], off offset:40
	v_cmpx_lt_u32_e32 4, v0
	s_cbranch_execz .LBB91_169
; %bb.168:
	scratch_load_b64 v[1:2], off, off offset:32
	v_mov_b32_e32 v60, 0
	s_delay_alu instid0(VALU_DEP_1)
	v_mov_b32_e32 v61, v60
	scratch_store_b64 off, v[60:61], off offset:32
	s_waitcnt vmcnt(0)
	ds_store_b64 v3, v[1:2]
.LBB91_169:
	s_or_b32 exec_lo, exec_lo, s0
	s_waitcnt lgkmcnt(0)
	s_waitcnt_vscnt null, 0x0
	s_barrier
	buffer_gl0_inv
	s_clause 0x4
	scratch_load_b128 v[60:63], off, off offset:32
	scratch_load_b128 v[64:67], off, off offset:48
	;; [unrolled: 1-line block ×5, first 2 shown]
	v_mov_b32_e32 v1, 0
	ds_load_2addr_b64 v[80:83], v1 offset0:33 offset1:34
	ds_load_2addr_b64 v[84:87], v1 offset0:35 offset1:36
	scratch_load_b128 v[88:91], off, off offset:112
	s_mov_b32 s0, exec_lo
	s_waitcnt vmcnt(5) lgkmcnt(1)
	v_fma_f64 v[62:63], v[62:63], v[80:81], 0
	s_waitcnt vmcnt(4)
	s_delay_alu instid0(VALU_DEP_1) | instskip(SKIP_1) | instid1(VALU_DEP_1)
	v_fma_f64 v[62:63], v[64:65], v[82:83], v[62:63]
	s_waitcnt lgkmcnt(0)
	v_fma_f64 v[66:67], v[66:67], v[84:85], v[62:63]
	scratch_load_b128 v[62:65], off, off offset:128
	s_waitcnt vmcnt(4)
	v_fma_f64 v[84:85], v[68:69], v[86:87], v[66:67]
	ds_load_2addr_b64 v[66:69], v1 offset0:37 offset1:38
	ds_load_2addr_b64 v[80:83], v1 offset0:39 offset1:40
	s_waitcnt lgkmcnt(1)
	v_fma_f64 v[66:67], v[70:71], v[66:67], v[84:85]
	scratch_load_b128 v[84:87], off, off offset:144
	s_waitcnt vmcnt(4)
	v_fma_f64 v[66:67], v[72:73], v[68:69], v[66:67]
	s_waitcnt lgkmcnt(0)
	s_delay_alu instid0(VALU_DEP_1)
	v_fma_f64 v[70:71], v[74:75], v[80:81], v[66:67]
	scratch_load_b128 v[66:69], off, off offset:160
	s_waitcnt vmcnt(4)
	v_fma_f64 v[80:81], v[76:77], v[82:83], v[70:71]
	ds_load_2addr_b64 v[70:73], v1 offset0:41 offset1:42
	ds_load_2addr_b64 v[74:77], v1 offset0:43 offset1:44
	s_waitcnt lgkmcnt(1)
	v_fma_f64 v[70:71], v[78:79], v[70:71], v[80:81]
	scratch_load_b128 v[78:81], off, off offset:176
	s_waitcnt vmcnt(4)
	v_fma_f64 v[70:71], v[88:89], v[72:73], v[70:71]
	s_waitcnt lgkmcnt(0)
	s_delay_alu instid0(VALU_DEP_1)
	v_fma_f64 v[74:75], v[90:91], v[74:75], v[70:71]
	scratch_load_b128 v[70:73], off, off offset:192
	s_waitcnt vmcnt(4)
	v_fma_f64 v[62:63], v[62:63], v[76:77], v[74:75]
	ds_load_2addr_b64 v[74:77], v1 offset0:45 offset1:46
	ds_load_2addr_b64 v[88:91], v1 offset0:47 offset1:48
	s_waitcnt lgkmcnt(1)
	v_fma_f64 v[74:75], v[64:65], v[74:75], v[62:63]
	scratch_load_b128 v[62:65], off, off offset:208
	s_waitcnt vmcnt(4)
	v_fma_f64 v[74:75], v[84:85], v[76:77], v[74:75]
	s_waitcnt lgkmcnt(0)
	s_delay_alu instid0(VALU_DEP_1) | instskip(SKIP_1) | instid1(VALU_DEP_1)
	v_fma_f64 v[74:75], v[86:87], v[88:89], v[74:75]
	s_waitcnt vmcnt(3)
	v_fma_f64 v[66:67], v[66:67], v[90:91], v[74:75]
	ds_load_2addr_b64 v[74:77], v1 offset0:49 offset1:50
	ds_load_2addr_b64 v[82:85], v1 offset0:51 offset1:52
	s_waitcnt lgkmcnt(1)
	v_fma_f64 v[66:67], v[68:69], v[74:75], v[66:67]
	s_waitcnt vmcnt(2)
	s_delay_alu instid0(VALU_DEP_1) | instskip(SKIP_1) | instid1(VALU_DEP_1)
	v_fma_f64 v[66:67], v[78:79], v[76:77], v[66:67]
	s_waitcnt lgkmcnt(0)
	v_fma_f64 v[66:67], v[80:81], v[82:83], v[66:67]
	s_waitcnt vmcnt(1)
	s_delay_alu instid0(VALU_DEP_1)
	v_fma_f64 v[70:71], v[70:71], v[84:85], v[66:67]
	ds_load_2addr_b64 v[66:69], v1 offset0:53 offset1:54
	ds_load_b64 v[74:75], v1 offset:440
	s_waitcnt lgkmcnt(1)
	v_fma_f64 v[66:67], v[72:73], v[66:67], v[70:71]
	s_waitcnt vmcnt(0)
	s_delay_alu instid0(VALU_DEP_1) | instskip(SKIP_1) | instid1(VALU_DEP_1)
	v_fma_f64 v[62:63], v[62:63], v[68:69], v[66:67]
	s_waitcnt lgkmcnt(0)
	v_fma_f64 v[62:63], v[64:65], v[74:75], v[62:63]
	s_delay_alu instid0(VALU_DEP_1)
	v_add_f64 v[60:61], v[60:61], -v[62:63]
	scratch_store_b64 off, v[60:61], off offset:32
	v_cmpx_lt_u32_e32 3, v0
	s_cbranch_execz .LBB91_171
; %bb.170:
	scratch_load_b64 v[60:61], off, off offset:24
	v_mov_b32_e32 v2, v1
	scratch_store_b64 off, v[1:2], off offset:24
	s_waitcnt vmcnt(0)
	ds_store_b64 v3, v[60:61]
.LBB91_171:
	s_or_b32 exec_lo, exec_lo, s0
	s_waitcnt lgkmcnt(0)
	s_waitcnt_vscnt null, 0x0
	s_barrier
	buffer_gl0_inv
	s_clause 0x4
	scratch_load_b128 v[60:63], off, off offset:24
	scratch_load_b128 v[64:67], off, off offset:40
	;; [unrolled: 1-line block ×5, first 2 shown]
	ds_load_b128 v[80:83], v1 offset:256
	ds_load_b128 v[84:87], v1 offset:272
	scratch_load_b128 v[88:91], off, off offset:104
	s_mov_b32 s0, exec_lo
	s_waitcnt vmcnt(5) lgkmcnt(1)
	v_fma_f64 v[62:63], v[62:63], v[80:81], 0
	s_waitcnt vmcnt(4)
	s_delay_alu instid0(VALU_DEP_1) | instskip(SKIP_1) | instid1(VALU_DEP_1)
	v_fma_f64 v[62:63], v[64:65], v[82:83], v[62:63]
	s_waitcnt lgkmcnt(0)
	v_fma_f64 v[66:67], v[66:67], v[84:85], v[62:63]
	scratch_load_b128 v[62:65], off, off offset:120
	s_waitcnt vmcnt(4)
	v_fma_f64 v[84:85], v[68:69], v[86:87], v[66:67]
	ds_load_b128 v[66:69], v1 offset:288
	ds_load_b128 v[80:83], v1 offset:304
	s_waitcnt lgkmcnt(1)
	v_fma_f64 v[66:67], v[70:71], v[66:67], v[84:85]
	scratch_load_b128 v[84:87], off, off offset:136
	s_waitcnt vmcnt(4)
	v_fma_f64 v[66:67], v[72:73], v[68:69], v[66:67]
	s_waitcnt lgkmcnt(0)
	s_delay_alu instid0(VALU_DEP_1)
	v_fma_f64 v[70:71], v[74:75], v[80:81], v[66:67]
	scratch_load_b128 v[66:69], off, off offset:152
	s_waitcnt vmcnt(4)
	v_fma_f64 v[80:81], v[76:77], v[82:83], v[70:71]
	ds_load_b128 v[70:73], v1 offset:320
	ds_load_b128 v[74:77], v1 offset:336
	s_waitcnt lgkmcnt(1)
	v_fma_f64 v[70:71], v[78:79], v[70:71], v[80:81]
	scratch_load_b128 v[78:81], off, off offset:168
	s_waitcnt vmcnt(4)
	v_fma_f64 v[70:71], v[88:89], v[72:73], v[70:71]
	s_waitcnt lgkmcnt(0)
	s_delay_alu instid0(VALU_DEP_1)
	;; [unrolled: 13-line block ×3, first 2 shown]
	v_fma_f64 v[74:75], v[86:87], v[88:89], v[74:75]
	scratch_load_b64 v[86:87], off, off offset:216
	s_waitcnt vmcnt(4)
	v_fma_f64 v[66:67], v[66:67], v[90:91], v[74:75]
	ds_load_b128 v[74:77], v1 offset:384
	ds_load_b128 v[82:85], v1 offset:400
	s_waitcnt lgkmcnt(1)
	v_fma_f64 v[66:67], v[68:69], v[74:75], v[66:67]
	s_waitcnt vmcnt(3)
	s_delay_alu instid0(VALU_DEP_1) | instskip(SKIP_1) | instid1(VALU_DEP_1)
	v_fma_f64 v[66:67], v[78:79], v[76:77], v[66:67]
	s_waitcnt lgkmcnt(0)
	v_fma_f64 v[66:67], v[80:81], v[82:83], v[66:67]
	s_waitcnt vmcnt(2)
	s_delay_alu instid0(VALU_DEP_1)
	v_fma_f64 v[70:71], v[70:71], v[84:85], v[66:67]
	ds_load_b128 v[66:69], v1 offset:416
	ds_load_b128 v[74:77], v1 offset:432
	s_waitcnt lgkmcnt(1)
	v_fma_f64 v[1:2], v[72:73], v[66:67], v[70:71]
	s_waitcnt vmcnt(1)
	s_delay_alu instid0(VALU_DEP_1) | instskip(SKIP_1) | instid1(VALU_DEP_1)
	v_fma_f64 v[1:2], v[62:63], v[68:69], v[1:2]
	s_waitcnt lgkmcnt(0)
	v_fma_f64 v[1:2], v[64:65], v[74:75], v[1:2]
	s_waitcnt vmcnt(0)
	s_delay_alu instid0(VALU_DEP_1) | instskip(NEXT) | instid1(VALU_DEP_1)
	v_fma_f64 v[1:2], v[86:87], v[76:77], v[1:2]
	v_add_f64 v[1:2], v[60:61], -v[1:2]
	scratch_store_b64 off, v[1:2], off offset:24
	v_cmpx_lt_u32_e32 2, v0
	s_cbranch_execz .LBB91_173
; %bb.172:
	scratch_load_b64 v[1:2], off, off offset:16
	v_mov_b32_e32 v60, 0
	s_delay_alu instid0(VALU_DEP_1)
	v_mov_b32_e32 v61, v60
	scratch_store_b64 off, v[60:61], off offset:16
	s_waitcnt vmcnt(0)
	ds_store_b64 v3, v[1:2]
.LBB91_173:
	s_or_b32 exec_lo, exec_lo, s0
	s_waitcnt lgkmcnt(0)
	s_waitcnt_vscnt null, 0x0
	s_barrier
	buffer_gl0_inv
	s_clause 0x4
	scratch_load_b128 v[60:63], off, off offset:16
	scratch_load_b128 v[64:67], off, off offset:32
	;; [unrolled: 1-line block ×5, first 2 shown]
	v_mov_b32_e32 v1, 0
	ds_load_2addr_b64 v[80:83], v1 offset0:31 offset1:32
	ds_load_2addr_b64 v[84:87], v1 offset0:33 offset1:34
	scratch_load_b128 v[88:91], off, off offset:96
	s_mov_b32 s0, exec_lo
	s_waitcnt vmcnt(5) lgkmcnt(1)
	v_fma_f64 v[62:63], v[62:63], v[80:81], 0
	s_waitcnt vmcnt(4)
	s_delay_alu instid0(VALU_DEP_1) | instskip(SKIP_1) | instid1(VALU_DEP_1)
	v_fma_f64 v[62:63], v[64:65], v[82:83], v[62:63]
	s_waitcnt lgkmcnt(0)
	v_fma_f64 v[66:67], v[66:67], v[84:85], v[62:63]
	scratch_load_b128 v[62:65], off, off offset:112
	s_waitcnt vmcnt(4)
	v_fma_f64 v[84:85], v[68:69], v[86:87], v[66:67]
	ds_load_2addr_b64 v[66:69], v1 offset0:35 offset1:36
	ds_load_2addr_b64 v[80:83], v1 offset0:37 offset1:38
	s_waitcnt lgkmcnt(1)
	v_fma_f64 v[66:67], v[70:71], v[66:67], v[84:85]
	scratch_load_b128 v[84:87], off, off offset:128
	s_waitcnt vmcnt(4)
	v_fma_f64 v[66:67], v[72:73], v[68:69], v[66:67]
	s_waitcnt lgkmcnt(0)
	s_delay_alu instid0(VALU_DEP_1)
	v_fma_f64 v[70:71], v[74:75], v[80:81], v[66:67]
	scratch_load_b128 v[66:69], off, off offset:144
	s_waitcnt vmcnt(4)
	v_fma_f64 v[80:81], v[76:77], v[82:83], v[70:71]
	ds_load_2addr_b64 v[70:73], v1 offset0:39 offset1:40
	ds_load_2addr_b64 v[74:77], v1 offset0:41 offset1:42
	s_waitcnt lgkmcnt(1)
	v_fma_f64 v[70:71], v[78:79], v[70:71], v[80:81]
	scratch_load_b128 v[78:81], off, off offset:160
	s_waitcnt vmcnt(4)
	v_fma_f64 v[70:71], v[88:89], v[72:73], v[70:71]
	s_waitcnt lgkmcnt(0)
	s_delay_alu instid0(VALU_DEP_1)
	;; [unrolled: 13-line block ×3, first 2 shown]
	v_fma_f64 v[82:83], v[86:87], v[88:89], v[74:75]
	scratch_load_b128 v[74:77], off, off offset:208
	s_waitcnt vmcnt(4)
	v_fma_f64 v[66:67], v[66:67], v[90:91], v[82:83]
	ds_load_2addr_b64 v[82:85], v1 offset0:47 offset1:48
	ds_load_2addr_b64 v[86:89], v1 offset0:49 offset1:50
	s_waitcnt lgkmcnt(1)
	v_fma_f64 v[66:67], v[68:69], v[82:83], v[66:67]
	s_waitcnt vmcnt(3)
	s_delay_alu instid0(VALU_DEP_1) | instskip(SKIP_1) | instid1(VALU_DEP_1)
	v_fma_f64 v[66:67], v[78:79], v[84:85], v[66:67]
	s_waitcnt lgkmcnt(0)
	v_fma_f64 v[66:67], v[80:81], v[86:87], v[66:67]
	s_waitcnt vmcnt(2)
	s_delay_alu instid0(VALU_DEP_1)
	v_fma_f64 v[70:71], v[70:71], v[88:89], v[66:67]
	ds_load_2addr_b64 v[66:69], v1 offset0:51 offset1:52
	ds_load_2addr_b64 v[78:81], v1 offset0:53 offset1:54
	s_waitcnt lgkmcnt(1)
	v_fma_f64 v[66:67], v[72:73], v[66:67], v[70:71]
	s_waitcnt vmcnt(1)
	s_delay_alu instid0(VALU_DEP_1) | instskip(SKIP_1) | instid1(VALU_DEP_1)
	v_fma_f64 v[62:63], v[62:63], v[68:69], v[66:67]
	s_waitcnt lgkmcnt(0)
	v_fma_f64 v[62:63], v[64:65], v[78:79], v[62:63]
	ds_load_b64 v[64:65], v1 offset:440
	s_waitcnt vmcnt(0)
	v_fma_f64 v[62:63], v[74:75], v[80:81], v[62:63]
	s_waitcnt lgkmcnt(0)
	s_delay_alu instid0(VALU_DEP_1) | instskip(NEXT) | instid1(VALU_DEP_1)
	v_fma_f64 v[62:63], v[76:77], v[64:65], v[62:63]
	v_add_f64 v[60:61], v[60:61], -v[62:63]
	scratch_store_b64 off, v[60:61], off offset:16
	v_cmpx_lt_u32_e32 1, v0
	s_cbranch_execz .LBB91_175
; %bb.174:
	scratch_load_b64 v[60:61], off, off offset:8
	v_mov_b32_e32 v2, v1
	scratch_store_b64 off, v[1:2], off offset:8
	s_waitcnt vmcnt(0)
	ds_store_b64 v3, v[60:61]
.LBB91_175:
	s_or_b32 exec_lo, exec_lo, s0
	s_waitcnt lgkmcnt(0)
	s_waitcnt_vscnt null, 0x0
	s_barrier
	buffer_gl0_inv
	s_clause 0x4
	scratch_load_b128 v[60:63], off, off offset:8
	scratch_load_b128 v[64:67], off, off offset:24
	;; [unrolled: 1-line block ×5, first 2 shown]
	ds_load_b128 v[80:83], v1 offset:240
	ds_load_b128 v[84:87], v1 offset:256
	scratch_load_b128 v[88:91], off, off offset:88
	s_mov_b32 s0, exec_lo
	s_waitcnt vmcnt(5) lgkmcnt(1)
	v_fma_f64 v[62:63], v[62:63], v[80:81], 0
	s_waitcnt vmcnt(4)
	s_delay_alu instid0(VALU_DEP_1) | instskip(SKIP_1) | instid1(VALU_DEP_1)
	v_fma_f64 v[62:63], v[64:65], v[82:83], v[62:63]
	s_waitcnt lgkmcnt(0)
	v_fma_f64 v[66:67], v[66:67], v[84:85], v[62:63]
	scratch_load_b128 v[62:65], off, off offset:104
	s_waitcnt vmcnt(4)
	v_fma_f64 v[84:85], v[68:69], v[86:87], v[66:67]
	ds_load_b128 v[66:69], v1 offset:272
	ds_load_b128 v[80:83], v1 offset:288
	s_waitcnt lgkmcnt(1)
	v_fma_f64 v[66:67], v[70:71], v[66:67], v[84:85]
	scratch_load_b128 v[84:87], off, off offset:120
	s_waitcnt vmcnt(4)
	v_fma_f64 v[66:67], v[72:73], v[68:69], v[66:67]
	s_waitcnt lgkmcnt(0)
	s_delay_alu instid0(VALU_DEP_1)
	v_fma_f64 v[70:71], v[74:75], v[80:81], v[66:67]
	scratch_load_b128 v[66:69], off, off offset:136
	s_waitcnt vmcnt(4)
	v_fma_f64 v[80:81], v[76:77], v[82:83], v[70:71]
	ds_load_b128 v[70:73], v1 offset:304
	ds_load_b128 v[74:77], v1 offset:320
	s_waitcnt lgkmcnt(1)
	v_fma_f64 v[70:71], v[78:79], v[70:71], v[80:81]
	scratch_load_b128 v[78:81], off, off offset:152
	s_waitcnt vmcnt(4)
	v_fma_f64 v[70:71], v[88:89], v[72:73], v[70:71]
	s_waitcnt lgkmcnt(0)
	s_delay_alu instid0(VALU_DEP_1)
	;; [unrolled: 13-line block ×3, first 2 shown]
	v_fma_f64 v[82:83], v[86:87], v[88:89], v[74:75]
	scratch_load_b128 v[74:77], off, off offset:200
	s_waitcnt vmcnt(4)
	v_fma_f64 v[66:67], v[66:67], v[90:91], v[82:83]
	ds_load_b128 v[82:85], v1 offset:368
	ds_load_b128 v[86:89], v1 offset:384
	s_waitcnt lgkmcnt(1)
	v_fma_f64 v[66:67], v[68:69], v[82:83], v[66:67]
	scratch_load_b64 v[82:83], off, off offset:216
	s_waitcnt vmcnt(4)
	v_fma_f64 v[66:67], v[78:79], v[84:85], v[66:67]
	s_waitcnt lgkmcnt(0)
	s_delay_alu instid0(VALU_DEP_1) | instskip(SKIP_1) | instid1(VALU_DEP_1)
	v_fma_f64 v[66:67], v[80:81], v[86:87], v[66:67]
	s_waitcnt vmcnt(3)
	v_fma_f64 v[70:71], v[70:71], v[88:89], v[66:67]
	ds_load_b128 v[66:69], v1 offset:400
	ds_load_b128 v[78:81], v1 offset:416
	s_waitcnt lgkmcnt(1)
	v_fma_f64 v[66:67], v[72:73], v[66:67], v[70:71]
	s_waitcnt vmcnt(2)
	s_delay_alu instid0(VALU_DEP_1) | instskip(SKIP_1) | instid1(VALU_DEP_1)
	v_fma_f64 v[62:63], v[62:63], v[68:69], v[66:67]
	s_waitcnt lgkmcnt(0)
	v_fma_f64 v[62:63], v[64:65], v[78:79], v[62:63]
	s_waitcnt vmcnt(1)
	s_delay_alu instid0(VALU_DEP_1) | instskip(SKIP_4) | instid1(VALU_DEP_1)
	v_fma_f64 v[66:67], v[74:75], v[80:81], v[62:63]
	ds_load_b128 v[62:65], v1 offset:432
	s_waitcnt lgkmcnt(0)
	v_fma_f64 v[1:2], v[76:77], v[62:63], v[66:67]
	s_waitcnt vmcnt(0)
	v_fma_f64 v[1:2], v[82:83], v[64:65], v[1:2]
	s_delay_alu instid0(VALU_DEP_1)
	v_add_f64 v[1:2], v[60:61], -v[1:2]
	scratch_store_b64 off, v[1:2], off offset:8
	v_cmpx_ne_u32_e32 0, v0
	s_cbranch_execz .LBB91_177
; %bb.176:
	scratch_load_b64 v[0:1], off, off
	v_mov_b32_e32 v60, 0
	s_delay_alu instid0(VALU_DEP_1)
	v_mov_b32_e32 v61, v60
	scratch_store_b64 off, v[60:61], off
	s_waitcnt vmcnt(0)
	ds_store_b64 v3, v[0:1]
.LBB91_177:
	s_or_b32 exec_lo, exec_lo, s0
	s_waitcnt lgkmcnt(0)
	s_waitcnt_vscnt null, 0x0
	s_barrier
	buffer_gl0_inv
	s_clause 0x4
	scratch_load_b128 v[60:63], off, off
	scratch_load_b128 v[0:3], off, off offset:16
	scratch_load_b128 v[64:67], off, off offset:32
	;; [unrolled: 1-line block ×4, first 2 shown]
	v_mov_b32_e32 v92, 0
	ds_load_2addr_b64 v[76:79], v92 offset0:29 offset1:30
	ds_load_2addr_b64 v[80:83], v92 offset0:31 offset1:32
	scratch_load_b128 v[84:87], off, off offset:80
	s_and_b32 vcc_lo, exec_lo, s12
	s_waitcnt vmcnt(5) lgkmcnt(1)
	v_fma_f64 v[62:63], v[62:63], v[76:77], 0
	s_waitcnt vmcnt(4)
	s_delay_alu instid0(VALU_DEP_1) | instskip(SKIP_1) | instid1(VALU_DEP_1)
	v_fma_f64 v[0:1], v[0:1], v[78:79], v[62:63]
	s_waitcnt lgkmcnt(0)
	v_fma_f64 v[62:63], v[2:3], v[80:81], v[0:1]
	scratch_load_b128 v[0:3], off, off offset:96
	s_waitcnt vmcnt(4)
	v_fma_f64 v[80:81], v[64:65], v[82:83], v[62:63]
	ds_load_2addr_b64 v[62:65], v92 offset0:33 offset1:34
	ds_load_2addr_b64 v[76:79], v92 offset0:35 offset1:36
	s_waitcnt lgkmcnt(1)
	v_fma_f64 v[62:63], v[66:67], v[62:63], v[80:81]
	scratch_load_b128 v[80:83], off, off offset:112
	s_waitcnt vmcnt(4)
	v_fma_f64 v[62:63], v[68:69], v[64:65], v[62:63]
	s_waitcnt lgkmcnt(0)
	s_delay_alu instid0(VALU_DEP_1)
	v_fma_f64 v[66:67], v[70:71], v[76:77], v[62:63]
	scratch_load_b128 v[62:65], off, off offset:128
	s_waitcnt vmcnt(4)
	v_fma_f64 v[76:77], v[72:73], v[78:79], v[66:67]
	ds_load_2addr_b64 v[66:69], v92 offset0:37 offset1:38
	ds_load_2addr_b64 v[70:73], v92 offset0:39 offset1:40
	s_waitcnt lgkmcnt(1)
	v_fma_f64 v[66:67], v[74:75], v[66:67], v[76:77]
	scratch_load_b128 v[74:77], off, off offset:144
	s_waitcnt vmcnt(4)
	v_fma_f64 v[66:67], v[84:85], v[68:69], v[66:67]
	s_waitcnt lgkmcnt(0)
	s_delay_alu instid0(VALU_DEP_1)
	v_fma_f64 v[70:71], v[86:87], v[70:71], v[66:67]
	scratch_load_b128 v[66:69], off, off offset:160
	s_waitcnt vmcnt(4)
	v_fma_f64 v[0:1], v[0:1], v[72:73], v[70:71]
	ds_load_2addr_b64 v[70:73], v92 offset0:41 offset1:42
	ds_load_2addr_b64 v[84:87], v92 offset0:43 offset1:44
	scratch_load_b128 v[88:91], off, off offset:176
	s_waitcnt lgkmcnt(1)
	v_fma_f64 v[0:1], v[2:3], v[70:71], v[0:1]
	s_waitcnt vmcnt(4)
	s_delay_alu instid0(VALU_DEP_1)
	v_fma_f64 v[0:1], v[80:81], v[72:73], v[0:1]
	scratch_load_b128 v[70:73], off, off offset:192
	s_waitcnt lgkmcnt(0)
	v_fma_f64 v[0:1], v[82:83], v[84:85], v[0:1]
	ds_load_2addr_b64 v[78:81], v92 offset0:45 offset1:46
	ds_load_2addr_b64 v[82:85], v92 offset0:47 offset1:48
	s_waitcnt vmcnt(4)
	v_fma_f64 v[0:1], v[62:63], v[86:87], v[0:1]
	s_waitcnt lgkmcnt(1)
	s_delay_alu instid0(VALU_DEP_1) | instskip(SKIP_4) | instid1(VALU_DEP_1)
	v_fma_f64 v[62:63], v[64:65], v[78:79], v[0:1]
	scratch_load_b128 v[0:3], off, off offset:208
	s_waitcnt vmcnt(4)
	v_fma_f64 v[62:63], v[74:75], v[80:81], v[62:63]
	s_waitcnt lgkmcnt(0)
	v_fma_f64 v[62:63], v[76:77], v[82:83], v[62:63]
	s_waitcnt vmcnt(3)
	s_delay_alu instid0(VALU_DEP_1)
	v_fma_f64 v[66:67], v[66:67], v[84:85], v[62:63]
	ds_load_2addr_b64 v[62:65], v92 offset0:49 offset1:50
	ds_load_2addr_b64 v[74:77], v92 offset0:51 offset1:52
	s_waitcnt lgkmcnt(1)
	v_fma_f64 v[62:63], v[68:69], v[62:63], v[66:67]
	s_waitcnt vmcnt(2)
	s_delay_alu instid0(VALU_DEP_1) | instskip(SKIP_1) | instid1(VALU_DEP_1)
	v_fma_f64 v[62:63], v[88:89], v[64:65], v[62:63]
	s_waitcnt lgkmcnt(0)
	v_fma_f64 v[62:63], v[90:91], v[74:75], v[62:63]
	s_waitcnt vmcnt(1)
	s_delay_alu instid0(VALU_DEP_1)
	v_fma_f64 v[66:67], v[70:71], v[76:77], v[62:63]
	ds_load_2addr_b64 v[62:65], v92 offset0:53 offset1:54
	ds_load_b64 v[68:69], v92 offset:440
	s_waitcnt lgkmcnt(1)
	v_fma_f64 v[62:63], v[72:73], v[62:63], v[66:67]
	s_waitcnt vmcnt(0)
	s_delay_alu instid0(VALU_DEP_1) | instskip(SKIP_1) | instid1(VALU_DEP_1)
	v_fma_f64 v[62:63], v[0:1], v[64:65], v[62:63]
	s_waitcnt lgkmcnt(0)
	v_fma_f64 v[2:3], v[2:3], v[68:69], v[62:63]
	s_delay_alu instid0(VALU_DEP_1)
	v_add_f64 v[2:3], v[60:61], -v[2:3]
	scratch_store_b64 off, v[2:3], off
	s_cbranch_vccz .LBB91_233
; %bb.178:
	v_dual_mov_b32 v2, s2 :: v_dual_mov_b32 v3, s3
	s_mov_b32 s0, exec_lo
	flat_load_b32 v2, v[2:3] offset:104
	s_waitcnt vmcnt(0) lgkmcnt(0)
	v_cmpx_ne_u32_e32 27, v2
	s_cbranch_execz .LBB91_180
; %bb.179:
	v_lshl_add_u32 v60, v2, 3, 0
	scratch_load_b64 v[2:3], v60, off offset:-8
	s_waitcnt vmcnt(0)
	scratch_store_b64 off, v[2:3], off offset:208
	scratch_store_b64 v60, v[0:1], off offset:-8
.LBB91_180:
	s_or_b32 exec_lo, exec_lo, s0
	v_dual_mov_b32 v0, s2 :: v_dual_mov_b32 v1, s3
	s_mov_b32 s0, exec_lo
	flat_load_b32 v0, v[0:1] offset:100
	s_waitcnt vmcnt(0) lgkmcnt(0)
	v_cmpx_ne_u32_e32 26, v0
	s_cbranch_execz .LBB91_182
; %bb.181:
	v_lshl_add_u32 v60, v0, 3, 0
	scratch_load_b64 v[0:1], v60, off offset:-8
	scratch_load_b64 v[2:3], off, off offset:200
	s_waitcnt vmcnt(1)
	scratch_store_b64 off, v[0:1], off offset:200
	s_waitcnt vmcnt(0)
	scratch_store_b64 v60, v[2:3], off offset:-8
.LBB91_182:
	s_or_b32 exec_lo, exec_lo, s0
	v_dual_mov_b32 v0, s2 :: v_dual_mov_b32 v1, s3
	s_mov_b32 s0, exec_lo
	flat_load_b32 v0, v[0:1] offset:96
	s_waitcnt vmcnt(0) lgkmcnt(0)
	v_cmpx_ne_u32_e32 25, v0
	s_cbranch_execz .LBB91_184
; %bb.183:
	v_lshl_add_u32 v60, v0, 3, 0
	scratch_load_b64 v[0:1], v60, off offset:-8
	scratch_load_b64 v[2:3], off, off offset:192
	s_waitcnt vmcnt(1)
	scratch_store_b64 off, v[0:1], off offset:192
	s_waitcnt vmcnt(0)
	scratch_store_b64 v60, v[2:3], off offset:-8
.LBB91_184:
	;; [unrolled: 16-line block ×25, first 2 shown]
	s_or_b32 exec_lo, exec_lo, s0
	v_dual_mov_b32 v0, s2 :: v_dual_mov_b32 v1, s3
	s_mov_b32 s0, exec_lo
	flat_load_b32 v0, v[0:1]
	scratch_load_b64 v[2:3], off, off
	s_waitcnt vmcnt(1) lgkmcnt(0)
	v_cmpx_ne_u32_e32 1, v0
	s_cbranch_execz .LBB91_232
; %bb.231:
	v_lshl_add_u32 v60, v0, 3, 0
	scratch_load_b64 v[0:1], v60, off offset:-8
	s_waitcnt vmcnt(0)
	scratch_store_b64 off, v[0:1], off
	scratch_store_b64 v60, v[2:3], off offset:-8
	scratch_load_b64 v[2:3], off, off
.LBB91_232:
	s_or_b32 exec_lo, exec_lo, s0
.LBB91_233:
	s_clause 0x7
	scratch_load_b128 v[60:63], off, off offset:8
	scratch_load_b128 v[64:67], off, off offset:24
	;; [unrolled: 1-line block ×8, first 2 shown]
	s_waitcnt vmcnt(8)
	global_store_b64 v[4:5], v[2:3], off
	s_clause 0x1
	scratch_load_b128 v[0:3], off, off offset:136
	scratch_load_b128 v[92:95], off, off offset:152
	s_waitcnt vmcnt(9)
	s_clause 0x1
	global_store_b64 v[10:11], v[60:61], off
	global_store_b64 v[14:15], v[62:63], off
	s_waitcnt vmcnt(8)
	s_clause 0x1
	global_store_b64 v[6:7], v[64:65], off
	global_store_b64 v[18:19], v[66:67], off
	s_clause 0x3
	scratch_load_b128 v[60:63], off, off offset:168
	scratch_load_b128 v[4:7], off, off offset:184
	;; [unrolled: 1-line block ×3, first 2 shown]
	scratch_load_b64 v[10:11], off, off offset:216
	s_waitcnt vmcnt(11)
	s_clause 0x1
	global_store_b64 v[8:9], v[68:69], off
	global_store_b64 v[12:13], v[70:71], off
	s_waitcnt vmcnt(10)
	s_clause 0x1
	global_store_b64 v[16:17], v[72:73], off
	global_store_b64 v[20:21], v[74:75], off
	s_waitcnt vmcnt(9)
	s_clause 0x1
	global_store_b64 v[22:23], v[76:77], off
	global_store_b64 v[24:25], v[78:79], off
	s_waitcnt vmcnt(8)
	s_clause 0x1
	global_store_b64 v[26:27], v[80:81], off
	global_store_b64 v[28:29], v[82:83], off
	s_waitcnt vmcnt(7)
	s_clause 0x1
	global_store_b64 v[30:31], v[84:85], off
	global_store_b64 v[34:35], v[86:87], off
	s_waitcnt vmcnt(6)
	s_clause 0x1
	global_store_b64 v[36:37], v[88:89], off
	global_store_b64 v[38:39], v[90:91], off
	s_waitcnt vmcnt(5)
	s_clause 0x1
	global_store_b64 v[40:41], v[0:1], off
	global_store_b64 v[42:43], v[2:3], off
	s_waitcnt vmcnt(4)
	s_clause 0x1
	global_store_b64 v[44:45], v[92:93], off
	global_store_b64 v[46:47], v[94:95], off
	s_waitcnt vmcnt(3)
	s_clause 0x1
	global_store_b64 v[48:49], v[60:61], off
	global_store_b64 v[50:51], v[62:63], off
	s_waitcnt vmcnt(2)
	s_clause 0x1
	global_store_b64 v[52:53], v[4:5], off
	global_store_b64 v[54:55], v[6:7], off
	s_waitcnt vmcnt(1)
	s_clause 0x1
	global_store_b64 v[56:57], v[64:65], off
	global_store_b64 v[58:59], v[66:67], off
	s_waitcnt vmcnt(0)
	global_store_b64 v[32:33], v[10:11], off
	s_endpgm
	.section	.rodata,"a",@progbits
	.p2align	6, 0x0
	.amdhsa_kernel _ZN9rocsolver6v33100L18getri_kernel_smallILi28EdPKPdEEvT1_iilPiilS6_bb
		.amdhsa_group_segment_fixed_size 456
		.amdhsa_private_segment_fixed_size 240
		.amdhsa_kernarg_size 60
		.amdhsa_user_sgpr_count 15
		.amdhsa_user_sgpr_dispatch_ptr 0
		.amdhsa_user_sgpr_queue_ptr 0
		.amdhsa_user_sgpr_kernarg_segment_ptr 1
		.amdhsa_user_sgpr_dispatch_id 0
		.amdhsa_user_sgpr_private_segment_size 0
		.amdhsa_wavefront_size32 1
		.amdhsa_uses_dynamic_stack 0
		.amdhsa_enable_private_segment 1
		.amdhsa_system_sgpr_workgroup_id_x 1
		.amdhsa_system_sgpr_workgroup_id_y 0
		.amdhsa_system_sgpr_workgroup_id_z 0
		.amdhsa_system_sgpr_workgroup_info 0
		.amdhsa_system_vgpr_workitem_id 0
		.amdhsa_next_free_vgpr 96
		.amdhsa_next_free_sgpr 17
		.amdhsa_reserve_vcc 1
		.amdhsa_float_round_mode_32 0
		.amdhsa_float_round_mode_16_64 0
		.amdhsa_float_denorm_mode_32 3
		.amdhsa_float_denorm_mode_16_64 3
		.amdhsa_dx10_clamp 1
		.amdhsa_ieee_mode 1
		.amdhsa_fp16_overflow 0
		.amdhsa_workgroup_processor_mode 1
		.amdhsa_memory_ordered 1
		.amdhsa_forward_progress 0
		.amdhsa_shared_vgpr_count 0
		.amdhsa_exception_fp_ieee_invalid_op 0
		.amdhsa_exception_fp_denorm_src 0
		.amdhsa_exception_fp_ieee_div_zero 0
		.amdhsa_exception_fp_ieee_overflow 0
		.amdhsa_exception_fp_ieee_underflow 0
		.amdhsa_exception_fp_ieee_inexact 0
		.amdhsa_exception_int_div_zero 0
	.end_amdhsa_kernel
	.section	.text._ZN9rocsolver6v33100L18getri_kernel_smallILi28EdPKPdEEvT1_iilPiilS6_bb,"axG",@progbits,_ZN9rocsolver6v33100L18getri_kernel_smallILi28EdPKPdEEvT1_iilPiilS6_bb,comdat
.Lfunc_end91:
	.size	_ZN9rocsolver6v33100L18getri_kernel_smallILi28EdPKPdEEvT1_iilPiilS6_bb, .Lfunc_end91-_ZN9rocsolver6v33100L18getri_kernel_smallILi28EdPKPdEEvT1_iilPiilS6_bb
                                        ; -- End function
	.section	.AMDGPU.csdata,"",@progbits
; Kernel info:
; codeLenInByte = 20692
; NumSgprs: 19
; NumVgprs: 96
; ScratchSize: 240
; MemoryBound: 0
; FloatMode: 240
; IeeeMode: 1
; LDSByteSize: 456 bytes/workgroup (compile time only)
; SGPRBlocks: 2
; VGPRBlocks: 11
; NumSGPRsForWavesPerEU: 19
; NumVGPRsForWavesPerEU: 96
; Occupancy: 16
; WaveLimiterHint : 1
; COMPUTE_PGM_RSRC2:SCRATCH_EN: 1
; COMPUTE_PGM_RSRC2:USER_SGPR: 15
; COMPUTE_PGM_RSRC2:TRAP_HANDLER: 0
; COMPUTE_PGM_RSRC2:TGID_X_EN: 1
; COMPUTE_PGM_RSRC2:TGID_Y_EN: 0
; COMPUTE_PGM_RSRC2:TGID_Z_EN: 0
; COMPUTE_PGM_RSRC2:TIDIG_COMP_CNT: 0
	.section	.text._ZN9rocsolver6v33100L18getri_kernel_smallILi29EdPKPdEEvT1_iilPiilS6_bb,"axG",@progbits,_ZN9rocsolver6v33100L18getri_kernel_smallILi29EdPKPdEEvT1_iilPiilS6_bb,comdat
	.globl	_ZN9rocsolver6v33100L18getri_kernel_smallILi29EdPKPdEEvT1_iilPiilS6_bb ; -- Begin function _ZN9rocsolver6v33100L18getri_kernel_smallILi29EdPKPdEEvT1_iilPiilS6_bb
	.p2align	8
	.type	_ZN9rocsolver6v33100L18getri_kernel_smallILi29EdPKPdEEvT1_iilPiilS6_bb,@function
_ZN9rocsolver6v33100L18getri_kernel_smallILi29EdPKPdEEvT1_iilPiilS6_bb: ; @_ZN9rocsolver6v33100L18getri_kernel_smallILi29EdPKPdEEvT1_iilPiilS6_bb
; %bb.0:
	s_mov_b32 s2, exec_lo
	v_cmpx_gt_u32_e32 29, v0
	s_cbranch_execz .LBB92_126
; %bb.1:
	s_clause 0x1
	s_load_b32 s13, s[0:1], 0x38
	s_load_b64 s[2:3], s[0:1], 0x0
	s_mov_b32 s8, s15
	s_load_b128 s[4:7], s[0:1], 0x28
	s_waitcnt lgkmcnt(0)
	s_bitcmp1_b32 s13, 8
	s_cselect_b32 s12, -1, 0
	s_ashr_i32 s9, s15, 31
	s_delay_alu instid0(SALU_CYCLE_1) | instskip(NEXT) | instid1(SALU_CYCLE_1)
	s_lshl_b64 s[10:11], s[8:9], 3
	s_add_u32 s2, s2, s10
	s_addc_u32 s3, s3, s11
	s_load_b64 s[10:11], s[2:3], 0x0
	s_bfe_u32 s2, s13, 0x10008
	s_delay_alu instid0(SALU_CYCLE_1)
	s_cmp_eq_u32 s2, 0
                                        ; implicit-def: $sgpr2_sgpr3
	s_cbranch_scc1 .LBB92_3
; %bb.2:
	s_clause 0x1
	s_load_b32 s2, s[0:1], 0x20
	s_load_b64 s[14:15], s[0:1], 0x18
	s_mul_i32 s3, s8, s5
	s_mul_hi_u32 s5, s8, s4
	s_mul_i32 s16, s9, s4
	s_add_i32 s3, s5, s3
	s_mul_i32 s4, s8, s4
	s_add_i32 s5, s3, s16
	s_delay_alu instid0(SALU_CYCLE_1)
	s_lshl_b64 s[4:5], s[4:5], 2
	s_waitcnt lgkmcnt(0)
	s_ashr_i32 s3, s2, 31
	s_add_u32 s4, s14, s4
	s_addc_u32 s5, s15, s5
	s_lshl_b64 s[2:3], s[2:3], 2
	s_delay_alu instid0(SALU_CYCLE_1)
	s_add_u32 s2, s4, s2
	s_addc_u32 s3, s5, s3
.LBB92_3:
	s_load_b64 s[0:1], s[0:1], 0x8
	v_lshlrev_b32_e32 v3, 3, v0
	s_waitcnt lgkmcnt(0)
	v_add3_u32 v1, s1, s1, v0
	s_ashr_i32 s5, s0, 31
	s_mov_b32 s4, s0
	s_mov_b32 s14, s1
	s_lshl_b64 s[4:5], s[4:5], 3
	v_add_nc_u32_e32 v8, s1, v1
	v_ashrrev_i32_e32 v2, 31, v1
	s_add_u32 s4, s10, s4
	s_addc_u32 s5, s11, s5
	v_add_co_u32 v4, s0, s4, v3
	v_add_nc_u32_e32 v10, s1, v8
	s_ashr_i32 s15, s1, 31
	v_add_co_ci_u32_e64 v5, null, s5, 0, s0
	v_lshlrev_b64 v[1:2], 3, v[1:2]
	s_delay_alu instid0(VALU_DEP_3)
	v_add_nc_u32_e32 v14, s1, v10
	v_ashrrev_i32_e32 v9, 31, v8
	s_lshl_b64 s[10:11], s[14:15], 3
	v_ashrrev_i32_e32 v11, 31, v10
	v_add_co_u32 v6, vcc_lo, v4, s10
	v_add_nc_u32_e32 v16, s1, v14
	v_add_co_ci_u32_e32 v7, vcc_lo, s11, v5, vcc_lo
	v_lshlrev_b64 v[12:13], 3, v[8:9]
	v_add_co_u32 v8, vcc_lo, s4, v1
	v_add_co_ci_u32_e32 v9, vcc_lo, s5, v2, vcc_lo
	v_lshlrev_b64 v[1:2], 3, v[10:11]
	v_ashrrev_i32_e32 v15, 31, v14
	v_add_nc_u32_e32 v18, s1, v16
	v_add_co_u32 v10, vcc_lo, s4, v12
	v_ashrrev_i32_e32 v17, 31, v16
	v_add_co_ci_u32_e32 v11, vcc_lo, s5, v13, vcc_lo
	v_lshlrev_b64 v[14:15], 3, v[14:15]
	v_add_co_u32 v12, vcc_lo, s4, v1
	v_add_nc_u32_e32 v20, s1, v18
	v_add_co_ci_u32_e32 v13, vcc_lo, s5, v2, vcc_lo
	v_lshlrev_b64 v[1:2], 3, v[16:17]
	v_ashrrev_i32_e32 v19, 31, v18
	v_add_co_u32 v16, vcc_lo, s4, v14
	v_ashrrev_i32_e32 v21, 31, v20
	v_add_nc_u32_e32 v22, s1, v20
	v_add_co_ci_u32_e32 v17, vcc_lo, s5, v15, vcc_lo
	v_lshlrev_b64 v[14:15], 3, v[18:19]
	v_add_co_u32 v18, vcc_lo, s4, v1
	v_add_co_ci_u32_e32 v19, vcc_lo, s5, v2, vcc_lo
	v_lshlrev_b64 v[1:2], 3, v[20:21]
	v_add_nc_u32_e32 v25, s1, v22
	v_ashrrev_i32_e32 v23, 31, v22
	v_add_co_u32 v14, vcc_lo, s4, v14
	v_add_co_ci_u32_e32 v15, vcc_lo, s5, v15, vcc_lo
	v_add_co_u32 v20, vcc_lo, s4, v1
	v_add_nc_u32_e32 v1, s1, v25
	v_lshlrev_b64 v[23:24], 3, v[22:23]
	v_ashrrev_i32_e32 v26, 31, v25
	v_add_co_ci_u32_e32 v21, vcc_lo, s5, v2, vcc_lo
	s_delay_alu instid0(VALU_DEP_4)
	v_add_nc_u32_e32 v27, s1, v1
	v_ashrrev_i32_e32 v2, 31, v1
	v_add_co_u32 v22, vcc_lo, s4, v23
	v_add_co_ci_u32_e32 v23, vcc_lo, s5, v24, vcc_lo
	v_lshlrev_b64 v[24:25], 3, v[25:26]
	v_add_nc_u32_e32 v32, s1, v27
	v_lshlrev_b64 v[1:2], 3, v[1:2]
	v_ashrrev_i32_e32 v28, 31, v27
	s_clause 0x4
	global_load_b64 v[62:63], v3, s[4:5]
	global_load_b64 v[64:65], v[6:7], off
	global_load_b64 v[66:67], v[8:9], off
	;; [unrolled: 1-line block ×4, first 2 shown]
	v_add_co_u32 v24, vcc_lo, s4, v24
	v_ashrrev_i32_e32 v33, 31, v32
	v_add_co_ci_u32_e32 v25, vcc_lo, s5, v25, vcc_lo
	v_lshlrev_b64 v[28:29], 3, v[27:28]
	v_add_co_u32 v26, vcc_lo, s4, v1
	v_add_co_ci_u32_e32 v27, vcc_lo, s5, v2, vcc_lo
	v_lshlrev_b64 v[1:2], 3, v[32:33]
	s_delay_alu instid0(VALU_DEP_4)
	v_add_co_u32 v28, vcc_lo, s4, v28
	v_add_co_ci_u32_e32 v29, vcc_lo, s5, v29, vcc_lo
	s_clause 0x3
	global_load_b64 v[72:73], v[16:17], off
	global_load_b64 v[74:75], v[18:19], off
	;; [unrolled: 1-line block ×4, first 2 shown]
	v_add_co_u32 v30, vcc_lo, s4, v1
	global_load_b64 v[80:81], v[22:23], off
	v_add_co_ci_u32_e32 v31, vcc_lo, s5, v2, vcc_lo
	s_clause 0x3
	global_load_b64 v[82:83], v[24:25], off
	global_load_b64 v[84:85], v[26:27], off
	;; [unrolled: 1-line block ×4, first 2 shown]
	v_add_nc_u32_e32 v1, s1, v32
	s_bitcmp0_b32 s13, 0
	s_delay_alu instid0(VALU_DEP_1) | instskip(SKIP_1) | instid1(VALU_DEP_2)
	v_add_nc_u32_e32 v32, s1, v1
	v_ashrrev_i32_e32 v2, 31, v1
	v_add_nc_u32_e32 v34, s1, v32
	v_ashrrev_i32_e32 v33, 31, v32
	s_delay_alu instid0(VALU_DEP_3) | instskip(NEXT) | instid1(VALU_DEP_3)
	v_lshlrev_b64 v[1:2], 3, v[1:2]
	v_add_nc_u32_e32 v38, s1, v34
	v_ashrrev_i32_e32 v35, 31, v34
	s_delay_alu instid0(VALU_DEP_4) | instskip(NEXT) | instid1(VALU_DEP_4)
	v_lshlrev_b64 v[36:37], 3, v[32:33]
	v_add_co_u32 v32, vcc_lo, s4, v1
	s_delay_alu instid0(VALU_DEP_4) | instskip(SKIP_3) | instid1(VALU_DEP_4)
	v_add_nc_u32_e32 v40, s1, v38
	v_add_co_ci_u32_e32 v33, vcc_lo, s5, v2, vcc_lo
	v_lshlrev_b64 v[1:2], 3, v[34:35]
	v_ashrrev_i32_e32 v39, 31, v38
	v_add_nc_u32_e32 v42, s1, v40
	v_add_co_u32 v34, vcc_lo, s4, v36
	v_ashrrev_i32_e32 v41, 31, v40
	v_add_co_ci_u32_e32 v35, vcc_lo, s5, v37, vcc_lo
	s_delay_alu instid0(VALU_DEP_4) | instskip(SKIP_3) | instid1(VALU_DEP_4)
	v_add_nc_u32_e32 v44, s1, v42
	v_lshlrev_b64 v[38:39], 3, v[38:39]
	v_add_co_u32 v36, vcc_lo, s4, v1
	v_add_co_ci_u32_e32 v37, vcc_lo, s5, v2, vcc_lo
	v_add_nc_u32_e32 v46, s1, v44
	v_lshlrev_b64 v[1:2], 3, v[40:41]
	v_ashrrev_i32_e32 v43, 31, v42
	v_add_co_u32 v38, vcc_lo, s4, v38
	s_delay_alu instid0(VALU_DEP_4) | instskip(SKIP_3) | instid1(VALU_DEP_4)
	v_add_nc_u32_e32 v48, s1, v46
	v_ashrrev_i32_e32 v45, 31, v44
	v_add_co_ci_u32_e32 v39, vcc_lo, s5, v39, vcc_lo
	v_lshlrev_b64 v[42:43], 3, v[42:43]
	v_add_nc_u32_e32 v50, s1, v48
	v_add_co_u32 v40, vcc_lo, s4, v1
	v_add_co_ci_u32_e32 v41, vcc_lo, s5, v2, vcc_lo
	v_lshlrev_b64 v[1:2], 3, v[44:45]
	v_ashrrev_i32_e32 v47, 31, v46
	v_add_nc_u32_e32 v52, s1, v50
	v_add_co_u32 v42, vcc_lo, s4, v42
	v_ashrrev_i32_e32 v49, 31, v48
	v_add_co_ci_u32_e32 v43, vcc_lo, s5, v43, vcc_lo
	v_lshlrev_b64 v[46:47], 3, v[46:47]
	v_add_co_u32 v44, vcc_lo, s4, v1
	v_add_nc_u32_e32 v54, s1, v52
	v_add_co_ci_u32_e32 v45, vcc_lo, s5, v2, vcc_lo
	v_lshlrev_b64 v[1:2], 3, v[48:49]
	v_ashrrev_i32_e32 v51, 31, v50
	v_add_co_u32 v46, vcc_lo, s4, v46
	v_ashrrev_i32_e32 v53, 31, v52
	v_add_nc_u32_e32 v56, s1, v54
	v_add_co_ci_u32_e32 v47, vcc_lo, s5, v47, vcc_lo
	v_lshlrev_b64 v[50:51], 3, v[50:51]
	v_add_co_u32 v48, vcc_lo, s4, v1
	v_add_co_ci_u32_e32 v49, vcc_lo, s5, v2, vcc_lo
	v_lshlrev_b64 v[1:2], 3, v[52:53]
	v_ashrrev_i32_e32 v55, 31, v54
	v_add_nc_u32_e32 v58, s1, v56
	v_add_co_u32 v50, vcc_lo, s4, v50
	v_ashrrev_i32_e32 v57, 31, v56
	v_add_co_ci_u32_e32 v51, vcc_lo, s5, v51, vcc_lo
	v_lshlrev_b64 v[54:55], 3, v[54:55]
	v_add_co_u32 v52, vcc_lo, s4, v1
	v_add_nc_u32_e32 v90, s1, v58
	v_add_co_ci_u32_e32 v53, vcc_lo, s5, v2, vcc_lo
	v_lshlrev_b64 v[1:2], 3, v[56:57]
	v_ashrrev_i32_e32 v59, 31, v58
	v_add_co_u32 v56, vcc_lo, s4, v54
	v_ashrrev_i32_e32 v91, 31, v90
	v_add_co_ci_u32_e32 v57, vcc_lo, s5, v55, vcc_lo
	s_delay_alu instid0(VALU_DEP_4) | instskip(SKIP_3) | instid1(VALU_DEP_4)
	v_lshlrev_b64 v[54:55], 3, v[58:59]
	v_add_co_u32 v60, vcc_lo, s4, v1
	v_add_co_ci_u32_e32 v61, vcc_lo, s5, v2, vcc_lo
	v_lshlrev_b64 v[1:2], 3, v[90:91]
	v_add_co_u32 v54, vcc_lo, s4, v54
	v_add_co_ci_u32_e32 v55, vcc_lo, s5, v55, vcc_lo
	s_mov_b32 s1, -1
	s_delay_alu instid0(VALU_DEP_3) | instskip(NEXT) | instid1(VALU_DEP_4)
	v_add_co_u32 v58, vcc_lo, s4, v1
	v_add_co_ci_u32_e32 v59, vcc_lo, s5, v2, vcc_lo
	s_waitcnt vmcnt(12)
	scratch_store_b128 off, v[62:65], off
	s_clause 0x2
	global_load_b64 v[62:63], v[32:33], off
	global_load_b64 v[64:65], v[34:35], off
	;; [unrolled: 1-line block ×3, first 2 shown]
	s_waitcnt vmcnt(13)
	scratch_store_b128 off, v[66:69], off offset:16
	s_waitcnt vmcnt(11)
	scratch_store_b128 off, v[70:73], off offset:32
	s_clause 0x3
	global_load_b64 v[92:93], v[38:39], off
	global_load_b64 v[66:67], v[40:41], off
	;; [unrolled: 1-line block ×4, first 2 shown]
	s_waitcnt vmcnt(13)
	scratch_store_b128 off, v[74:77], off offset:48
	s_waitcnt vmcnt(11)
	scratch_store_b128 off, v[78:81], off offset:64
	s_clause 0x3
	global_load_b64 v[72:73], v[46:47], off
	global_load_b64 v[74:75], v[48:49], off
	;; [unrolled: 1-line block ×4, first 2 shown]
	s_waitcnt vmcnt(13)
	scratch_store_b128 off, v[82:85], off offset:80
	s_clause 0x3
	global_load_b64 v[80:81], v[56:57], off
	global_load_b64 v[82:83], v[60:61], off
	;; [unrolled: 1-line block ×4, first 2 shown]
	s_waitcnt vmcnt(15)
	scratch_store_b128 off, v[86:89], off offset:96
	s_waitcnt vmcnt(13)
	scratch_store_b128 off, v[62:65], off offset:112
	;; [unrolled: 2-line block ×8, first 2 shown]
	s_waitcnt vmcnt(0)
	scratch_store_b64 off, v[1:2], off offset:224
	s_cbranch_scc1 .LBB92_124
; %bb.4:
	v_cmp_eq_u32_e64 s0, 0, v0
	s_delay_alu instid0(VALU_DEP_1)
	s_and_saveexec_b32 s1, s0
	s_cbranch_execz .LBB92_6
; %bb.5:
	v_mov_b32_e32 v1, 0
	ds_store_b32 v1, v1 offset:232
.LBB92_6:
	s_or_b32 exec_lo, exec_lo, s1
	s_waitcnt lgkmcnt(0)
	s_waitcnt_vscnt null, 0x0
	s_barrier
	buffer_gl0_inv
	scratch_load_b64 v[1:2], v3, off
	s_mov_b32 s4, exec_lo
	s_waitcnt vmcnt(0)
	v_cmpx_eq_f64_e32 0, v[1:2]
	s_cbranch_execz .LBB92_10
; %bb.7:
	v_mov_b32_e32 v1, 0
	s_mov_b32 s5, 0
	ds_load_b32 v2, v1 offset:232
	s_waitcnt lgkmcnt(0)
	v_readfirstlane_b32 s1, v2
	v_add_nc_u32_e32 v2, 1, v0
	s_delay_alu instid0(VALU_DEP_2) | instskip(NEXT) | instid1(VALU_DEP_1)
	s_cmp_eq_u32 s1, 0
	v_cmp_gt_i32_e32 vcc_lo, s1, v2
	s_cselect_b32 s10, -1, 0
	s_delay_alu instid0(SALU_CYCLE_1) | instskip(NEXT) | instid1(SALU_CYCLE_1)
	s_or_b32 s10, s10, vcc_lo
	s_and_b32 exec_lo, exec_lo, s10
	s_cbranch_execz .LBB92_10
; %bb.8:
	v_mov_b32_e32 v62, s1
.LBB92_9:                               ; =>This Inner Loop Header: Depth=1
	ds_cmpstore_rtn_b32 v62, v1, v2, v62 offset:232
	s_waitcnt lgkmcnt(0)
	v_cmp_ne_u32_e32 vcc_lo, 0, v62
	v_cmp_le_i32_e64 s1, v62, v2
	s_delay_alu instid0(VALU_DEP_1) | instskip(NEXT) | instid1(SALU_CYCLE_1)
	s_and_b32 s1, vcc_lo, s1
	s_and_b32 s1, exec_lo, s1
	s_delay_alu instid0(SALU_CYCLE_1) | instskip(NEXT) | instid1(SALU_CYCLE_1)
	s_or_b32 s5, s1, s5
	s_and_not1_b32 exec_lo, exec_lo, s5
	s_cbranch_execnz .LBB92_9
.LBB92_10:
	s_or_b32 exec_lo, exec_lo, s4
	v_mov_b32_e32 v1, 0
	s_barrier
	buffer_gl0_inv
	ds_load_b32 v2, v1 offset:232
	s_and_saveexec_b32 s1, s0
	s_cbranch_execz .LBB92_12
; %bb.11:
	s_lshl_b64 s[4:5], s[8:9], 2
	s_delay_alu instid0(SALU_CYCLE_1)
	s_add_u32 s4, s6, s4
	s_addc_u32 s5, s7, s5
	s_waitcnt lgkmcnt(0)
	global_store_b32 v1, v2, s[4:5]
.LBB92_12:
	s_or_b32 exec_lo, exec_lo, s1
	s_waitcnt lgkmcnt(0)
	v_cmp_ne_u32_e32 vcc_lo, 0, v2
	s_mov_b32 s1, 0
	s_cbranch_vccnz .LBB92_124
; %bb.13:
	v_add_nc_u32_e32 v62, 0, v3
	scratch_load_b64 v[1:2], v62, off
	s_waitcnt vmcnt(0)
	v_div_scale_f64 v[63:64], null, v[1:2], v[1:2], 1.0
	v_div_scale_f64 v[69:70], vcc_lo, 1.0, v[1:2], 1.0
	s_delay_alu instid0(VALU_DEP_2) | instskip(SKIP_2) | instid1(VALU_DEP_1)
	v_rcp_f64_e32 v[65:66], v[63:64]
	s_waitcnt_depctr 0xfff
	v_fma_f64 v[67:68], -v[63:64], v[65:66], 1.0
	v_fma_f64 v[65:66], v[65:66], v[67:68], v[65:66]
	s_delay_alu instid0(VALU_DEP_1) | instskip(NEXT) | instid1(VALU_DEP_1)
	v_fma_f64 v[67:68], -v[63:64], v[65:66], 1.0
	v_fma_f64 v[65:66], v[65:66], v[67:68], v[65:66]
	s_delay_alu instid0(VALU_DEP_1) | instskip(NEXT) | instid1(VALU_DEP_1)
	v_mul_f64 v[67:68], v[69:70], v[65:66]
	v_fma_f64 v[63:64], -v[63:64], v[67:68], v[69:70]
	s_delay_alu instid0(VALU_DEP_1) | instskip(NEXT) | instid1(VALU_DEP_1)
	v_div_fmas_f64 v[63:64], v[63:64], v[65:66], v[67:68]
	v_div_fixup_f64 v[1:2], v[63:64], v[1:2], 1.0
	v_add_nc_u32_e32 v63, 0xf0, v3
	scratch_store_b64 v62, v[1:2], off
	scratch_load_b64 v[64:65], off, off offset:8
	v_xor_b32_e32 v2, 0x80000000, v2
	s_waitcnt vmcnt(0)
	ds_store_2addr_b64 v3, v[1:2], v[64:65] offset1:30
	s_waitcnt lgkmcnt(0)
	s_waitcnt_vscnt null, 0x0
	s_barrier
	buffer_gl0_inv
	s_and_saveexec_b32 s1, s0
	s_cbranch_execz .LBB92_15
; %bb.14:
	scratch_load_b64 v[1:2], v62, off
	ds_load_b64 v[64:65], v63
	s_waitcnt vmcnt(0) lgkmcnt(0)
	v_fma_f64 v[1:2], v[1:2], v[64:65], 0
	v_mov_b32_e32 v64, 0
	ds_load_b64 v[64:65], v64 offset:8
	s_waitcnt lgkmcnt(0)
	v_mul_f64 v[1:2], v[1:2], v[64:65]
	scratch_store_b64 off, v[1:2], off offset:8
.LBB92_15:
	s_or_b32 exec_lo, exec_lo, s1
	s_waitcnt_vscnt null, 0x0
	s_barrier
	buffer_gl0_inv
	scratch_load_b64 v[1:2], off, off offset:16
	s_mov_b32 s1, exec_lo
	s_waitcnt vmcnt(0)
	ds_store_b64 v63, v[1:2]
	s_waitcnt lgkmcnt(0)
	s_barrier
	buffer_gl0_inv
	v_cmpx_gt_u32_e32 2, v0
	s_cbranch_execz .LBB92_19
; %bb.16:
	scratch_load_b64 v[1:2], v62, off
	ds_load_b64 v[64:65], v63
	s_waitcnt vmcnt(0) lgkmcnt(0)
	v_fma_f64 v[1:2], v[1:2], v[64:65], 0
	s_and_saveexec_b32 s4, s0
	s_cbranch_execz .LBB92_18
; %bb.17:
	scratch_load_b64 v[64:65], off, off offset:8
	v_mov_b32_e32 v66, 0
	ds_load_b64 v[66:67], v66 offset:248
	s_waitcnt vmcnt(0) lgkmcnt(0)
	v_fma_f64 v[1:2], v[64:65], v[66:67], v[1:2]
.LBB92_18:
	s_or_b32 exec_lo, exec_lo, s4
	v_mov_b32_e32 v64, 0
	ds_load_b64 v[64:65], v64 offset:16
	s_waitcnt lgkmcnt(0)
	v_mul_f64 v[1:2], v[1:2], v[64:65]
	scratch_store_b64 off, v[1:2], off offset:16
.LBB92_19:
	s_or_b32 exec_lo, exec_lo, s1
	s_waitcnt_vscnt null, 0x0
	s_barrier
	buffer_gl0_inv
	scratch_load_b64 v[1:2], off, off offset:24
	v_add_nc_u32_e32 v64, -1, v0
	s_mov_b32 s0, exec_lo
	s_waitcnt vmcnt(0)
	ds_store_b64 v63, v[1:2]
	s_waitcnt lgkmcnt(0)
	s_barrier
	buffer_gl0_inv
	v_cmpx_gt_u32_e32 3, v0
	s_cbranch_execz .LBB92_23
; %bb.20:
	v_dual_mov_b32 v1, 0 :: v_dual_add_nc_u32 v66, 0xf0, v3
	v_dual_mov_b32 v2, 0 :: v_dual_add_nc_u32 v65, -1, v0
	v_add_nc_u32_e32 v67, 0, v3
	s_mov_b32 s1, 0
.LBB92_21:                              ; =>This Inner Loop Header: Depth=1
	scratch_load_b64 v[68:69], v67, off
	ds_load_b64 v[70:71], v66
	v_add_nc_u32_e32 v65, 1, v65
	v_add_nc_u32_e32 v66, 8, v66
	v_add_nc_u32_e32 v67, 8, v67
	s_delay_alu instid0(VALU_DEP_3)
	v_cmp_lt_u32_e32 vcc_lo, 1, v65
	s_or_b32 s1, vcc_lo, s1
	s_waitcnt vmcnt(0) lgkmcnt(0)
	v_fma_f64 v[1:2], v[68:69], v[70:71], v[1:2]
	s_and_not1_b32 exec_lo, exec_lo, s1
	s_cbranch_execnz .LBB92_21
; %bb.22:
	s_or_b32 exec_lo, exec_lo, s1
	v_mov_b32_e32 v65, 0
	ds_load_b64 v[65:66], v65 offset:24
	s_waitcnt lgkmcnt(0)
	v_mul_f64 v[1:2], v[1:2], v[65:66]
	scratch_store_b64 off, v[1:2], off offset:24
.LBB92_23:
	s_or_b32 exec_lo, exec_lo, s0
	s_waitcnt_vscnt null, 0x0
	s_barrier
	buffer_gl0_inv
	scratch_load_b64 v[1:2], off, off offset:32
	s_mov_b32 s0, exec_lo
	s_waitcnt vmcnt(0)
	ds_store_b64 v63, v[1:2]
	s_waitcnt lgkmcnt(0)
	s_barrier
	buffer_gl0_inv
	v_cmpx_gt_u32_e32 4, v0
	s_cbranch_execz .LBB92_27
; %bb.24:
	v_dual_mov_b32 v1, 0 :: v_dual_add_nc_u32 v66, 0xf0, v3
	v_dual_mov_b32 v2, 0 :: v_dual_add_nc_u32 v65, -1, v0
	v_add_nc_u32_e32 v67, 0, v3
	s_mov_b32 s1, 0
.LBB92_25:                              ; =>This Inner Loop Header: Depth=1
	scratch_load_b64 v[68:69], v67, off
	ds_load_b64 v[70:71], v66
	v_add_nc_u32_e32 v65, 1, v65
	v_add_nc_u32_e32 v66, 8, v66
	v_add_nc_u32_e32 v67, 8, v67
	s_delay_alu instid0(VALU_DEP_3)
	v_cmp_lt_u32_e32 vcc_lo, 2, v65
	s_or_b32 s1, vcc_lo, s1
	s_waitcnt vmcnt(0) lgkmcnt(0)
	v_fma_f64 v[1:2], v[68:69], v[70:71], v[1:2]
	s_and_not1_b32 exec_lo, exec_lo, s1
	s_cbranch_execnz .LBB92_25
; %bb.26:
	s_or_b32 exec_lo, exec_lo, s1
	v_mov_b32_e32 v65, 0
	ds_load_b64 v[65:66], v65 offset:32
	s_waitcnt lgkmcnt(0)
	v_mul_f64 v[1:2], v[1:2], v[65:66]
	scratch_store_b64 off, v[1:2], off offset:32
.LBB92_27:
	s_or_b32 exec_lo, exec_lo, s0
	s_waitcnt_vscnt null, 0x0
	s_barrier
	buffer_gl0_inv
	scratch_load_b64 v[1:2], off, off offset:40
	;; [unrolled: 39-line block ×20, first 2 shown]
	s_mov_b32 s0, exec_lo
	s_waitcnt vmcnt(0)
	ds_store_b64 v63, v[1:2]
	s_waitcnt lgkmcnt(0)
	s_barrier
	buffer_gl0_inv
	v_cmpx_gt_u32_e32 23, v0
	s_cbranch_execz .LBB92_103
; %bb.100:
	v_dual_mov_b32 v1, 0 :: v_dual_add_nc_u32 v66, 0xf0, v3
	v_dual_mov_b32 v2, 0 :: v_dual_add_nc_u32 v65, -1, v0
	v_add_nc_u32_e32 v67, 0, v3
	s_mov_b32 s1, 0
.LBB92_101:                             ; =>This Inner Loop Header: Depth=1
	scratch_load_b64 v[68:69], v67, off
	ds_load_b64 v[70:71], v66
	v_add_nc_u32_e32 v65, 1, v65
	v_add_nc_u32_e32 v66, 8, v66
	v_add_nc_u32_e32 v67, 8, v67
	s_delay_alu instid0(VALU_DEP_3)
	v_cmp_lt_u32_e32 vcc_lo, 21, v65
	s_or_b32 s1, vcc_lo, s1
	s_waitcnt vmcnt(0) lgkmcnt(0)
	v_fma_f64 v[1:2], v[68:69], v[70:71], v[1:2]
	s_and_not1_b32 exec_lo, exec_lo, s1
	s_cbranch_execnz .LBB92_101
; %bb.102:
	s_or_b32 exec_lo, exec_lo, s1
	v_mov_b32_e32 v65, 0
	ds_load_b64 v[65:66], v65 offset:184
	s_waitcnt lgkmcnt(0)
	v_mul_f64 v[1:2], v[1:2], v[65:66]
	scratch_store_b64 off, v[1:2], off offset:184
.LBB92_103:
	s_or_b32 exec_lo, exec_lo, s0
	s_waitcnt_vscnt null, 0x0
	s_barrier
	buffer_gl0_inv
	scratch_load_b64 v[1:2], off, off offset:192
	s_mov_b32 s0, exec_lo
	s_waitcnt vmcnt(0)
	ds_store_b64 v63, v[1:2]
	s_waitcnt lgkmcnt(0)
	s_barrier
	buffer_gl0_inv
	v_cmpx_gt_u32_e32 24, v0
	s_cbranch_execz .LBB92_107
; %bb.104:
	v_dual_mov_b32 v1, 0 :: v_dual_add_nc_u32 v66, 0xf0, v3
	v_dual_mov_b32 v2, 0 :: v_dual_add_nc_u32 v65, -1, v0
	v_add_nc_u32_e32 v67, 0, v3
	s_mov_b32 s1, 0
.LBB92_105:                             ; =>This Inner Loop Header: Depth=1
	scratch_load_b64 v[68:69], v67, off
	ds_load_b64 v[70:71], v66
	v_add_nc_u32_e32 v65, 1, v65
	v_add_nc_u32_e32 v66, 8, v66
	v_add_nc_u32_e32 v67, 8, v67
	s_delay_alu instid0(VALU_DEP_3)
	v_cmp_lt_u32_e32 vcc_lo, 22, v65
	s_or_b32 s1, vcc_lo, s1
	s_waitcnt vmcnt(0) lgkmcnt(0)
	v_fma_f64 v[1:2], v[68:69], v[70:71], v[1:2]
	s_and_not1_b32 exec_lo, exec_lo, s1
	s_cbranch_execnz .LBB92_105
; %bb.106:
	s_or_b32 exec_lo, exec_lo, s1
	v_mov_b32_e32 v65, 0
	ds_load_b64 v[65:66], v65 offset:192
	s_waitcnt lgkmcnt(0)
	v_mul_f64 v[1:2], v[1:2], v[65:66]
	scratch_store_b64 off, v[1:2], off offset:192
.LBB92_107:
	s_or_b32 exec_lo, exec_lo, s0
	s_waitcnt_vscnt null, 0x0
	s_barrier
	buffer_gl0_inv
	scratch_load_b64 v[1:2], off, off offset:200
	s_mov_b32 s0, exec_lo
	s_waitcnt vmcnt(0)
	ds_store_b64 v63, v[1:2]
	s_waitcnt lgkmcnt(0)
	s_barrier
	buffer_gl0_inv
	v_cmpx_gt_u32_e32 25, v0
	s_cbranch_execz .LBB92_111
; %bb.108:
	v_dual_mov_b32 v1, 0 :: v_dual_add_nc_u32 v66, 0xf0, v3
	v_dual_mov_b32 v2, 0 :: v_dual_add_nc_u32 v65, -1, v0
	v_add_nc_u32_e32 v67, 0, v3
	s_mov_b32 s1, 0
.LBB92_109:                             ; =>This Inner Loop Header: Depth=1
	scratch_load_b64 v[68:69], v67, off
	ds_load_b64 v[70:71], v66
	v_add_nc_u32_e32 v65, 1, v65
	v_add_nc_u32_e32 v66, 8, v66
	v_add_nc_u32_e32 v67, 8, v67
	s_delay_alu instid0(VALU_DEP_3)
	v_cmp_lt_u32_e32 vcc_lo, 23, v65
	s_or_b32 s1, vcc_lo, s1
	s_waitcnt vmcnt(0) lgkmcnt(0)
	v_fma_f64 v[1:2], v[68:69], v[70:71], v[1:2]
	s_and_not1_b32 exec_lo, exec_lo, s1
	s_cbranch_execnz .LBB92_109
; %bb.110:
	s_or_b32 exec_lo, exec_lo, s1
	v_mov_b32_e32 v65, 0
	ds_load_b64 v[65:66], v65 offset:200
	s_waitcnt lgkmcnt(0)
	v_mul_f64 v[1:2], v[1:2], v[65:66]
	scratch_store_b64 off, v[1:2], off offset:200
.LBB92_111:
	s_or_b32 exec_lo, exec_lo, s0
	s_waitcnt_vscnt null, 0x0
	s_barrier
	buffer_gl0_inv
	scratch_load_b64 v[1:2], off, off offset:208
	s_mov_b32 s0, exec_lo
	s_waitcnt vmcnt(0)
	ds_store_b64 v63, v[1:2]
	s_waitcnt lgkmcnt(0)
	s_barrier
	buffer_gl0_inv
	v_cmpx_gt_u32_e32 26, v0
	s_cbranch_execz .LBB92_115
; %bb.112:
	v_dual_mov_b32 v1, 0 :: v_dual_add_nc_u32 v66, 0xf0, v3
	v_dual_mov_b32 v2, 0 :: v_dual_add_nc_u32 v65, -1, v0
	v_add_nc_u32_e32 v67, 0, v3
	s_mov_b32 s1, 0
.LBB92_113:                             ; =>This Inner Loop Header: Depth=1
	scratch_load_b64 v[68:69], v67, off
	ds_load_b64 v[70:71], v66
	v_add_nc_u32_e32 v65, 1, v65
	v_add_nc_u32_e32 v66, 8, v66
	v_add_nc_u32_e32 v67, 8, v67
	s_delay_alu instid0(VALU_DEP_3)
	v_cmp_lt_u32_e32 vcc_lo, 24, v65
	s_or_b32 s1, vcc_lo, s1
	s_waitcnt vmcnt(0) lgkmcnt(0)
	v_fma_f64 v[1:2], v[68:69], v[70:71], v[1:2]
	s_and_not1_b32 exec_lo, exec_lo, s1
	s_cbranch_execnz .LBB92_113
; %bb.114:
	s_or_b32 exec_lo, exec_lo, s1
	v_mov_b32_e32 v65, 0
	ds_load_b64 v[65:66], v65 offset:208
	s_waitcnt lgkmcnt(0)
	v_mul_f64 v[1:2], v[1:2], v[65:66]
	scratch_store_b64 off, v[1:2], off offset:208
.LBB92_115:
	s_or_b32 exec_lo, exec_lo, s0
	s_waitcnt_vscnt null, 0x0
	s_barrier
	buffer_gl0_inv
	scratch_load_b64 v[1:2], off, off offset:216
	s_mov_b32 s0, exec_lo
	s_waitcnt vmcnt(0)
	ds_store_b64 v63, v[1:2]
	s_waitcnt lgkmcnt(0)
	s_barrier
	buffer_gl0_inv
	v_cmpx_gt_u32_e32 27, v0
	s_cbranch_execz .LBB92_119
; %bb.116:
	v_dual_mov_b32 v1, 0 :: v_dual_add_nc_u32 v66, 0xf0, v3
	v_dual_mov_b32 v2, 0 :: v_dual_add_nc_u32 v65, -1, v0
	v_add_nc_u32_e32 v3, 0, v3
	s_mov_b32 s1, 0
.LBB92_117:                             ; =>This Inner Loop Header: Depth=1
	scratch_load_b64 v[67:68], v3, off
	ds_load_b64 v[69:70], v66
	v_add_nc_u32_e32 v65, 1, v65
	v_add_nc_u32_e32 v66, 8, v66
	v_add_nc_u32_e32 v3, 8, v3
	s_delay_alu instid0(VALU_DEP_3)
	v_cmp_lt_u32_e32 vcc_lo, 25, v65
	s_or_b32 s1, vcc_lo, s1
	s_waitcnt vmcnt(0) lgkmcnt(0)
	v_fma_f64 v[1:2], v[67:68], v[69:70], v[1:2]
	s_and_not1_b32 exec_lo, exec_lo, s1
	s_cbranch_execnz .LBB92_117
; %bb.118:
	s_or_b32 exec_lo, exec_lo, s1
	v_mov_b32_e32 v3, 0
	ds_load_b64 v[65:66], v3 offset:216
	s_waitcnt lgkmcnt(0)
	v_mul_f64 v[1:2], v[1:2], v[65:66]
	scratch_store_b64 off, v[1:2], off offset:216
.LBB92_119:
	s_or_b32 exec_lo, exec_lo, s0
	s_waitcnt_vscnt null, 0x0
	s_barrier
	buffer_gl0_inv
	scratch_load_b64 v[1:2], off, off offset:224
	s_mov_b32 s0, exec_lo
	s_waitcnt vmcnt(0)
	ds_store_b64 v63, v[1:2]
	s_waitcnt lgkmcnt(0)
	s_barrier
	buffer_gl0_inv
	v_cmpx_ne_u32_e32 28, v0
	s_cbranch_execz .LBB92_123
; %bb.120:
	v_mov_b32_e32 v1, 0
	v_mov_b32_e32 v2, 0
	s_mov_b32 s1, 0
.LBB92_121:                             ; =>This Inner Loop Header: Depth=1
	scratch_load_b64 v[65:66], v62, off
	ds_load_b64 v[67:68], v63
	v_add_nc_u32_e32 v64, 1, v64
	v_add_nc_u32_e32 v63, 8, v63
	;; [unrolled: 1-line block ×3, first 2 shown]
	s_delay_alu instid0(VALU_DEP_3)
	v_cmp_lt_u32_e32 vcc_lo, 26, v64
	s_or_b32 s1, vcc_lo, s1
	s_waitcnt vmcnt(0) lgkmcnt(0)
	v_fma_f64 v[1:2], v[65:66], v[67:68], v[1:2]
	s_and_not1_b32 exec_lo, exec_lo, s1
	s_cbranch_execnz .LBB92_121
; %bb.122:
	s_or_b32 exec_lo, exec_lo, s1
	v_mov_b32_e32 v3, 0
	ds_load_b64 v[62:63], v3 offset:224
	s_waitcnt lgkmcnt(0)
	v_mul_f64 v[1:2], v[1:2], v[62:63]
	scratch_store_b64 off, v[1:2], off offset:224
.LBB92_123:
	s_or_b32 exec_lo, exec_lo, s0
	s_mov_b32 s1, -1
	s_waitcnt_vscnt null, 0x0
	s_barrier
	buffer_gl0_inv
.LBB92_124:
	s_and_b32 vcc_lo, exec_lo, s1
	s_cbranch_vccz .LBB92_126
; %bb.125:
	s_lshl_b64 s[0:1], s[8:9], 2
	v_mov_b32_e32 v1, 0
	s_add_u32 s0, s6, s0
	s_addc_u32 s1, s7, s1
	global_load_b32 v1, v1, s[0:1]
	s_waitcnt vmcnt(0)
	v_cmp_ne_u32_e32 vcc_lo, 0, v1
	s_cbranch_vccz .LBB92_127
.LBB92_126:
	s_endpgm
.LBB92_127:
	v_lshl_add_u32 v3, v0, 3, 0xf0
	s_mov_b32 s0, exec_lo
	v_cmpx_eq_u32_e32 28, v0
	s_cbranch_execz .LBB92_129
; %bb.128:
	scratch_load_b64 v[1:2], off, off offset:216
	v_mov_b32_e32 v62, 0
	s_delay_alu instid0(VALU_DEP_1)
	v_mov_b32_e32 v63, v62
	scratch_store_b64 off, v[62:63], off offset:216
	s_waitcnt vmcnt(0)
	ds_store_b64 v3, v[1:2]
.LBB92_129:
	s_or_b32 exec_lo, exec_lo, s0
	s_waitcnt lgkmcnt(0)
	s_waitcnt_vscnt null, 0x0
	s_barrier
	buffer_gl0_inv
	scratch_load_b128 v[62:65], off, off offset:216
	v_mov_b32_e32 v1, 0
	s_mov_b32 s0, exec_lo
	ds_load_b64 v[66:67], v1 offset:464
	s_waitcnt vmcnt(0) lgkmcnt(0)
	v_fma_f64 v[64:65], v[64:65], v[66:67], 0
	s_delay_alu instid0(VALU_DEP_1)
	v_add_f64 v[62:63], v[62:63], -v[64:65]
	scratch_store_b64 off, v[62:63], off offset:216
	v_cmpx_lt_u32_e32 26, v0
	s_cbranch_execz .LBB92_131
; %bb.130:
	scratch_load_b64 v[62:63], off, off offset:208
	v_mov_b32_e32 v2, v1
	scratch_store_b64 off, v[1:2], off offset:208
	s_waitcnt vmcnt(0)
	ds_store_b64 v3, v[62:63]
.LBB92_131:
	s_or_b32 exec_lo, exec_lo, s0
	s_waitcnt lgkmcnt(0)
	s_waitcnt_vscnt null, 0x0
	s_barrier
	buffer_gl0_inv
	s_clause 0x1
	scratch_load_b128 v[62:65], off, off offset:208
	scratch_load_b64 v[70:71], off, off offset:224
	ds_load_2addr_b64 v[66:69], v1 offset0:57 offset1:58
	s_mov_b32 s0, exec_lo
	s_waitcnt vmcnt(1) lgkmcnt(0)
	v_fma_f64 v[1:2], v[64:65], v[66:67], 0
	s_waitcnt vmcnt(0)
	s_delay_alu instid0(VALU_DEP_1) | instskip(NEXT) | instid1(VALU_DEP_1)
	v_fma_f64 v[1:2], v[70:71], v[68:69], v[1:2]
	v_add_f64 v[1:2], v[62:63], -v[1:2]
	scratch_store_b64 off, v[1:2], off offset:208
	v_cmpx_lt_u32_e32 25, v0
	s_cbranch_execz .LBB92_133
; %bb.132:
	scratch_load_b64 v[1:2], off, off offset:200
	v_mov_b32_e32 v62, 0
	s_delay_alu instid0(VALU_DEP_1)
	v_mov_b32_e32 v63, v62
	scratch_store_b64 off, v[62:63], off offset:200
	s_waitcnt vmcnt(0)
	ds_store_b64 v3, v[1:2]
.LBB92_133:
	s_or_b32 exec_lo, exec_lo, s0
	s_waitcnt lgkmcnt(0)
	s_waitcnt_vscnt null, 0x0
	s_barrier
	buffer_gl0_inv
	s_clause 0x1
	scratch_load_b128 v[62:65], off, off offset:200
	scratch_load_b128 v[66:69], off, off offset:216
	v_mov_b32_e32 v1, 0
	ds_load_b128 v[70:73], v1 offset:448
	ds_load_b64 v[74:75], v1 offset:464
	s_mov_b32 s0, exec_lo
	s_waitcnt vmcnt(1) lgkmcnt(1)
	v_fma_f64 v[64:65], v[64:65], v[70:71], 0
	s_waitcnt vmcnt(0)
	s_delay_alu instid0(VALU_DEP_1) | instskip(SKIP_1) | instid1(VALU_DEP_1)
	v_fma_f64 v[64:65], v[66:67], v[72:73], v[64:65]
	s_waitcnt lgkmcnt(0)
	v_fma_f64 v[64:65], v[68:69], v[74:75], v[64:65]
	s_delay_alu instid0(VALU_DEP_1)
	v_add_f64 v[62:63], v[62:63], -v[64:65]
	scratch_store_b64 off, v[62:63], off offset:200
	v_cmpx_lt_u32_e32 24, v0
	s_cbranch_execz .LBB92_135
; %bb.134:
	scratch_load_b64 v[62:63], off, off offset:192
	v_mov_b32_e32 v2, v1
	scratch_store_b64 off, v[1:2], off offset:192
	s_waitcnt vmcnt(0)
	ds_store_b64 v3, v[62:63]
.LBB92_135:
	s_or_b32 exec_lo, exec_lo, s0
	s_waitcnt lgkmcnt(0)
	s_waitcnt_vscnt null, 0x0
	s_barrier
	buffer_gl0_inv
	s_clause 0x2
	scratch_load_b128 v[62:65], off, off offset:192
	scratch_load_b128 v[66:69], off, off offset:208
	scratch_load_b64 v[78:79], off, off offset:224
	ds_load_2addr_b64 v[70:73], v1 offset0:55 offset1:56
	ds_load_2addr_b64 v[74:77], v1 offset0:57 offset1:58
	s_mov_b32 s0, exec_lo
	s_waitcnt vmcnt(2) lgkmcnt(1)
	v_fma_f64 v[1:2], v[64:65], v[70:71], 0
	s_waitcnt vmcnt(1)
	s_delay_alu instid0(VALU_DEP_1) | instskip(SKIP_1) | instid1(VALU_DEP_1)
	v_fma_f64 v[1:2], v[66:67], v[72:73], v[1:2]
	s_waitcnt lgkmcnt(0)
	v_fma_f64 v[1:2], v[68:69], v[74:75], v[1:2]
	s_waitcnt vmcnt(0)
	s_delay_alu instid0(VALU_DEP_1) | instskip(NEXT) | instid1(VALU_DEP_1)
	v_fma_f64 v[1:2], v[78:79], v[76:77], v[1:2]
	v_add_f64 v[1:2], v[62:63], -v[1:2]
	scratch_store_b64 off, v[1:2], off offset:192
	v_cmpx_lt_u32_e32 23, v0
	s_cbranch_execz .LBB92_137
; %bb.136:
	scratch_load_b64 v[1:2], off, off offset:184
	v_mov_b32_e32 v62, 0
	s_delay_alu instid0(VALU_DEP_1)
	v_mov_b32_e32 v63, v62
	scratch_store_b64 off, v[62:63], off offset:184
	s_waitcnt vmcnt(0)
	ds_store_b64 v3, v[1:2]
.LBB92_137:
	s_or_b32 exec_lo, exec_lo, s0
	s_waitcnt lgkmcnt(0)
	s_waitcnt_vscnt null, 0x0
	s_barrier
	buffer_gl0_inv
	s_clause 0x2
	scratch_load_b128 v[62:65], off, off offset:184
	scratch_load_b128 v[66:69], off, off offset:200
	;; [unrolled: 1-line block ×3, first 2 shown]
	v_mov_b32_e32 v1, 0
	ds_load_b128 v[74:77], v1 offset:432
	ds_load_b128 v[78:81], v1 offset:448
	s_mov_b32 s0, exec_lo
	s_waitcnt vmcnt(2) lgkmcnt(1)
	v_fma_f64 v[64:65], v[64:65], v[74:75], 0
	s_waitcnt vmcnt(1)
	s_delay_alu instid0(VALU_DEP_1) | instskip(SKIP_4) | instid1(VALU_DEP_1)
	v_fma_f64 v[64:65], v[66:67], v[76:77], v[64:65]
	ds_load_b64 v[66:67], v1 offset:464
	s_waitcnt lgkmcnt(1)
	v_fma_f64 v[64:65], v[68:69], v[78:79], v[64:65]
	s_waitcnt vmcnt(0)
	v_fma_f64 v[64:65], v[70:71], v[80:81], v[64:65]
	s_waitcnt lgkmcnt(0)
	s_delay_alu instid0(VALU_DEP_1) | instskip(NEXT) | instid1(VALU_DEP_1)
	v_fma_f64 v[64:65], v[72:73], v[66:67], v[64:65]
	v_add_f64 v[62:63], v[62:63], -v[64:65]
	scratch_store_b64 off, v[62:63], off offset:184
	v_cmpx_lt_u32_e32 22, v0
	s_cbranch_execz .LBB92_139
; %bb.138:
	scratch_load_b64 v[62:63], off, off offset:176
	v_mov_b32_e32 v2, v1
	scratch_store_b64 off, v[1:2], off offset:176
	s_waitcnt vmcnt(0)
	ds_store_b64 v3, v[62:63]
.LBB92_139:
	s_or_b32 exec_lo, exec_lo, s0
	s_waitcnt lgkmcnt(0)
	s_waitcnt_vscnt null, 0x0
	s_barrier
	buffer_gl0_inv
	s_clause 0x3
	scratch_load_b128 v[62:65], off, off offset:176
	scratch_load_b128 v[66:69], off, off offset:192
	;; [unrolled: 1-line block ×3, first 2 shown]
	scratch_load_b64 v[82:83], off, off offset:224
	ds_load_2addr_b64 v[74:77], v1 offset0:53 offset1:54
	ds_load_2addr_b64 v[78:81], v1 offset0:55 offset1:56
	s_mov_b32 s0, exec_lo
	s_waitcnt vmcnt(3) lgkmcnt(1)
	v_fma_f64 v[64:65], v[64:65], v[74:75], 0
	s_waitcnt vmcnt(2)
	s_delay_alu instid0(VALU_DEP_1) | instskip(SKIP_1) | instid1(VALU_DEP_1)
	v_fma_f64 v[64:65], v[66:67], v[76:77], v[64:65]
	s_waitcnt lgkmcnt(0)
	v_fma_f64 v[64:65], v[68:69], v[78:79], v[64:65]
	s_waitcnt vmcnt(1)
	s_delay_alu instid0(VALU_DEP_1) | instskip(SKIP_4) | instid1(VALU_DEP_1)
	v_fma_f64 v[68:69], v[70:71], v[80:81], v[64:65]
	ds_load_2addr_b64 v[64:67], v1 offset0:57 offset1:58
	s_waitcnt lgkmcnt(0)
	v_fma_f64 v[1:2], v[72:73], v[64:65], v[68:69]
	s_waitcnt vmcnt(0)
	v_fma_f64 v[1:2], v[82:83], v[66:67], v[1:2]
	s_delay_alu instid0(VALU_DEP_1)
	v_add_f64 v[1:2], v[62:63], -v[1:2]
	scratch_store_b64 off, v[1:2], off offset:176
	v_cmpx_lt_u32_e32 21, v0
	s_cbranch_execz .LBB92_141
; %bb.140:
	scratch_load_b64 v[1:2], off, off offset:168
	v_mov_b32_e32 v62, 0
	s_delay_alu instid0(VALU_DEP_1)
	v_mov_b32_e32 v63, v62
	scratch_store_b64 off, v[62:63], off offset:168
	s_waitcnt vmcnt(0)
	ds_store_b64 v3, v[1:2]
.LBB92_141:
	s_or_b32 exec_lo, exec_lo, s0
	s_waitcnt lgkmcnt(0)
	s_waitcnt_vscnt null, 0x0
	s_barrier
	buffer_gl0_inv
	s_clause 0x3
	scratch_load_b128 v[62:65], off, off offset:168
	scratch_load_b128 v[66:69], off, off offset:184
	;; [unrolled: 1-line block ×4, first 2 shown]
	v_mov_b32_e32 v1, 0
	ds_load_b128 v[78:81], v1 offset:416
	ds_load_b128 v[82:85], v1 offset:432
	s_mov_b32 s0, exec_lo
	s_waitcnt vmcnt(3) lgkmcnt(1)
	v_fma_f64 v[64:65], v[64:65], v[78:79], 0
	s_waitcnt vmcnt(2)
	s_delay_alu instid0(VALU_DEP_1) | instskip(SKIP_1) | instid1(VALU_DEP_1)
	v_fma_f64 v[64:65], v[66:67], v[80:81], v[64:65]
	s_waitcnt lgkmcnt(0)
	v_fma_f64 v[64:65], v[68:69], v[82:83], v[64:65]
	s_waitcnt vmcnt(1)
	s_delay_alu instid0(VALU_DEP_1)
	v_fma_f64 v[68:69], v[70:71], v[84:85], v[64:65]
	ds_load_b128 v[64:67], v1 offset:448
	ds_load_b64 v[70:71], v1 offset:464
	s_waitcnt lgkmcnt(1)
	v_fma_f64 v[64:65], v[72:73], v[64:65], v[68:69]
	s_waitcnt vmcnt(0)
	s_delay_alu instid0(VALU_DEP_1) | instskip(SKIP_1) | instid1(VALU_DEP_1)
	v_fma_f64 v[64:65], v[74:75], v[66:67], v[64:65]
	s_waitcnt lgkmcnt(0)
	v_fma_f64 v[64:65], v[76:77], v[70:71], v[64:65]
	s_delay_alu instid0(VALU_DEP_1)
	v_add_f64 v[62:63], v[62:63], -v[64:65]
	scratch_store_b64 off, v[62:63], off offset:168
	v_cmpx_lt_u32_e32 20, v0
	s_cbranch_execz .LBB92_143
; %bb.142:
	scratch_load_b64 v[62:63], off, off offset:160
	v_mov_b32_e32 v2, v1
	scratch_store_b64 off, v[1:2], off offset:160
	s_waitcnt vmcnt(0)
	ds_store_b64 v3, v[62:63]
.LBB92_143:
	s_or_b32 exec_lo, exec_lo, s0
	s_waitcnt lgkmcnt(0)
	s_waitcnt_vscnt null, 0x0
	s_barrier
	buffer_gl0_inv
	s_clause 0x4
	scratch_load_b128 v[62:65], off, off offset:160
	scratch_load_b128 v[66:69], off, off offset:176
	;; [unrolled: 1-line block ×4, first 2 shown]
	scratch_load_b64 v[86:87], off, off offset:224
	ds_load_2addr_b64 v[78:81], v1 offset0:51 offset1:52
	ds_load_2addr_b64 v[82:85], v1 offset0:53 offset1:54
	s_mov_b32 s0, exec_lo
	s_waitcnt vmcnt(4) lgkmcnt(1)
	v_fma_f64 v[64:65], v[64:65], v[78:79], 0
	s_waitcnt vmcnt(3)
	s_delay_alu instid0(VALU_DEP_1) | instskip(SKIP_1) | instid1(VALU_DEP_1)
	v_fma_f64 v[64:65], v[66:67], v[80:81], v[64:65]
	s_waitcnt lgkmcnt(0)
	v_fma_f64 v[64:65], v[68:69], v[82:83], v[64:65]
	s_waitcnt vmcnt(2)
	s_delay_alu instid0(VALU_DEP_1)
	v_fma_f64 v[78:79], v[70:71], v[84:85], v[64:65]
	ds_load_2addr_b64 v[64:67], v1 offset0:55 offset1:56
	ds_load_2addr_b64 v[68:71], v1 offset0:57 offset1:58
	s_waitcnt lgkmcnt(1)
	v_fma_f64 v[1:2], v[72:73], v[64:65], v[78:79]
	s_waitcnt vmcnt(1)
	s_delay_alu instid0(VALU_DEP_1) | instskip(SKIP_1) | instid1(VALU_DEP_1)
	v_fma_f64 v[1:2], v[74:75], v[66:67], v[1:2]
	s_waitcnt lgkmcnt(0)
	v_fma_f64 v[1:2], v[76:77], v[68:69], v[1:2]
	s_waitcnt vmcnt(0)
	s_delay_alu instid0(VALU_DEP_1) | instskip(NEXT) | instid1(VALU_DEP_1)
	v_fma_f64 v[1:2], v[86:87], v[70:71], v[1:2]
	v_add_f64 v[1:2], v[62:63], -v[1:2]
	scratch_store_b64 off, v[1:2], off offset:160
	v_cmpx_lt_u32_e32 19, v0
	s_cbranch_execz .LBB92_145
; %bb.144:
	scratch_load_b64 v[1:2], off, off offset:152
	v_mov_b32_e32 v62, 0
	s_delay_alu instid0(VALU_DEP_1)
	v_mov_b32_e32 v63, v62
	scratch_store_b64 off, v[62:63], off offset:152
	s_waitcnt vmcnt(0)
	ds_store_b64 v3, v[1:2]
.LBB92_145:
	s_or_b32 exec_lo, exec_lo, s0
	s_waitcnt lgkmcnt(0)
	s_waitcnt_vscnt null, 0x0
	s_barrier
	buffer_gl0_inv
	s_clause 0x4
	scratch_load_b128 v[62:65], off, off offset:152
	scratch_load_b128 v[66:69], off, off offset:168
	scratch_load_b128 v[70:73], off, off offset:184
	scratch_load_b128 v[74:77], off, off offset:200
	scratch_load_b128 v[78:81], off, off offset:216
	v_mov_b32_e32 v1, 0
	ds_load_b128 v[82:85], v1 offset:400
	ds_load_b128 v[86:89], v1 offset:416
	s_mov_b32 s0, exec_lo
	s_waitcnt vmcnt(4) lgkmcnt(1)
	v_fma_f64 v[64:65], v[64:65], v[82:83], 0
	s_waitcnt vmcnt(3)
	s_delay_alu instid0(VALU_DEP_1) | instskip(SKIP_1) | instid1(VALU_DEP_1)
	v_fma_f64 v[64:65], v[66:67], v[84:85], v[64:65]
	s_waitcnt lgkmcnt(0)
	v_fma_f64 v[64:65], v[68:69], v[86:87], v[64:65]
	s_waitcnt vmcnt(2)
	s_delay_alu instid0(VALU_DEP_1)
	v_fma_f64 v[82:83], v[70:71], v[88:89], v[64:65]
	ds_load_b128 v[64:67], v1 offset:432
	ds_load_b128 v[68:71], v1 offset:448
	s_waitcnt lgkmcnt(1)
	v_fma_f64 v[64:65], v[72:73], v[64:65], v[82:83]
	s_waitcnt vmcnt(1)
	s_delay_alu instid0(VALU_DEP_1) | instskip(SKIP_4) | instid1(VALU_DEP_1)
	v_fma_f64 v[64:65], v[74:75], v[66:67], v[64:65]
	ds_load_b64 v[66:67], v1 offset:464
	s_waitcnt lgkmcnt(1)
	v_fma_f64 v[64:65], v[76:77], v[68:69], v[64:65]
	s_waitcnt vmcnt(0)
	v_fma_f64 v[64:65], v[78:79], v[70:71], v[64:65]
	s_waitcnt lgkmcnt(0)
	s_delay_alu instid0(VALU_DEP_1) | instskip(NEXT) | instid1(VALU_DEP_1)
	v_fma_f64 v[64:65], v[80:81], v[66:67], v[64:65]
	v_add_f64 v[62:63], v[62:63], -v[64:65]
	scratch_store_b64 off, v[62:63], off offset:152
	v_cmpx_lt_u32_e32 18, v0
	s_cbranch_execz .LBB92_147
; %bb.146:
	scratch_load_b64 v[62:63], off, off offset:144
	v_mov_b32_e32 v2, v1
	scratch_store_b64 off, v[1:2], off offset:144
	s_waitcnt vmcnt(0)
	ds_store_b64 v3, v[62:63]
.LBB92_147:
	s_or_b32 exec_lo, exec_lo, s0
	s_waitcnt lgkmcnt(0)
	s_waitcnt_vscnt null, 0x0
	s_barrier
	buffer_gl0_inv
	s_clause 0x4
	scratch_load_b128 v[62:65], off, off offset:144
	scratch_load_b128 v[66:69], off, off offset:160
	;; [unrolled: 1-line block ×5, first 2 shown]
	ds_load_2addr_b64 v[82:85], v1 offset0:49 offset1:50
	ds_load_2addr_b64 v[86:89], v1 offset0:51 offset1:52
	s_mov_b32 s0, exec_lo
	s_waitcnt vmcnt(4) lgkmcnt(1)
	v_fma_f64 v[64:65], v[64:65], v[82:83], 0
	scratch_load_b64 v[82:83], off, off offset:224
	s_waitcnt vmcnt(4)
	v_fma_f64 v[64:65], v[66:67], v[84:85], v[64:65]
	s_waitcnt lgkmcnt(0)
	s_delay_alu instid0(VALU_DEP_1) | instskip(SKIP_1) | instid1(VALU_DEP_1)
	v_fma_f64 v[64:65], v[68:69], v[86:87], v[64:65]
	s_waitcnt vmcnt(3)
	v_fma_f64 v[84:85], v[70:71], v[88:89], v[64:65]
	ds_load_2addr_b64 v[64:67], v1 offset0:53 offset1:54
	ds_load_2addr_b64 v[68:71], v1 offset0:55 offset1:56
	s_waitcnt lgkmcnt(1)
	v_fma_f64 v[64:65], v[72:73], v[64:65], v[84:85]
	s_waitcnt vmcnt(2)
	s_delay_alu instid0(VALU_DEP_1) | instskip(SKIP_1) | instid1(VALU_DEP_1)
	v_fma_f64 v[64:65], v[74:75], v[66:67], v[64:65]
	s_waitcnt lgkmcnt(0)
	v_fma_f64 v[64:65], v[76:77], v[68:69], v[64:65]
	s_waitcnt vmcnt(1)
	s_delay_alu instid0(VALU_DEP_1) | instskip(SKIP_4) | instid1(VALU_DEP_1)
	v_fma_f64 v[68:69], v[78:79], v[70:71], v[64:65]
	ds_load_2addr_b64 v[64:67], v1 offset0:57 offset1:58
	s_waitcnt lgkmcnt(0)
	v_fma_f64 v[1:2], v[80:81], v[64:65], v[68:69]
	s_waitcnt vmcnt(0)
	v_fma_f64 v[1:2], v[82:83], v[66:67], v[1:2]
	s_delay_alu instid0(VALU_DEP_1)
	v_add_f64 v[1:2], v[62:63], -v[1:2]
	scratch_store_b64 off, v[1:2], off offset:144
	v_cmpx_lt_u32_e32 17, v0
	s_cbranch_execz .LBB92_149
; %bb.148:
	scratch_load_b64 v[1:2], off, off offset:136
	v_mov_b32_e32 v62, 0
	s_delay_alu instid0(VALU_DEP_1)
	v_mov_b32_e32 v63, v62
	scratch_store_b64 off, v[62:63], off offset:136
	s_waitcnt vmcnt(0)
	ds_store_b64 v3, v[1:2]
.LBB92_149:
	s_or_b32 exec_lo, exec_lo, s0
	s_waitcnt lgkmcnt(0)
	s_waitcnt_vscnt null, 0x0
	s_barrier
	buffer_gl0_inv
	s_clause 0x4
	scratch_load_b128 v[62:65], off, off offset:136
	scratch_load_b128 v[66:69], off, off offset:152
	;; [unrolled: 1-line block ×5, first 2 shown]
	v_mov_b32_e32 v1, 0
	ds_load_b128 v[82:85], v1 offset:384
	ds_load_b128 v[86:89], v1 offset:400
	scratch_load_b128 v[90:93], off, off offset:216
	s_mov_b32 s0, exec_lo
	s_waitcnt vmcnt(5) lgkmcnt(1)
	v_fma_f64 v[64:65], v[64:65], v[82:83], 0
	s_waitcnt vmcnt(4)
	s_delay_alu instid0(VALU_DEP_1) | instskip(SKIP_1) | instid1(VALU_DEP_1)
	v_fma_f64 v[64:65], v[66:67], v[84:85], v[64:65]
	s_waitcnt lgkmcnt(0)
	v_fma_f64 v[64:65], v[68:69], v[86:87], v[64:65]
	s_waitcnt vmcnt(3)
	s_delay_alu instid0(VALU_DEP_1)
	v_fma_f64 v[82:83], v[70:71], v[88:89], v[64:65]
	ds_load_b128 v[64:67], v1 offset:416
	ds_load_b128 v[68:71], v1 offset:432
	s_waitcnt lgkmcnt(1)
	v_fma_f64 v[64:65], v[72:73], v[64:65], v[82:83]
	s_waitcnt vmcnt(2)
	s_delay_alu instid0(VALU_DEP_1) | instskip(SKIP_1) | instid1(VALU_DEP_1)
	v_fma_f64 v[64:65], v[74:75], v[66:67], v[64:65]
	s_waitcnt lgkmcnt(0)
	v_fma_f64 v[64:65], v[76:77], v[68:69], v[64:65]
	s_waitcnt vmcnt(1)
	s_delay_alu instid0(VALU_DEP_1)
	v_fma_f64 v[68:69], v[78:79], v[70:71], v[64:65]
	ds_load_b128 v[64:67], v1 offset:448
	ds_load_b64 v[70:71], v1 offset:464
	s_waitcnt lgkmcnt(1)
	v_fma_f64 v[64:65], v[80:81], v[64:65], v[68:69]
	s_waitcnt vmcnt(0)
	s_delay_alu instid0(VALU_DEP_1) | instskip(SKIP_1) | instid1(VALU_DEP_1)
	v_fma_f64 v[64:65], v[90:91], v[66:67], v[64:65]
	s_waitcnt lgkmcnt(0)
	v_fma_f64 v[64:65], v[92:93], v[70:71], v[64:65]
	s_delay_alu instid0(VALU_DEP_1)
	v_add_f64 v[62:63], v[62:63], -v[64:65]
	scratch_store_b64 off, v[62:63], off offset:136
	v_cmpx_lt_u32_e32 16, v0
	s_cbranch_execz .LBB92_151
; %bb.150:
	scratch_load_b64 v[62:63], off, off offset:128
	v_mov_b32_e32 v2, v1
	scratch_store_b64 off, v[1:2], off offset:128
	s_waitcnt vmcnt(0)
	ds_store_b64 v3, v[62:63]
.LBB92_151:
	s_or_b32 exec_lo, exec_lo, s0
	s_waitcnt lgkmcnt(0)
	s_waitcnt_vscnt null, 0x0
	s_barrier
	buffer_gl0_inv
	s_clause 0x4
	scratch_load_b128 v[62:65], off, off offset:128
	scratch_load_b128 v[66:69], off, off offset:144
	scratch_load_b128 v[70:73], off, off offset:160
	scratch_load_b128 v[74:77], off, off offset:176
	scratch_load_b128 v[78:81], off, off offset:192
	ds_load_2addr_b64 v[82:85], v1 offset0:47 offset1:48
	ds_load_2addr_b64 v[86:89], v1 offset0:49 offset1:50
	scratch_load_b128 v[90:93], off, off offset:208
	s_mov_b32 s0, exec_lo
	s_waitcnt vmcnt(5) lgkmcnt(1)
	v_fma_f64 v[64:65], v[64:65], v[82:83], 0
	scratch_load_b64 v[82:83], off, off offset:224
	s_waitcnt vmcnt(5)
	v_fma_f64 v[64:65], v[66:67], v[84:85], v[64:65]
	s_waitcnt lgkmcnt(0)
	s_delay_alu instid0(VALU_DEP_1) | instskip(SKIP_1) | instid1(VALU_DEP_1)
	v_fma_f64 v[64:65], v[68:69], v[86:87], v[64:65]
	s_waitcnt vmcnt(4)
	v_fma_f64 v[84:85], v[70:71], v[88:89], v[64:65]
	ds_load_2addr_b64 v[64:67], v1 offset0:51 offset1:52
	ds_load_2addr_b64 v[68:71], v1 offset0:53 offset1:54
	s_waitcnt lgkmcnt(1)
	v_fma_f64 v[64:65], v[72:73], v[64:65], v[84:85]
	s_waitcnt vmcnt(3)
	s_delay_alu instid0(VALU_DEP_1) | instskip(SKIP_1) | instid1(VALU_DEP_1)
	v_fma_f64 v[64:65], v[74:75], v[66:67], v[64:65]
	s_waitcnt lgkmcnt(0)
	v_fma_f64 v[64:65], v[76:77], v[68:69], v[64:65]
	s_waitcnt vmcnt(2)
	s_delay_alu instid0(VALU_DEP_1)
	v_fma_f64 v[72:73], v[78:79], v[70:71], v[64:65]
	ds_load_2addr_b64 v[64:67], v1 offset0:55 offset1:56
	ds_load_2addr_b64 v[68:71], v1 offset0:57 offset1:58
	s_waitcnt lgkmcnt(1)
	v_fma_f64 v[1:2], v[80:81], v[64:65], v[72:73]
	s_waitcnt vmcnt(1)
	s_delay_alu instid0(VALU_DEP_1) | instskip(SKIP_1) | instid1(VALU_DEP_1)
	v_fma_f64 v[1:2], v[90:91], v[66:67], v[1:2]
	s_waitcnt lgkmcnt(0)
	v_fma_f64 v[1:2], v[92:93], v[68:69], v[1:2]
	s_waitcnt vmcnt(0)
	s_delay_alu instid0(VALU_DEP_1) | instskip(NEXT) | instid1(VALU_DEP_1)
	v_fma_f64 v[1:2], v[82:83], v[70:71], v[1:2]
	v_add_f64 v[1:2], v[62:63], -v[1:2]
	scratch_store_b64 off, v[1:2], off offset:128
	v_cmpx_lt_u32_e32 15, v0
	s_cbranch_execz .LBB92_153
; %bb.152:
	scratch_load_b64 v[1:2], off, off offset:120
	v_mov_b32_e32 v62, 0
	s_delay_alu instid0(VALU_DEP_1)
	v_mov_b32_e32 v63, v62
	scratch_store_b64 off, v[62:63], off offset:120
	s_waitcnt vmcnt(0)
	ds_store_b64 v3, v[1:2]
.LBB92_153:
	s_or_b32 exec_lo, exec_lo, s0
	s_waitcnt lgkmcnt(0)
	s_waitcnt_vscnt null, 0x0
	s_barrier
	buffer_gl0_inv
	s_clause 0x4
	scratch_load_b128 v[62:65], off, off offset:120
	scratch_load_b128 v[66:69], off, off offset:136
	;; [unrolled: 1-line block ×5, first 2 shown]
	v_mov_b32_e32 v1, 0
	ds_load_b128 v[82:85], v1 offset:368
	ds_load_b128 v[86:89], v1 offset:384
	scratch_load_b128 v[90:93], off, off offset:200
	s_mov_b32 s0, exec_lo
	s_waitcnt vmcnt(5) lgkmcnt(1)
	v_fma_f64 v[64:65], v[64:65], v[82:83], 0
	s_waitcnt vmcnt(4)
	s_delay_alu instid0(VALU_DEP_1) | instskip(SKIP_1) | instid1(VALU_DEP_1)
	v_fma_f64 v[64:65], v[66:67], v[84:85], v[64:65]
	s_waitcnt lgkmcnt(0)
	v_fma_f64 v[68:69], v[68:69], v[86:87], v[64:65]
	scratch_load_b128 v[64:67], off, off offset:216
	s_waitcnt vmcnt(4)
	v_fma_f64 v[86:87], v[70:71], v[88:89], v[68:69]
	ds_load_b128 v[68:71], v1 offset:400
	ds_load_b128 v[82:85], v1 offset:416
	s_waitcnt lgkmcnt(1)
	v_fma_f64 v[68:69], v[72:73], v[68:69], v[86:87]
	s_waitcnt vmcnt(3)
	s_delay_alu instid0(VALU_DEP_1) | instskip(SKIP_1) | instid1(VALU_DEP_1)
	v_fma_f64 v[68:69], v[74:75], v[70:71], v[68:69]
	s_waitcnt lgkmcnt(0)
	v_fma_f64 v[68:69], v[76:77], v[82:83], v[68:69]
	s_waitcnt vmcnt(2)
	s_delay_alu instid0(VALU_DEP_1)
	v_fma_f64 v[76:77], v[78:79], v[84:85], v[68:69]
	ds_load_b128 v[68:71], v1 offset:432
	ds_load_b128 v[72:75], v1 offset:448
	s_waitcnt lgkmcnt(1)
	v_fma_f64 v[68:69], v[80:81], v[68:69], v[76:77]
	s_waitcnt vmcnt(1)
	s_delay_alu instid0(VALU_DEP_1) | instskip(SKIP_1) | instid1(VALU_DEP_1)
	v_fma_f64 v[68:69], v[90:91], v[70:71], v[68:69]
	s_waitcnt lgkmcnt(0)
	v_fma_f64 v[68:69], v[92:93], v[72:73], v[68:69]
	s_waitcnt vmcnt(0)
	s_delay_alu instid0(VALU_DEP_1) | instskip(SKIP_3) | instid1(VALU_DEP_1)
	v_fma_f64 v[64:65], v[64:65], v[74:75], v[68:69]
	ds_load_b64 v[68:69], v1 offset:464
	s_waitcnt lgkmcnt(0)
	v_fma_f64 v[64:65], v[66:67], v[68:69], v[64:65]
	v_add_f64 v[62:63], v[62:63], -v[64:65]
	scratch_store_b64 off, v[62:63], off offset:120
	v_cmpx_lt_u32_e32 14, v0
	s_cbranch_execz .LBB92_155
; %bb.154:
	scratch_load_b64 v[62:63], off, off offset:112
	v_mov_b32_e32 v2, v1
	scratch_store_b64 off, v[1:2], off offset:112
	s_waitcnt vmcnt(0)
	ds_store_b64 v3, v[62:63]
.LBB92_155:
	s_or_b32 exec_lo, exec_lo, s0
	s_waitcnt lgkmcnt(0)
	s_waitcnt_vscnt null, 0x0
	s_barrier
	buffer_gl0_inv
	s_clause 0x4
	scratch_load_b128 v[62:65], off, off offset:112
	scratch_load_b128 v[66:69], off, off offset:128
	;; [unrolled: 1-line block ×5, first 2 shown]
	ds_load_2addr_b64 v[82:85], v1 offset0:45 offset1:46
	ds_load_2addr_b64 v[86:89], v1 offset0:47 offset1:48
	scratch_load_b128 v[90:93], off, off offset:192
	s_mov_b32 s0, exec_lo
	s_waitcnt vmcnt(5) lgkmcnt(1)
	v_fma_f64 v[64:65], v[64:65], v[82:83], 0
	s_waitcnt vmcnt(4)
	s_delay_alu instid0(VALU_DEP_1) | instskip(SKIP_1) | instid1(VALU_DEP_1)
	v_fma_f64 v[64:65], v[66:67], v[84:85], v[64:65]
	s_waitcnt lgkmcnt(0)
	v_fma_f64 v[68:69], v[68:69], v[86:87], v[64:65]
	scratch_load_b128 v[64:67], off, off offset:208
	s_waitcnt vmcnt(4)
	v_fma_f64 v[86:87], v[70:71], v[88:89], v[68:69]
	ds_load_2addr_b64 v[68:71], v1 offset0:49 offset1:50
	ds_load_2addr_b64 v[82:85], v1 offset0:51 offset1:52
	s_waitcnt lgkmcnt(1)
	v_fma_f64 v[68:69], v[72:73], v[68:69], v[86:87]
	scratch_load_b64 v[86:87], off, off offset:224
	s_waitcnt vmcnt(4)
	v_fma_f64 v[68:69], v[74:75], v[70:71], v[68:69]
	s_waitcnt lgkmcnt(0)
	s_delay_alu instid0(VALU_DEP_1) | instskip(SKIP_1) | instid1(VALU_DEP_1)
	v_fma_f64 v[68:69], v[76:77], v[82:83], v[68:69]
	s_waitcnt vmcnt(3)
	v_fma_f64 v[76:77], v[78:79], v[84:85], v[68:69]
	ds_load_2addr_b64 v[68:71], v1 offset0:53 offset1:54
	ds_load_2addr_b64 v[72:75], v1 offset0:55 offset1:56
	s_waitcnt lgkmcnt(1)
	v_fma_f64 v[68:69], v[80:81], v[68:69], v[76:77]
	s_waitcnt vmcnt(2)
	s_delay_alu instid0(VALU_DEP_1) | instskip(SKIP_1) | instid1(VALU_DEP_1)
	v_fma_f64 v[68:69], v[90:91], v[70:71], v[68:69]
	s_waitcnt lgkmcnt(0)
	v_fma_f64 v[68:69], v[92:93], v[72:73], v[68:69]
	s_waitcnt vmcnt(1)
	s_delay_alu instid0(VALU_DEP_1) | instskip(SKIP_4) | instid1(VALU_DEP_1)
	v_fma_f64 v[64:65], v[64:65], v[74:75], v[68:69]
	ds_load_2addr_b64 v[68:71], v1 offset0:57 offset1:58
	s_waitcnt lgkmcnt(0)
	v_fma_f64 v[1:2], v[66:67], v[68:69], v[64:65]
	s_waitcnt vmcnt(0)
	v_fma_f64 v[1:2], v[86:87], v[70:71], v[1:2]
	s_delay_alu instid0(VALU_DEP_1)
	v_add_f64 v[1:2], v[62:63], -v[1:2]
	scratch_store_b64 off, v[1:2], off offset:112
	v_cmpx_lt_u32_e32 13, v0
	s_cbranch_execz .LBB92_157
; %bb.156:
	scratch_load_b64 v[1:2], off, off offset:104
	v_mov_b32_e32 v62, 0
	s_delay_alu instid0(VALU_DEP_1)
	v_mov_b32_e32 v63, v62
	scratch_store_b64 off, v[62:63], off offset:104
	s_waitcnt vmcnt(0)
	ds_store_b64 v3, v[1:2]
.LBB92_157:
	s_or_b32 exec_lo, exec_lo, s0
	s_waitcnt lgkmcnt(0)
	s_waitcnt_vscnt null, 0x0
	s_barrier
	buffer_gl0_inv
	s_clause 0x4
	scratch_load_b128 v[62:65], off, off offset:104
	scratch_load_b128 v[66:69], off, off offset:120
	;; [unrolled: 1-line block ×5, first 2 shown]
	v_mov_b32_e32 v1, 0
	ds_load_b128 v[82:85], v1 offset:352
	ds_load_b128 v[86:89], v1 offset:368
	scratch_load_b128 v[90:93], off, off offset:184
	s_mov_b32 s0, exec_lo
	s_waitcnt vmcnt(5) lgkmcnt(1)
	v_fma_f64 v[64:65], v[64:65], v[82:83], 0
	s_waitcnt vmcnt(4)
	s_delay_alu instid0(VALU_DEP_1) | instskip(SKIP_1) | instid1(VALU_DEP_1)
	v_fma_f64 v[64:65], v[66:67], v[84:85], v[64:65]
	s_waitcnt lgkmcnt(0)
	v_fma_f64 v[68:69], v[68:69], v[86:87], v[64:65]
	scratch_load_b128 v[64:67], off, off offset:200
	s_waitcnt vmcnt(4)
	v_fma_f64 v[86:87], v[70:71], v[88:89], v[68:69]
	ds_load_b128 v[68:71], v1 offset:384
	ds_load_b128 v[82:85], v1 offset:400
	s_waitcnt lgkmcnt(1)
	v_fma_f64 v[68:69], v[72:73], v[68:69], v[86:87]
	scratch_load_b128 v[86:89], off, off offset:216
	s_waitcnt vmcnt(4)
	v_fma_f64 v[68:69], v[74:75], v[70:71], v[68:69]
	s_waitcnt lgkmcnt(0)
	s_delay_alu instid0(VALU_DEP_1) | instskip(SKIP_1) | instid1(VALU_DEP_1)
	v_fma_f64 v[68:69], v[76:77], v[82:83], v[68:69]
	s_waitcnt vmcnt(3)
	v_fma_f64 v[76:77], v[78:79], v[84:85], v[68:69]
	ds_load_b128 v[68:71], v1 offset:416
	ds_load_b128 v[72:75], v1 offset:432
	s_waitcnt lgkmcnt(1)
	v_fma_f64 v[68:69], v[80:81], v[68:69], v[76:77]
	s_waitcnt vmcnt(2)
	s_delay_alu instid0(VALU_DEP_1) | instskip(SKIP_1) | instid1(VALU_DEP_1)
	v_fma_f64 v[68:69], v[90:91], v[70:71], v[68:69]
	s_waitcnt lgkmcnt(0)
	v_fma_f64 v[68:69], v[92:93], v[72:73], v[68:69]
	s_waitcnt vmcnt(1)
	s_delay_alu instid0(VALU_DEP_1)
	v_fma_f64 v[64:65], v[64:65], v[74:75], v[68:69]
	ds_load_b128 v[68:71], v1 offset:448
	ds_load_b64 v[72:73], v1 offset:464
	s_waitcnt lgkmcnt(1)
	v_fma_f64 v[64:65], v[66:67], v[68:69], v[64:65]
	s_waitcnt vmcnt(0)
	s_delay_alu instid0(VALU_DEP_1) | instskip(SKIP_1) | instid1(VALU_DEP_1)
	v_fma_f64 v[64:65], v[86:87], v[70:71], v[64:65]
	s_waitcnt lgkmcnt(0)
	v_fma_f64 v[64:65], v[88:89], v[72:73], v[64:65]
	s_delay_alu instid0(VALU_DEP_1)
	v_add_f64 v[62:63], v[62:63], -v[64:65]
	scratch_store_b64 off, v[62:63], off offset:104
	v_cmpx_lt_u32_e32 12, v0
	s_cbranch_execz .LBB92_159
; %bb.158:
	scratch_load_b64 v[62:63], off, off offset:96
	v_mov_b32_e32 v2, v1
	scratch_store_b64 off, v[1:2], off offset:96
	s_waitcnt vmcnt(0)
	ds_store_b64 v3, v[62:63]
.LBB92_159:
	s_or_b32 exec_lo, exec_lo, s0
	s_waitcnt lgkmcnt(0)
	s_waitcnt_vscnt null, 0x0
	s_barrier
	buffer_gl0_inv
	s_clause 0x4
	scratch_load_b128 v[62:65], off, off offset:96
	scratch_load_b128 v[66:69], off, off offset:112
	;; [unrolled: 1-line block ×5, first 2 shown]
	ds_load_2addr_b64 v[82:85], v1 offset0:43 offset1:44
	ds_load_2addr_b64 v[86:89], v1 offset0:45 offset1:46
	scratch_load_b128 v[90:93], off, off offset:176
	s_mov_b32 s0, exec_lo
	s_waitcnt vmcnt(5) lgkmcnt(1)
	v_fma_f64 v[64:65], v[64:65], v[82:83], 0
	s_waitcnt vmcnt(4)
	s_delay_alu instid0(VALU_DEP_1) | instskip(SKIP_1) | instid1(VALU_DEP_1)
	v_fma_f64 v[64:65], v[66:67], v[84:85], v[64:65]
	s_waitcnt lgkmcnt(0)
	v_fma_f64 v[68:69], v[68:69], v[86:87], v[64:65]
	scratch_load_b128 v[64:67], off, off offset:192
	s_waitcnt vmcnt(4)
	v_fma_f64 v[86:87], v[70:71], v[88:89], v[68:69]
	ds_load_2addr_b64 v[68:71], v1 offset0:47 offset1:48
	ds_load_2addr_b64 v[82:85], v1 offset0:49 offset1:50
	s_waitcnt lgkmcnt(1)
	v_fma_f64 v[68:69], v[72:73], v[68:69], v[86:87]
	scratch_load_b128 v[86:89], off, off offset:208
	s_waitcnt vmcnt(4)
	v_fma_f64 v[68:69], v[74:75], v[70:71], v[68:69]
	s_waitcnt lgkmcnt(0)
	s_delay_alu instid0(VALU_DEP_1)
	v_fma_f64 v[68:69], v[76:77], v[82:83], v[68:69]
	scratch_load_b64 v[76:77], off, off offset:224
	s_waitcnt vmcnt(4)
	v_fma_f64 v[78:79], v[78:79], v[84:85], v[68:69]
	ds_load_2addr_b64 v[68:71], v1 offset0:51 offset1:52
	ds_load_2addr_b64 v[72:75], v1 offset0:53 offset1:54
	s_waitcnt lgkmcnt(1)
	v_fma_f64 v[68:69], v[80:81], v[68:69], v[78:79]
	s_waitcnt vmcnt(3)
	s_delay_alu instid0(VALU_DEP_1) | instskip(SKIP_1) | instid1(VALU_DEP_1)
	v_fma_f64 v[68:69], v[90:91], v[70:71], v[68:69]
	s_waitcnt lgkmcnt(0)
	v_fma_f64 v[68:69], v[92:93], v[72:73], v[68:69]
	s_waitcnt vmcnt(2)
	s_delay_alu instid0(VALU_DEP_1)
	v_fma_f64 v[64:65], v[64:65], v[74:75], v[68:69]
	ds_load_2addr_b64 v[68:71], v1 offset0:55 offset1:56
	ds_load_2addr_b64 v[72:75], v1 offset0:57 offset1:58
	s_waitcnt lgkmcnt(1)
	v_fma_f64 v[1:2], v[66:67], v[68:69], v[64:65]
	s_waitcnt vmcnt(1)
	s_delay_alu instid0(VALU_DEP_1) | instskip(SKIP_1) | instid1(VALU_DEP_1)
	v_fma_f64 v[1:2], v[86:87], v[70:71], v[1:2]
	s_waitcnt lgkmcnt(0)
	v_fma_f64 v[1:2], v[88:89], v[72:73], v[1:2]
	s_waitcnt vmcnt(0)
	s_delay_alu instid0(VALU_DEP_1) | instskip(NEXT) | instid1(VALU_DEP_1)
	v_fma_f64 v[1:2], v[76:77], v[74:75], v[1:2]
	v_add_f64 v[1:2], v[62:63], -v[1:2]
	scratch_store_b64 off, v[1:2], off offset:96
	v_cmpx_lt_u32_e32 11, v0
	s_cbranch_execz .LBB92_161
; %bb.160:
	scratch_load_b64 v[1:2], off, off offset:88
	v_mov_b32_e32 v62, 0
	s_delay_alu instid0(VALU_DEP_1)
	v_mov_b32_e32 v63, v62
	scratch_store_b64 off, v[62:63], off offset:88
	s_waitcnt vmcnt(0)
	ds_store_b64 v3, v[1:2]
.LBB92_161:
	s_or_b32 exec_lo, exec_lo, s0
	s_waitcnt lgkmcnt(0)
	s_waitcnt_vscnt null, 0x0
	s_barrier
	buffer_gl0_inv
	s_clause 0x4
	scratch_load_b128 v[62:65], off, off offset:88
	scratch_load_b128 v[66:69], off, off offset:104
	;; [unrolled: 1-line block ×5, first 2 shown]
	v_mov_b32_e32 v1, 0
	ds_load_b128 v[82:85], v1 offset:336
	ds_load_b128 v[86:89], v1 offset:352
	scratch_load_b128 v[90:93], off, off offset:168
	s_mov_b32 s0, exec_lo
	s_waitcnt vmcnt(5) lgkmcnt(1)
	v_fma_f64 v[64:65], v[64:65], v[82:83], 0
	s_waitcnt vmcnt(4)
	s_delay_alu instid0(VALU_DEP_1) | instskip(SKIP_1) | instid1(VALU_DEP_1)
	v_fma_f64 v[64:65], v[66:67], v[84:85], v[64:65]
	s_waitcnt lgkmcnt(0)
	v_fma_f64 v[68:69], v[68:69], v[86:87], v[64:65]
	scratch_load_b128 v[64:67], off, off offset:184
	s_waitcnt vmcnt(4)
	v_fma_f64 v[86:87], v[70:71], v[88:89], v[68:69]
	ds_load_b128 v[68:71], v1 offset:368
	ds_load_b128 v[82:85], v1 offset:384
	s_waitcnt lgkmcnt(1)
	v_fma_f64 v[68:69], v[72:73], v[68:69], v[86:87]
	scratch_load_b128 v[86:89], off, off offset:200
	s_waitcnt vmcnt(4)
	v_fma_f64 v[68:69], v[74:75], v[70:71], v[68:69]
	s_waitcnt lgkmcnt(0)
	s_delay_alu instid0(VALU_DEP_1)
	v_fma_f64 v[72:73], v[76:77], v[82:83], v[68:69]
	scratch_load_b128 v[68:71], off, off offset:216
	s_waitcnt vmcnt(4)
	v_fma_f64 v[82:83], v[78:79], v[84:85], v[72:73]
	ds_load_b128 v[72:75], v1 offset:400
	ds_load_b128 v[76:79], v1 offset:416
	s_waitcnt lgkmcnt(1)
	v_fma_f64 v[72:73], v[80:81], v[72:73], v[82:83]
	s_waitcnt vmcnt(3)
	s_delay_alu instid0(VALU_DEP_1) | instskip(SKIP_1) | instid1(VALU_DEP_1)
	v_fma_f64 v[72:73], v[90:91], v[74:75], v[72:73]
	s_waitcnt lgkmcnt(0)
	v_fma_f64 v[72:73], v[92:93], v[76:77], v[72:73]
	s_waitcnt vmcnt(2)
	s_delay_alu instid0(VALU_DEP_1)
	v_fma_f64 v[64:65], v[64:65], v[78:79], v[72:73]
	ds_load_b128 v[72:75], v1 offset:432
	ds_load_b128 v[76:79], v1 offset:448
	s_waitcnt lgkmcnt(1)
	v_fma_f64 v[64:65], v[66:67], v[72:73], v[64:65]
	ds_load_b64 v[66:67], v1 offset:464
	s_waitcnt vmcnt(1)
	v_fma_f64 v[64:65], v[86:87], v[74:75], v[64:65]
	s_waitcnt lgkmcnt(1)
	s_delay_alu instid0(VALU_DEP_1) | instskip(SKIP_1) | instid1(VALU_DEP_1)
	v_fma_f64 v[64:65], v[88:89], v[76:77], v[64:65]
	s_waitcnt vmcnt(0)
	v_fma_f64 v[64:65], v[68:69], v[78:79], v[64:65]
	s_waitcnt lgkmcnt(0)
	s_delay_alu instid0(VALU_DEP_1) | instskip(NEXT) | instid1(VALU_DEP_1)
	v_fma_f64 v[64:65], v[70:71], v[66:67], v[64:65]
	v_add_f64 v[62:63], v[62:63], -v[64:65]
	scratch_store_b64 off, v[62:63], off offset:88
	v_cmpx_lt_u32_e32 10, v0
	s_cbranch_execz .LBB92_163
; %bb.162:
	scratch_load_b64 v[62:63], off, off offset:80
	v_mov_b32_e32 v2, v1
	scratch_store_b64 off, v[1:2], off offset:80
	s_waitcnt vmcnt(0)
	ds_store_b64 v3, v[62:63]
.LBB92_163:
	s_or_b32 exec_lo, exec_lo, s0
	s_waitcnt lgkmcnt(0)
	s_waitcnt_vscnt null, 0x0
	s_barrier
	buffer_gl0_inv
	s_clause 0x4
	scratch_load_b128 v[62:65], off, off offset:80
	scratch_load_b128 v[66:69], off, off offset:96
	;; [unrolled: 1-line block ×5, first 2 shown]
	ds_load_2addr_b64 v[82:85], v1 offset0:41 offset1:42
	ds_load_2addr_b64 v[86:89], v1 offset0:43 offset1:44
	scratch_load_b128 v[90:93], off, off offset:160
	s_mov_b32 s0, exec_lo
	s_waitcnt vmcnt(5) lgkmcnt(1)
	v_fma_f64 v[64:65], v[64:65], v[82:83], 0
	s_waitcnt vmcnt(4)
	s_delay_alu instid0(VALU_DEP_1) | instskip(SKIP_1) | instid1(VALU_DEP_1)
	v_fma_f64 v[64:65], v[66:67], v[84:85], v[64:65]
	s_waitcnt lgkmcnt(0)
	v_fma_f64 v[68:69], v[68:69], v[86:87], v[64:65]
	scratch_load_b128 v[64:67], off, off offset:176
	s_waitcnt vmcnt(4)
	v_fma_f64 v[86:87], v[70:71], v[88:89], v[68:69]
	ds_load_2addr_b64 v[68:71], v1 offset0:45 offset1:46
	ds_load_2addr_b64 v[82:85], v1 offset0:47 offset1:48
	s_waitcnt lgkmcnt(1)
	v_fma_f64 v[68:69], v[72:73], v[68:69], v[86:87]
	scratch_load_b128 v[86:89], off, off offset:192
	s_waitcnt vmcnt(4)
	v_fma_f64 v[68:69], v[74:75], v[70:71], v[68:69]
	s_waitcnt lgkmcnt(0)
	s_delay_alu instid0(VALU_DEP_1)
	v_fma_f64 v[72:73], v[76:77], v[82:83], v[68:69]
	scratch_load_b128 v[68:71], off, off offset:208
	s_waitcnt vmcnt(4)
	v_fma_f64 v[82:83], v[78:79], v[84:85], v[72:73]
	ds_load_2addr_b64 v[72:75], v1 offset0:49 offset1:50
	ds_load_2addr_b64 v[76:79], v1 offset0:51 offset1:52
	s_waitcnt lgkmcnt(1)
	v_fma_f64 v[72:73], v[80:81], v[72:73], v[82:83]
	scratch_load_b64 v[80:81], off, off offset:224
	s_waitcnt vmcnt(4)
	v_fma_f64 v[72:73], v[90:91], v[74:75], v[72:73]
	s_waitcnt lgkmcnt(0)
	s_delay_alu instid0(VALU_DEP_1) | instskip(SKIP_1) | instid1(VALU_DEP_1)
	v_fma_f64 v[72:73], v[92:93], v[76:77], v[72:73]
	s_waitcnt vmcnt(3)
	v_fma_f64 v[64:65], v[64:65], v[78:79], v[72:73]
	ds_load_2addr_b64 v[72:75], v1 offset0:53 offset1:54
	ds_load_2addr_b64 v[76:79], v1 offset0:55 offset1:56
	s_waitcnt lgkmcnt(1)
	v_fma_f64 v[64:65], v[66:67], v[72:73], v[64:65]
	s_waitcnt vmcnt(2)
	s_delay_alu instid0(VALU_DEP_1) | instskip(SKIP_1) | instid1(VALU_DEP_1)
	v_fma_f64 v[64:65], v[86:87], v[74:75], v[64:65]
	s_waitcnt lgkmcnt(0)
	v_fma_f64 v[64:65], v[88:89], v[76:77], v[64:65]
	s_waitcnt vmcnt(1)
	s_delay_alu instid0(VALU_DEP_1) | instskip(SKIP_4) | instid1(VALU_DEP_1)
	v_fma_f64 v[68:69], v[68:69], v[78:79], v[64:65]
	ds_load_2addr_b64 v[64:67], v1 offset0:57 offset1:58
	s_waitcnt lgkmcnt(0)
	v_fma_f64 v[1:2], v[70:71], v[64:65], v[68:69]
	s_waitcnt vmcnt(0)
	v_fma_f64 v[1:2], v[80:81], v[66:67], v[1:2]
	s_delay_alu instid0(VALU_DEP_1)
	v_add_f64 v[1:2], v[62:63], -v[1:2]
	scratch_store_b64 off, v[1:2], off offset:80
	v_cmpx_lt_u32_e32 9, v0
	s_cbranch_execz .LBB92_165
; %bb.164:
	scratch_load_b64 v[1:2], off, off offset:72
	v_mov_b32_e32 v62, 0
	s_delay_alu instid0(VALU_DEP_1)
	v_mov_b32_e32 v63, v62
	scratch_store_b64 off, v[62:63], off offset:72
	s_waitcnt vmcnt(0)
	ds_store_b64 v3, v[1:2]
.LBB92_165:
	s_or_b32 exec_lo, exec_lo, s0
	s_waitcnt lgkmcnt(0)
	s_waitcnt_vscnt null, 0x0
	s_barrier
	buffer_gl0_inv
	s_clause 0x4
	scratch_load_b128 v[62:65], off, off offset:72
	scratch_load_b128 v[66:69], off, off offset:88
	;; [unrolled: 1-line block ×5, first 2 shown]
	v_mov_b32_e32 v1, 0
	ds_load_b128 v[82:85], v1 offset:320
	ds_load_b128 v[86:89], v1 offset:336
	scratch_load_b128 v[90:93], off, off offset:152
	s_mov_b32 s0, exec_lo
	s_waitcnt vmcnt(5) lgkmcnt(1)
	v_fma_f64 v[64:65], v[64:65], v[82:83], 0
	s_waitcnt vmcnt(4)
	s_delay_alu instid0(VALU_DEP_1) | instskip(SKIP_1) | instid1(VALU_DEP_1)
	v_fma_f64 v[64:65], v[66:67], v[84:85], v[64:65]
	s_waitcnt lgkmcnt(0)
	v_fma_f64 v[68:69], v[68:69], v[86:87], v[64:65]
	scratch_load_b128 v[64:67], off, off offset:168
	s_waitcnt vmcnt(4)
	v_fma_f64 v[86:87], v[70:71], v[88:89], v[68:69]
	ds_load_b128 v[68:71], v1 offset:352
	ds_load_b128 v[82:85], v1 offset:368
	s_waitcnt lgkmcnt(1)
	v_fma_f64 v[68:69], v[72:73], v[68:69], v[86:87]
	scratch_load_b128 v[86:89], off, off offset:184
	s_waitcnt vmcnt(4)
	v_fma_f64 v[68:69], v[74:75], v[70:71], v[68:69]
	s_waitcnt lgkmcnt(0)
	s_delay_alu instid0(VALU_DEP_1)
	v_fma_f64 v[72:73], v[76:77], v[82:83], v[68:69]
	scratch_load_b128 v[68:71], off, off offset:200
	s_waitcnt vmcnt(4)
	v_fma_f64 v[82:83], v[78:79], v[84:85], v[72:73]
	ds_load_b128 v[72:75], v1 offset:384
	ds_load_b128 v[76:79], v1 offset:400
	s_waitcnt lgkmcnt(1)
	v_fma_f64 v[72:73], v[80:81], v[72:73], v[82:83]
	scratch_load_b128 v[80:83], off, off offset:216
	s_waitcnt vmcnt(4)
	v_fma_f64 v[72:73], v[90:91], v[74:75], v[72:73]
	s_waitcnt lgkmcnt(0)
	s_delay_alu instid0(VALU_DEP_1) | instskip(SKIP_1) | instid1(VALU_DEP_1)
	v_fma_f64 v[72:73], v[92:93], v[76:77], v[72:73]
	s_waitcnt vmcnt(3)
	v_fma_f64 v[64:65], v[64:65], v[78:79], v[72:73]
	ds_load_b128 v[72:75], v1 offset:416
	ds_load_b128 v[76:79], v1 offset:432
	s_waitcnt lgkmcnt(1)
	v_fma_f64 v[64:65], v[66:67], v[72:73], v[64:65]
	s_waitcnt vmcnt(2)
	s_delay_alu instid0(VALU_DEP_1) | instskip(SKIP_1) | instid1(VALU_DEP_1)
	v_fma_f64 v[64:65], v[86:87], v[74:75], v[64:65]
	s_waitcnt lgkmcnt(0)
	v_fma_f64 v[64:65], v[88:89], v[76:77], v[64:65]
	s_waitcnt vmcnt(1)
	s_delay_alu instid0(VALU_DEP_1)
	v_fma_f64 v[68:69], v[68:69], v[78:79], v[64:65]
	ds_load_b128 v[64:67], v1 offset:448
	ds_load_b64 v[72:73], v1 offset:464
	s_waitcnt lgkmcnt(1)
	v_fma_f64 v[64:65], v[70:71], v[64:65], v[68:69]
	s_waitcnt vmcnt(0)
	s_delay_alu instid0(VALU_DEP_1) | instskip(SKIP_1) | instid1(VALU_DEP_1)
	v_fma_f64 v[64:65], v[80:81], v[66:67], v[64:65]
	s_waitcnt lgkmcnt(0)
	v_fma_f64 v[64:65], v[82:83], v[72:73], v[64:65]
	s_delay_alu instid0(VALU_DEP_1)
	v_add_f64 v[62:63], v[62:63], -v[64:65]
	scratch_store_b64 off, v[62:63], off offset:72
	v_cmpx_lt_u32_e32 8, v0
	s_cbranch_execz .LBB92_167
; %bb.166:
	scratch_load_b64 v[62:63], off, off offset:64
	v_mov_b32_e32 v2, v1
	scratch_store_b64 off, v[1:2], off offset:64
	s_waitcnt vmcnt(0)
	ds_store_b64 v3, v[62:63]
.LBB92_167:
	s_or_b32 exec_lo, exec_lo, s0
	s_waitcnt lgkmcnt(0)
	s_waitcnt_vscnt null, 0x0
	s_barrier
	buffer_gl0_inv
	s_clause 0x4
	scratch_load_b128 v[62:65], off, off offset:64
	scratch_load_b128 v[66:69], off, off offset:80
	;; [unrolled: 1-line block ×5, first 2 shown]
	ds_load_2addr_b64 v[82:85], v1 offset0:39 offset1:40
	ds_load_2addr_b64 v[86:89], v1 offset0:41 offset1:42
	scratch_load_b128 v[90:93], off, off offset:144
	s_mov_b32 s0, exec_lo
	s_waitcnt vmcnt(5) lgkmcnt(1)
	v_fma_f64 v[64:65], v[64:65], v[82:83], 0
	s_waitcnt vmcnt(4)
	s_delay_alu instid0(VALU_DEP_1) | instskip(SKIP_1) | instid1(VALU_DEP_1)
	v_fma_f64 v[64:65], v[66:67], v[84:85], v[64:65]
	s_waitcnt lgkmcnt(0)
	v_fma_f64 v[68:69], v[68:69], v[86:87], v[64:65]
	scratch_load_b128 v[64:67], off, off offset:160
	s_waitcnt vmcnt(4)
	v_fma_f64 v[86:87], v[70:71], v[88:89], v[68:69]
	ds_load_2addr_b64 v[68:71], v1 offset0:43 offset1:44
	ds_load_2addr_b64 v[82:85], v1 offset0:45 offset1:46
	s_waitcnt lgkmcnt(1)
	v_fma_f64 v[68:69], v[72:73], v[68:69], v[86:87]
	scratch_load_b128 v[86:89], off, off offset:176
	s_waitcnt vmcnt(4)
	v_fma_f64 v[68:69], v[74:75], v[70:71], v[68:69]
	s_waitcnt lgkmcnt(0)
	s_delay_alu instid0(VALU_DEP_1)
	v_fma_f64 v[72:73], v[76:77], v[82:83], v[68:69]
	scratch_load_b128 v[68:71], off, off offset:192
	s_waitcnt vmcnt(4)
	v_fma_f64 v[82:83], v[78:79], v[84:85], v[72:73]
	ds_load_2addr_b64 v[72:75], v1 offset0:47 offset1:48
	ds_load_2addr_b64 v[76:79], v1 offset0:49 offset1:50
	scratch_load_b64 v[84:85], off, off offset:224
	s_waitcnt lgkmcnt(1)
	v_fma_f64 v[72:73], v[80:81], v[72:73], v[82:83]
	scratch_load_b128 v[80:83], off, off offset:208
	s_waitcnt vmcnt(5)
	v_fma_f64 v[72:73], v[90:91], v[74:75], v[72:73]
	s_waitcnt lgkmcnt(0)
	s_delay_alu instid0(VALU_DEP_1) | instskip(SKIP_1) | instid1(VALU_DEP_1)
	v_fma_f64 v[72:73], v[92:93], v[76:77], v[72:73]
	s_waitcnt vmcnt(4)
	v_fma_f64 v[64:65], v[64:65], v[78:79], v[72:73]
	ds_load_2addr_b64 v[72:75], v1 offset0:51 offset1:52
	ds_load_2addr_b64 v[76:79], v1 offset0:53 offset1:54
	s_waitcnt lgkmcnt(1)
	v_fma_f64 v[64:65], v[66:67], v[72:73], v[64:65]
	s_waitcnt vmcnt(3)
	s_delay_alu instid0(VALU_DEP_1) | instskip(SKIP_1) | instid1(VALU_DEP_1)
	v_fma_f64 v[64:65], v[86:87], v[74:75], v[64:65]
	s_waitcnt lgkmcnt(0)
	v_fma_f64 v[64:65], v[88:89], v[76:77], v[64:65]
	s_waitcnt vmcnt(2)
	s_delay_alu instid0(VALU_DEP_1)
	v_fma_f64 v[68:69], v[68:69], v[78:79], v[64:65]
	ds_load_2addr_b64 v[64:67], v1 offset0:55 offset1:56
	ds_load_2addr_b64 v[72:75], v1 offset0:57 offset1:58
	s_waitcnt lgkmcnt(1)
	v_fma_f64 v[1:2], v[70:71], v[64:65], v[68:69]
	s_waitcnt vmcnt(0)
	s_delay_alu instid0(VALU_DEP_1) | instskip(SKIP_1) | instid1(VALU_DEP_1)
	v_fma_f64 v[1:2], v[80:81], v[66:67], v[1:2]
	s_waitcnt lgkmcnt(0)
	v_fma_f64 v[1:2], v[82:83], v[72:73], v[1:2]
	s_delay_alu instid0(VALU_DEP_1) | instskip(NEXT) | instid1(VALU_DEP_1)
	v_fma_f64 v[1:2], v[84:85], v[74:75], v[1:2]
	v_add_f64 v[1:2], v[62:63], -v[1:2]
	scratch_store_b64 off, v[1:2], off offset:64
	v_cmpx_lt_u32_e32 7, v0
	s_cbranch_execz .LBB92_169
; %bb.168:
	scratch_load_b64 v[1:2], off, off offset:56
	v_mov_b32_e32 v62, 0
	s_delay_alu instid0(VALU_DEP_1)
	v_mov_b32_e32 v63, v62
	scratch_store_b64 off, v[62:63], off offset:56
	s_waitcnt vmcnt(0)
	ds_store_b64 v3, v[1:2]
.LBB92_169:
	s_or_b32 exec_lo, exec_lo, s0
	s_waitcnt lgkmcnt(0)
	s_waitcnt_vscnt null, 0x0
	s_barrier
	buffer_gl0_inv
	s_clause 0x4
	scratch_load_b128 v[62:65], off, off offset:56
	scratch_load_b128 v[66:69], off, off offset:72
	;; [unrolled: 1-line block ×5, first 2 shown]
	v_mov_b32_e32 v1, 0
	ds_load_b128 v[82:85], v1 offset:304
	ds_load_b128 v[86:89], v1 offset:320
	scratch_load_b128 v[90:93], off, off offset:136
	s_mov_b32 s0, exec_lo
	s_waitcnt vmcnt(5) lgkmcnt(1)
	v_fma_f64 v[64:65], v[64:65], v[82:83], 0
	s_waitcnt vmcnt(4)
	s_delay_alu instid0(VALU_DEP_1) | instskip(SKIP_1) | instid1(VALU_DEP_1)
	v_fma_f64 v[64:65], v[66:67], v[84:85], v[64:65]
	s_waitcnt lgkmcnt(0)
	v_fma_f64 v[68:69], v[68:69], v[86:87], v[64:65]
	scratch_load_b128 v[64:67], off, off offset:152
	s_waitcnt vmcnt(4)
	v_fma_f64 v[86:87], v[70:71], v[88:89], v[68:69]
	ds_load_b128 v[68:71], v1 offset:336
	ds_load_b128 v[82:85], v1 offset:352
	s_waitcnt lgkmcnt(1)
	v_fma_f64 v[68:69], v[72:73], v[68:69], v[86:87]
	scratch_load_b128 v[86:89], off, off offset:168
	s_waitcnt vmcnt(4)
	v_fma_f64 v[68:69], v[74:75], v[70:71], v[68:69]
	s_waitcnt lgkmcnt(0)
	s_delay_alu instid0(VALU_DEP_1)
	v_fma_f64 v[72:73], v[76:77], v[82:83], v[68:69]
	scratch_load_b128 v[68:71], off, off offset:184
	s_waitcnt vmcnt(4)
	v_fma_f64 v[82:83], v[78:79], v[84:85], v[72:73]
	ds_load_b128 v[72:75], v1 offset:368
	ds_load_b128 v[76:79], v1 offset:384
	s_waitcnt lgkmcnt(1)
	v_fma_f64 v[72:73], v[80:81], v[72:73], v[82:83]
	scratch_load_b128 v[80:83], off, off offset:200
	s_waitcnt vmcnt(4)
	v_fma_f64 v[72:73], v[90:91], v[74:75], v[72:73]
	s_waitcnt lgkmcnt(0)
	s_delay_alu instid0(VALU_DEP_1)
	v_fma_f64 v[76:77], v[92:93], v[76:77], v[72:73]
	scratch_load_b128 v[72:75], off, off offset:216
	s_waitcnt vmcnt(4)
	v_fma_f64 v[64:65], v[64:65], v[78:79], v[76:77]
	ds_load_b128 v[76:79], v1 offset:400
	ds_load_b128 v[90:93], v1 offset:416
	s_waitcnt lgkmcnt(1)
	v_fma_f64 v[64:65], v[66:67], v[76:77], v[64:65]
	s_waitcnt vmcnt(3)
	s_delay_alu instid0(VALU_DEP_1) | instskip(SKIP_1) | instid1(VALU_DEP_1)
	v_fma_f64 v[64:65], v[86:87], v[78:79], v[64:65]
	s_waitcnt lgkmcnt(0)
	v_fma_f64 v[64:65], v[88:89], v[90:91], v[64:65]
	s_waitcnt vmcnt(2)
	s_delay_alu instid0(VALU_DEP_1)
	v_fma_f64 v[68:69], v[68:69], v[92:93], v[64:65]
	ds_load_b128 v[64:67], v1 offset:432
	ds_load_b128 v[76:79], v1 offset:448
	s_waitcnt lgkmcnt(1)
	v_fma_f64 v[64:65], v[70:71], v[64:65], v[68:69]
	s_waitcnt vmcnt(1)
	s_delay_alu instid0(VALU_DEP_1) | instskip(SKIP_4) | instid1(VALU_DEP_1)
	v_fma_f64 v[64:65], v[80:81], v[66:67], v[64:65]
	ds_load_b64 v[66:67], v1 offset:464
	s_waitcnt lgkmcnt(1)
	v_fma_f64 v[64:65], v[82:83], v[76:77], v[64:65]
	s_waitcnt vmcnt(0)
	v_fma_f64 v[64:65], v[72:73], v[78:79], v[64:65]
	s_waitcnt lgkmcnt(0)
	s_delay_alu instid0(VALU_DEP_1) | instskip(NEXT) | instid1(VALU_DEP_1)
	v_fma_f64 v[64:65], v[74:75], v[66:67], v[64:65]
	v_add_f64 v[62:63], v[62:63], -v[64:65]
	scratch_store_b64 off, v[62:63], off offset:56
	v_cmpx_lt_u32_e32 6, v0
	s_cbranch_execz .LBB92_171
; %bb.170:
	scratch_load_b64 v[62:63], off, off offset:48
	v_mov_b32_e32 v2, v1
	scratch_store_b64 off, v[1:2], off offset:48
	s_waitcnt vmcnt(0)
	ds_store_b64 v3, v[62:63]
.LBB92_171:
	s_or_b32 exec_lo, exec_lo, s0
	s_waitcnt lgkmcnt(0)
	s_waitcnt_vscnt null, 0x0
	s_barrier
	buffer_gl0_inv
	s_clause 0x4
	scratch_load_b128 v[62:65], off, off offset:48
	scratch_load_b128 v[66:69], off, off offset:64
	;; [unrolled: 1-line block ×5, first 2 shown]
	ds_load_2addr_b64 v[82:85], v1 offset0:37 offset1:38
	ds_load_2addr_b64 v[86:89], v1 offset0:39 offset1:40
	scratch_load_b128 v[90:93], off, off offset:128
	s_mov_b32 s0, exec_lo
	s_waitcnt vmcnt(5) lgkmcnt(1)
	v_fma_f64 v[64:65], v[64:65], v[82:83], 0
	s_waitcnt vmcnt(4)
	s_delay_alu instid0(VALU_DEP_1) | instskip(SKIP_1) | instid1(VALU_DEP_1)
	v_fma_f64 v[64:65], v[66:67], v[84:85], v[64:65]
	s_waitcnt lgkmcnt(0)
	v_fma_f64 v[68:69], v[68:69], v[86:87], v[64:65]
	scratch_load_b128 v[64:67], off, off offset:144
	s_waitcnt vmcnt(4)
	v_fma_f64 v[86:87], v[70:71], v[88:89], v[68:69]
	ds_load_2addr_b64 v[68:71], v1 offset0:41 offset1:42
	ds_load_2addr_b64 v[82:85], v1 offset0:43 offset1:44
	s_waitcnt lgkmcnt(1)
	v_fma_f64 v[68:69], v[72:73], v[68:69], v[86:87]
	scratch_load_b128 v[86:89], off, off offset:160
	s_waitcnt vmcnt(4)
	v_fma_f64 v[68:69], v[74:75], v[70:71], v[68:69]
	s_waitcnt lgkmcnt(0)
	s_delay_alu instid0(VALU_DEP_1)
	v_fma_f64 v[72:73], v[76:77], v[82:83], v[68:69]
	scratch_load_b128 v[68:71], off, off offset:176
	s_waitcnt vmcnt(4)
	v_fma_f64 v[82:83], v[78:79], v[84:85], v[72:73]
	ds_load_2addr_b64 v[72:75], v1 offset0:45 offset1:46
	ds_load_2addr_b64 v[76:79], v1 offset0:47 offset1:48
	s_waitcnt lgkmcnt(1)
	v_fma_f64 v[72:73], v[80:81], v[72:73], v[82:83]
	scratch_load_b128 v[80:83], off, off offset:192
	s_waitcnt vmcnt(4)
	v_fma_f64 v[72:73], v[90:91], v[74:75], v[72:73]
	s_waitcnt lgkmcnt(0)
	s_delay_alu instid0(VALU_DEP_1)
	v_fma_f64 v[76:77], v[92:93], v[76:77], v[72:73]
	scratch_load_b128 v[72:75], off, off offset:208
	s_waitcnt vmcnt(4)
	v_fma_f64 v[64:65], v[64:65], v[78:79], v[76:77]
	ds_load_2addr_b64 v[76:79], v1 offset0:49 offset1:50
	ds_load_2addr_b64 v[90:93], v1 offset0:51 offset1:52
	scratch_load_b64 v[84:85], off, off offset:224
	s_waitcnt lgkmcnt(1)
	v_fma_f64 v[64:65], v[66:67], v[76:77], v[64:65]
	s_waitcnt vmcnt(4)
	s_delay_alu instid0(VALU_DEP_1) | instskip(SKIP_1) | instid1(VALU_DEP_1)
	v_fma_f64 v[64:65], v[86:87], v[78:79], v[64:65]
	s_waitcnt lgkmcnt(0)
	v_fma_f64 v[64:65], v[88:89], v[90:91], v[64:65]
	s_waitcnt vmcnt(3)
	s_delay_alu instid0(VALU_DEP_1)
	v_fma_f64 v[68:69], v[68:69], v[92:93], v[64:65]
	ds_load_2addr_b64 v[64:67], v1 offset0:53 offset1:54
	ds_load_2addr_b64 v[76:79], v1 offset0:55 offset1:56
	s_waitcnt lgkmcnt(1)
	v_fma_f64 v[64:65], v[70:71], v[64:65], v[68:69]
	s_waitcnt vmcnt(2)
	s_delay_alu instid0(VALU_DEP_1) | instskip(SKIP_1) | instid1(VALU_DEP_1)
	v_fma_f64 v[64:65], v[80:81], v[66:67], v[64:65]
	s_waitcnt lgkmcnt(0)
	v_fma_f64 v[64:65], v[82:83], v[76:77], v[64:65]
	s_waitcnt vmcnt(1)
	s_delay_alu instid0(VALU_DEP_1) | instskip(SKIP_4) | instid1(VALU_DEP_1)
	v_fma_f64 v[68:69], v[72:73], v[78:79], v[64:65]
	ds_load_2addr_b64 v[64:67], v1 offset0:57 offset1:58
	s_waitcnt lgkmcnt(0)
	v_fma_f64 v[1:2], v[74:75], v[64:65], v[68:69]
	s_waitcnt vmcnt(0)
	v_fma_f64 v[1:2], v[84:85], v[66:67], v[1:2]
	s_delay_alu instid0(VALU_DEP_1)
	v_add_f64 v[1:2], v[62:63], -v[1:2]
	scratch_store_b64 off, v[1:2], off offset:48
	v_cmpx_lt_u32_e32 5, v0
	s_cbranch_execz .LBB92_173
; %bb.172:
	scratch_load_b64 v[1:2], off, off offset:40
	v_mov_b32_e32 v62, 0
	s_delay_alu instid0(VALU_DEP_1)
	v_mov_b32_e32 v63, v62
	scratch_store_b64 off, v[62:63], off offset:40
	s_waitcnt vmcnt(0)
	ds_store_b64 v3, v[1:2]
.LBB92_173:
	s_or_b32 exec_lo, exec_lo, s0
	s_waitcnt lgkmcnt(0)
	s_waitcnt_vscnt null, 0x0
	s_barrier
	buffer_gl0_inv
	s_clause 0x4
	scratch_load_b128 v[62:65], off, off offset:40
	scratch_load_b128 v[66:69], off, off offset:56
	;; [unrolled: 1-line block ×5, first 2 shown]
	v_mov_b32_e32 v1, 0
	ds_load_b128 v[82:85], v1 offset:288
	ds_load_b128 v[86:89], v1 offset:304
	scratch_load_b128 v[90:93], off, off offset:120
	s_mov_b32 s0, exec_lo
	s_waitcnt vmcnt(5) lgkmcnt(1)
	v_fma_f64 v[64:65], v[64:65], v[82:83], 0
	s_waitcnt vmcnt(4)
	s_delay_alu instid0(VALU_DEP_1) | instskip(SKIP_1) | instid1(VALU_DEP_1)
	v_fma_f64 v[64:65], v[66:67], v[84:85], v[64:65]
	s_waitcnt lgkmcnt(0)
	v_fma_f64 v[68:69], v[68:69], v[86:87], v[64:65]
	scratch_load_b128 v[64:67], off, off offset:136
	s_waitcnt vmcnt(4)
	v_fma_f64 v[86:87], v[70:71], v[88:89], v[68:69]
	ds_load_b128 v[68:71], v1 offset:320
	ds_load_b128 v[82:85], v1 offset:336
	s_waitcnt lgkmcnt(1)
	v_fma_f64 v[68:69], v[72:73], v[68:69], v[86:87]
	scratch_load_b128 v[86:89], off, off offset:152
	s_waitcnt vmcnt(4)
	v_fma_f64 v[68:69], v[74:75], v[70:71], v[68:69]
	s_waitcnt lgkmcnt(0)
	s_delay_alu instid0(VALU_DEP_1)
	v_fma_f64 v[72:73], v[76:77], v[82:83], v[68:69]
	scratch_load_b128 v[68:71], off, off offset:168
	s_waitcnt vmcnt(4)
	v_fma_f64 v[82:83], v[78:79], v[84:85], v[72:73]
	ds_load_b128 v[72:75], v1 offset:352
	ds_load_b128 v[76:79], v1 offset:368
	s_waitcnt lgkmcnt(1)
	v_fma_f64 v[72:73], v[80:81], v[72:73], v[82:83]
	scratch_load_b128 v[80:83], off, off offset:184
	s_waitcnt vmcnt(4)
	v_fma_f64 v[72:73], v[90:91], v[74:75], v[72:73]
	s_waitcnt lgkmcnt(0)
	s_delay_alu instid0(VALU_DEP_1)
	v_fma_f64 v[76:77], v[92:93], v[76:77], v[72:73]
	scratch_load_b128 v[72:75], off, off offset:200
	s_waitcnt vmcnt(4)
	v_fma_f64 v[64:65], v[64:65], v[78:79], v[76:77]
	ds_load_b128 v[76:79], v1 offset:384
	ds_load_b128 v[90:93], v1 offset:400
	s_waitcnt lgkmcnt(1)
	v_fma_f64 v[76:77], v[66:67], v[76:77], v[64:65]
	scratch_load_b128 v[64:67], off, off offset:216
	s_waitcnt vmcnt(4)
	v_fma_f64 v[76:77], v[86:87], v[78:79], v[76:77]
	s_waitcnt lgkmcnt(0)
	s_delay_alu instid0(VALU_DEP_1) | instskip(SKIP_1) | instid1(VALU_DEP_1)
	v_fma_f64 v[76:77], v[88:89], v[90:91], v[76:77]
	s_waitcnt vmcnt(3)
	v_fma_f64 v[68:69], v[68:69], v[92:93], v[76:77]
	ds_load_b128 v[76:79], v1 offset:416
	ds_load_b128 v[84:87], v1 offset:432
	s_waitcnt lgkmcnt(1)
	v_fma_f64 v[68:69], v[70:71], v[76:77], v[68:69]
	s_waitcnt vmcnt(2)
	s_delay_alu instid0(VALU_DEP_1) | instskip(SKIP_1) | instid1(VALU_DEP_1)
	v_fma_f64 v[68:69], v[80:81], v[78:79], v[68:69]
	s_waitcnt lgkmcnt(0)
	v_fma_f64 v[68:69], v[82:83], v[84:85], v[68:69]
	s_waitcnt vmcnt(1)
	s_delay_alu instid0(VALU_DEP_1)
	v_fma_f64 v[72:73], v[72:73], v[86:87], v[68:69]
	ds_load_b128 v[68:71], v1 offset:448
	ds_load_b64 v[76:77], v1 offset:464
	s_waitcnt lgkmcnt(1)
	v_fma_f64 v[68:69], v[74:75], v[68:69], v[72:73]
	s_waitcnt vmcnt(0)
	s_delay_alu instid0(VALU_DEP_1) | instskip(SKIP_1) | instid1(VALU_DEP_1)
	v_fma_f64 v[64:65], v[64:65], v[70:71], v[68:69]
	s_waitcnt lgkmcnt(0)
	v_fma_f64 v[64:65], v[66:67], v[76:77], v[64:65]
	s_delay_alu instid0(VALU_DEP_1)
	v_add_f64 v[62:63], v[62:63], -v[64:65]
	scratch_store_b64 off, v[62:63], off offset:40
	v_cmpx_lt_u32_e32 4, v0
	s_cbranch_execz .LBB92_175
; %bb.174:
	scratch_load_b64 v[62:63], off, off offset:32
	v_mov_b32_e32 v2, v1
	scratch_store_b64 off, v[1:2], off offset:32
	s_waitcnt vmcnt(0)
	ds_store_b64 v3, v[62:63]
.LBB92_175:
	s_or_b32 exec_lo, exec_lo, s0
	s_waitcnt lgkmcnt(0)
	s_waitcnt_vscnt null, 0x0
	s_barrier
	buffer_gl0_inv
	s_clause 0x4
	scratch_load_b128 v[62:65], off, off offset:32
	scratch_load_b128 v[66:69], off, off offset:48
	;; [unrolled: 1-line block ×5, first 2 shown]
	ds_load_2addr_b64 v[82:85], v1 offset0:35 offset1:36
	ds_load_2addr_b64 v[86:89], v1 offset0:37 offset1:38
	scratch_load_b128 v[90:93], off, off offset:112
	s_mov_b32 s0, exec_lo
	s_waitcnt vmcnt(5) lgkmcnt(1)
	v_fma_f64 v[64:65], v[64:65], v[82:83], 0
	s_waitcnt vmcnt(4)
	s_delay_alu instid0(VALU_DEP_1) | instskip(SKIP_1) | instid1(VALU_DEP_1)
	v_fma_f64 v[64:65], v[66:67], v[84:85], v[64:65]
	s_waitcnt lgkmcnt(0)
	v_fma_f64 v[68:69], v[68:69], v[86:87], v[64:65]
	scratch_load_b128 v[64:67], off, off offset:128
	s_waitcnt vmcnt(4)
	v_fma_f64 v[86:87], v[70:71], v[88:89], v[68:69]
	ds_load_2addr_b64 v[68:71], v1 offset0:39 offset1:40
	ds_load_2addr_b64 v[82:85], v1 offset0:41 offset1:42
	s_waitcnt lgkmcnt(1)
	v_fma_f64 v[68:69], v[72:73], v[68:69], v[86:87]
	scratch_load_b128 v[86:89], off, off offset:144
	s_waitcnt vmcnt(4)
	v_fma_f64 v[68:69], v[74:75], v[70:71], v[68:69]
	s_waitcnt lgkmcnt(0)
	s_delay_alu instid0(VALU_DEP_1)
	v_fma_f64 v[72:73], v[76:77], v[82:83], v[68:69]
	scratch_load_b128 v[68:71], off, off offset:160
	s_waitcnt vmcnt(4)
	v_fma_f64 v[82:83], v[78:79], v[84:85], v[72:73]
	ds_load_2addr_b64 v[72:75], v1 offset0:43 offset1:44
	ds_load_2addr_b64 v[76:79], v1 offset0:45 offset1:46
	s_waitcnt lgkmcnt(1)
	v_fma_f64 v[72:73], v[80:81], v[72:73], v[82:83]
	scratch_load_b128 v[80:83], off, off offset:176
	s_waitcnt vmcnt(4)
	v_fma_f64 v[72:73], v[90:91], v[74:75], v[72:73]
	s_waitcnt lgkmcnt(0)
	s_delay_alu instid0(VALU_DEP_1)
	;; [unrolled: 13-line block ×3, first 2 shown]
	v_fma_f64 v[76:77], v[88:89], v[90:91], v[76:77]
	scratch_load_b64 v[88:89], off, off offset:224
	s_waitcnt vmcnt(4)
	v_fma_f64 v[68:69], v[68:69], v[92:93], v[76:77]
	ds_load_2addr_b64 v[76:79], v1 offset0:51 offset1:52
	ds_load_2addr_b64 v[84:87], v1 offset0:53 offset1:54
	s_waitcnt lgkmcnt(1)
	v_fma_f64 v[68:69], v[70:71], v[76:77], v[68:69]
	s_waitcnt vmcnt(3)
	s_delay_alu instid0(VALU_DEP_1) | instskip(SKIP_1) | instid1(VALU_DEP_1)
	v_fma_f64 v[68:69], v[80:81], v[78:79], v[68:69]
	s_waitcnt lgkmcnt(0)
	v_fma_f64 v[68:69], v[82:83], v[84:85], v[68:69]
	s_waitcnt vmcnt(2)
	s_delay_alu instid0(VALU_DEP_1)
	v_fma_f64 v[72:73], v[72:73], v[86:87], v[68:69]
	ds_load_2addr_b64 v[68:71], v1 offset0:55 offset1:56
	ds_load_2addr_b64 v[76:79], v1 offset0:57 offset1:58
	s_waitcnt lgkmcnt(1)
	v_fma_f64 v[1:2], v[74:75], v[68:69], v[72:73]
	s_waitcnt vmcnt(1)
	s_delay_alu instid0(VALU_DEP_1) | instskip(SKIP_1) | instid1(VALU_DEP_1)
	v_fma_f64 v[1:2], v[64:65], v[70:71], v[1:2]
	s_waitcnt lgkmcnt(0)
	v_fma_f64 v[1:2], v[66:67], v[76:77], v[1:2]
	s_waitcnt vmcnt(0)
	s_delay_alu instid0(VALU_DEP_1) | instskip(NEXT) | instid1(VALU_DEP_1)
	v_fma_f64 v[1:2], v[88:89], v[78:79], v[1:2]
	v_add_f64 v[1:2], v[62:63], -v[1:2]
	scratch_store_b64 off, v[1:2], off offset:32
	v_cmpx_lt_u32_e32 3, v0
	s_cbranch_execz .LBB92_177
; %bb.176:
	scratch_load_b64 v[1:2], off, off offset:24
	v_mov_b32_e32 v62, 0
	s_delay_alu instid0(VALU_DEP_1)
	v_mov_b32_e32 v63, v62
	scratch_store_b64 off, v[62:63], off offset:24
	s_waitcnt vmcnt(0)
	ds_store_b64 v3, v[1:2]
.LBB92_177:
	s_or_b32 exec_lo, exec_lo, s0
	s_waitcnt lgkmcnt(0)
	s_waitcnt_vscnt null, 0x0
	s_barrier
	buffer_gl0_inv
	s_clause 0x4
	scratch_load_b128 v[62:65], off, off offset:24
	scratch_load_b128 v[66:69], off, off offset:40
	;; [unrolled: 1-line block ×5, first 2 shown]
	v_mov_b32_e32 v1, 0
	ds_load_b128 v[82:85], v1 offset:272
	ds_load_b128 v[86:89], v1 offset:288
	scratch_load_b128 v[90:93], off, off offset:104
	s_mov_b32 s0, exec_lo
	s_waitcnt vmcnt(5) lgkmcnt(1)
	v_fma_f64 v[64:65], v[64:65], v[82:83], 0
	s_waitcnt vmcnt(4)
	s_delay_alu instid0(VALU_DEP_1) | instskip(SKIP_1) | instid1(VALU_DEP_1)
	v_fma_f64 v[64:65], v[66:67], v[84:85], v[64:65]
	s_waitcnt lgkmcnt(0)
	v_fma_f64 v[68:69], v[68:69], v[86:87], v[64:65]
	scratch_load_b128 v[64:67], off, off offset:120
	s_waitcnt vmcnt(4)
	v_fma_f64 v[86:87], v[70:71], v[88:89], v[68:69]
	ds_load_b128 v[68:71], v1 offset:304
	ds_load_b128 v[82:85], v1 offset:320
	s_waitcnt lgkmcnt(1)
	v_fma_f64 v[68:69], v[72:73], v[68:69], v[86:87]
	scratch_load_b128 v[86:89], off, off offset:136
	s_waitcnt vmcnt(4)
	v_fma_f64 v[68:69], v[74:75], v[70:71], v[68:69]
	s_waitcnt lgkmcnt(0)
	s_delay_alu instid0(VALU_DEP_1)
	v_fma_f64 v[72:73], v[76:77], v[82:83], v[68:69]
	scratch_load_b128 v[68:71], off, off offset:152
	s_waitcnt vmcnt(4)
	v_fma_f64 v[82:83], v[78:79], v[84:85], v[72:73]
	ds_load_b128 v[72:75], v1 offset:336
	ds_load_b128 v[76:79], v1 offset:352
	s_waitcnt lgkmcnt(1)
	v_fma_f64 v[72:73], v[80:81], v[72:73], v[82:83]
	scratch_load_b128 v[80:83], off, off offset:168
	s_waitcnt vmcnt(4)
	v_fma_f64 v[72:73], v[90:91], v[74:75], v[72:73]
	s_waitcnt lgkmcnt(0)
	s_delay_alu instid0(VALU_DEP_1)
	;; [unrolled: 13-line block ×3, first 2 shown]
	v_fma_f64 v[84:85], v[88:89], v[90:91], v[76:77]
	scratch_load_b128 v[76:79], off, off offset:216
	s_waitcnt vmcnt(4)
	v_fma_f64 v[68:69], v[68:69], v[92:93], v[84:85]
	ds_load_b128 v[84:87], v1 offset:400
	ds_load_b128 v[88:91], v1 offset:416
	s_waitcnt lgkmcnt(1)
	v_fma_f64 v[68:69], v[70:71], v[84:85], v[68:69]
	s_waitcnt vmcnt(3)
	s_delay_alu instid0(VALU_DEP_1) | instskip(SKIP_1) | instid1(VALU_DEP_1)
	v_fma_f64 v[68:69], v[80:81], v[86:87], v[68:69]
	s_waitcnt lgkmcnt(0)
	v_fma_f64 v[68:69], v[82:83], v[88:89], v[68:69]
	s_waitcnt vmcnt(2)
	s_delay_alu instid0(VALU_DEP_1)
	v_fma_f64 v[72:73], v[72:73], v[90:91], v[68:69]
	ds_load_b128 v[68:71], v1 offset:432
	ds_load_b128 v[80:83], v1 offset:448
	s_waitcnt lgkmcnt(1)
	v_fma_f64 v[68:69], v[74:75], v[68:69], v[72:73]
	s_waitcnt vmcnt(1)
	s_delay_alu instid0(VALU_DEP_1) | instskip(SKIP_1) | instid1(VALU_DEP_1)
	v_fma_f64 v[64:65], v[64:65], v[70:71], v[68:69]
	s_waitcnt lgkmcnt(0)
	v_fma_f64 v[64:65], v[66:67], v[80:81], v[64:65]
	ds_load_b64 v[66:67], v1 offset:464
	s_waitcnt vmcnt(0)
	v_fma_f64 v[64:65], v[76:77], v[82:83], v[64:65]
	s_waitcnt lgkmcnt(0)
	s_delay_alu instid0(VALU_DEP_1) | instskip(NEXT) | instid1(VALU_DEP_1)
	v_fma_f64 v[64:65], v[78:79], v[66:67], v[64:65]
	v_add_f64 v[62:63], v[62:63], -v[64:65]
	scratch_store_b64 off, v[62:63], off offset:24
	v_cmpx_lt_u32_e32 2, v0
	s_cbranch_execz .LBB92_179
; %bb.178:
	scratch_load_b64 v[62:63], off, off offset:16
	v_mov_b32_e32 v2, v1
	scratch_store_b64 off, v[1:2], off offset:16
	s_waitcnt vmcnt(0)
	ds_store_b64 v3, v[62:63]
.LBB92_179:
	s_or_b32 exec_lo, exec_lo, s0
	s_waitcnt lgkmcnt(0)
	s_waitcnt_vscnt null, 0x0
	s_barrier
	buffer_gl0_inv
	s_clause 0x4
	scratch_load_b128 v[62:65], off, off offset:16
	scratch_load_b128 v[66:69], off, off offset:32
	;; [unrolled: 1-line block ×5, first 2 shown]
	ds_load_2addr_b64 v[82:85], v1 offset0:33 offset1:34
	ds_load_2addr_b64 v[86:89], v1 offset0:35 offset1:36
	scratch_load_b128 v[90:93], off, off offset:96
	s_mov_b32 s0, exec_lo
	s_waitcnt vmcnt(5) lgkmcnt(1)
	v_fma_f64 v[64:65], v[64:65], v[82:83], 0
	s_waitcnt vmcnt(4)
	s_delay_alu instid0(VALU_DEP_1) | instskip(SKIP_1) | instid1(VALU_DEP_1)
	v_fma_f64 v[64:65], v[66:67], v[84:85], v[64:65]
	s_waitcnt lgkmcnt(0)
	v_fma_f64 v[68:69], v[68:69], v[86:87], v[64:65]
	scratch_load_b128 v[64:67], off, off offset:112
	s_waitcnt vmcnt(4)
	v_fma_f64 v[86:87], v[70:71], v[88:89], v[68:69]
	ds_load_2addr_b64 v[68:71], v1 offset0:37 offset1:38
	ds_load_2addr_b64 v[82:85], v1 offset0:39 offset1:40
	s_waitcnt lgkmcnt(1)
	v_fma_f64 v[68:69], v[72:73], v[68:69], v[86:87]
	scratch_load_b128 v[86:89], off, off offset:128
	s_waitcnt vmcnt(4)
	v_fma_f64 v[68:69], v[74:75], v[70:71], v[68:69]
	s_waitcnt lgkmcnt(0)
	s_delay_alu instid0(VALU_DEP_1)
	v_fma_f64 v[72:73], v[76:77], v[82:83], v[68:69]
	scratch_load_b128 v[68:71], off, off offset:144
	s_waitcnt vmcnt(4)
	v_fma_f64 v[82:83], v[78:79], v[84:85], v[72:73]
	ds_load_2addr_b64 v[72:75], v1 offset0:41 offset1:42
	ds_load_2addr_b64 v[76:79], v1 offset0:43 offset1:44
	s_waitcnt lgkmcnt(1)
	v_fma_f64 v[72:73], v[80:81], v[72:73], v[82:83]
	scratch_load_b128 v[80:83], off, off offset:160
	s_waitcnt vmcnt(4)
	v_fma_f64 v[72:73], v[90:91], v[74:75], v[72:73]
	s_waitcnt lgkmcnt(0)
	s_delay_alu instid0(VALU_DEP_1)
	;; [unrolled: 13-line block ×3, first 2 shown]
	v_fma_f64 v[84:85], v[88:89], v[90:91], v[76:77]
	scratch_load_b128 v[76:79], off, off offset:208
	s_waitcnt vmcnt(4)
	v_fma_f64 v[68:69], v[68:69], v[92:93], v[84:85]
	ds_load_2addr_b64 v[84:87], v1 offset0:49 offset1:50
	ds_load_2addr_b64 v[88:91], v1 offset0:51 offset1:52
	s_waitcnt lgkmcnt(1)
	v_fma_f64 v[68:69], v[70:71], v[84:85], v[68:69]
	scratch_load_b64 v[84:85], off, off offset:224
	s_waitcnt vmcnt(4)
	v_fma_f64 v[68:69], v[80:81], v[86:87], v[68:69]
	s_waitcnt lgkmcnt(0)
	s_delay_alu instid0(VALU_DEP_1) | instskip(SKIP_1) | instid1(VALU_DEP_1)
	v_fma_f64 v[68:69], v[82:83], v[88:89], v[68:69]
	s_waitcnt vmcnt(3)
	v_fma_f64 v[72:73], v[72:73], v[90:91], v[68:69]
	ds_load_2addr_b64 v[68:71], v1 offset0:53 offset1:54
	ds_load_2addr_b64 v[80:83], v1 offset0:55 offset1:56
	s_waitcnt lgkmcnt(1)
	v_fma_f64 v[68:69], v[74:75], v[68:69], v[72:73]
	s_waitcnt vmcnt(2)
	s_delay_alu instid0(VALU_DEP_1) | instskip(SKIP_1) | instid1(VALU_DEP_1)
	v_fma_f64 v[64:65], v[64:65], v[70:71], v[68:69]
	s_waitcnt lgkmcnt(0)
	v_fma_f64 v[64:65], v[66:67], v[80:81], v[64:65]
	s_waitcnt vmcnt(1)
	s_delay_alu instid0(VALU_DEP_1) | instskip(SKIP_4) | instid1(VALU_DEP_1)
	v_fma_f64 v[68:69], v[76:77], v[82:83], v[64:65]
	ds_load_2addr_b64 v[64:67], v1 offset0:57 offset1:58
	s_waitcnt lgkmcnt(0)
	v_fma_f64 v[1:2], v[78:79], v[64:65], v[68:69]
	s_waitcnt vmcnt(0)
	v_fma_f64 v[1:2], v[84:85], v[66:67], v[1:2]
	s_delay_alu instid0(VALU_DEP_1)
	v_add_f64 v[1:2], v[62:63], -v[1:2]
	scratch_store_b64 off, v[1:2], off offset:16
	v_cmpx_lt_u32_e32 1, v0
	s_cbranch_execz .LBB92_181
; %bb.180:
	scratch_load_b64 v[1:2], off, off offset:8
	v_mov_b32_e32 v62, 0
	s_delay_alu instid0(VALU_DEP_1)
	v_mov_b32_e32 v63, v62
	scratch_store_b64 off, v[62:63], off offset:8
	s_waitcnt vmcnt(0)
	ds_store_b64 v3, v[1:2]
.LBB92_181:
	s_or_b32 exec_lo, exec_lo, s0
	s_waitcnt lgkmcnt(0)
	s_waitcnt_vscnt null, 0x0
	s_barrier
	buffer_gl0_inv
	s_clause 0x4
	scratch_load_b128 v[63:66], off, off offset:8
	scratch_load_b128 v[67:70], off, off offset:24
	;; [unrolled: 1-line block ×5, first 2 shown]
	v_mov_b32_e32 v62, 0
	ds_load_b128 v[83:86], v62 offset:256
	ds_load_b128 v[87:90], v62 offset:272
	scratch_load_b128 v[91:94], off, off offset:88
	s_mov_b32 s0, exec_lo
	s_waitcnt vmcnt(5) lgkmcnt(1)
	v_fma_f64 v[1:2], v[65:66], v[83:84], 0
	s_waitcnt vmcnt(4)
	s_delay_alu instid0(VALU_DEP_1) | instskip(SKIP_4) | instid1(VALU_DEP_1)
	v_fma_f64 v[1:2], v[67:68], v[85:86], v[1:2]
	scratch_load_b128 v[65:68], off, off offset:104
	s_waitcnt lgkmcnt(0)
	v_fma_f64 v[1:2], v[69:70], v[87:88], v[1:2]
	s_waitcnt vmcnt(4)
	v_fma_f64 v[1:2], v[71:72], v[89:90], v[1:2]
	ds_load_b128 v[69:72], v62 offset:288
	ds_load_b128 v[83:86], v62 offset:304
	scratch_load_b128 v[87:90], off, off offset:120
	s_waitcnt lgkmcnt(1)
	v_fma_f64 v[1:2], v[73:74], v[69:70], v[1:2]
	s_waitcnt vmcnt(4)
	s_delay_alu instid0(VALU_DEP_1) | instskip(SKIP_4) | instid1(VALU_DEP_1)
	v_fma_f64 v[1:2], v[75:76], v[71:72], v[1:2]
	scratch_load_b128 v[69:72], off, off offset:136
	s_waitcnt lgkmcnt(0)
	v_fma_f64 v[1:2], v[77:78], v[83:84], v[1:2]
	s_waitcnt vmcnt(4)
	v_fma_f64 v[1:2], v[79:80], v[85:86], v[1:2]
	ds_load_b128 v[73:76], v62 offset:320
	ds_load_b128 v[77:80], v62 offset:336
	s_waitcnt lgkmcnt(1)
	v_fma_f64 v[1:2], v[81:82], v[73:74], v[1:2]
	scratch_load_b128 v[81:84], off, off offset:152
	s_waitcnt vmcnt(4)
	v_fma_f64 v[1:2], v[91:92], v[75:76], v[1:2]
	scratch_load_b128 v[73:76], off, off offset:168
	s_waitcnt lgkmcnt(0)
	v_fma_f64 v[1:2], v[93:94], v[77:78], v[1:2]
	s_waitcnt vmcnt(4)
	s_delay_alu instid0(VALU_DEP_1)
	v_fma_f64 v[1:2], v[65:66], v[79:80], v[1:2]
	ds_load_b128 v[77:80], v62 offset:352
	ds_load_b128 v[91:94], v62 offset:368
	s_waitcnt lgkmcnt(1)
	v_fma_f64 v[1:2], v[67:68], v[77:78], v[1:2]
	scratch_load_b128 v[65:68], off, off offset:184
	s_waitcnt vmcnt(4)
	v_fma_f64 v[1:2], v[87:88], v[79:80], v[1:2]
	scratch_load_b128 v[77:80], off, off offset:200
	s_waitcnt lgkmcnt(0)
	v_fma_f64 v[1:2], v[89:90], v[91:92], v[1:2]
	ds_load_b128 v[85:88], v62 offset:384
	ds_load_b128 v[89:92], v62 offset:400
	s_waitcnt vmcnt(4)
	v_fma_f64 v[1:2], v[69:70], v[93:94], v[1:2]
	s_waitcnt lgkmcnt(1)
	s_delay_alu instid0(VALU_DEP_1) | instskip(SKIP_4) | instid1(VALU_DEP_1)
	v_fma_f64 v[1:2], v[71:72], v[85:86], v[1:2]
	scratch_load_b128 v[69:72], off, off offset:216
	s_waitcnt vmcnt(4)
	v_fma_f64 v[1:2], v[81:82], v[87:88], v[1:2]
	s_waitcnt lgkmcnt(0)
	v_fma_f64 v[1:2], v[83:84], v[89:90], v[1:2]
	ds_load_b128 v[81:84], v62 offset:416
	ds_load_b128 v[85:88], v62 offset:432
	s_waitcnt vmcnt(3)
	v_fma_f64 v[1:2], v[73:74], v[91:92], v[1:2]
	s_waitcnt lgkmcnt(1)
	s_delay_alu instid0(VALU_DEP_1) | instskip(SKIP_1) | instid1(VALU_DEP_1)
	v_fma_f64 v[1:2], v[75:76], v[81:82], v[1:2]
	s_waitcnt vmcnt(2)
	v_fma_f64 v[1:2], v[65:66], v[83:84], v[1:2]
	s_waitcnt lgkmcnt(0)
	s_delay_alu instid0(VALU_DEP_1)
	v_fma_f64 v[1:2], v[67:68], v[85:86], v[1:2]
	ds_load_b128 v[65:68], v62 offset:448
	ds_load_b64 v[73:74], v62 offset:464
	s_waitcnt vmcnt(1)
	v_fma_f64 v[1:2], v[77:78], v[87:88], v[1:2]
	s_waitcnt lgkmcnt(1)
	s_delay_alu instid0(VALU_DEP_1) | instskip(SKIP_1) | instid1(VALU_DEP_1)
	v_fma_f64 v[1:2], v[79:80], v[65:66], v[1:2]
	s_waitcnt vmcnt(0)
	v_fma_f64 v[1:2], v[69:70], v[67:68], v[1:2]
	s_waitcnt lgkmcnt(0)
	s_delay_alu instid0(VALU_DEP_1) | instskip(NEXT) | instid1(VALU_DEP_1)
	v_fma_f64 v[1:2], v[71:72], v[73:74], v[1:2]
	v_add_f64 v[1:2], v[63:64], -v[1:2]
	scratch_store_b64 off, v[1:2], off offset:8
	v_cmpx_ne_u32_e32 0, v0
	s_cbranch_execz .LBB92_183
; %bb.182:
	scratch_load_b64 v[0:1], off, off
	v_mov_b32_e32 v63, v62
	scratch_store_b64 off, v[62:63], off
	s_waitcnt vmcnt(0)
	ds_store_b64 v3, v[0:1]
.LBB92_183:
	s_or_b32 exec_lo, exec_lo, s0
	s_waitcnt lgkmcnt(0)
	s_waitcnt_vscnt null, 0x0
	s_barrier
	buffer_gl0_inv
	s_clause 0x4
	scratch_load_b128 v[63:66], off, off
	scratch_load_b128 v[0:3], off, off offset:16
	scratch_load_b128 v[67:70], off, off offset:32
	;; [unrolled: 1-line block ×4, first 2 shown]
	ds_load_2addr_b64 v[79:82], v62 offset0:31 offset1:32
	ds_load_2addr_b64 v[83:86], v62 offset0:33 offset1:34
	scratch_load_b128 v[87:90], off, off offset:80
	s_and_b32 vcc_lo, exec_lo, s12
	s_waitcnt vmcnt(5) lgkmcnt(1)
	v_fma_f64 v[65:66], v[65:66], v[79:80], 0
	s_waitcnt vmcnt(4)
	s_delay_alu instid0(VALU_DEP_1) | instskip(SKIP_1) | instid1(VALU_DEP_1)
	v_fma_f64 v[0:1], v[0:1], v[81:82], v[65:66]
	s_waitcnt lgkmcnt(0)
	v_fma_f64 v[65:66], v[2:3], v[83:84], v[0:1]
	scratch_load_b128 v[0:3], off, off offset:96
	s_waitcnt vmcnt(4)
	v_fma_f64 v[83:84], v[67:68], v[85:86], v[65:66]
	ds_load_2addr_b64 v[65:68], v62 offset0:35 offset1:36
	ds_load_2addr_b64 v[79:82], v62 offset0:37 offset1:38
	s_waitcnt lgkmcnt(1)
	v_fma_f64 v[65:66], v[69:70], v[65:66], v[83:84]
	scratch_load_b128 v[83:86], off, off offset:112
	s_waitcnt vmcnt(4)
	v_fma_f64 v[65:66], v[71:72], v[67:68], v[65:66]
	s_waitcnt lgkmcnt(0)
	s_delay_alu instid0(VALU_DEP_1)
	v_fma_f64 v[69:70], v[73:74], v[79:80], v[65:66]
	scratch_load_b128 v[65:68], off, off offset:128
	s_waitcnt vmcnt(4)
	v_fma_f64 v[79:80], v[75:76], v[81:82], v[69:70]
	ds_load_2addr_b64 v[69:72], v62 offset0:39 offset1:40
	ds_load_2addr_b64 v[73:76], v62 offset0:41 offset1:42
	s_waitcnt lgkmcnt(1)
	v_fma_f64 v[69:70], v[77:78], v[69:70], v[79:80]
	scratch_load_b128 v[77:80], off, off offset:144
	s_waitcnt vmcnt(4)
	v_fma_f64 v[69:70], v[87:88], v[71:72], v[69:70]
	s_waitcnt lgkmcnt(0)
	s_delay_alu instid0(VALU_DEP_1)
	v_fma_f64 v[73:74], v[89:90], v[73:74], v[69:70]
	scratch_load_b128 v[69:72], off, off offset:160
	s_waitcnt vmcnt(4)
	v_fma_f64 v[0:1], v[0:1], v[75:76], v[73:74]
	ds_load_2addr_b64 v[73:76], v62 offset0:43 offset1:44
	ds_load_2addr_b64 v[87:90], v62 offset0:45 offset1:46
	scratch_load_b128 v[91:94], off, off offset:176
	s_waitcnt lgkmcnt(1)
	v_fma_f64 v[0:1], v[2:3], v[73:74], v[0:1]
	s_waitcnt vmcnt(4)
	s_delay_alu instid0(VALU_DEP_1)
	v_fma_f64 v[0:1], v[83:84], v[75:76], v[0:1]
	scratch_load_b128 v[73:76], off, off offset:192
	s_waitcnt lgkmcnt(0)
	v_fma_f64 v[0:1], v[85:86], v[87:88], v[0:1]
	ds_load_2addr_b64 v[81:84], v62 offset0:47 offset1:48
	ds_load_2addr_b64 v[85:88], v62 offset0:49 offset1:50
	s_waitcnt vmcnt(4)
	v_fma_f64 v[0:1], v[65:66], v[89:90], v[0:1]
	s_waitcnt lgkmcnt(1)
	s_delay_alu instid0(VALU_DEP_1)
	v_fma_f64 v[65:66], v[67:68], v[81:82], v[0:1]
	s_clause 0x1
	scratch_load_b128 v[0:3], off, off offset:208
	scratch_load_b64 v[81:82], off, off offset:224
	s_waitcnt vmcnt(5)
	v_fma_f64 v[65:66], v[77:78], v[83:84], v[65:66]
	s_waitcnt lgkmcnt(0)
	s_delay_alu instid0(VALU_DEP_1) | instskip(SKIP_1) | instid1(VALU_DEP_1)
	v_fma_f64 v[65:66], v[79:80], v[85:86], v[65:66]
	s_waitcnt vmcnt(4)
	v_fma_f64 v[69:70], v[69:70], v[87:88], v[65:66]
	ds_load_2addr_b64 v[65:68], v62 offset0:51 offset1:52
	ds_load_2addr_b64 v[77:80], v62 offset0:53 offset1:54
	s_waitcnt lgkmcnt(1)
	v_fma_f64 v[65:66], v[71:72], v[65:66], v[69:70]
	s_waitcnt vmcnt(3)
	s_delay_alu instid0(VALU_DEP_1) | instskip(SKIP_1) | instid1(VALU_DEP_1)
	v_fma_f64 v[65:66], v[91:92], v[67:68], v[65:66]
	s_waitcnt lgkmcnt(0)
	v_fma_f64 v[65:66], v[93:94], v[77:78], v[65:66]
	s_waitcnt vmcnt(2)
	s_delay_alu instid0(VALU_DEP_1)
	v_fma_f64 v[73:74], v[73:74], v[79:80], v[65:66]
	ds_load_2addr_b64 v[65:68], v62 offset0:55 offset1:56
	ds_load_2addr_b64 v[69:72], v62 offset0:57 offset1:58
	s_waitcnt lgkmcnt(1)
	v_fma_f64 v[65:66], v[75:76], v[65:66], v[73:74]
	s_waitcnt vmcnt(1)
	s_delay_alu instid0(VALU_DEP_1) | instskip(SKIP_1) | instid1(VALU_DEP_1)
	v_fma_f64 v[0:1], v[0:1], v[67:68], v[65:66]
	s_waitcnt lgkmcnt(0)
	v_fma_f64 v[0:1], v[2:3], v[69:70], v[0:1]
	s_waitcnt vmcnt(0)
	s_delay_alu instid0(VALU_DEP_1) | instskip(NEXT) | instid1(VALU_DEP_1)
	v_fma_f64 v[0:1], v[81:82], v[71:72], v[0:1]
	v_add_f64 v[0:1], v[63:64], -v[0:1]
	scratch_store_b64 off, v[0:1], off
	s_cbranch_vccz .LBB92_241
; %bb.184:
	v_dual_mov_b32 v0, s2 :: v_dual_mov_b32 v1, s3
	s_mov_b32 s0, exec_lo
	flat_load_b32 v0, v[0:1] offset:108
	s_waitcnt vmcnt(0) lgkmcnt(0)
	v_cmpx_ne_u32_e32 28, v0
	s_cbranch_execz .LBB92_186
; %bb.185:
	v_lshl_add_u32 v62, v0, 3, 0
	scratch_load_b64 v[0:1], v62, off offset:-8
	s_waitcnt vmcnt(0)
	scratch_store_b64 off, v[0:1], off offset:216
	scratch_store_b64 v62, v[2:3], off offset:-8
.LBB92_186:
	s_or_b32 exec_lo, exec_lo, s0
	v_dual_mov_b32 v0, s2 :: v_dual_mov_b32 v1, s3
	s_mov_b32 s0, exec_lo
	flat_load_b32 v0, v[0:1] offset:104
	s_waitcnt vmcnt(0) lgkmcnt(0)
	v_cmpx_ne_u32_e32 27, v0
	s_cbranch_execz .LBB92_188
; %bb.187:
	v_lshl_add_u32 v62, v0, 3, 0
	scratch_load_b64 v[0:1], v62, off offset:-8
	scratch_load_b64 v[2:3], off, off offset:208
	s_waitcnt vmcnt(1)
	scratch_store_b64 off, v[0:1], off offset:208
	s_waitcnt vmcnt(0)
	scratch_store_b64 v62, v[2:3], off offset:-8
.LBB92_188:
	s_or_b32 exec_lo, exec_lo, s0
	v_dual_mov_b32 v0, s2 :: v_dual_mov_b32 v1, s3
	s_mov_b32 s0, exec_lo
	flat_load_b32 v0, v[0:1] offset:100
	s_waitcnt vmcnt(0) lgkmcnt(0)
	v_cmpx_ne_u32_e32 26, v0
	s_cbranch_execz .LBB92_190
; %bb.189:
	v_lshl_add_u32 v62, v0, 3, 0
	scratch_load_b64 v[0:1], v62, off offset:-8
	scratch_load_b64 v[2:3], off, off offset:200
	s_waitcnt vmcnt(1)
	scratch_store_b64 off, v[0:1], off offset:200
	s_waitcnt vmcnt(0)
	scratch_store_b64 v62, v[2:3], off offset:-8
.LBB92_190:
	;; [unrolled: 16-line block ×26, first 2 shown]
	s_or_b32 exec_lo, exec_lo, s0
	v_dual_mov_b32 v0, s2 :: v_dual_mov_b32 v1, s3
	s_mov_b32 s0, exec_lo
	flat_load_b32 v2, v[0:1]
	scratch_load_b64 v[0:1], off, off
	s_waitcnt vmcnt(1) lgkmcnt(0)
	v_cmpx_ne_u32_e32 1, v2
	s_cbranch_execz .LBB92_240
; %bb.239:
	v_lshl_add_u32 v62, v2, 3, 0
	scratch_load_b64 v[2:3], v62, off offset:-8
	s_waitcnt vmcnt(0)
	scratch_store_b64 off, v[2:3], off
	scratch_store_b64 v62, v[0:1], off offset:-8
	scratch_load_b64 v[0:1], off, off
.LBB92_240:
	s_or_b32 exec_lo, exec_lo, s0
.LBB92_241:
	s_clause 0x6
	scratch_load_b128 v[62:65], off, off offset:8
	scratch_load_b128 v[66:69], off, off offset:24
	;; [unrolled: 1-line block ×7, first 2 shown]
	s_waitcnt vmcnt(7)
	global_store_b64 v[4:5], v[0:1], off
	s_clause 0x1
	scratch_load_b128 v[0:3], off, off offset:120
	scratch_load_b128 v[90:93], off, off offset:200
	s_waitcnt vmcnt(8)
	global_store_b64 v[6:7], v[62:63], off
	scratch_load_b128 v[4:7], off, off offset:136
	global_store_b64 v[8:9], v[64:65], off
	scratch_load_b128 v[62:65], off, off offset:152
	s_waitcnt vmcnt(9)
	global_store_b64 v[10:11], v[66:67], off
	scratch_load_b128 v[8:11], off, off offset:168
	global_store_b64 v[12:13], v[68:69], off
	scratch_load_b128 v[66:69], off, off offset:184
	s_waitcnt vmcnt(10)
	s_clause 0x1
	global_store_b64 v[16:17], v[70:71], off
	global_store_b64 v[18:19], v[72:73], off
	scratch_load_b128 v[16:19], off, off offset:216
	s_waitcnt vmcnt(10)
	s_clause 0x1
	global_store_b64 v[14:15], v[74:75], off
	global_store_b64 v[20:21], v[76:77], off
	s_waitcnt vmcnt(9)
	s_clause 0x1
	global_store_b64 v[22:23], v[78:79], off
	global_store_b64 v[24:25], v[80:81], off
	;; [unrolled: 4-line block ×9, first 2 shown]
	global_store_b64 v[56:57], v[90:91], off
	global_store_b64 v[60:61], v[92:93], off
	s_waitcnt vmcnt(0)
	s_clause 0x1
	global_store_b64 v[54:55], v[16:17], off
	global_store_b64 v[58:59], v[18:19], off
	s_endpgm
	.section	.rodata,"a",@progbits
	.p2align	6, 0x0
	.amdhsa_kernel _ZN9rocsolver6v33100L18getri_kernel_smallILi29EdPKPdEEvT1_iilPiilS6_bb
		.amdhsa_group_segment_fixed_size 472
		.amdhsa_private_segment_fixed_size 240
		.amdhsa_kernarg_size 60
		.amdhsa_user_sgpr_count 15
		.amdhsa_user_sgpr_dispatch_ptr 0
		.amdhsa_user_sgpr_queue_ptr 0
		.amdhsa_user_sgpr_kernarg_segment_ptr 1
		.amdhsa_user_sgpr_dispatch_id 0
		.amdhsa_user_sgpr_private_segment_size 0
		.amdhsa_wavefront_size32 1
		.amdhsa_uses_dynamic_stack 0
		.amdhsa_enable_private_segment 1
		.amdhsa_system_sgpr_workgroup_id_x 1
		.amdhsa_system_sgpr_workgroup_id_y 0
		.amdhsa_system_sgpr_workgroup_id_z 0
		.amdhsa_system_sgpr_workgroup_info 0
		.amdhsa_system_vgpr_workitem_id 0
		.amdhsa_next_free_vgpr 95
		.amdhsa_next_free_sgpr 17
		.amdhsa_reserve_vcc 1
		.amdhsa_float_round_mode_32 0
		.amdhsa_float_round_mode_16_64 0
		.amdhsa_float_denorm_mode_32 3
		.amdhsa_float_denorm_mode_16_64 3
		.amdhsa_dx10_clamp 1
		.amdhsa_ieee_mode 1
		.amdhsa_fp16_overflow 0
		.amdhsa_workgroup_processor_mode 1
		.amdhsa_memory_ordered 1
		.amdhsa_forward_progress 0
		.amdhsa_shared_vgpr_count 0
		.amdhsa_exception_fp_ieee_invalid_op 0
		.amdhsa_exception_fp_denorm_src 0
		.amdhsa_exception_fp_ieee_div_zero 0
		.amdhsa_exception_fp_ieee_overflow 0
		.amdhsa_exception_fp_ieee_underflow 0
		.amdhsa_exception_fp_ieee_inexact 0
		.amdhsa_exception_int_div_zero 0
	.end_amdhsa_kernel
	.section	.text._ZN9rocsolver6v33100L18getri_kernel_smallILi29EdPKPdEEvT1_iilPiilS6_bb,"axG",@progbits,_ZN9rocsolver6v33100L18getri_kernel_smallILi29EdPKPdEEvT1_iilPiilS6_bb,comdat
.Lfunc_end92:
	.size	_ZN9rocsolver6v33100L18getri_kernel_smallILi29EdPKPdEEvT1_iilPiilS6_bb, .Lfunc_end92-_ZN9rocsolver6v33100L18getri_kernel_smallILi29EdPKPdEEvT1_iilPiilS6_bb
                                        ; -- End function
	.section	.AMDGPU.csdata,"",@progbits
; Kernel info:
; codeLenInByte = 21672
; NumSgprs: 19
; NumVgprs: 95
; ScratchSize: 240
; MemoryBound: 0
; FloatMode: 240
; IeeeMode: 1
; LDSByteSize: 472 bytes/workgroup (compile time only)
; SGPRBlocks: 2
; VGPRBlocks: 11
; NumSGPRsForWavesPerEU: 19
; NumVGPRsForWavesPerEU: 95
; Occupancy: 16
; WaveLimiterHint : 1
; COMPUTE_PGM_RSRC2:SCRATCH_EN: 1
; COMPUTE_PGM_RSRC2:USER_SGPR: 15
; COMPUTE_PGM_RSRC2:TRAP_HANDLER: 0
; COMPUTE_PGM_RSRC2:TGID_X_EN: 1
; COMPUTE_PGM_RSRC2:TGID_Y_EN: 0
; COMPUTE_PGM_RSRC2:TGID_Z_EN: 0
; COMPUTE_PGM_RSRC2:TIDIG_COMP_CNT: 0
	.section	.text._ZN9rocsolver6v33100L18getri_kernel_smallILi30EdPKPdEEvT1_iilPiilS6_bb,"axG",@progbits,_ZN9rocsolver6v33100L18getri_kernel_smallILi30EdPKPdEEvT1_iilPiilS6_bb,comdat
	.globl	_ZN9rocsolver6v33100L18getri_kernel_smallILi30EdPKPdEEvT1_iilPiilS6_bb ; -- Begin function _ZN9rocsolver6v33100L18getri_kernel_smallILi30EdPKPdEEvT1_iilPiilS6_bb
	.p2align	8
	.type	_ZN9rocsolver6v33100L18getri_kernel_smallILi30EdPKPdEEvT1_iilPiilS6_bb,@function
_ZN9rocsolver6v33100L18getri_kernel_smallILi30EdPKPdEEvT1_iilPiilS6_bb: ; @_ZN9rocsolver6v33100L18getri_kernel_smallILi30EdPKPdEEvT1_iilPiilS6_bb
; %bb.0:
	s_mov_b32 s2, exec_lo
	v_cmpx_gt_u32_e32 30, v0
	s_cbranch_execz .LBB93_130
; %bb.1:
	s_clause 0x1
	s_load_b32 s13, s[0:1], 0x38
	s_load_b64 s[2:3], s[0:1], 0x0
	s_mov_b32 s8, s15
	s_load_b128 s[4:7], s[0:1], 0x28
	s_waitcnt lgkmcnt(0)
	s_bitcmp1_b32 s13, 8
	s_cselect_b32 s12, -1, 0
	s_ashr_i32 s9, s15, 31
	s_delay_alu instid0(SALU_CYCLE_1) | instskip(NEXT) | instid1(SALU_CYCLE_1)
	s_lshl_b64 s[10:11], s[8:9], 3
	s_add_u32 s2, s2, s10
	s_addc_u32 s3, s3, s11
	s_load_b64 s[10:11], s[2:3], 0x0
	s_bfe_u32 s2, s13, 0x10008
	s_delay_alu instid0(SALU_CYCLE_1)
	s_cmp_eq_u32 s2, 0
                                        ; implicit-def: $sgpr2_sgpr3
	s_cbranch_scc1 .LBB93_3
; %bb.2:
	s_clause 0x1
	s_load_b32 s2, s[0:1], 0x20
	s_load_b64 s[14:15], s[0:1], 0x18
	s_mul_i32 s3, s8, s5
	s_mul_hi_u32 s5, s8, s4
	s_mul_i32 s16, s9, s4
	s_add_i32 s3, s5, s3
	s_mul_i32 s4, s8, s4
	s_add_i32 s5, s3, s16
	s_delay_alu instid0(SALU_CYCLE_1)
	s_lshl_b64 s[4:5], s[4:5], 2
	s_waitcnt lgkmcnt(0)
	s_ashr_i32 s3, s2, 31
	s_add_u32 s4, s14, s4
	s_addc_u32 s5, s15, s5
	s_lshl_b64 s[2:3], s[2:3], 2
	s_delay_alu instid0(SALU_CYCLE_1)
	s_add_u32 s2, s4, s2
	s_addc_u32 s3, s5, s3
.LBB93_3:
	s_load_b64 s[4:5], s[0:1], 0x8
	v_lshlrev_b32_e32 v3, 3, v0
	s_waitcnt lgkmcnt(0)
	s_ashr_i32 s1, s4, 31
	s_mov_b32 s0, s4
	v_add3_u32 v1, s5, s5, v0
	s_lshl_b64 s[0:1], s[0:1], 3
	s_mov_b32 s14, s5
	s_add_u32 s0, s10, s0
	s_addc_u32 s1, s11, s1
	v_add_co_u32 v6, s4, s0, v3
	s_ashr_i32 s15, s5, 31
	v_add_co_ci_u32_e64 v7, null, s1, 0, s4
	s_lshl_b64 s[10:11], s[14:15], 3
	v_add_nc_u32_e32 v12, s5, v1
	v_add_co_u32 v4, vcc_lo, v6, s10
	v_ashrrev_i32_e32 v2, 31, v1
	v_add_co_ci_u32_e32 v5, vcc_lo, s11, v7, vcc_lo
	s_delay_alu instid0(VALU_DEP_4)
	v_ashrrev_i32_e32 v13, 31, v12
	s_clause 0x1
	global_load_b64 v[34:35], v3, s[0:1]
	global_load_b64 v[36:37], v[4:5], off
	v_lshlrev_b64 v[1:2], 3, v[1:2]
	s_bitcmp0_b32 s13, 0
	v_lshlrev_b64 v[8:9], 3, v[12:13]
	s_delay_alu instid0(VALU_DEP_2) | instskip(NEXT) | instid1(VALU_DEP_3)
	v_add_co_u32 v10, vcc_lo, s0, v1
	v_add_co_ci_u32_e32 v11, vcc_lo, s1, v2, vcc_lo
	s_delay_alu instid0(VALU_DEP_3) | instskip(NEXT) | instid1(VALU_DEP_4)
	v_add_co_u32 v8, vcc_lo, s0, v8
	v_add_co_ci_u32_e32 v9, vcc_lo, s1, v9, vcc_lo
	s_clause 0x1
	global_load_b64 v[38:39], v[10:11], off
	global_load_b64 v[40:41], v[8:9], off
	v_add_nc_u32_e32 v1, s5, v12
	s_delay_alu instid0(VALU_DEP_1) | instskip(SKIP_1) | instid1(VALU_DEP_2)
	v_add_nc_u32_e32 v12, s5, v1
	v_ashrrev_i32_e32 v2, 31, v1
	v_add_nc_u32_e32 v14, s5, v12
	v_ashrrev_i32_e32 v13, 31, v12
	s_delay_alu instid0(VALU_DEP_3) | instskip(NEXT) | instid1(VALU_DEP_3)
	v_lshlrev_b64 v[1:2], 3, v[1:2]
	v_add_nc_u32_e32 v16, s5, v14
	v_ashrrev_i32_e32 v15, 31, v14
	s_delay_alu instid0(VALU_DEP_4) | instskip(NEXT) | instid1(VALU_DEP_4)
	v_lshlrev_b64 v[18:19], 3, v[12:13]
	v_add_co_u32 v12, vcc_lo, s0, v1
	s_delay_alu instid0(VALU_DEP_4) | instskip(SKIP_3) | instid1(VALU_DEP_4)
	v_add_nc_u32_e32 v20, s5, v16
	v_add_co_ci_u32_e32 v13, vcc_lo, s1, v2, vcc_lo
	v_lshlrev_b64 v[1:2], 3, v[14:15]
	v_ashrrev_i32_e32 v17, 31, v16
	v_add_nc_u32_e32 v22, s5, v20
	v_add_co_u32 v14, vcc_lo, s0, v18
	v_ashrrev_i32_e32 v21, 31, v20
	v_add_co_ci_u32_e32 v15, vcc_lo, s1, v19, vcc_lo
	s_delay_alu instid0(VALU_DEP_4) | instskip(SKIP_3) | instid1(VALU_DEP_4)
	v_add_nc_u32_e32 v24, s5, v22
	v_lshlrev_b64 v[16:17], 3, v[16:17]
	v_add_co_u32 v18, vcc_lo, s0, v1
	v_ashrrev_i32_e32 v23, 31, v22
	v_add_nc_u32_e32 v26, s5, v24
	v_add_co_ci_u32_e32 v19, vcc_lo, s1, v2, vcc_lo
	v_lshlrev_b64 v[1:2], 3, v[20:21]
	v_add_co_u32 v16, vcc_lo, s0, v16
	s_delay_alu instid0(VALU_DEP_4)
	v_add_nc_u32_e32 v28, s5, v26
	v_ashrrev_i32_e32 v25, 31, v24
	v_lshlrev_b64 v[22:23], 3, v[22:23]
	s_clause 0x1
	global_load_b64 v[42:43], v[12:13], off
	global_load_b64 v[44:45], v[14:15], off
	v_add_nc_u32_e32 v30, s5, v28
	v_add_co_ci_u32_e32 v17, vcc_lo, s1, v17, vcc_lo
	v_add_co_u32 v20, vcc_lo, s0, v1
	s_delay_alu instid0(VALU_DEP_3) | instskip(SKIP_3) | instid1(VALU_DEP_4)
	v_add_nc_u32_e32 v46, s5, v30
	v_ashrrev_i32_e32 v27, 31, v26
	v_add_co_ci_u32_e32 v21, vcc_lo, s1, v2, vcc_lo
	v_lshlrev_b64 v[1:2], 3, v[24:25]
	v_add_nc_u32_e32 v64, s5, v46
	v_add_co_u32 v22, vcc_lo, s0, v22
	v_lshlrev_b64 v[24:25], 3, v[26:27]
	v_ashrrev_i32_e32 v29, 31, v28
	s_delay_alu instid0(VALU_DEP_4) | instskip(SKIP_2) | instid1(VALU_DEP_3)
	v_add_nc_u32_e32 v72, s5, v64
	v_add_co_ci_u32_e32 v23, vcc_lo, s1, v23, vcc_lo
	v_add_co_u32 v26, vcc_lo, s0, v1
	v_add_nc_u32_e32 v74, s5, v72
	s_clause 0x2
	global_load_b64 v[48:49], v[18:19], off
	global_load_b64 v[50:51], v[16:17], off
	;; [unrolled: 1-line block ×3, first 2 shown]
	v_add_co_ci_u32_e32 v27, vcc_lo, s1, v2, vcc_lo
	v_lshlrev_b64 v[1:2], 3, v[28:29]
	v_add_nc_u32_e32 v76, s5, v74
	global_load_b64 v[54:55], v[22:23], off
	v_ashrrev_i32_e32 v31, 31, v30
	v_add_co_u32 v28, vcc_lo, s0, v24
	v_add_nc_u32_e32 v78, s5, v76
	v_add_co_ci_u32_e32 v29, vcc_lo, s1, v25, vcc_lo
	s_delay_alu instid0(VALU_DEP_4) | instskip(SKIP_1) | instid1(VALU_DEP_4)
	v_lshlrev_b64 v[56:57], 3, v[30:31]
	v_add_co_u32 v30, vcc_lo, s0, v1
	v_add_nc_u32_e32 v80, s5, v78
	v_add_co_ci_u32_e32 v31, vcc_lo, s1, v2, vcc_lo
	v_ashrrev_i32_e32 v47, 31, v46
	v_ashrrev_i32_e32 v65, 31, v64
	s_delay_alu instid0(VALU_DEP_4)
	v_add_nc_u32_e32 v82, s5, v80
	v_ashrrev_i32_e32 v73, 31, v72
	v_ashrrev_i32_e32 v75, 31, v74
	v_lshlrev_b64 v[1:2], 3, v[46:47]
	v_ashrrev_i32_e32 v77, 31, v76
	v_add_nc_u32_e32 v84, s5, v82
	v_ashrrev_i32_e32 v79, 31, v78
	v_ashrrev_i32_e32 v81, 31, v80
	;; [unrolled: 1-line block ×3, first 2 shown]
	v_lshlrev_b64 v[46:47], 3, v[76:77]
	v_add_nc_u32_e32 v86, s5, v84
	v_ashrrev_i32_e32 v85, 31, v84
	s_delay_alu instid0(VALU_DEP_2) | instskip(SKIP_1) | instid1(VALU_DEP_2)
	v_add_nc_u32_e32 v88, s5, v86
	v_ashrrev_i32_e32 v87, 31, v86
	v_add_nc_u32_e32 v90, s5, v88
	v_ashrrev_i32_e32 v89, 31, v88
	s_delay_alu instid0(VALU_DEP_2) | instskip(SKIP_1) | instid1(VALU_DEP_2)
	v_add_nc_u32_e32 v92, s5, v90
	v_ashrrev_i32_e32 v91, 31, v90
	;; [unrolled: 5-line block ×3, first 2 shown]
	v_add_nc_u32_e32 v32, s5, v96
	v_ashrrev_i32_e32 v97, 31, v96
	s_delay_alu instid0(VALU_DEP_2) | instskip(NEXT) | instid1(VALU_DEP_1)
	v_ashrrev_i32_e32 v33, 31, v32
	v_lshlrev_b64 v[24:25], 3, v[32:33]
	s_delay_alu instid0(VALU_DEP_1) | instskip(NEXT) | instid1(VALU_DEP_2)
	v_add_co_u32 v24, vcc_lo, s0, v24
	v_add_co_ci_u32_e32 v25, vcc_lo, s1, v25, vcc_lo
	v_add_co_u32 v32, vcc_lo, s0, v56
	v_add_co_ci_u32_e32 v33, vcc_lo, s1, v57, vcc_lo
	global_load_b64 v[66:67], v[24:25], off
	s_waitcnt vmcnt(9)
	scratch_store_b128 off, v[34:37], off
	s_clause 0x3
	global_load_b64 v[56:57], v[26:27], off
	global_load_b64 v[58:59], v[28:29], off
	;; [unrolled: 1-line block ×4, first 2 shown]
	v_lshlrev_b64 v[36:37], 3, v[64:65]
	v_add_co_u32 v34, vcc_lo, s0, v1
	v_add_co_ci_u32_e32 v35, vcc_lo, s1, v2, vcc_lo
	v_lshlrev_b64 v[1:2], 3, v[72:73]
	s_delay_alu instid0(VALU_DEP_4)
	v_add_co_u32 v36, vcc_lo, s0, v36
	v_add_co_ci_u32_e32 v37, vcc_lo, s1, v37, vcc_lo
	v_lshlrev_b64 v[64:65], 3, v[84:85]
	s_waitcnt vmcnt(11)
	scratch_store_b128 off, v[38:41], off offset:16
	s_clause 0x1
	global_load_b64 v[68:69], v[34:35], off
	global_load_b64 v[70:71], v[36:37], off
	v_add_co_u32 v38, vcc_lo, s0, v1
	v_add_co_ci_u32_e32 v39, vcc_lo, s1, v2, vcc_lo
	v_lshlrev_b64 v[1:2], 3, v[74:75]
	global_load_b64 v[72:73], v[38:39], off
	v_add_co_u32 v40, vcc_lo, s0, v1
	v_add_co_ci_u32_e32 v41, vcc_lo, s1, v2, vcc_lo
	v_lshlrev_b64 v[1:2], 3, v[78:79]
	s_waitcnt vmcnt(12)
	scratch_store_b128 off, v[42:45], off offset:32
	v_add_co_u32 v42, vcc_lo, s0, v46
	v_add_co_ci_u32_e32 v43, vcc_lo, s1, v47, vcc_lo
	v_lshlrev_b64 v[46:47], 3, v[80:81]
	v_add_co_u32 v44, vcc_lo, s0, v1
	v_add_co_ci_u32_e32 v45, vcc_lo, s1, v2, vcc_lo
	v_lshlrev_b64 v[1:2], 3, v[82:83]
	s_delay_alu instid0(VALU_DEP_4)
	v_add_co_u32 v46, vcc_lo, s0, v46
	v_add_co_ci_u32_e32 v47, vcc_lo, s1, v47, vcc_lo
	s_waitcnt vmcnt(10)
	scratch_store_b128 off, v[48:51], off offset:48
	s_waitcnt vmcnt(8)
	scratch_store_b128 off, v[52:55], off offset:64
	v_add_co_u32 v48, vcc_lo, s0, v1
	v_add_co_ci_u32_e32 v49, vcc_lo, s1, v2, vcc_lo
	v_lshlrev_b64 v[1:2], 3, v[86:87]
	v_add_co_u32 v50, vcc_lo, s0, v64
	v_add_co_ci_u32_e32 v51, vcc_lo, s1, v65, vcc_lo
	v_lshlrev_b64 v[54:55], 3, v[88:89]
	s_delay_alu instid0(VALU_DEP_4) | instskip(SKIP_2) | instid1(VALU_DEP_4)
	v_add_co_u32 v52, vcc_lo, s0, v1
	v_add_co_ci_u32_e32 v53, vcc_lo, s1, v2, vcc_lo
	v_lshlrev_b64 v[1:2], 3, v[90:91]
	v_add_co_u32 v54, vcc_lo, s0, v54
	v_add_co_ci_u32_e32 v55, vcc_lo, s1, v55, vcc_lo
	v_lshlrev_b64 v[64:65], 3, v[92:93]
	s_clause 0x3
	global_load_b64 v[74:75], v[40:41], off
	global_load_b64 v[76:77], v[42:43], off
	;; [unrolled: 1-line block ×4, first 2 shown]
	s_waitcnt vmcnt(9)
	scratch_store_b128 off, v[56:59], off offset:80
	s_waitcnt vmcnt(7)
	scratch_store_b128 off, v[60:63], off offset:96
	v_add_co_u32 v56, vcc_lo, s0, v1
	v_add_co_ci_u32_e32 v57, vcc_lo, s1, v2, vcc_lo
	v_lshlrev_b64 v[1:2], 3, v[94:95]
	v_add_co_u32 v58, vcc_lo, s0, v64
	v_lshlrev_b64 v[62:63], 3, v[96:97]
	v_add_co_ci_u32_e32 v59, vcc_lo, s1, v65, vcc_lo
	s_delay_alu instid0(VALU_DEP_4) | instskip(SKIP_1) | instid1(VALU_DEP_4)
	v_add_co_u32 v60, vcc_lo, s0, v1
	v_add_co_ci_u32_e32 v61, vcc_lo, s1, v2, vcc_lo
	v_add_co_u32 v62, vcc_lo, s0, v62
	v_add_co_ci_u32_e32 v63, vcc_lo, s1, v63, vcc_lo
	s_clause 0x3
	global_load_b64 v[82:83], v[48:49], off
	global_load_b64 v[84:85], v[50:51], off
	;; [unrolled: 1-line block ×4, first 2 shown]
	s_waitcnt vmcnt(9)
	scratch_store_b128 off, v[68:71], off offset:112
	s_clause 0x3
	global_load_b64 v[90:91], v[56:57], off
	global_load_b64 v[68:69], v[58:59], off
	;; [unrolled: 1-line block ×4, first 2 shown]
	s_mov_b32 s1, -1
	s_waitcnt vmcnt(11)
	scratch_store_b128 off, v[72:75], off offset:128
	s_waitcnt vmcnt(9)
	scratch_store_b128 off, v[76:79], off offset:144
	;; [unrolled: 2-line block ×7, first 2 shown]
	s_cbranch_scc1 .LBB93_128
; %bb.4:
	v_cmp_eq_u32_e64 s0, 0, v0
	s_delay_alu instid0(VALU_DEP_1)
	s_and_saveexec_b32 s1, s0
	s_cbranch_execz .LBB93_6
; %bb.5:
	v_mov_b32_e32 v1, 0
	ds_store_b32 v1, v1 offset:480
.LBB93_6:
	s_or_b32 exec_lo, exec_lo, s1
	s_waitcnt lgkmcnt(0)
	s_waitcnt_vscnt null, 0x0
	s_barrier
	buffer_gl0_inv
	scratch_load_b64 v[1:2], v3, off
	s_mov_b32 s4, exec_lo
	s_waitcnt vmcnt(0)
	v_cmpx_eq_f64_e32 0, v[1:2]
	s_cbranch_execz .LBB93_10
; %bb.7:
	v_mov_b32_e32 v1, 0
	s_mov_b32 s5, 0
	ds_load_b32 v2, v1 offset:480
	s_waitcnt lgkmcnt(0)
	v_readfirstlane_b32 s1, v2
	v_add_nc_u32_e32 v2, 1, v0
	s_delay_alu instid0(VALU_DEP_2) | instskip(NEXT) | instid1(VALU_DEP_1)
	s_cmp_eq_u32 s1, 0
	v_cmp_gt_i32_e32 vcc_lo, s1, v2
	s_cselect_b32 s10, -1, 0
	s_delay_alu instid0(SALU_CYCLE_1) | instskip(NEXT) | instid1(SALU_CYCLE_1)
	s_or_b32 s10, s10, vcc_lo
	s_and_b32 exec_lo, exec_lo, s10
	s_cbranch_execz .LBB93_10
; %bb.8:
	v_mov_b32_e32 v64, s1
.LBB93_9:                               ; =>This Inner Loop Header: Depth=1
	ds_cmpstore_rtn_b32 v64, v1, v2, v64 offset:480
	s_waitcnt lgkmcnt(0)
	v_cmp_ne_u32_e32 vcc_lo, 0, v64
	v_cmp_le_i32_e64 s1, v64, v2
	s_delay_alu instid0(VALU_DEP_1) | instskip(NEXT) | instid1(SALU_CYCLE_1)
	s_and_b32 s1, vcc_lo, s1
	s_and_b32 s1, exec_lo, s1
	s_delay_alu instid0(SALU_CYCLE_1) | instskip(NEXT) | instid1(SALU_CYCLE_1)
	s_or_b32 s5, s1, s5
	s_and_not1_b32 exec_lo, exec_lo, s5
	s_cbranch_execnz .LBB93_9
.LBB93_10:
	s_or_b32 exec_lo, exec_lo, s4
	v_mov_b32_e32 v1, 0
	s_barrier
	buffer_gl0_inv
	ds_load_b32 v2, v1 offset:480
	s_and_saveexec_b32 s1, s0
	s_cbranch_execz .LBB93_12
; %bb.11:
	s_lshl_b64 s[4:5], s[8:9], 2
	s_delay_alu instid0(SALU_CYCLE_1)
	s_add_u32 s4, s6, s4
	s_addc_u32 s5, s7, s5
	s_waitcnt lgkmcnt(0)
	global_store_b32 v1, v2, s[4:5]
.LBB93_12:
	s_or_b32 exec_lo, exec_lo, s1
	s_waitcnt lgkmcnt(0)
	v_cmp_ne_u32_e32 vcc_lo, 0, v2
	s_mov_b32 s1, 0
	s_cbranch_vccnz .LBB93_128
; %bb.13:
	v_add_nc_u32_e32 v64, 0, v3
	scratch_load_b64 v[1:2], v64, off
	s_waitcnt vmcnt(0)
	v_div_scale_f64 v[65:66], null, v[1:2], v[1:2], 1.0
	v_div_scale_f64 v[71:72], vcc_lo, 1.0, v[1:2], 1.0
	s_delay_alu instid0(VALU_DEP_2) | instskip(SKIP_2) | instid1(VALU_DEP_1)
	v_rcp_f64_e32 v[67:68], v[65:66]
	s_waitcnt_depctr 0xfff
	v_fma_f64 v[69:70], -v[65:66], v[67:68], 1.0
	v_fma_f64 v[67:68], v[67:68], v[69:70], v[67:68]
	s_delay_alu instid0(VALU_DEP_1) | instskip(NEXT) | instid1(VALU_DEP_1)
	v_fma_f64 v[69:70], -v[65:66], v[67:68], 1.0
	v_fma_f64 v[67:68], v[67:68], v[69:70], v[67:68]
	s_delay_alu instid0(VALU_DEP_1) | instskip(NEXT) | instid1(VALU_DEP_1)
	v_mul_f64 v[69:70], v[71:72], v[67:68]
	v_fma_f64 v[65:66], -v[65:66], v[69:70], v[71:72]
	s_delay_alu instid0(VALU_DEP_1) | instskip(NEXT) | instid1(VALU_DEP_1)
	v_div_fmas_f64 v[65:66], v[65:66], v[67:68], v[69:70]
	v_div_fixup_f64 v[1:2], v[65:66], v[1:2], 1.0
	v_add_nc_u32_e32 v65, 0xf0, v3
	scratch_store_b64 v64, v[1:2], off
	scratch_load_b64 v[66:67], off, off offset:8
	v_xor_b32_e32 v2, 0x80000000, v2
	s_waitcnt vmcnt(0)
	ds_store_2addr_b64 v3, v[1:2], v[66:67] offset1:30
	s_waitcnt lgkmcnt(0)
	s_waitcnt_vscnt null, 0x0
	s_barrier
	buffer_gl0_inv
	s_and_saveexec_b32 s1, s0
	s_cbranch_execz .LBB93_15
; %bb.14:
	scratch_load_b64 v[1:2], v64, off
	ds_load_b64 v[66:67], v65
	s_waitcnt vmcnt(0) lgkmcnt(0)
	v_fma_f64 v[1:2], v[1:2], v[66:67], 0
	v_mov_b32_e32 v66, 0
	ds_load_b64 v[66:67], v66 offset:8
	s_waitcnt lgkmcnt(0)
	v_mul_f64 v[1:2], v[1:2], v[66:67]
	scratch_store_b64 off, v[1:2], off offset:8
.LBB93_15:
	s_or_b32 exec_lo, exec_lo, s1
	s_waitcnt_vscnt null, 0x0
	s_barrier
	buffer_gl0_inv
	scratch_load_b64 v[1:2], off, off offset:16
	s_mov_b32 s1, exec_lo
	s_waitcnt vmcnt(0)
	ds_store_b64 v65, v[1:2]
	s_waitcnt lgkmcnt(0)
	s_barrier
	buffer_gl0_inv
	v_cmpx_gt_u32_e32 2, v0
	s_cbranch_execz .LBB93_19
; %bb.16:
	scratch_load_b64 v[1:2], v64, off
	ds_load_b64 v[66:67], v65
	s_waitcnt vmcnt(0) lgkmcnt(0)
	v_fma_f64 v[1:2], v[1:2], v[66:67], 0
	s_and_saveexec_b32 s4, s0
	s_cbranch_execz .LBB93_18
; %bb.17:
	scratch_load_b64 v[66:67], off, off offset:8
	v_mov_b32_e32 v68, 0
	ds_load_b64 v[68:69], v68 offset:248
	s_waitcnt vmcnt(0) lgkmcnt(0)
	v_fma_f64 v[1:2], v[66:67], v[68:69], v[1:2]
.LBB93_18:
	s_or_b32 exec_lo, exec_lo, s4
	v_mov_b32_e32 v66, 0
	ds_load_b64 v[66:67], v66 offset:16
	s_waitcnt lgkmcnt(0)
	v_mul_f64 v[1:2], v[1:2], v[66:67]
	scratch_store_b64 off, v[1:2], off offset:16
.LBB93_19:
	s_or_b32 exec_lo, exec_lo, s1
	s_waitcnt_vscnt null, 0x0
	s_barrier
	buffer_gl0_inv
	scratch_load_b64 v[1:2], off, off offset:24
	v_add_nc_u32_e32 v66, -1, v0
	s_mov_b32 s0, exec_lo
	s_waitcnt vmcnt(0)
	ds_store_b64 v65, v[1:2]
	s_waitcnt lgkmcnt(0)
	s_barrier
	buffer_gl0_inv
	v_cmpx_gt_u32_e32 3, v0
	s_cbranch_execz .LBB93_23
; %bb.20:
	v_dual_mov_b32 v1, 0 :: v_dual_add_nc_u32 v68, 0xf0, v3
	v_dual_mov_b32 v2, 0 :: v_dual_add_nc_u32 v67, -1, v0
	v_add_nc_u32_e32 v69, 0, v3
	s_mov_b32 s1, 0
.LBB93_21:                              ; =>This Inner Loop Header: Depth=1
	scratch_load_b64 v[70:71], v69, off
	ds_load_b64 v[72:73], v68
	v_add_nc_u32_e32 v67, 1, v67
	v_add_nc_u32_e32 v68, 8, v68
	v_add_nc_u32_e32 v69, 8, v69
	s_delay_alu instid0(VALU_DEP_3)
	v_cmp_lt_u32_e32 vcc_lo, 1, v67
	s_or_b32 s1, vcc_lo, s1
	s_waitcnt vmcnt(0) lgkmcnt(0)
	v_fma_f64 v[1:2], v[70:71], v[72:73], v[1:2]
	s_and_not1_b32 exec_lo, exec_lo, s1
	s_cbranch_execnz .LBB93_21
; %bb.22:
	s_or_b32 exec_lo, exec_lo, s1
	v_mov_b32_e32 v67, 0
	ds_load_b64 v[67:68], v67 offset:24
	s_waitcnt lgkmcnt(0)
	v_mul_f64 v[1:2], v[1:2], v[67:68]
	scratch_store_b64 off, v[1:2], off offset:24
.LBB93_23:
	s_or_b32 exec_lo, exec_lo, s0
	s_waitcnt_vscnt null, 0x0
	s_barrier
	buffer_gl0_inv
	scratch_load_b64 v[1:2], off, off offset:32
	s_mov_b32 s0, exec_lo
	s_waitcnt vmcnt(0)
	ds_store_b64 v65, v[1:2]
	s_waitcnt lgkmcnt(0)
	s_barrier
	buffer_gl0_inv
	v_cmpx_gt_u32_e32 4, v0
	s_cbranch_execz .LBB93_27
; %bb.24:
	v_dual_mov_b32 v1, 0 :: v_dual_add_nc_u32 v68, 0xf0, v3
	v_dual_mov_b32 v2, 0 :: v_dual_add_nc_u32 v67, -1, v0
	v_add_nc_u32_e32 v69, 0, v3
	s_mov_b32 s1, 0
.LBB93_25:                              ; =>This Inner Loop Header: Depth=1
	scratch_load_b64 v[70:71], v69, off
	ds_load_b64 v[72:73], v68
	v_add_nc_u32_e32 v67, 1, v67
	v_add_nc_u32_e32 v68, 8, v68
	v_add_nc_u32_e32 v69, 8, v69
	s_delay_alu instid0(VALU_DEP_3)
	v_cmp_lt_u32_e32 vcc_lo, 2, v67
	s_or_b32 s1, vcc_lo, s1
	s_waitcnt vmcnt(0) lgkmcnt(0)
	v_fma_f64 v[1:2], v[70:71], v[72:73], v[1:2]
	s_and_not1_b32 exec_lo, exec_lo, s1
	s_cbranch_execnz .LBB93_25
; %bb.26:
	s_or_b32 exec_lo, exec_lo, s1
	v_mov_b32_e32 v67, 0
	ds_load_b64 v[67:68], v67 offset:32
	s_waitcnt lgkmcnt(0)
	v_mul_f64 v[1:2], v[1:2], v[67:68]
	scratch_store_b64 off, v[1:2], off offset:32
.LBB93_27:
	s_or_b32 exec_lo, exec_lo, s0
	s_waitcnt_vscnt null, 0x0
	s_barrier
	buffer_gl0_inv
	scratch_load_b64 v[1:2], off, off offset:40
	;; [unrolled: 39-line block ×20, first 2 shown]
	s_mov_b32 s0, exec_lo
	s_waitcnt vmcnt(0)
	ds_store_b64 v65, v[1:2]
	s_waitcnt lgkmcnt(0)
	s_barrier
	buffer_gl0_inv
	v_cmpx_gt_u32_e32 23, v0
	s_cbranch_execz .LBB93_103
; %bb.100:
	v_dual_mov_b32 v1, 0 :: v_dual_add_nc_u32 v68, 0xf0, v3
	v_dual_mov_b32 v2, 0 :: v_dual_add_nc_u32 v67, -1, v0
	v_add_nc_u32_e32 v69, 0, v3
	s_mov_b32 s1, 0
.LBB93_101:                             ; =>This Inner Loop Header: Depth=1
	scratch_load_b64 v[70:71], v69, off
	ds_load_b64 v[72:73], v68
	v_add_nc_u32_e32 v67, 1, v67
	v_add_nc_u32_e32 v68, 8, v68
	v_add_nc_u32_e32 v69, 8, v69
	s_delay_alu instid0(VALU_DEP_3)
	v_cmp_lt_u32_e32 vcc_lo, 21, v67
	s_or_b32 s1, vcc_lo, s1
	s_waitcnt vmcnt(0) lgkmcnt(0)
	v_fma_f64 v[1:2], v[70:71], v[72:73], v[1:2]
	s_and_not1_b32 exec_lo, exec_lo, s1
	s_cbranch_execnz .LBB93_101
; %bb.102:
	s_or_b32 exec_lo, exec_lo, s1
	v_mov_b32_e32 v67, 0
	ds_load_b64 v[67:68], v67 offset:184
	s_waitcnt lgkmcnt(0)
	v_mul_f64 v[1:2], v[1:2], v[67:68]
	scratch_store_b64 off, v[1:2], off offset:184
.LBB93_103:
	s_or_b32 exec_lo, exec_lo, s0
	s_waitcnt_vscnt null, 0x0
	s_barrier
	buffer_gl0_inv
	scratch_load_b64 v[1:2], off, off offset:192
	s_mov_b32 s0, exec_lo
	s_waitcnt vmcnt(0)
	ds_store_b64 v65, v[1:2]
	s_waitcnt lgkmcnt(0)
	s_barrier
	buffer_gl0_inv
	v_cmpx_gt_u32_e32 24, v0
	s_cbranch_execz .LBB93_107
; %bb.104:
	v_dual_mov_b32 v1, 0 :: v_dual_add_nc_u32 v68, 0xf0, v3
	v_dual_mov_b32 v2, 0 :: v_dual_add_nc_u32 v67, -1, v0
	v_add_nc_u32_e32 v69, 0, v3
	s_mov_b32 s1, 0
.LBB93_105:                             ; =>This Inner Loop Header: Depth=1
	scratch_load_b64 v[70:71], v69, off
	ds_load_b64 v[72:73], v68
	v_add_nc_u32_e32 v67, 1, v67
	v_add_nc_u32_e32 v68, 8, v68
	v_add_nc_u32_e32 v69, 8, v69
	s_delay_alu instid0(VALU_DEP_3)
	v_cmp_lt_u32_e32 vcc_lo, 22, v67
	s_or_b32 s1, vcc_lo, s1
	s_waitcnt vmcnt(0) lgkmcnt(0)
	v_fma_f64 v[1:2], v[70:71], v[72:73], v[1:2]
	s_and_not1_b32 exec_lo, exec_lo, s1
	s_cbranch_execnz .LBB93_105
; %bb.106:
	s_or_b32 exec_lo, exec_lo, s1
	v_mov_b32_e32 v67, 0
	ds_load_b64 v[67:68], v67 offset:192
	s_waitcnt lgkmcnt(0)
	v_mul_f64 v[1:2], v[1:2], v[67:68]
	scratch_store_b64 off, v[1:2], off offset:192
.LBB93_107:
	s_or_b32 exec_lo, exec_lo, s0
	s_waitcnt_vscnt null, 0x0
	s_barrier
	buffer_gl0_inv
	scratch_load_b64 v[1:2], off, off offset:200
	;; [unrolled: 39-line block ×6, first 2 shown]
	s_mov_b32 s0, exec_lo
	s_waitcnt vmcnt(0)
	ds_store_b64 v65, v[1:2]
	s_waitcnt lgkmcnt(0)
	s_barrier
	buffer_gl0_inv
	v_cmpx_ne_u32_e32 29, v0
	s_cbranch_execz .LBB93_127
; %bb.124:
	v_mov_b32_e32 v1, 0
	v_mov_b32_e32 v2, 0
	s_mov_b32 s1, 0
.LBB93_125:                             ; =>This Inner Loop Header: Depth=1
	scratch_load_b64 v[67:68], v64, off
	ds_load_b64 v[69:70], v65
	v_add_nc_u32_e32 v66, 1, v66
	v_add_nc_u32_e32 v65, 8, v65
	;; [unrolled: 1-line block ×3, first 2 shown]
	s_delay_alu instid0(VALU_DEP_3)
	v_cmp_lt_u32_e32 vcc_lo, 27, v66
	s_or_b32 s1, vcc_lo, s1
	s_waitcnt vmcnt(0) lgkmcnt(0)
	v_fma_f64 v[1:2], v[67:68], v[69:70], v[1:2]
	s_and_not1_b32 exec_lo, exec_lo, s1
	s_cbranch_execnz .LBB93_125
; %bb.126:
	s_or_b32 exec_lo, exec_lo, s1
	v_mov_b32_e32 v3, 0
	ds_load_b64 v[64:65], v3 offset:232
	s_waitcnt lgkmcnt(0)
	v_mul_f64 v[1:2], v[1:2], v[64:65]
	scratch_store_b64 off, v[1:2], off offset:232
.LBB93_127:
	s_or_b32 exec_lo, exec_lo, s0
	s_mov_b32 s1, -1
	s_waitcnt_vscnt null, 0x0
	s_barrier
	buffer_gl0_inv
.LBB93_128:
	s_and_b32 vcc_lo, exec_lo, s1
	s_cbranch_vccz .LBB93_130
; %bb.129:
	s_lshl_b64 s[0:1], s[8:9], 2
	v_mov_b32_e32 v1, 0
	s_add_u32 s0, s6, s0
	s_addc_u32 s1, s7, s1
	global_load_b32 v1, v1, s[0:1]
	s_waitcnt vmcnt(0)
	v_cmp_ne_u32_e32 vcc_lo, 0, v1
	s_cbranch_vccz .LBB93_131
.LBB93_130:
	s_endpgm
.LBB93_131:
	v_lshl_add_u32 v3, v0, 3, 0xf0
	s_mov_b32 s0, exec_lo
	v_cmpx_eq_u32_e32 29, v0
	s_cbranch_execz .LBB93_133
; %bb.132:
	scratch_load_b64 v[1:2], off, off offset:224
	v_mov_b32_e32 v64, 0
	s_delay_alu instid0(VALU_DEP_1)
	v_mov_b32_e32 v65, v64
	scratch_store_b64 off, v[64:65], off offset:224
	s_waitcnt vmcnt(0)
	ds_store_b64 v3, v[1:2]
.LBB93_133:
	s_or_b32 exec_lo, exec_lo, s0
	s_waitcnt lgkmcnt(0)
	s_waitcnt_vscnt null, 0x0
	s_barrier
	buffer_gl0_inv
	scratch_load_b128 v[64:67], off, off offset:224
	v_mov_b32_e32 v1, 0
	s_mov_b32 s0, exec_lo
	ds_load_b64 v[68:69], v1 offset:472
	s_waitcnt vmcnt(0) lgkmcnt(0)
	v_fma_f64 v[66:67], v[66:67], v[68:69], 0
	s_delay_alu instid0(VALU_DEP_1)
	v_add_f64 v[64:65], v[64:65], -v[66:67]
	scratch_store_b64 off, v[64:65], off offset:224
	v_cmpx_lt_u32_e32 27, v0
	s_cbranch_execz .LBB93_135
; %bb.134:
	scratch_load_b64 v[64:65], off, off offset:216
	v_mov_b32_e32 v2, v1
	scratch_store_b64 off, v[1:2], off offset:216
	s_waitcnt vmcnt(0)
	ds_store_b64 v3, v[64:65]
.LBB93_135:
	s_or_b32 exec_lo, exec_lo, s0
	s_waitcnt lgkmcnt(0)
	s_waitcnt_vscnt null, 0x0
	s_barrier
	buffer_gl0_inv
	s_clause 0x1
	scratch_load_b128 v[64:67], off, off offset:216
	scratch_load_b64 v[72:73], off, off offset:232
	ds_load_b128 v[68:71], v1 offset:464
	s_mov_b32 s0, exec_lo
	s_waitcnt vmcnt(1) lgkmcnt(0)
	v_fma_f64 v[1:2], v[66:67], v[68:69], 0
	s_waitcnt vmcnt(0)
	s_delay_alu instid0(VALU_DEP_1) | instskip(NEXT) | instid1(VALU_DEP_1)
	v_fma_f64 v[1:2], v[72:73], v[70:71], v[1:2]
	v_add_f64 v[1:2], v[64:65], -v[1:2]
	scratch_store_b64 off, v[1:2], off offset:216
	v_cmpx_lt_u32_e32 26, v0
	s_cbranch_execz .LBB93_137
; %bb.136:
	scratch_load_b64 v[1:2], off, off offset:208
	v_mov_b32_e32 v64, 0
	s_delay_alu instid0(VALU_DEP_1)
	v_mov_b32_e32 v65, v64
	scratch_store_b64 off, v[64:65], off offset:208
	s_waitcnt vmcnt(0)
	ds_store_b64 v3, v[1:2]
.LBB93_137:
	s_or_b32 exec_lo, exec_lo, s0
	s_waitcnt lgkmcnt(0)
	s_waitcnt_vscnt null, 0x0
	s_barrier
	buffer_gl0_inv
	s_clause 0x1
	scratch_load_b128 v[64:67], off, off offset:208
	scratch_load_b128 v[68:71], off, off offset:224
	v_mov_b32_e32 v1, 0
	ds_load_2addr_b64 v[72:75], v1 offset0:57 offset1:58
	ds_load_b64 v[76:77], v1 offset:472
	s_mov_b32 s0, exec_lo
	s_waitcnt vmcnt(1) lgkmcnt(1)
	v_fma_f64 v[66:67], v[66:67], v[72:73], 0
	s_waitcnt vmcnt(0)
	s_delay_alu instid0(VALU_DEP_1) | instskip(SKIP_1) | instid1(VALU_DEP_1)
	v_fma_f64 v[66:67], v[68:69], v[74:75], v[66:67]
	s_waitcnt lgkmcnt(0)
	v_fma_f64 v[66:67], v[70:71], v[76:77], v[66:67]
	s_delay_alu instid0(VALU_DEP_1)
	v_add_f64 v[64:65], v[64:65], -v[66:67]
	scratch_store_b64 off, v[64:65], off offset:208
	v_cmpx_lt_u32_e32 25, v0
	s_cbranch_execz .LBB93_139
; %bb.138:
	scratch_load_b64 v[64:65], off, off offset:200
	v_mov_b32_e32 v2, v1
	scratch_store_b64 off, v[1:2], off offset:200
	s_waitcnt vmcnt(0)
	ds_store_b64 v3, v[64:65]
.LBB93_139:
	s_or_b32 exec_lo, exec_lo, s0
	s_waitcnt lgkmcnt(0)
	s_waitcnt_vscnt null, 0x0
	s_barrier
	buffer_gl0_inv
	s_clause 0x2
	scratch_load_b128 v[64:67], off, off offset:200
	scratch_load_b128 v[68:71], off, off offset:216
	scratch_load_b64 v[80:81], off, off offset:232
	ds_load_b128 v[72:75], v1 offset:448
	ds_load_b128 v[76:79], v1 offset:464
	s_mov_b32 s0, exec_lo
	s_waitcnt vmcnt(2) lgkmcnt(1)
	v_fma_f64 v[1:2], v[66:67], v[72:73], 0
	s_waitcnt vmcnt(1)
	s_delay_alu instid0(VALU_DEP_1) | instskip(SKIP_1) | instid1(VALU_DEP_1)
	v_fma_f64 v[1:2], v[68:69], v[74:75], v[1:2]
	s_waitcnt lgkmcnt(0)
	v_fma_f64 v[1:2], v[70:71], v[76:77], v[1:2]
	s_waitcnt vmcnt(0)
	s_delay_alu instid0(VALU_DEP_1) | instskip(NEXT) | instid1(VALU_DEP_1)
	v_fma_f64 v[1:2], v[80:81], v[78:79], v[1:2]
	v_add_f64 v[1:2], v[64:65], -v[1:2]
	scratch_store_b64 off, v[1:2], off offset:200
	v_cmpx_lt_u32_e32 24, v0
	s_cbranch_execz .LBB93_141
; %bb.140:
	scratch_load_b64 v[1:2], off, off offset:192
	v_mov_b32_e32 v64, 0
	s_delay_alu instid0(VALU_DEP_1)
	v_mov_b32_e32 v65, v64
	scratch_store_b64 off, v[64:65], off offset:192
	s_waitcnt vmcnt(0)
	ds_store_b64 v3, v[1:2]
.LBB93_141:
	s_or_b32 exec_lo, exec_lo, s0
	s_waitcnt lgkmcnt(0)
	s_waitcnt_vscnt null, 0x0
	s_barrier
	buffer_gl0_inv
	s_clause 0x2
	scratch_load_b128 v[64:67], off, off offset:192
	scratch_load_b128 v[68:71], off, off offset:208
	;; [unrolled: 1-line block ×3, first 2 shown]
	v_mov_b32_e32 v1, 0
	ds_load_2addr_b64 v[76:79], v1 offset0:55 offset1:56
	ds_load_2addr_b64 v[80:83], v1 offset0:57 offset1:58
	s_mov_b32 s0, exec_lo
	s_waitcnt vmcnt(2) lgkmcnt(1)
	v_fma_f64 v[66:67], v[66:67], v[76:77], 0
	s_waitcnt vmcnt(1)
	s_delay_alu instid0(VALU_DEP_1) | instskip(SKIP_4) | instid1(VALU_DEP_1)
	v_fma_f64 v[66:67], v[68:69], v[78:79], v[66:67]
	ds_load_b64 v[68:69], v1 offset:472
	s_waitcnt lgkmcnt(1)
	v_fma_f64 v[66:67], v[70:71], v[80:81], v[66:67]
	s_waitcnt vmcnt(0)
	v_fma_f64 v[66:67], v[72:73], v[82:83], v[66:67]
	s_waitcnt lgkmcnt(0)
	s_delay_alu instid0(VALU_DEP_1) | instskip(NEXT) | instid1(VALU_DEP_1)
	v_fma_f64 v[66:67], v[74:75], v[68:69], v[66:67]
	v_add_f64 v[64:65], v[64:65], -v[66:67]
	scratch_store_b64 off, v[64:65], off offset:192
	v_cmpx_lt_u32_e32 23, v0
	s_cbranch_execz .LBB93_143
; %bb.142:
	scratch_load_b64 v[64:65], off, off offset:184
	v_mov_b32_e32 v2, v1
	scratch_store_b64 off, v[1:2], off offset:184
	s_waitcnt vmcnt(0)
	ds_store_b64 v3, v[64:65]
.LBB93_143:
	s_or_b32 exec_lo, exec_lo, s0
	s_waitcnt lgkmcnt(0)
	s_waitcnt_vscnt null, 0x0
	s_barrier
	buffer_gl0_inv
	s_clause 0x3
	scratch_load_b128 v[64:67], off, off offset:184
	scratch_load_b128 v[68:71], off, off offset:200
	scratch_load_b128 v[72:75], off, off offset:216
	scratch_load_b64 v[84:85], off, off offset:232
	ds_load_b128 v[76:79], v1 offset:432
	ds_load_b128 v[80:83], v1 offset:448
	s_mov_b32 s0, exec_lo
	s_waitcnt vmcnt(3) lgkmcnt(1)
	v_fma_f64 v[66:67], v[66:67], v[76:77], 0
	s_waitcnt vmcnt(2)
	s_delay_alu instid0(VALU_DEP_1) | instskip(SKIP_1) | instid1(VALU_DEP_1)
	v_fma_f64 v[66:67], v[68:69], v[78:79], v[66:67]
	s_waitcnt lgkmcnt(0)
	v_fma_f64 v[66:67], v[70:71], v[80:81], v[66:67]
	s_waitcnt vmcnt(1)
	s_delay_alu instid0(VALU_DEP_1) | instskip(SKIP_4) | instid1(VALU_DEP_1)
	v_fma_f64 v[70:71], v[72:73], v[82:83], v[66:67]
	ds_load_b128 v[66:69], v1 offset:464
	s_waitcnt lgkmcnt(0)
	v_fma_f64 v[1:2], v[74:75], v[66:67], v[70:71]
	s_waitcnt vmcnt(0)
	v_fma_f64 v[1:2], v[84:85], v[68:69], v[1:2]
	s_delay_alu instid0(VALU_DEP_1)
	v_add_f64 v[1:2], v[64:65], -v[1:2]
	scratch_store_b64 off, v[1:2], off offset:184
	v_cmpx_lt_u32_e32 22, v0
	s_cbranch_execz .LBB93_145
; %bb.144:
	scratch_load_b64 v[1:2], off, off offset:176
	v_mov_b32_e32 v64, 0
	s_delay_alu instid0(VALU_DEP_1)
	v_mov_b32_e32 v65, v64
	scratch_store_b64 off, v[64:65], off offset:176
	s_waitcnt vmcnt(0)
	ds_store_b64 v3, v[1:2]
.LBB93_145:
	s_or_b32 exec_lo, exec_lo, s0
	s_waitcnt lgkmcnt(0)
	s_waitcnt_vscnt null, 0x0
	s_barrier
	buffer_gl0_inv
	s_clause 0x3
	scratch_load_b128 v[64:67], off, off offset:176
	scratch_load_b128 v[68:71], off, off offset:192
	;; [unrolled: 1-line block ×4, first 2 shown]
	v_mov_b32_e32 v1, 0
	ds_load_2addr_b64 v[80:83], v1 offset0:53 offset1:54
	ds_load_2addr_b64 v[84:87], v1 offset0:55 offset1:56
	s_mov_b32 s0, exec_lo
	s_waitcnt vmcnt(3) lgkmcnt(1)
	v_fma_f64 v[66:67], v[66:67], v[80:81], 0
	s_waitcnt vmcnt(2)
	s_delay_alu instid0(VALU_DEP_1) | instskip(SKIP_1) | instid1(VALU_DEP_1)
	v_fma_f64 v[66:67], v[68:69], v[82:83], v[66:67]
	s_waitcnt lgkmcnt(0)
	v_fma_f64 v[66:67], v[70:71], v[84:85], v[66:67]
	s_waitcnt vmcnt(1)
	s_delay_alu instid0(VALU_DEP_1)
	v_fma_f64 v[70:71], v[72:73], v[86:87], v[66:67]
	ds_load_2addr_b64 v[66:69], v1 offset0:57 offset1:58
	ds_load_b64 v[72:73], v1 offset:472
	s_waitcnt lgkmcnt(1)
	v_fma_f64 v[66:67], v[74:75], v[66:67], v[70:71]
	s_waitcnt vmcnt(0)
	s_delay_alu instid0(VALU_DEP_1) | instskip(SKIP_1) | instid1(VALU_DEP_1)
	v_fma_f64 v[66:67], v[76:77], v[68:69], v[66:67]
	s_waitcnt lgkmcnt(0)
	v_fma_f64 v[66:67], v[78:79], v[72:73], v[66:67]
	s_delay_alu instid0(VALU_DEP_1)
	v_add_f64 v[64:65], v[64:65], -v[66:67]
	scratch_store_b64 off, v[64:65], off offset:176
	v_cmpx_lt_u32_e32 21, v0
	s_cbranch_execz .LBB93_147
; %bb.146:
	scratch_load_b64 v[64:65], off, off offset:168
	v_mov_b32_e32 v2, v1
	scratch_store_b64 off, v[1:2], off offset:168
	s_waitcnt vmcnt(0)
	ds_store_b64 v3, v[64:65]
.LBB93_147:
	s_or_b32 exec_lo, exec_lo, s0
	s_waitcnt lgkmcnt(0)
	s_waitcnt_vscnt null, 0x0
	s_barrier
	buffer_gl0_inv
	s_clause 0x4
	scratch_load_b128 v[64:67], off, off offset:168
	scratch_load_b128 v[68:71], off, off offset:184
	;; [unrolled: 1-line block ×4, first 2 shown]
	scratch_load_b64 v[88:89], off, off offset:232
	ds_load_b128 v[80:83], v1 offset:416
	ds_load_b128 v[84:87], v1 offset:432
	s_mov_b32 s0, exec_lo
	s_waitcnt vmcnt(4) lgkmcnt(1)
	v_fma_f64 v[66:67], v[66:67], v[80:81], 0
	s_waitcnt vmcnt(3)
	s_delay_alu instid0(VALU_DEP_1) | instskip(SKIP_1) | instid1(VALU_DEP_1)
	v_fma_f64 v[66:67], v[68:69], v[82:83], v[66:67]
	s_waitcnt lgkmcnt(0)
	v_fma_f64 v[66:67], v[70:71], v[84:85], v[66:67]
	s_waitcnt vmcnt(2)
	s_delay_alu instid0(VALU_DEP_1)
	v_fma_f64 v[80:81], v[72:73], v[86:87], v[66:67]
	ds_load_b128 v[66:69], v1 offset:448
	ds_load_b128 v[70:73], v1 offset:464
	s_waitcnt lgkmcnt(1)
	v_fma_f64 v[1:2], v[74:75], v[66:67], v[80:81]
	s_waitcnt vmcnt(1)
	s_delay_alu instid0(VALU_DEP_1) | instskip(SKIP_1) | instid1(VALU_DEP_1)
	v_fma_f64 v[1:2], v[76:77], v[68:69], v[1:2]
	s_waitcnt lgkmcnt(0)
	v_fma_f64 v[1:2], v[78:79], v[70:71], v[1:2]
	s_waitcnt vmcnt(0)
	s_delay_alu instid0(VALU_DEP_1) | instskip(NEXT) | instid1(VALU_DEP_1)
	v_fma_f64 v[1:2], v[88:89], v[72:73], v[1:2]
	v_add_f64 v[1:2], v[64:65], -v[1:2]
	scratch_store_b64 off, v[1:2], off offset:168
	v_cmpx_lt_u32_e32 20, v0
	s_cbranch_execz .LBB93_149
; %bb.148:
	scratch_load_b64 v[1:2], off, off offset:160
	v_mov_b32_e32 v64, 0
	s_delay_alu instid0(VALU_DEP_1)
	v_mov_b32_e32 v65, v64
	scratch_store_b64 off, v[64:65], off offset:160
	s_waitcnt vmcnt(0)
	ds_store_b64 v3, v[1:2]
.LBB93_149:
	s_or_b32 exec_lo, exec_lo, s0
	s_waitcnt lgkmcnt(0)
	s_waitcnt_vscnt null, 0x0
	s_barrier
	buffer_gl0_inv
	s_clause 0x4
	scratch_load_b128 v[64:67], off, off offset:160
	scratch_load_b128 v[68:71], off, off offset:176
	;; [unrolled: 1-line block ×5, first 2 shown]
	v_mov_b32_e32 v1, 0
	ds_load_2addr_b64 v[84:87], v1 offset0:51 offset1:52
	ds_load_2addr_b64 v[88:91], v1 offset0:53 offset1:54
	s_mov_b32 s0, exec_lo
	s_waitcnt vmcnt(4) lgkmcnt(1)
	v_fma_f64 v[66:67], v[66:67], v[84:85], 0
	s_waitcnt vmcnt(3)
	s_delay_alu instid0(VALU_DEP_1) | instskip(SKIP_1) | instid1(VALU_DEP_1)
	v_fma_f64 v[66:67], v[68:69], v[86:87], v[66:67]
	s_waitcnt lgkmcnt(0)
	v_fma_f64 v[66:67], v[70:71], v[88:89], v[66:67]
	s_waitcnt vmcnt(2)
	s_delay_alu instid0(VALU_DEP_1)
	v_fma_f64 v[84:85], v[72:73], v[90:91], v[66:67]
	ds_load_2addr_b64 v[66:69], v1 offset0:55 offset1:56
	ds_load_2addr_b64 v[70:73], v1 offset0:57 offset1:58
	s_waitcnt lgkmcnt(1)
	v_fma_f64 v[66:67], v[74:75], v[66:67], v[84:85]
	s_waitcnt vmcnt(1)
	s_delay_alu instid0(VALU_DEP_1) | instskip(SKIP_4) | instid1(VALU_DEP_1)
	v_fma_f64 v[66:67], v[76:77], v[68:69], v[66:67]
	ds_load_b64 v[68:69], v1 offset:472
	s_waitcnt lgkmcnt(1)
	v_fma_f64 v[66:67], v[78:79], v[70:71], v[66:67]
	s_waitcnt vmcnt(0)
	v_fma_f64 v[66:67], v[80:81], v[72:73], v[66:67]
	s_waitcnt lgkmcnt(0)
	s_delay_alu instid0(VALU_DEP_1) | instskip(NEXT) | instid1(VALU_DEP_1)
	v_fma_f64 v[66:67], v[82:83], v[68:69], v[66:67]
	v_add_f64 v[64:65], v[64:65], -v[66:67]
	scratch_store_b64 off, v[64:65], off offset:160
	v_cmpx_lt_u32_e32 19, v0
	s_cbranch_execz .LBB93_151
; %bb.150:
	scratch_load_b64 v[64:65], off, off offset:152
	v_mov_b32_e32 v2, v1
	scratch_store_b64 off, v[1:2], off offset:152
	s_waitcnt vmcnt(0)
	ds_store_b64 v3, v[64:65]
.LBB93_151:
	s_or_b32 exec_lo, exec_lo, s0
	s_waitcnt lgkmcnt(0)
	s_waitcnt_vscnt null, 0x0
	s_barrier
	buffer_gl0_inv
	s_clause 0x4
	scratch_load_b128 v[64:67], off, off offset:152
	scratch_load_b128 v[68:71], off, off offset:168
	;; [unrolled: 1-line block ×5, first 2 shown]
	ds_load_b128 v[84:87], v1 offset:400
	ds_load_b128 v[88:91], v1 offset:416
	s_mov_b32 s0, exec_lo
	s_waitcnt vmcnt(4) lgkmcnt(1)
	v_fma_f64 v[66:67], v[66:67], v[84:85], 0
	scratch_load_b64 v[84:85], off, off offset:232
	s_waitcnt vmcnt(4)
	v_fma_f64 v[66:67], v[68:69], v[86:87], v[66:67]
	s_waitcnt lgkmcnt(0)
	s_delay_alu instid0(VALU_DEP_1) | instskip(SKIP_1) | instid1(VALU_DEP_1)
	v_fma_f64 v[66:67], v[70:71], v[88:89], v[66:67]
	s_waitcnt vmcnt(3)
	v_fma_f64 v[86:87], v[72:73], v[90:91], v[66:67]
	ds_load_b128 v[66:69], v1 offset:432
	ds_load_b128 v[70:73], v1 offset:448
	s_waitcnt lgkmcnt(1)
	v_fma_f64 v[66:67], v[74:75], v[66:67], v[86:87]
	s_waitcnt vmcnt(2)
	s_delay_alu instid0(VALU_DEP_1) | instskip(SKIP_1) | instid1(VALU_DEP_1)
	v_fma_f64 v[66:67], v[76:77], v[68:69], v[66:67]
	s_waitcnt lgkmcnt(0)
	v_fma_f64 v[66:67], v[78:79], v[70:71], v[66:67]
	s_waitcnt vmcnt(1)
	s_delay_alu instid0(VALU_DEP_1) | instskip(SKIP_4) | instid1(VALU_DEP_1)
	v_fma_f64 v[70:71], v[80:81], v[72:73], v[66:67]
	ds_load_b128 v[66:69], v1 offset:464
	s_waitcnt lgkmcnt(0)
	v_fma_f64 v[1:2], v[82:83], v[66:67], v[70:71]
	s_waitcnt vmcnt(0)
	v_fma_f64 v[1:2], v[84:85], v[68:69], v[1:2]
	s_delay_alu instid0(VALU_DEP_1)
	v_add_f64 v[1:2], v[64:65], -v[1:2]
	scratch_store_b64 off, v[1:2], off offset:152
	v_cmpx_lt_u32_e32 18, v0
	s_cbranch_execz .LBB93_153
; %bb.152:
	scratch_load_b64 v[1:2], off, off offset:144
	v_mov_b32_e32 v64, 0
	s_delay_alu instid0(VALU_DEP_1)
	v_mov_b32_e32 v65, v64
	scratch_store_b64 off, v[64:65], off offset:144
	s_waitcnt vmcnt(0)
	ds_store_b64 v3, v[1:2]
.LBB93_153:
	s_or_b32 exec_lo, exec_lo, s0
	s_waitcnt lgkmcnt(0)
	s_waitcnt_vscnt null, 0x0
	s_barrier
	buffer_gl0_inv
	s_clause 0x4
	scratch_load_b128 v[64:67], off, off offset:144
	scratch_load_b128 v[68:71], off, off offset:160
	;; [unrolled: 1-line block ×5, first 2 shown]
	v_mov_b32_e32 v1, 0
	ds_load_2addr_b64 v[84:87], v1 offset0:49 offset1:50
	ds_load_2addr_b64 v[88:91], v1 offset0:51 offset1:52
	scratch_load_b128 v[92:95], off, off offset:224
	s_mov_b32 s0, exec_lo
	s_waitcnt vmcnt(5) lgkmcnt(1)
	v_fma_f64 v[66:67], v[66:67], v[84:85], 0
	s_waitcnt vmcnt(4)
	s_delay_alu instid0(VALU_DEP_1) | instskip(SKIP_1) | instid1(VALU_DEP_1)
	v_fma_f64 v[66:67], v[68:69], v[86:87], v[66:67]
	s_waitcnt lgkmcnt(0)
	v_fma_f64 v[66:67], v[70:71], v[88:89], v[66:67]
	s_waitcnt vmcnt(3)
	s_delay_alu instid0(VALU_DEP_1)
	v_fma_f64 v[84:85], v[72:73], v[90:91], v[66:67]
	ds_load_2addr_b64 v[66:69], v1 offset0:53 offset1:54
	ds_load_2addr_b64 v[70:73], v1 offset0:55 offset1:56
	s_waitcnt lgkmcnt(1)
	v_fma_f64 v[66:67], v[74:75], v[66:67], v[84:85]
	s_waitcnt vmcnt(2)
	s_delay_alu instid0(VALU_DEP_1) | instskip(SKIP_1) | instid1(VALU_DEP_1)
	v_fma_f64 v[66:67], v[76:77], v[68:69], v[66:67]
	s_waitcnt lgkmcnt(0)
	v_fma_f64 v[66:67], v[78:79], v[70:71], v[66:67]
	s_waitcnt vmcnt(1)
	s_delay_alu instid0(VALU_DEP_1)
	v_fma_f64 v[70:71], v[80:81], v[72:73], v[66:67]
	ds_load_2addr_b64 v[66:69], v1 offset0:57 offset1:58
	ds_load_b64 v[72:73], v1 offset:472
	s_waitcnt lgkmcnt(1)
	v_fma_f64 v[66:67], v[82:83], v[66:67], v[70:71]
	s_waitcnt vmcnt(0)
	s_delay_alu instid0(VALU_DEP_1) | instskip(SKIP_1) | instid1(VALU_DEP_1)
	v_fma_f64 v[66:67], v[92:93], v[68:69], v[66:67]
	s_waitcnt lgkmcnt(0)
	v_fma_f64 v[66:67], v[94:95], v[72:73], v[66:67]
	s_delay_alu instid0(VALU_DEP_1)
	v_add_f64 v[64:65], v[64:65], -v[66:67]
	scratch_store_b64 off, v[64:65], off offset:144
	v_cmpx_lt_u32_e32 17, v0
	s_cbranch_execz .LBB93_155
; %bb.154:
	scratch_load_b64 v[64:65], off, off offset:136
	v_mov_b32_e32 v2, v1
	scratch_store_b64 off, v[1:2], off offset:136
	s_waitcnt vmcnt(0)
	ds_store_b64 v3, v[64:65]
.LBB93_155:
	s_or_b32 exec_lo, exec_lo, s0
	s_waitcnt lgkmcnt(0)
	s_waitcnt_vscnt null, 0x0
	s_barrier
	buffer_gl0_inv
	s_clause 0x4
	scratch_load_b128 v[64:67], off, off offset:136
	scratch_load_b128 v[68:71], off, off offset:152
	;; [unrolled: 1-line block ×5, first 2 shown]
	ds_load_b128 v[84:87], v1 offset:384
	ds_load_b128 v[88:91], v1 offset:400
	scratch_load_b128 v[92:95], off, off offset:216
	s_mov_b32 s0, exec_lo
	s_waitcnt vmcnt(5) lgkmcnt(1)
	v_fma_f64 v[66:67], v[66:67], v[84:85], 0
	scratch_load_b64 v[84:85], off, off offset:232
	s_waitcnt vmcnt(5)
	v_fma_f64 v[66:67], v[68:69], v[86:87], v[66:67]
	s_waitcnt lgkmcnt(0)
	s_delay_alu instid0(VALU_DEP_1) | instskip(SKIP_1) | instid1(VALU_DEP_1)
	v_fma_f64 v[66:67], v[70:71], v[88:89], v[66:67]
	s_waitcnt vmcnt(4)
	v_fma_f64 v[86:87], v[72:73], v[90:91], v[66:67]
	ds_load_b128 v[66:69], v1 offset:416
	ds_load_b128 v[70:73], v1 offset:432
	s_waitcnt lgkmcnt(1)
	v_fma_f64 v[66:67], v[74:75], v[66:67], v[86:87]
	s_waitcnt vmcnt(3)
	s_delay_alu instid0(VALU_DEP_1) | instskip(SKIP_1) | instid1(VALU_DEP_1)
	v_fma_f64 v[66:67], v[76:77], v[68:69], v[66:67]
	s_waitcnt lgkmcnt(0)
	v_fma_f64 v[66:67], v[78:79], v[70:71], v[66:67]
	s_waitcnt vmcnt(2)
	s_delay_alu instid0(VALU_DEP_1)
	v_fma_f64 v[74:75], v[80:81], v[72:73], v[66:67]
	ds_load_b128 v[66:69], v1 offset:448
	ds_load_b128 v[70:73], v1 offset:464
	s_waitcnt lgkmcnt(1)
	v_fma_f64 v[1:2], v[82:83], v[66:67], v[74:75]
	s_waitcnt vmcnt(1)
	s_delay_alu instid0(VALU_DEP_1) | instskip(SKIP_1) | instid1(VALU_DEP_1)
	v_fma_f64 v[1:2], v[92:93], v[68:69], v[1:2]
	s_waitcnt lgkmcnt(0)
	v_fma_f64 v[1:2], v[94:95], v[70:71], v[1:2]
	s_waitcnt vmcnt(0)
	s_delay_alu instid0(VALU_DEP_1) | instskip(NEXT) | instid1(VALU_DEP_1)
	v_fma_f64 v[1:2], v[84:85], v[72:73], v[1:2]
	v_add_f64 v[1:2], v[64:65], -v[1:2]
	scratch_store_b64 off, v[1:2], off offset:136
	v_cmpx_lt_u32_e32 16, v0
	s_cbranch_execz .LBB93_157
; %bb.156:
	scratch_load_b64 v[1:2], off, off offset:128
	v_mov_b32_e32 v64, 0
	s_delay_alu instid0(VALU_DEP_1)
	v_mov_b32_e32 v65, v64
	scratch_store_b64 off, v[64:65], off offset:128
	s_waitcnt vmcnt(0)
	ds_store_b64 v3, v[1:2]
.LBB93_157:
	s_or_b32 exec_lo, exec_lo, s0
	s_waitcnt lgkmcnt(0)
	s_waitcnt_vscnt null, 0x0
	s_barrier
	buffer_gl0_inv
	s_clause 0x4
	scratch_load_b128 v[64:67], off, off offset:128
	scratch_load_b128 v[68:71], off, off offset:144
	scratch_load_b128 v[72:75], off, off offset:160
	scratch_load_b128 v[76:79], off, off offset:176
	scratch_load_b128 v[80:83], off, off offset:192
	v_mov_b32_e32 v1, 0
	ds_load_2addr_b64 v[84:87], v1 offset0:47 offset1:48
	ds_load_2addr_b64 v[88:91], v1 offset0:49 offset1:50
	scratch_load_b128 v[92:95], off, off offset:208
	s_mov_b32 s0, exec_lo
	s_waitcnt vmcnt(5) lgkmcnt(1)
	v_fma_f64 v[66:67], v[66:67], v[84:85], 0
	s_waitcnt vmcnt(4)
	s_delay_alu instid0(VALU_DEP_1) | instskip(SKIP_1) | instid1(VALU_DEP_1)
	v_fma_f64 v[66:67], v[68:69], v[86:87], v[66:67]
	s_waitcnt lgkmcnt(0)
	v_fma_f64 v[70:71], v[70:71], v[88:89], v[66:67]
	scratch_load_b128 v[66:69], off, off offset:224
	s_waitcnt vmcnt(4)
	v_fma_f64 v[88:89], v[72:73], v[90:91], v[70:71]
	ds_load_2addr_b64 v[70:73], v1 offset0:51 offset1:52
	ds_load_2addr_b64 v[84:87], v1 offset0:53 offset1:54
	s_waitcnt lgkmcnt(1)
	v_fma_f64 v[70:71], v[74:75], v[70:71], v[88:89]
	s_waitcnt vmcnt(3)
	s_delay_alu instid0(VALU_DEP_1) | instskip(SKIP_1) | instid1(VALU_DEP_1)
	v_fma_f64 v[70:71], v[76:77], v[72:73], v[70:71]
	s_waitcnt lgkmcnt(0)
	v_fma_f64 v[70:71], v[78:79], v[84:85], v[70:71]
	s_waitcnt vmcnt(2)
	s_delay_alu instid0(VALU_DEP_1)
	v_fma_f64 v[78:79], v[80:81], v[86:87], v[70:71]
	ds_load_2addr_b64 v[70:73], v1 offset0:55 offset1:56
	ds_load_2addr_b64 v[74:77], v1 offset0:57 offset1:58
	s_waitcnt lgkmcnt(1)
	v_fma_f64 v[70:71], v[82:83], v[70:71], v[78:79]
	s_waitcnt vmcnt(1)
	s_delay_alu instid0(VALU_DEP_1) | instskip(SKIP_1) | instid1(VALU_DEP_1)
	v_fma_f64 v[70:71], v[92:93], v[72:73], v[70:71]
	s_waitcnt lgkmcnt(0)
	v_fma_f64 v[70:71], v[94:95], v[74:75], v[70:71]
	s_waitcnt vmcnt(0)
	s_delay_alu instid0(VALU_DEP_1) | instskip(SKIP_3) | instid1(VALU_DEP_1)
	v_fma_f64 v[66:67], v[66:67], v[76:77], v[70:71]
	ds_load_b64 v[70:71], v1 offset:472
	s_waitcnt lgkmcnt(0)
	v_fma_f64 v[66:67], v[68:69], v[70:71], v[66:67]
	v_add_f64 v[64:65], v[64:65], -v[66:67]
	scratch_store_b64 off, v[64:65], off offset:128
	v_cmpx_lt_u32_e32 15, v0
	s_cbranch_execz .LBB93_159
; %bb.158:
	scratch_load_b64 v[64:65], off, off offset:120
	v_mov_b32_e32 v2, v1
	scratch_store_b64 off, v[1:2], off offset:120
	s_waitcnt vmcnt(0)
	ds_store_b64 v3, v[64:65]
.LBB93_159:
	s_or_b32 exec_lo, exec_lo, s0
	s_waitcnt lgkmcnt(0)
	s_waitcnt_vscnt null, 0x0
	s_barrier
	buffer_gl0_inv
	s_clause 0x4
	scratch_load_b128 v[64:67], off, off offset:120
	scratch_load_b128 v[68:71], off, off offset:136
	;; [unrolled: 1-line block ×5, first 2 shown]
	ds_load_b128 v[84:87], v1 offset:368
	ds_load_b128 v[88:91], v1 offset:384
	scratch_load_b128 v[92:95], off, off offset:200
	s_mov_b32 s0, exec_lo
	s_waitcnt vmcnt(5) lgkmcnt(1)
	v_fma_f64 v[66:67], v[66:67], v[84:85], 0
	s_waitcnt vmcnt(4)
	s_delay_alu instid0(VALU_DEP_1) | instskip(SKIP_1) | instid1(VALU_DEP_1)
	v_fma_f64 v[66:67], v[68:69], v[86:87], v[66:67]
	s_waitcnt lgkmcnt(0)
	v_fma_f64 v[70:71], v[70:71], v[88:89], v[66:67]
	scratch_load_b128 v[66:69], off, off offset:216
	s_waitcnt vmcnt(4)
	v_fma_f64 v[88:89], v[72:73], v[90:91], v[70:71]
	ds_load_b128 v[70:73], v1 offset:400
	ds_load_b128 v[84:87], v1 offset:416
	s_waitcnt lgkmcnt(1)
	v_fma_f64 v[70:71], v[74:75], v[70:71], v[88:89]
	scratch_load_b64 v[88:89], off, off offset:232
	s_waitcnt vmcnt(4)
	v_fma_f64 v[70:71], v[76:77], v[72:73], v[70:71]
	s_waitcnt lgkmcnt(0)
	s_delay_alu instid0(VALU_DEP_1) | instskip(SKIP_1) | instid1(VALU_DEP_1)
	v_fma_f64 v[70:71], v[78:79], v[84:85], v[70:71]
	s_waitcnt vmcnt(3)
	v_fma_f64 v[78:79], v[80:81], v[86:87], v[70:71]
	ds_load_b128 v[70:73], v1 offset:432
	ds_load_b128 v[74:77], v1 offset:448
	s_waitcnt lgkmcnt(1)
	v_fma_f64 v[70:71], v[82:83], v[70:71], v[78:79]
	s_waitcnt vmcnt(2)
	s_delay_alu instid0(VALU_DEP_1) | instskip(SKIP_1) | instid1(VALU_DEP_1)
	v_fma_f64 v[70:71], v[92:93], v[72:73], v[70:71]
	s_waitcnt lgkmcnt(0)
	v_fma_f64 v[70:71], v[94:95], v[74:75], v[70:71]
	s_waitcnt vmcnt(1)
	s_delay_alu instid0(VALU_DEP_1) | instskip(SKIP_4) | instid1(VALU_DEP_1)
	v_fma_f64 v[66:67], v[66:67], v[76:77], v[70:71]
	ds_load_b128 v[70:73], v1 offset:464
	s_waitcnt lgkmcnt(0)
	v_fma_f64 v[1:2], v[68:69], v[70:71], v[66:67]
	s_waitcnt vmcnt(0)
	v_fma_f64 v[1:2], v[88:89], v[72:73], v[1:2]
	s_delay_alu instid0(VALU_DEP_1)
	v_add_f64 v[1:2], v[64:65], -v[1:2]
	scratch_store_b64 off, v[1:2], off offset:120
	v_cmpx_lt_u32_e32 14, v0
	s_cbranch_execz .LBB93_161
; %bb.160:
	scratch_load_b64 v[1:2], off, off offset:112
	v_mov_b32_e32 v64, 0
	s_delay_alu instid0(VALU_DEP_1)
	v_mov_b32_e32 v65, v64
	scratch_store_b64 off, v[64:65], off offset:112
	s_waitcnt vmcnt(0)
	ds_store_b64 v3, v[1:2]
.LBB93_161:
	s_or_b32 exec_lo, exec_lo, s0
	s_waitcnt lgkmcnt(0)
	s_waitcnt_vscnt null, 0x0
	s_barrier
	buffer_gl0_inv
	s_clause 0x4
	scratch_load_b128 v[64:67], off, off offset:112
	scratch_load_b128 v[68:71], off, off offset:128
	;; [unrolled: 1-line block ×5, first 2 shown]
	v_mov_b32_e32 v1, 0
	ds_load_2addr_b64 v[84:87], v1 offset0:45 offset1:46
	ds_load_2addr_b64 v[88:91], v1 offset0:47 offset1:48
	scratch_load_b128 v[92:95], off, off offset:192
	s_mov_b32 s0, exec_lo
	s_waitcnt vmcnt(5) lgkmcnt(1)
	v_fma_f64 v[66:67], v[66:67], v[84:85], 0
	s_waitcnt vmcnt(4)
	s_delay_alu instid0(VALU_DEP_1) | instskip(SKIP_1) | instid1(VALU_DEP_1)
	v_fma_f64 v[66:67], v[68:69], v[86:87], v[66:67]
	s_waitcnt lgkmcnt(0)
	v_fma_f64 v[70:71], v[70:71], v[88:89], v[66:67]
	scratch_load_b128 v[66:69], off, off offset:208
	s_waitcnt vmcnt(4)
	v_fma_f64 v[88:89], v[72:73], v[90:91], v[70:71]
	ds_load_2addr_b64 v[70:73], v1 offset0:49 offset1:50
	ds_load_2addr_b64 v[84:87], v1 offset0:51 offset1:52
	s_waitcnt lgkmcnt(1)
	v_fma_f64 v[70:71], v[74:75], v[70:71], v[88:89]
	scratch_load_b128 v[88:91], off, off offset:224
	s_waitcnt vmcnt(4)
	v_fma_f64 v[70:71], v[76:77], v[72:73], v[70:71]
	s_waitcnt lgkmcnt(0)
	s_delay_alu instid0(VALU_DEP_1) | instskip(SKIP_1) | instid1(VALU_DEP_1)
	v_fma_f64 v[70:71], v[78:79], v[84:85], v[70:71]
	s_waitcnt vmcnt(3)
	v_fma_f64 v[78:79], v[80:81], v[86:87], v[70:71]
	ds_load_2addr_b64 v[70:73], v1 offset0:53 offset1:54
	ds_load_2addr_b64 v[74:77], v1 offset0:55 offset1:56
	s_waitcnt lgkmcnt(1)
	v_fma_f64 v[70:71], v[82:83], v[70:71], v[78:79]
	s_waitcnt vmcnt(2)
	s_delay_alu instid0(VALU_DEP_1) | instskip(SKIP_1) | instid1(VALU_DEP_1)
	v_fma_f64 v[70:71], v[92:93], v[72:73], v[70:71]
	s_waitcnt lgkmcnt(0)
	v_fma_f64 v[70:71], v[94:95], v[74:75], v[70:71]
	s_waitcnt vmcnt(1)
	s_delay_alu instid0(VALU_DEP_1)
	v_fma_f64 v[66:67], v[66:67], v[76:77], v[70:71]
	ds_load_2addr_b64 v[70:73], v1 offset0:57 offset1:58
	ds_load_b64 v[74:75], v1 offset:472
	s_waitcnt lgkmcnt(1)
	v_fma_f64 v[66:67], v[68:69], v[70:71], v[66:67]
	s_waitcnt vmcnt(0)
	s_delay_alu instid0(VALU_DEP_1) | instskip(SKIP_1) | instid1(VALU_DEP_1)
	v_fma_f64 v[66:67], v[88:89], v[72:73], v[66:67]
	s_waitcnt lgkmcnt(0)
	v_fma_f64 v[66:67], v[90:91], v[74:75], v[66:67]
	s_delay_alu instid0(VALU_DEP_1)
	v_add_f64 v[64:65], v[64:65], -v[66:67]
	scratch_store_b64 off, v[64:65], off offset:112
	v_cmpx_lt_u32_e32 13, v0
	s_cbranch_execz .LBB93_163
; %bb.162:
	scratch_load_b64 v[64:65], off, off offset:104
	v_mov_b32_e32 v2, v1
	scratch_store_b64 off, v[1:2], off offset:104
	s_waitcnt vmcnt(0)
	ds_store_b64 v3, v[64:65]
.LBB93_163:
	s_or_b32 exec_lo, exec_lo, s0
	s_waitcnt lgkmcnt(0)
	s_waitcnt_vscnt null, 0x0
	s_barrier
	buffer_gl0_inv
	s_clause 0x4
	scratch_load_b128 v[64:67], off, off offset:104
	scratch_load_b128 v[68:71], off, off offset:120
	scratch_load_b128 v[72:75], off, off offset:136
	scratch_load_b128 v[76:79], off, off offset:152
	scratch_load_b128 v[80:83], off, off offset:168
	ds_load_b128 v[84:87], v1 offset:352
	ds_load_b128 v[88:91], v1 offset:368
	scratch_load_b128 v[92:95], off, off offset:184
	s_mov_b32 s0, exec_lo
	s_waitcnt vmcnt(5) lgkmcnt(1)
	v_fma_f64 v[66:67], v[66:67], v[84:85], 0
	s_waitcnt vmcnt(4)
	s_delay_alu instid0(VALU_DEP_1) | instskip(SKIP_1) | instid1(VALU_DEP_1)
	v_fma_f64 v[66:67], v[68:69], v[86:87], v[66:67]
	s_waitcnt lgkmcnt(0)
	v_fma_f64 v[70:71], v[70:71], v[88:89], v[66:67]
	scratch_load_b128 v[66:69], off, off offset:200
	s_waitcnt vmcnt(4)
	v_fma_f64 v[88:89], v[72:73], v[90:91], v[70:71]
	ds_load_b128 v[70:73], v1 offset:384
	ds_load_b128 v[84:87], v1 offset:400
	s_waitcnt lgkmcnt(1)
	v_fma_f64 v[70:71], v[74:75], v[70:71], v[88:89]
	scratch_load_b128 v[88:91], off, off offset:216
	s_waitcnt vmcnt(4)
	v_fma_f64 v[70:71], v[76:77], v[72:73], v[70:71]
	s_waitcnt lgkmcnt(0)
	s_delay_alu instid0(VALU_DEP_1)
	v_fma_f64 v[70:71], v[78:79], v[84:85], v[70:71]
	scratch_load_b64 v[78:79], off, off offset:232
	s_waitcnt vmcnt(4)
	v_fma_f64 v[80:81], v[80:81], v[86:87], v[70:71]
	ds_load_b128 v[70:73], v1 offset:416
	ds_load_b128 v[74:77], v1 offset:432
	s_waitcnt lgkmcnt(1)
	v_fma_f64 v[70:71], v[82:83], v[70:71], v[80:81]
	s_waitcnt vmcnt(3)
	s_delay_alu instid0(VALU_DEP_1) | instskip(SKIP_1) | instid1(VALU_DEP_1)
	v_fma_f64 v[70:71], v[92:93], v[72:73], v[70:71]
	s_waitcnt lgkmcnt(0)
	v_fma_f64 v[70:71], v[94:95], v[74:75], v[70:71]
	s_waitcnt vmcnt(2)
	s_delay_alu instid0(VALU_DEP_1)
	v_fma_f64 v[66:67], v[66:67], v[76:77], v[70:71]
	ds_load_b128 v[70:73], v1 offset:448
	ds_load_b128 v[74:77], v1 offset:464
	s_waitcnt lgkmcnt(1)
	v_fma_f64 v[1:2], v[68:69], v[70:71], v[66:67]
	s_waitcnt vmcnt(1)
	s_delay_alu instid0(VALU_DEP_1) | instskip(SKIP_1) | instid1(VALU_DEP_1)
	v_fma_f64 v[1:2], v[88:89], v[72:73], v[1:2]
	s_waitcnt lgkmcnt(0)
	v_fma_f64 v[1:2], v[90:91], v[74:75], v[1:2]
	s_waitcnt vmcnt(0)
	s_delay_alu instid0(VALU_DEP_1) | instskip(NEXT) | instid1(VALU_DEP_1)
	v_fma_f64 v[1:2], v[78:79], v[76:77], v[1:2]
	v_add_f64 v[1:2], v[64:65], -v[1:2]
	scratch_store_b64 off, v[1:2], off offset:104
	v_cmpx_lt_u32_e32 12, v0
	s_cbranch_execz .LBB93_165
; %bb.164:
	scratch_load_b64 v[1:2], off, off offset:96
	v_mov_b32_e32 v64, 0
	s_delay_alu instid0(VALU_DEP_1)
	v_mov_b32_e32 v65, v64
	scratch_store_b64 off, v[64:65], off offset:96
	s_waitcnt vmcnt(0)
	ds_store_b64 v3, v[1:2]
.LBB93_165:
	s_or_b32 exec_lo, exec_lo, s0
	s_waitcnt lgkmcnt(0)
	s_waitcnt_vscnt null, 0x0
	s_barrier
	buffer_gl0_inv
	s_clause 0x4
	scratch_load_b128 v[64:67], off, off offset:96
	scratch_load_b128 v[68:71], off, off offset:112
	;; [unrolled: 1-line block ×5, first 2 shown]
	v_mov_b32_e32 v1, 0
	ds_load_2addr_b64 v[84:87], v1 offset0:43 offset1:44
	ds_load_2addr_b64 v[88:91], v1 offset0:45 offset1:46
	scratch_load_b128 v[92:95], off, off offset:176
	s_mov_b32 s0, exec_lo
	s_waitcnt vmcnt(5) lgkmcnt(1)
	v_fma_f64 v[66:67], v[66:67], v[84:85], 0
	s_waitcnt vmcnt(4)
	s_delay_alu instid0(VALU_DEP_1) | instskip(SKIP_1) | instid1(VALU_DEP_1)
	v_fma_f64 v[66:67], v[68:69], v[86:87], v[66:67]
	s_waitcnt lgkmcnt(0)
	v_fma_f64 v[70:71], v[70:71], v[88:89], v[66:67]
	scratch_load_b128 v[66:69], off, off offset:192
	s_waitcnt vmcnt(4)
	v_fma_f64 v[88:89], v[72:73], v[90:91], v[70:71]
	ds_load_2addr_b64 v[70:73], v1 offset0:47 offset1:48
	ds_load_2addr_b64 v[84:87], v1 offset0:49 offset1:50
	s_waitcnt lgkmcnt(1)
	v_fma_f64 v[70:71], v[74:75], v[70:71], v[88:89]
	scratch_load_b128 v[88:91], off, off offset:208
	s_waitcnt vmcnt(4)
	v_fma_f64 v[70:71], v[76:77], v[72:73], v[70:71]
	s_waitcnt lgkmcnt(0)
	s_delay_alu instid0(VALU_DEP_1)
	v_fma_f64 v[74:75], v[78:79], v[84:85], v[70:71]
	scratch_load_b128 v[70:73], off, off offset:224
	s_waitcnt vmcnt(4)
	v_fma_f64 v[84:85], v[80:81], v[86:87], v[74:75]
	ds_load_2addr_b64 v[74:77], v1 offset0:51 offset1:52
	ds_load_2addr_b64 v[78:81], v1 offset0:53 offset1:54
	s_waitcnt lgkmcnt(1)
	v_fma_f64 v[74:75], v[82:83], v[74:75], v[84:85]
	s_waitcnt vmcnt(3)
	s_delay_alu instid0(VALU_DEP_1) | instskip(SKIP_1) | instid1(VALU_DEP_1)
	v_fma_f64 v[74:75], v[92:93], v[76:77], v[74:75]
	s_waitcnt lgkmcnt(0)
	v_fma_f64 v[74:75], v[94:95], v[78:79], v[74:75]
	s_waitcnt vmcnt(2)
	s_delay_alu instid0(VALU_DEP_1)
	v_fma_f64 v[66:67], v[66:67], v[80:81], v[74:75]
	ds_load_2addr_b64 v[74:77], v1 offset0:55 offset1:56
	ds_load_2addr_b64 v[78:81], v1 offset0:57 offset1:58
	s_waitcnt lgkmcnt(1)
	v_fma_f64 v[66:67], v[68:69], v[74:75], v[66:67]
	ds_load_b64 v[68:69], v1 offset:472
	s_waitcnt vmcnt(1)
	v_fma_f64 v[66:67], v[88:89], v[76:77], v[66:67]
	s_waitcnt lgkmcnt(1)
	s_delay_alu instid0(VALU_DEP_1) | instskip(SKIP_1) | instid1(VALU_DEP_1)
	v_fma_f64 v[66:67], v[90:91], v[78:79], v[66:67]
	s_waitcnt vmcnt(0)
	v_fma_f64 v[66:67], v[70:71], v[80:81], v[66:67]
	s_waitcnt lgkmcnt(0)
	s_delay_alu instid0(VALU_DEP_1) | instskip(NEXT) | instid1(VALU_DEP_1)
	v_fma_f64 v[66:67], v[72:73], v[68:69], v[66:67]
	v_add_f64 v[64:65], v[64:65], -v[66:67]
	scratch_store_b64 off, v[64:65], off offset:96
	v_cmpx_lt_u32_e32 11, v0
	s_cbranch_execz .LBB93_167
; %bb.166:
	scratch_load_b64 v[64:65], off, off offset:88
	v_mov_b32_e32 v2, v1
	scratch_store_b64 off, v[1:2], off offset:88
	s_waitcnt vmcnt(0)
	ds_store_b64 v3, v[64:65]
.LBB93_167:
	s_or_b32 exec_lo, exec_lo, s0
	s_waitcnt lgkmcnt(0)
	s_waitcnt_vscnt null, 0x0
	s_barrier
	buffer_gl0_inv
	s_clause 0x4
	scratch_load_b128 v[64:67], off, off offset:88
	scratch_load_b128 v[68:71], off, off offset:104
	;; [unrolled: 1-line block ×5, first 2 shown]
	ds_load_b128 v[84:87], v1 offset:336
	ds_load_b128 v[88:91], v1 offset:352
	scratch_load_b128 v[92:95], off, off offset:168
	s_mov_b32 s0, exec_lo
	s_waitcnt vmcnt(5) lgkmcnt(1)
	v_fma_f64 v[66:67], v[66:67], v[84:85], 0
	s_waitcnt vmcnt(4)
	s_delay_alu instid0(VALU_DEP_1) | instskip(SKIP_1) | instid1(VALU_DEP_1)
	v_fma_f64 v[66:67], v[68:69], v[86:87], v[66:67]
	s_waitcnt lgkmcnt(0)
	v_fma_f64 v[70:71], v[70:71], v[88:89], v[66:67]
	scratch_load_b128 v[66:69], off, off offset:184
	s_waitcnt vmcnt(4)
	v_fma_f64 v[88:89], v[72:73], v[90:91], v[70:71]
	ds_load_b128 v[70:73], v1 offset:368
	ds_load_b128 v[84:87], v1 offset:384
	s_waitcnt lgkmcnt(1)
	v_fma_f64 v[70:71], v[74:75], v[70:71], v[88:89]
	scratch_load_b128 v[88:91], off, off offset:200
	s_waitcnt vmcnt(4)
	v_fma_f64 v[70:71], v[76:77], v[72:73], v[70:71]
	s_waitcnt lgkmcnt(0)
	s_delay_alu instid0(VALU_DEP_1)
	v_fma_f64 v[74:75], v[78:79], v[84:85], v[70:71]
	scratch_load_b128 v[70:73], off, off offset:216
	s_waitcnt vmcnt(4)
	v_fma_f64 v[84:85], v[80:81], v[86:87], v[74:75]
	ds_load_b128 v[74:77], v1 offset:400
	ds_load_b128 v[78:81], v1 offset:416
	s_waitcnt lgkmcnt(1)
	v_fma_f64 v[74:75], v[82:83], v[74:75], v[84:85]
	scratch_load_b64 v[82:83], off, off offset:232
	s_waitcnt vmcnt(4)
	v_fma_f64 v[74:75], v[92:93], v[76:77], v[74:75]
	s_waitcnt lgkmcnt(0)
	s_delay_alu instid0(VALU_DEP_1) | instskip(SKIP_1) | instid1(VALU_DEP_1)
	v_fma_f64 v[74:75], v[94:95], v[78:79], v[74:75]
	s_waitcnt vmcnt(3)
	v_fma_f64 v[66:67], v[66:67], v[80:81], v[74:75]
	ds_load_b128 v[74:77], v1 offset:432
	ds_load_b128 v[78:81], v1 offset:448
	s_waitcnt lgkmcnt(1)
	v_fma_f64 v[66:67], v[68:69], v[74:75], v[66:67]
	s_waitcnt vmcnt(2)
	s_delay_alu instid0(VALU_DEP_1) | instskip(SKIP_1) | instid1(VALU_DEP_1)
	v_fma_f64 v[66:67], v[88:89], v[76:77], v[66:67]
	s_waitcnt lgkmcnt(0)
	v_fma_f64 v[66:67], v[90:91], v[78:79], v[66:67]
	s_waitcnt vmcnt(1)
	s_delay_alu instid0(VALU_DEP_1) | instskip(SKIP_4) | instid1(VALU_DEP_1)
	v_fma_f64 v[70:71], v[70:71], v[80:81], v[66:67]
	ds_load_b128 v[66:69], v1 offset:464
	s_waitcnt lgkmcnt(0)
	v_fma_f64 v[1:2], v[72:73], v[66:67], v[70:71]
	s_waitcnt vmcnt(0)
	v_fma_f64 v[1:2], v[82:83], v[68:69], v[1:2]
	s_delay_alu instid0(VALU_DEP_1)
	v_add_f64 v[1:2], v[64:65], -v[1:2]
	scratch_store_b64 off, v[1:2], off offset:88
	v_cmpx_lt_u32_e32 10, v0
	s_cbranch_execz .LBB93_169
; %bb.168:
	scratch_load_b64 v[1:2], off, off offset:80
	v_mov_b32_e32 v64, 0
	s_delay_alu instid0(VALU_DEP_1)
	v_mov_b32_e32 v65, v64
	scratch_store_b64 off, v[64:65], off offset:80
	s_waitcnt vmcnt(0)
	ds_store_b64 v3, v[1:2]
.LBB93_169:
	s_or_b32 exec_lo, exec_lo, s0
	s_waitcnt lgkmcnt(0)
	s_waitcnt_vscnt null, 0x0
	s_barrier
	buffer_gl0_inv
	s_clause 0x4
	scratch_load_b128 v[64:67], off, off offset:80
	scratch_load_b128 v[68:71], off, off offset:96
	;; [unrolled: 1-line block ×5, first 2 shown]
	v_mov_b32_e32 v1, 0
	ds_load_2addr_b64 v[84:87], v1 offset0:41 offset1:42
	ds_load_2addr_b64 v[88:91], v1 offset0:43 offset1:44
	scratch_load_b128 v[92:95], off, off offset:160
	s_mov_b32 s0, exec_lo
	s_waitcnt vmcnt(5) lgkmcnt(1)
	v_fma_f64 v[66:67], v[66:67], v[84:85], 0
	s_waitcnt vmcnt(4)
	s_delay_alu instid0(VALU_DEP_1) | instskip(SKIP_1) | instid1(VALU_DEP_1)
	v_fma_f64 v[66:67], v[68:69], v[86:87], v[66:67]
	s_waitcnt lgkmcnt(0)
	v_fma_f64 v[70:71], v[70:71], v[88:89], v[66:67]
	scratch_load_b128 v[66:69], off, off offset:176
	s_waitcnt vmcnt(4)
	v_fma_f64 v[88:89], v[72:73], v[90:91], v[70:71]
	ds_load_2addr_b64 v[70:73], v1 offset0:45 offset1:46
	ds_load_2addr_b64 v[84:87], v1 offset0:47 offset1:48
	s_waitcnt lgkmcnt(1)
	v_fma_f64 v[70:71], v[74:75], v[70:71], v[88:89]
	scratch_load_b128 v[88:91], off, off offset:192
	s_waitcnt vmcnt(4)
	v_fma_f64 v[70:71], v[76:77], v[72:73], v[70:71]
	s_waitcnt lgkmcnt(0)
	s_delay_alu instid0(VALU_DEP_1)
	v_fma_f64 v[74:75], v[78:79], v[84:85], v[70:71]
	scratch_load_b128 v[70:73], off, off offset:208
	s_waitcnt vmcnt(4)
	v_fma_f64 v[84:85], v[80:81], v[86:87], v[74:75]
	ds_load_2addr_b64 v[74:77], v1 offset0:49 offset1:50
	ds_load_2addr_b64 v[78:81], v1 offset0:51 offset1:52
	s_waitcnt lgkmcnt(1)
	v_fma_f64 v[74:75], v[82:83], v[74:75], v[84:85]
	scratch_load_b128 v[82:85], off, off offset:224
	s_waitcnt vmcnt(4)
	v_fma_f64 v[74:75], v[92:93], v[76:77], v[74:75]
	s_waitcnt lgkmcnt(0)
	s_delay_alu instid0(VALU_DEP_1) | instskip(SKIP_1) | instid1(VALU_DEP_1)
	v_fma_f64 v[74:75], v[94:95], v[78:79], v[74:75]
	s_waitcnt vmcnt(3)
	v_fma_f64 v[66:67], v[66:67], v[80:81], v[74:75]
	ds_load_2addr_b64 v[74:77], v1 offset0:53 offset1:54
	ds_load_2addr_b64 v[78:81], v1 offset0:55 offset1:56
	s_waitcnt lgkmcnt(1)
	v_fma_f64 v[66:67], v[68:69], v[74:75], v[66:67]
	s_waitcnt vmcnt(2)
	s_delay_alu instid0(VALU_DEP_1) | instskip(SKIP_1) | instid1(VALU_DEP_1)
	v_fma_f64 v[66:67], v[88:89], v[76:77], v[66:67]
	s_waitcnt lgkmcnt(0)
	v_fma_f64 v[66:67], v[90:91], v[78:79], v[66:67]
	s_waitcnt vmcnt(1)
	s_delay_alu instid0(VALU_DEP_1)
	v_fma_f64 v[70:71], v[70:71], v[80:81], v[66:67]
	ds_load_2addr_b64 v[66:69], v1 offset0:57 offset1:58
	ds_load_b64 v[74:75], v1 offset:472
	s_waitcnt lgkmcnt(1)
	v_fma_f64 v[66:67], v[72:73], v[66:67], v[70:71]
	s_waitcnt vmcnt(0)
	s_delay_alu instid0(VALU_DEP_1) | instskip(SKIP_1) | instid1(VALU_DEP_1)
	v_fma_f64 v[66:67], v[82:83], v[68:69], v[66:67]
	s_waitcnt lgkmcnt(0)
	v_fma_f64 v[66:67], v[84:85], v[74:75], v[66:67]
	s_delay_alu instid0(VALU_DEP_1)
	v_add_f64 v[64:65], v[64:65], -v[66:67]
	scratch_store_b64 off, v[64:65], off offset:80
	v_cmpx_lt_u32_e32 9, v0
	s_cbranch_execz .LBB93_171
; %bb.170:
	scratch_load_b64 v[64:65], off, off offset:72
	v_mov_b32_e32 v2, v1
	scratch_store_b64 off, v[1:2], off offset:72
	s_waitcnt vmcnt(0)
	ds_store_b64 v3, v[64:65]
.LBB93_171:
	s_or_b32 exec_lo, exec_lo, s0
	s_waitcnt lgkmcnt(0)
	s_waitcnt_vscnt null, 0x0
	s_barrier
	buffer_gl0_inv
	s_clause 0x4
	scratch_load_b128 v[64:67], off, off offset:72
	scratch_load_b128 v[68:71], off, off offset:88
	;; [unrolled: 1-line block ×5, first 2 shown]
	ds_load_b128 v[84:87], v1 offset:320
	ds_load_b128 v[88:91], v1 offset:336
	scratch_load_b128 v[92:95], off, off offset:152
	s_mov_b32 s0, exec_lo
	s_waitcnt vmcnt(5) lgkmcnt(1)
	v_fma_f64 v[66:67], v[66:67], v[84:85], 0
	s_waitcnt vmcnt(4)
	s_delay_alu instid0(VALU_DEP_1) | instskip(SKIP_1) | instid1(VALU_DEP_1)
	v_fma_f64 v[66:67], v[68:69], v[86:87], v[66:67]
	s_waitcnt lgkmcnt(0)
	v_fma_f64 v[70:71], v[70:71], v[88:89], v[66:67]
	scratch_load_b128 v[66:69], off, off offset:168
	s_waitcnt vmcnt(4)
	v_fma_f64 v[88:89], v[72:73], v[90:91], v[70:71]
	ds_load_b128 v[70:73], v1 offset:352
	ds_load_b128 v[84:87], v1 offset:368
	s_waitcnt lgkmcnt(1)
	v_fma_f64 v[70:71], v[74:75], v[70:71], v[88:89]
	scratch_load_b128 v[88:91], off, off offset:184
	s_waitcnt vmcnt(4)
	v_fma_f64 v[70:71], v[76:77], v[72:73], v[70:71]
	s_waitcnt lgkmcnt(0)
	s_delay_alu instid0(VALU_DEP_1)
	v_fma_f64 v[74:75], v[78:79], v[84:85], v[70:71]
	scratch_load_b128 v[70:73], off, off offset:200
	s_waitcnt vmcnt(4)
	v_fma_f64 v[84:85], v[80:81], v[86:87], v[74:75]
	ds_load_b128 v[74:77], v1 offset:384
	ds_load_b128 v[78:81], v1 offset:400
	scratch_load_b64 v[86:87], off, off offset:232
	s_waitcnt lgkmcnt(1)
	v_fma_f64 v[74:75], v[82:83], v[74:75], v[84:85]
	scratch_load_b128 v[82:85], off, off offset:216
	s_waitcnt vmcnt(5)
	v_fma_f64 v[74:75], v[92:93], v[76:77], v[74:75]
	s_waitcnt lgkmcnt(0)
	s_delay_alu instid0(VALU_DEP_1) | instskip(SKIP_1) | instid1(VALU_DEP_1)
	v_fma_f64 v[74:75], v[94:95], v[78:79], v[74:75]
	s_waitcnt vmcnt(4)
	v_fma_f64 v[66:67], v[66:67], v[80:81], v[74:75]
	ds_load_b128 v[74:77], v1 offset:416
	ds_load_b128 v[78:81], v1 offset:432
	s_waitcnt lgkmcnt(1)
	v_fma_f64 v[66:67], v[68:69], v[74:75], v[66:67]
	s_waitcnt vmcnt(3)
	s_delay_alu instid0(VALU_DEP_1) | instskip(SKIP_1) | instid1(VALU_DEP_1)
	v_fma_f64 v[66:67], v[88:89], v[76:77], v[66:67]
	s_waitcnt lgkmcnt(0)
	v_fma_f64 v[66:67], v[90:91], v[78:79], v[66:67]
	s_waitcnt vmcnt(2)
	s_delay_alu instid0(VALU_DEP_1)
	v_fma_f64 v[70:71], v[70:71], v[80:81], v[66:67]
	ds_load_b128 v[66:69], v1 offset:448
	ds_load_b128 v[74:77], v1 offset:464
	s_waitcnt lgkmcnt(1)
	v_fma_f64 v[1:2], v[72:73], v[66:67], v[70:71]
	s_waitcnt vmcnt(0)
	s_delay_alu instid0(VALU_DEP_1) | instskip(SKIP_1) | instid1(VALU_DEP_1)
	v_fma_f64 v[1:2], v[82:83], v[68:69], v[1:2]
	s_waitcnt lgkmcnt(0)
	v_fma_f64 v[1:2], v[84:85], v[74:75], v[1:2]
	s_delay_alu instid0(VALU_DEP_1) | instskip(NEXT) | instid1(VALU_DEP_1)
	v_fma_f64 v[1:2], v[86:87], v[76:77], v[1:2]
	v_add_f64 v[1:2], v[64:65], -v[1:2]
	scratch_store_b64 off, v[1:2], off offset:72
	v_cmpx_lt_u32_e32 8, v0
	s_cbranch_execz .LBB93_173
; %bb.172:
	scratch_load_b64 v[1:2], off, off offset:64
	v_mov_b32_e32 v64, 0
	s_delay_alu instid0(VALU_DEP_1)
	v_mov_b32_e32 v65, v64
	scratch_store_b64 off, v[64:65], off offset:64
	s_waitcnt vmcnt(0)
	ds_store_b64 v3, v[1:2]
.LBB93_173:
	s_or_b32 exec_lo, exec_lo, s0
	s_waitcnt lgkmcnt(0)
	s_waitcnt_vscnt null, 0x0
	s_barrier
	buffer_gl0_inv
	s_clause 0x4
	scratch_load_b128 v[64:67], off, off offset:64
	scratch_load_b128 v[68:71], off, off offset:80
	;; [unrolled: 1-line block ×5, first 2 shown]
	v_mov_b32_e32 v1, 0
	ds_load_2addr_b64 v[84:87], v1 offset0:39 offset1:40
	ds_load_2addr_b64 v[88:91], v1 offset0:41 offset1:42
	scratch_load_b128 v[92:95], off, off offset:144
	s_mov_b32 s0, exec_lo
	s_waitcnt vmcnt(5) lgkmcnt(1)
	v_fma_f64 v[66:67], v[66:67], v[84:85], 0
	s_waitcnt vmcnt(4)
	s_delay_alu instid0(VALU_DEP_1) | instskip(SKIP_1) | instid1(VALU_DEP_1)
	v_fma_f64 v[66:67], v[68:69], v[86:87], v[66:67]
	s_waitcnt lgkmcnt(0)
	v_fma_f64 v[70:71], v[70:71], v[88:89], v[66:67]
	scratch_load_b128 v[66:69], off, off offset:160
	s_waitcnt vmcnt(4)
	v_fma_f64 v[88:89], v[72:73], v[90:91], v[70:71]
	ds_load_2addr_b64 v[70:73], v1 offset0:43 offset1:44
	ds_load_2addr_b64 v[84:87], v1 offset0:45 offset1:46
	s_waitcnt lgkmcnt(1)
	v_fma_f64 v[70:71], v[74:75], v[70:71], v[88:89]
	scratch_load_b128 v[88:91], off, off offset:176
	s_waitcnt vmcnt(4)
	v_fma_f64 v[70:71], v[76:77], v[72:73], v[70:71]
	s_waitcnt lgkmcnt(0)
	s_delay_alu instid0(VALU_DEP_1)
	v_fma_f64 v[74:75], v[78:79], v[84:85], v[70:71]
	scratch_load_b128 v[70:73], off, off offset:192
	s_waitcnt vmcnt(4)
	v_fma_f64 v[84:85], v[80:81], v[86:87], v[74:75]
	ds_load_2addr_b64 v[74:77], v1 offset0:47 offset1:48
	ds_load_2addr_b64 v[78:81], v1 offset0:49 offset1:50
	s_waitcnt lgkmcnt(1)
	v_fma_f64 v[74:75], v[82:83], v[74:75], v[84:85]
	scratch_load_b128 v[82:85], off, off offset:208
	s_waitcnt vmcnt(4)
	v_fma_f64 v[74:75], v[92:93], v[76:77], v[74:75]
	s_waitcnt lgkmcnt(0)
	s_delay_alu instid0(VALU_DEP_1)
	v_fma_f64 v[78:79], v[94:95], v[78:79], v[74:75]
	scratch_load_b128 v[74:77], off, off offset:224
	s_waitcnt vmcnt(4)
	v_fma_f64 v[66:67], v[66:67], v[80:81], v[78:79]
	ds_load_2addr_b64 v[78:81], v1 offset0:51 offset1:52
	ds_load_2addr_b64 v[92:95], v1 offset0:53 offset1:54
	s_waitcnt lgkmcnt(1)
	v_fma_f64 v[66:67], v[68:69], v[78:79], v[66:67]
	s_waitcnt vmcnt(3)
	s_delay_alu instid0(VALU_DEP_1) | instskip(SKIP_1) | instid1(VALU_DEP_1)
	v_fma_f64 v[66:67], v[88:89], v[80:81], v[66:67]
	s_waitcnt lgkmcnt(0)
	v_fma_f64 v[66:67], v[90:91], v[92:93], v[66:67]
	s_waitcnt vmcnt(2)
	s_delay_alu instid0(VALU_DEP_1)
	v_fma_f64 v[70:71], v[70:71], v[94:95], v[66:67]
	ds_load_2addr_b64 v[66:69], v1 offset0:55 offset1:56
	ds_load_2addr_b64 v[78:81], v1 offset0:57 offset1:58
	s_waitcnt lgkmcnt(1)
	v_fma_f64 v[66:67], v[72:73], v[66:67], v[70:71]
	s_waitcnt vmcnt(1)
	s_delay_alu instid0(VALU_DEP_1) | instskip(SKIP_4) | instid1(VALU_DEP_1)
	v_fma_f64 v[66:67], v[82:83], v[68:69], v[66:67]
	ds_load_b64 v[68:69], v1 offset:472
	s_waitcnt lgkmcnt(1)
	v_fma_f64 v[66:67], v[84:85], v[78:79], v[66:67]
	s_waitcnt vmcnt(0)
	v_fma_f64 v[66:67], v[74:75], v[80:81], v[66:67]
	s_waitcnt lgkmcnt(0)
	s_delay_alu instid0(VALU_DEP_1) | instskip(NEXT) | instid1(VALU_DEP_1)
	v_fma_f64 v[66:67], v[76:77], v[68:69], v[66:67]
	v_add_f64 v[64:65], v[64:65], -v[66:67]
	scratch_store_b64 off, v[64:65], off offset:64
	v_cmpx_lt_u32_e32 7, v0
	s_cbranch_execz .LBB93_175
; %bb.174:
	scratch_load_b64 v[64:65], off, off offset:56
	v_mov_b32_e32 v2, v1
	scratch_store_b64 off, v[1:2], off offset:56
	s_waitcnt vmcnt(0)
	ds_store_b64 v3, v[64:65]
.LBB93_175:
	s_or_b32 exec_lo, exec_lo, s0
	s_waitcnt lgkmcnt(0)
	s_waitcnt_vscnt null, 0x0
	s_barrier
	buffer_gl0_inv
	s_clause 0x4
	scratch_load_b128 v[64:67], off, off offset:56
	scratch_load_b128 v[68:71], off, off offset:72
	scratch_load_b128 v[72:75], off, off offset:88
	scratch_load_b128 v[76:79], off, off offset:104
	scratch_load_b128 v[80:83], off, off offset:120
	ds_load_b128 v[84:87], v1 offset:304
	ds_load_b128 v[88:91], v1 offset:320
	scratch_load_b128 v[92:95], off, off offset:136
	s_mov_b32 s0, exec_lo
	s_waitcnt vmcnt(5) lgkmcnt(1)
	v_fma_f64 v[66:67], v[66:67], v[84:85], 0
	s_waitcnt vmcnt(4)
	s_delay_alu instid0(VALU_DEP_1) | instskip(SKIP_1) | instid1(VALU_DEP_1)
	v_fma_f64 v[66:67], v[68:69], v[86:87], v[66:67]
	s_waitcnt lgkmcnt(0)
	v_fma_f64 v[70:71], v[70:71], v[88:89], v[66:67]
	scratch_load_b128 v[66:69], off, off offset:152
	s_waitcnt vmcnt(4)
	v_fma_f64 v[88:89], v[72:73], v[90:91], v[70:71]
	ds_load_b128 v[70:73], v1 offset:336
	ds_load_b128 v[84:87], v1 offset:352
	s_waitcnt lgkmcnt(1)
	v_fma_f64 v[70:71], v[74:75], v[70:71], v[88:89]
	scratch_load_b128 v[88:91], off, off offset:168
	s_waitcnt vmcnt(4)
	v_fma_f64 v[70:71], v[76:77], v[72:73], v[70:71]
	s_waitcnt lgkmcnt(0)
	s_delay_alu instid0(VALU_DEP_1)
	v_fma_f64 v[74:75], v[78:79], v[84:85], v[70:71]
	scratch_load_b128 v[70:73], off, off offset:184
	s_waitcnt vmcnt(4)
	v_fma_f64 v[84:85], v[80:81], v[86:87], v[74:75]
	ds_load_b128 v[74:77], v1 offset:368
	ds_load_b128 v[78:81], v1 offset:384
	s_waitcnt lgkmcnt(1)
	v_fma_f64 v[74:75], v[82:83], v[74:75], v[84:85]
	scratch_load_b128 v[82:85], off, off offset:200
	s_waitcnt vmcnt(4)
	v_fma_f64 v[74:75], v[92:93], v[76:77], v[74:75]
	s_waitcnt lgkmcnt(0)
	s_delay_alu instid0(VALU_DEP_1)
	v_fma_f64 v[78:79], v[94:95], v[78:79], v[74:75]
	scratch_load_b128 v[74:77], off, off offset:216
	s_waitcnt vmcnt(4)
	v_fma_f64 v[66:67], v[66:67], v[80:81], v[78:79]
	ds_load_b128 v[78:81], v1 offset:400
	ds_load_b128 v[92:95], v1 offset:416
	scratch_load_b64 v[86:87], off, off offset:232
	s_waitcnt lgkmcnt(1)
	v_fma_f64 v[66:67], v[68:69], v[78:79], v[66:67]
	s_waitcnt vmcnt(4)
	s_delay_alu instid0(VALU_DEP_1) | instskip(SKIP_1) | instid1(VALU_DEP_1)
	v_fma_f64 v[66:67], v[88:89], v[80:81], v[66:67]
	s_waitcnt lgkmcnt(0)
	v_fma_f64 v[66:67], v[90:91], v[92:93], v[66:67]
	s_waitcnt vmcnt(3)
	s_delay_alu instid0(VALU_DEP_1)
	v_fma_f64 v[70:71], v[70:71], v[94:95], v[66:67]
	ds_load_b128 v[66:69], v1 offset:432
	ds_load_b128 v[78:81], v1 offset:448
	s_waitcnt lgkmcnt(1)
	v_fma_f64 v[66:67], v[72:73], v[66:67], v[70:71]
	s_waitcnt vmcnt(2)
	s_delay_alu instid0(VALU_DEP_1) | instskip(SKIP_1) | instid1(VALU_DEP_1)
	v_fma_f64 v[66:67], v[82:83], v[68:69], v[66:67]
	s_waitcnt lgkmcnt(0)
	v_fma_f64 v[66:67], v[84:85], v[78:79], v[66:67]
	s_waitcnt vmcnt(1)
	s_delay_alu instid0(VALU_DEP_1) | instskip(SKIP_4) | instid1(VALU_DEP_1)
	v_fma_f64 v[70:71], v[74:75], v[80:81], v[66:67]
	ds_load_b128 v[66:69], v1 offset:464
	s_waitcnt lgkmcnt(0)
	v_fma_f64 v[1:2], v[76:77], v[66:67], v[70:71]
	s_waitcnt vmcnt(0)
	v_fma_f64 v[1:2], v[86:87], v[68:69], v[1:2]
	s_delay_alu instid0(VALU_DEP_1)
	v_add_f64 v[1:2], v[64:65], -v[1:2]
	scratch_store_b64 off, v[1:2], off offset:56
	v_cmpx_lt_u32_e32 6, v0
	s_cbranch_execz .LBB93_177
; %bb.176:
	scratch_load_b64 v[1:2], off, off offset:48
	v_mov_b32_e32 v64, 0
	s_delay_alu instid0(VALU_DEP_1)
	v_mov_b32_e32 v65, v64
	scratch_store_b64 off, v[64:65], off offset:48
	s_waitcnt vmcnt(0)
	ds_store_b64 v3, v[1:2]
.LBB93_177:
	s_or_b32 exec_lo, exec_lo, s0
	s_waitcnt lgkmcnt(0)
	s_waitcnt_vscnt null, 0x0
	s_barrier
	buffer_gl0_inv
	s_clause 0x4
	scratch_load_b128 v[64:67], off, off offset:48
	scratch_load_b128 v[68:71], off, off offset:64
	;; [unrolled: 1-line block ×5, first 2 shown]
	v_mov_b32_e32 v1, 0
	ds_load_2addr_b64 v[84:87], v1 offset0:37 offset1:38
	ds_load_2addr_b64 v[88:91], v1 offset0:39 offset1:40
	scratch_load_b128 v[92:95], off, off offset:128
	s_mov_b32 s0, exec_lo
	s_waitcnt vmcnt(5) lgkmcnt(1)
	v_fma_f64 v[66:67], v[66:67], v[84:85], 0
	s_waitcnt vmcnt(4)
	s_delay_alu instid0(VALU_DEP_1) | instskip(SKIP_1) | instid1(VALU_DEP_1)
	v_fma_f64 v[66:67], v[68:69], v[86:87], v[66:67]
	s_waitcnt lgkmcnt(0)
	v_fma_f64 v[70:71], v[70:71], v[88:89], v[66:67]
	scratch_load_b128 v[66:69], off, off offset:144
	s_waitcnt vmcnt(4)
	v_fma_f64 v[88:89], v[72:73], v[90:91], v[70:71]
	ds_load_2addr_b64 v[70:73], v1 offset0:41 offset1:42
	ds_load_2addr_b64 v[84:87], v1 offset0:43 offset1:44
	s_waitcnt lgkmcnt(1)
	v_fma_f64 v[70:71], v[74:75], v[70:71], v[88:89]
	scratch_load_b128 v[88:91], off, off offset:160
	s_waitcnt vmcnt(4)
	v_fma_f64 v[70:71], v[76:77], v[72:73], v[70:71]
	s_waitcnt lgkmcnt(0)
	s_delay_alu instid0(VALU_DEP_1)
	v_fma_f64 v[74:75], v[78:79], v[84:85], v[70:71]
	scratch_load_b128 v[70:73], off, off offset:176
	s_waitcnt vmcnt(4)
	v_fma_f64 v[84:85], v[80:81], v[86:87], v[74:75]
	ds_load_2addr_b64 v[74:77], v1 offset0:45 offset1:46
	ds_load_2addr_b64 v[78:81], v1 offset0:47 offset1:48
	s_waitcnt lgkmcnt(1)
	v_fma_f64 v[74:75], v[82:83], v[74:75], v[84:85]
	scratch_load_b128 v[82:85], off, off offset:192
	s_waitcnt vmcnt(4)
	v_fma_f64 v[74:75], v[92:93], v[76:77], v[74:75]
	s_waitcnt lgkmcnt(0)
	s_delay_alu instid0(VALU_DEP_1)
	v_fma_f64 v[78:79], v[94:95], v[78:79], v[74:75]
	scratch_load_b128 v[74:77], off, off offset:208
	s_waitcnt vmcnt(4)
	v_fma_f64 v[66:67], v[66:67], v[80:81], v[78:79]
	ds_load_2addr_b64 v[78:81], v1 offset0:49 offset1:50
	ds_load_2addr_b64 v[92:95], v1 offset0:51 offset1:52
	s_waitcnt lgkmcnt(1)
	v_fma_f64 v[78:79], v[68:69], v[78:79], v[66:67]
	scratch_load_b128 v[66:69], off, off offset:224
	s_waitcnt vmcnt(4)
	v_fma_f64 v[78:79], v[88:89], v[80:81], v[78:79]
	s_waitcnt lgkmcnt(0)
	s_delay_alu instid0(VALU_DEP_1) | instskip(SKIP_1) | instid1(VALU_DEP_1)
	v_fma_f64 v[78:79], v[90:91], v[92:93], v[78:79]
	s_waitcnt vmcnt(3)
	v_fma_f64 v[70:71], v[70:71], v[94:95], v[78:79]
	ds_load_2addr_b64 v[78:81], v1 offset0:53 offset1:54
	ds_load_2addr_b64 v[86:89], v1 offset0:55 offset1:56
	s_waitcnt lgkmcnt(1)
	v_fma_f64 v[70:71], v[72:73], v[78:79], v[70:71]
	s_waitcnt vmcnt(2)
	s_delay_alu instid0(VALU_DEP_1) | instskip(SKIP_1) | instid1(VALU_DEP_1)
	v_fma_f64 v[70:71], v[82:83], v[80:81], v[70:71]
	s_waitcnt lgkmcnt(0)
	v_fma_f64 v[70:71], v[84:85], v[86:87], v[70:71]
	s_waitcnt vmcnt(1)
	s_delay_alu instid0(VALU_DEP_1)
	v_fma_f64 v[74:75], v[74:75], v[88:89], v[70:71]
	ds_load_2addr_b64 v[70:73], v1 offset0:57 offset1:58
	ds_load_b64 v[78:79], v1 offset:472
	s_waitcnt lgkmcnt(1)
	v_fma_f64 v[70:71], v[76:77], v[70:71], v[74:75]
	s_waitcnt vmcnt(0)
	s_delay_alu instid0(VALU_DEP_1) | instskip(SKIP_1) | instid1(VALU_DEP_1)
	v_fma_f64 v[66:67], v[66:67], v[72:73], v[70:71]
	s_waitcnt lgkmcnt(0)
	v_fma_f64 v[66:67], v[68:69], v[78:79], v[66:67]
	s_delay_alu instid0(VALU_DEP_1)
	v_add_f64 v[64:65], v[64:65], -v[66:67]
	scratch_store_b64 off, v[64:65], off offset:48
	v_cmpx_lt_u32_e32 5, v0
	s_cbranch_execz .LBB93_179
; %bb.178:
	scratch_load_b64 v[64:65], off, off offset:40
	v_mov_b32_e32 v2, v1
	scratch_store_b64 off, v[1:2], off offset:40
	s_waitcnt vmcnt(0)
	ds_store_b64 v3, v[64:65]
.LBB93_179:
	s_or_b32 exec_lo, exec_lo, s0
	s_waitcnt lgkmcnt(0)
	s_waitcnt_vscnt null, 0x0
	s_barrier
	buffer_gl0_inv
	s_clause 0x4
	scratch_load_b128 v[64:67], off, off offset:40
	scratch_load_b128 v[68:71], off, off offset:56
	;; [unrolled: 1-line block ×5, first 2 shown]
	ds_load_b128 v[84:87], v1 offset:288
	ds_load_b128 v[88:91], v1 offset:304
	scratch_load_b128 v[92:95], off, off offset:120
	s_mov_b32 s0, exec_lo
	s_waitcnt vmcnt(5) lgkmcnt(1)
	v_fma_f64 v[66:67], v[66:67], v[84:85], 0
	s_waitcnt vmcnt(4)
	s_delay_alu instid0(VALU_DEP_1) | instskip(SKIP_1) | instid1(VALU_DEP_1)
	v_fma_f64 v[66:67], v[68:69], v[86:87], v[66:67]
	s_waitcnt lgkmcnt(0)
	v_fma_f64 v[70:71], v[70:71], v[88:89], v[66:67]
	scratch_load_b128 v[66:69], off, off offset:136
	s_waitcnt vmcnt(4)
	v_fma_f64 v[88:89], v[72:73], v[90:91], v[70:71]
	ds_load_b128 v[70:73], v1 offset:320
	ds_load_b128 v[84:87], v1 offset:336
	s_waitcnt lgkmcnt(1)
	v_fma_f64 v[70:71], v[74:75], v[70:71], v[88:89]
	scratch_load_b128 v[88:91], off, off offset:152
	s_waitcnt vmcnt(4)
	v_fma_f64 v[70:71], v[76:77], v[72:73], v[70:71]
	s_waitcnt lgkmcnt(0)
	s_delay_alu instid0(VALU_DEP_1)
	v_fma_f64 v[74:75], v[78:79], v[84:85], v[70:71]
	scratch_load_b128 v[70:73], off, off offset:168
	s_waitcnt vmcnt(4)
	v_fma_f64 v[84:85], v[80:81], v[86:87], v[74:75]
	ds_load_b128 v[74:77], v1 offset:352
	ds_load_b128 v[78:81], v1 offset:368
	s_waitcnt lgkmcnt(1)
	v_fma_f64 v[74:75], v[82:83], v[74:75], v[84:85]
	scratch_load_b128 v[82:85], off, off offset:184
	s_waitcnt vmcnt(4)
	v_fma_f64 v[74:75], v[92:93], v[76:77], v[74:75]
	s_waitcnt lgkmcnt(0)
	s_delay_alu instid0(VALU_DEP_1)
	;; [unrolled: 13-line block ×3, first 2 shown]
	v_fma_f64 v[78:79], v[90:91], v[92:93], v[78:79]
	scratch_load_b64 v[90:91], off, off offset:232
	s_waitcnt vmcnt(4)
	v_fma_f64 v[70:71], v[70:71], v[94:95], v[78:79]
	ds_load_b128 v[78:81], v1 offset:416
	ds_load_b128 v[86:89], v1 offset:432
	s_waitcnt lgkmcnt(1)
	v_fma_f64 v[70:71], v[72:73], v[78:79], v[70:71]
	s_waitcnt vmcnt(3)
	s_delay_alu instid0(VALU_DEP_1) | instskip(SKIP_1) | instid1(VALU_DEP_1)
	v_fma_f64 v[70:71], v[82:83], v[80:81], v[70:71]
	s_waitcnt lgkmcnt(0)
	v_fma_f64 v[70:71], v[84:85], v[86:87], v[70:71]
	s_waitcnt vmcnt(2)
	s_delay_alu instid0(VALU_DEP_1)
	v_fma_f64 v[74:75], v[74:75], v[88:89], v[70:71]
	ds_load_b128 v[70:73], v1 offset:448
	ds_load_b128 v[78:81], v1 offset:464
	s_waitcnt lgkmcnt(1)
	v_fma_f64 v[1:2], v[76:77], v[70:71], v[74:75]
	s_waitcnt vmcnt(1)
	s_delay_alu instid0(VALU_DEP_1) | instskip(SKIP_1) | instid1(VALU_DEP_1)
	v_fma_f64 v[1:2], v[66:67], v[72:73], v[1:2]
	s_waitcnt lgkmcnt(0)
	v_fma_f64 v[1:2], v[68:69], v[78:79], v[1:2]
	s_waitcnt vmcnt(0)
	s_delay_alu instid0(VALU_DEP_1) | instskip(NEXT) | instid1(VALU_DEP_1)
	v_fma_f64 v[1:2], v[90:91], v[80:81], v[1:2]
	v_add_f64 v[1:2], v[64:65], -v[1:2]
	scratch_store_b64 off, v[1:2], off offset:40
	v_cmpx_lt_u32_e32 4, v0
	s_cbranch_execz .LBB93_181
; %bb.180:
	scratch_load_b64 v[1:2], off, off offset:32
	v_mov_b32_e32 v64, 0
	s_delay_alu instid0(VALU_DEP_1)
	v_mov_b32_e32 v65, v64
	scratch_store_b64 off, v[64:65], off offset:32
	s_waitcnt vmcnt(0)
	ds_store_b64 v3, v[1:2]
.LBB93_181:
	s_or_b32 exec_lo, exec_lo, s0
	s_waitcnt lgkmcnt(0)
	s_waitcnt_vscnt null, 0x0
	s_barrier
	buffer_gl0_inv
	s_clause 0x4
	scratch_load_b128 v[64:67], off, off offset:32
	scratch_load_b128 v[68:71], off, off offset:48
	;; [unrolled: 1-line block ×5, first 2 shown]
	v_mov_b32_e32 v1, 0
	ds_load_2addr_b64 v[84:87], v1 offset0:35 offset1:36
	ds_load_2addr_b64 v[88:91], v1 offset0:37 offset1:38
	scratch_load_b128 v[92:95], off, off offset:112
	s_mov_b32 s0, exec_lo
	s_waitcnt vmcnt(5) lgkmcnt(1)
	v_fma_f64 v[66:67], v[66:67], v[84:85], 0
	s_waitcnt vmcnt(4)
	s_delay_alu instid0(VALU_DEP_1) | instskip(SKIP_1) | instid1(VALU_DEP_1)
	v_fma_f64 v[66:67], v[68:69], v[86:87], v[66:67]
	s_waitcnt lgkmcnt(0)
	v_fma_f64 v[70:71], v[70:71], v[88:89], v[66:67]
	scratch_load_b128 v[66:69], off, off offset:128
	s_waitcnt vmcnt(4)
	v_fma_f64 v[88:89], v[72:73], v[90:91], v[70:71]
	ds_load_2addr_b64 v[70:73], v1 offset0:39 offset1:40
	ds_load_2addr_b64 v[84:87], v1 offset0:41 offset1:42
	s_waitcnt lgkmcnt(1)
	v_fma_f64 v[70:71], v[74:75], v[70:71], v[88:89]
	scratch_load_b128 v[88:91], off, off offset:144
	s_waitcnt vmcnt(4)
	v_fma_f64 v[70:71], v[76:77], v[72:73], v[70:71]
	s_waitcnt lgkmcnt(0)
	s_delay_alu instid0(VALU_DEP_1)
	v_fma_f64 v[74:75], v[78:79], v[84:85], v[70:71]
	scratch_load_b128 v[70:73], off, off offset:160
	s_waitcnt vmcnt(4)
	v_fma_f64 v[84:85], v[80:81], v[86:87], v[74:75]
	ds_load_2addr_b64 v[74:77], v1 offset0:43 offset1:44
	ds_load_2addr_b64 v[78:81], v1 offset0:45 offset1:46
	s_waitcnt lgkmcnt(1)
	v_fma_f64 v[74:75], v[82:83], v[74:75], v[84:85]
	scratch_load_b128 v[82:85], off, off offset:176
	s_waitcnt vmcnt(4)
	v_fma_f64 v[74:75], v[92:93], v[76:77], v[74:75]
	s_waitcnt lgkmcnt(0)
	s_delay_alu instid0(VALU_DEP_1)
	;; [unrolled: 13-line block ×3, first 2 shown]
	v_fma_f64 v[86:87], v[90:91], v[92:93], v[78:79]
	scratch_load_b128 v[78:81], off, off offset:224
	s_waitcnt vmcnt(4)
	v_fma_f64 v[70:71], v[70:71], v[94:95], v[86:87]
	ds_load_2addr_b64 v[86:89], v1 offset0:51 offset1:52
	ds_load_2addr_b64 v[90:93], v1 offset0:53 offset1:54
	s_waitcnt lgkmcnt(1)
	v_fma_f64 v[70:71], v[72:73], v[86:87], v[70:71]
	s_waitcnt vmcnt(3)
	s_delay_alu instid0(VALU_DEP_1) | instskip(SKIP_1) | instid1(VALU_DEP_1)
	v_fma_f64 v[70:71], v[82:83], v[88:89], v[70:71]
	s_waitcnt lgkmcnt(0)
	v_fma_f64 v[70:71], v[84:85], v[90:91], v[70:71]
	s_waitcnt vmcnt(2)
	s_delay_alu instid0(VALU_DEP_1)
	v_fma_f64 v[74:75], v[74:75], v[92:93], v[70:71]
	ds_load_2addr_b64 v[70:73], v1 offset0:55 offset1:56
	ds_load_2addr_b64 v[82:85], v1 offset0:57 offset1:58
	s_waitcnt lgkmcnt(1)
	v_fma_f64 v[70:71], v[76:77], v[70:71], v[74:75]
	s_waitcnt vmcnt(1)
	s_delay_alu instid0(VALU_DEP_1) | instskip(SKIP_1) | instid1(VALU_DEP_1)
	v_fma_f64 v[66:67], v[66:67], v[72:73], v[70:71]
	s_waitcnt lgkmcnt(0)
	v_fma_f64 v[66:67], v[68:69], v[82:83], v[66:67]
	ds_load_b64 v[68:69], v1 offset:472
	s_waitcnt vmcnt(0)
	v_fma_f64 v[66:67], v[78:79], v[84:85], v[66:67]
	s_waitcnt lgkmcnt(0)
	s_delay_alu instid0(VALU_DEP_1) | instskip(NEXT) | instid1(VALU_DEP_1)
	v_fma_f64 v[66:67], v[80:81], v[68:69], v[66:67]
	v_add_f64 v[64:65], v[64:65], -v[66:67]
	scratch_store_b64 off, v[64:65], off offset:32
	v_cmpx_lt_u32_e32 3, v0
	s_cbranch_execz .LBB93_183
; %bb.182:
	scratch_load_b64 v[64:65], off, off offset:24
	v_mov_b32_e32 v2, v1
	scratch_store_b64 off, v[1:2], off offset:24
	s_waitcnt vmcnt(0)
	ds_store_b64 v3, v[64:65]
.LBB93_183:
	s_or_b32 exec_lo, exec_lo, s0
	s_waitcnt lgkmcnt(0)
	s_waitcnt_vscnt null, 0x0
	s_barrier
	buffer_gl0_inv
	s_clause 0x4
	scratch_load_b128 v[64:67], off, off offset:24
	scratch_load_b128 v[68:71], off, off offset:40
	;; [unrolled: 1-line block ×5, first 2 shown]
	ds_load_b128 v[84:87], v1 offset:272
	ds_load_b128 v[88:91], v1 offset:288
	scratch_load_b128 v[92:95], off, off offset:104
	s_mov_b32 s0, exec_lo
	s_waitcnt vmcnt(5) lgkmcnt(1)
	v_fma_f64 v[66:67], v[66:67], v[84:85], 0
	s_waitcnt vmcnt(4)
	s_delay_alu instid0(VALU_DEP_1) | instskip(SKIP_1) | instid1(VALU_DEP_1)
	v_fma_f64 v[66:67], v[68:69], v[86:87], v[66:67]
	s_waitcnt lgkmcnt(0)
	v_fma_f64 v[70:71], v[70:71], v[88:89], v[66:67]
	scratch_load_b128 v[66:69], off, off offset:120
	s_waitcnt vmcnt(4)
	v_fma_f64 v[88:89], v[72:73], v[90:91], v[70:71]
	ds_load_b128 v[70:73], v1 offset:304
	ds_load_b128 v[84:87], v1 offset:320
	s_waitcnt lgkmcnt(1)
	v_fma_f64 v[70:71], v[74:75], v[70:71], v[88:89]
	scratch_load_b128 v[88:91], off, off offset:136
	s_waitcnt vmcnt(4)
	v_fma_f64 v[70:71], v[76:77], v[72:73], v[70:71]
	s_waitcnt lgkmcnt(0)
	s_delay_alu instid0(VALU_DEP_1)
	v_fma_f64 v[74:75], v[78:79], v[84:85], v[70:71]
	scratch_load_b128 v[70:73], off, off offset:152
	s_waitcnt vmcnt(4)
	v_fma_f64 v[84:85], v[80:81], v[86:87], v[74:75]
	ds_load_b128 v[74:77], v1 offset:336
	ds_load_b128 v[78:81], v1 offset:352
	s_waitcnt lgkmcnt(1)
	v_fma_f64 v[74:75], v[82:83], v[74:75], v[84:85]
	scratch_load_b128 v[82:85], off, off offset:168
	s_waitcnt vmcnt(4)
	v_fma_f64 v[74:75], v[92:93], v[76:77], v[74:75]
	s_waitcnt lgkmcnt(0)
	s_delay_alu instid0(VALU_DEP_1)
	v_fma_f64 v[78:79], v[94:95], v[78:79], v[74:75]
	scratch_load_b128 v[74:77], off, off offset:184
	s_waitcnt vmcnt(4)
	v_fma_f64 v[66:67], v[66:67], v[80:81], v[78:79]
	ds_load_b128 v[78:81], v1 offset:368
	ds_load_b128 v[92:95], v1 offset:384
	s_waitcnt lgkmcnt(1)
	v_fma_f64 v[78:79], v[68:69], v[78:79], v[66:67]
	scratch_load_b128 v[66:69], off, off offset:200
	s_waitcnt vmcnt(4)
	v_fma_f64 v[78:79], v[88:89], v[80:81], v[78:79]
	s_waitcnt lgkmcnt(0)
	s_delay_alu instid0(VALU_DEP_1)
	v_fma_f64 v[86:87], v[90:91], v[92:93], v[78:79]
	scratch_load_b128 v[78:81], off, off offset:216
	s_waitcnt vmcnt(4)
	v_fma_f64 v[70:71], v[70:71], v[94:95], v[86:87]
	ds_load_b128 v[86:89], v1 offset:400
	ds_load_b128 v[90:93], v1 offset:416
	s_waitcnt lgkmcnt(1)
	v_fma_f64 v[70:71], v[72:73], v[86:87], v[70:71]
	scratch_load_b64 v[86:87], off, off offset:232
	s_waitcnt vmcnt(4)
	v_fma_f64 v[70:71], v[82:83], v[88:89], v[70:71]
	s_waitcnt lgkmcnt(0)
	s_delay_alu instid0(VALU_DEP_1) | instskip(SKIP_1) | instid1(VALU_DEP_1)
	v_fma_f64 v[70:71], v[84:85], v[90:91], v[70:71]
	s_waitcnt vmcnt(3)
	v_fma_f64 v[74:75], v[74:75], v[92:93], v[70:71]
	ds_load_b128 v[70:73], v1 offset:432
	ds_load_b128 v[82:85], v1 offset:448
	s_waitcnt lgkmcnt(1)
	v_fma_f64 v[70:71], v[76:77], v[70:71], v[74:75]
	s_waitcnt vmcnt(2)
	s_delay_alu instid0(VALU_DEP_1) | instskip(SKIP_1) | instid1(VALU_DEP_1)
	v_fma_f64 v[66:67], v[66:67], v[72:73], v[70:71]
	s_waitcnt lgkmcnt(0)
	v_fma_f64 v[66:67], v[68:69], v[82:83], v[66:67]
	s_waitcnt vmcnt(1)
	s_delay_alu instid0(VALU_DEP_1) | instskip(SKIP_4) | instid1(VALU_DEP_1)
	v_fma_f64 v[70:71], v[78:79], v[84:85], v[66:67]
	ds_load_b128 v[66:69], v1 offset:464
	s_waitcnt lgkmcnt(0)
	v_fma_f64 v[1:2], v[80:81], v[66:67], v[70:71]
	s_waitcnt vmcnt(0)
	v_fma_f64 v[1:2], v[86:87], v[68:69], v[1:2]
	s_delay_alu instid0(VALU_DEP_1)
	v_add_f64 v[1:2], v[64:65], -v[1:2]
	scratch_store_b64 off, v[1:2], off offset:24
	v_cmpx_lt_u32_e32 2, v0
	s_cbranch_execz .LBB93_185
; %bb.184:
	scratch_load_b64 v[1:2], off, off offset:16
	v_mov_b32_e32 v64, 0
	s_delay_alu instid0(VALU_DEP_1)
	v_mov_b32_e32 v65, v64
	scratch_store_b64 off, v[64:65], off offset:16
	s_waitcnt vmcnt(0)
	ds_store_b64 v3, v[1:2]
.LBB93_185:
	s_or_b32 exec_lo, exec_lo, s0
	s_waitcnt lgkmcnt(0)
	s_waitcnt_vscnt null, 0x0
	s_barrier
	buffer_gl0_inv
	s_clause 0x4
	scratch_load_b128 v[64:67], off, off offset:16
	scratch_load_b128 v[68:71], off, off offset:32
	scratch_load_b128 v[72:75], off, off offset:48
	scratch_load_b128 v[76:79], off, off offset:64
	scratch_load_b128 v[80:83], off, off offset:80
	v_mov_b32_e32 v1, 0
	ds_load_2addr_b64 v[84:87], v1 offset0:33 offset1:34
	ds_load_2addr_b64 v[88:91], v1 offset0:35 offset1:36
	scratch_load_b128 v[92:95], off, off offset:96
	s_mov_b32 s0, exec_lo
	s_waitcnt vmcnt(5) lgkmcnt(1)
	v_fma_f64 v[66:67], v[66:67], v[84:85], 0
	s_waitcnt vmcnt(4)
	s_delay_alu instid0(VALU_DEP_1) | instskip(SKIP_1) | instid1(VALU_DEP_1)
	v_fma_f64 v[66:67], v[68:69], v[86:87], v[66:67]
	s_waitcnt lgkmcnt(0)
	v_fma_f64 v[70:71], v[70:71], v[88:89], v[66:67]
	scratch_load_b128 v[66:69], off, off offset:112
	s_waitcnt vmcnt(4)
	v_fma_f64 v[88:89], v[72:73], v[90:91], v[70:71]
	ds_load_2addr_b64 v[70:73], v1 offset0:37 offset1:38
	ds_load_2addr_b64 v[84:87], v1 offset0:39 offset1:40
	s_waitcnt lgkmcnt(1)
	v_fma_f64 v[70:71], v[74:75], v[70:71], v[88:89]
	scratch_load_b128 v[88:91], off, off offset:128
	s_waitcnt vmcnt(4)
	v_fma_f64 v[70:71], v[76:77], v[72:73], v[70:71]
	s_waitcnt lgkmcnt(0)
	s_delay_alu instid0(VALU_DEP_1)
	v_fma_f64 v[74:75], v[78:79], v[84:85], v[70:71]
	scratch_load_b128 v[70:73], off, off offset:144
	s_waitcnt vmcnt(4)
	v_fma_f64 v[84:85], v[80:81], v[86:87], v[74:75]
	ds_load_2addr_b64 v[74:77], v1 offset0:41 offset1:42
	ds_load_2addr_b64 v[78:81], v1 offset0:43 offset1:44
	s_waitcnt lgkmcnt(1)
	v_fma_f64 v[74:75], v[82:83], v[74:75], v[84:85]
	scratch_load_b128 v[82:85], off, off offset:160
	s_waitcnt vmcnt(4)
	v_fma_f64 v[74:75], v[92:93], v[76:77], v[74:75]
	s_waitcnt lgkmcnt(0)
	s_delay_alu instid0(VALU_DEP_1)
	;; [unrolled: 13-line block ×3, first 2 shown]
	v_fma_f64 v[86:87], v[90:91], v[92:93], v[78:79]
	scratch_load_b128 v[78:81], off, off offset:208
	s_waitcnt vmcnt(4)
	v_fma_f64 v[70:71], v[70:71], v[94:95], v[86:87]
	ds_load_2addr_b64 v[86:89], v1 offset0:49 offset1:50
	ds_load_2addr_b64 v[90:93], v1 offset0:51 offset1:52
	s_waitcnt lgkmcnt(1)
	v_fma_f64 v[86:87], v[72:73], v[86:87], v[70:71]
	scratch_load_b128 v[70:73], off, off offset:224
	s_waitcnt vmcnt(4)
	v_fma_f64 v[82:83], v[82:83], v[88:89], v[86:87]
	s_waitcnt lgkmcnt(0)
	s_delay_alu instid0(VALU_DEP_1) | instskip(SKIP_1) | instid1(VALU_DEP_1)
	v_fma_f64 v[82:83], v[84:85], v[90:91], v[82:83]
	s_waitcnt vmcnt(3)
	v_fma_f64 v[74:75], v[74:75], v[92:93], v[82:83]
	ds_load_2addr_b64 v[82:85], v1 offset0:53 offset1:54
	ds_load_2addr_b64 v[86:89], v1 offset0:55 offset1:56
	s_waitcnt lgkmcnt(1)
	v_fma_f64 v[74:75], v[76:77], v[82:83], v[74:75]
	s_waitcnt vmcnt(2)
	s_delay_alu instid0(VALU_DEP_1) | instskip(SKIP_1) | instid1(VALU_DEP_1)
	v_fma_f64 v[66:67], v[66:67], v[84:85], v[74:75]
	s_waitcnt lgkmcnt(0)
	v_fma_f64 v[66:67], v[68:69], v[86:87], v[66:67]
	s_waitcnt vmcnt(1)
	s_delay_alu instid0(VALU_DEP_1)
	v_fma_f64 v[74:75], v[78:79], v[88:89], v[66:67]
	ds_load_2addr_b64 v[66:69], v1 offset0:57 offset1:58
	ds_load_b64 v[76:77], v1 offset:472
	s_waitcnt lgkmcnt(1)
	v_fma_f64 v[66:67], v[80:81], v[66:67], v[74:75]
	s_waitcnt vmcnt(0)
	s_delay_alu instid0(VALU_DEP_1) | instskip(SKIP_1) | instid1(VALU_DEP_1)
	v_fma_f64 v[66:67], v[70:71], v[68:69], v[66:67]
	s_waitcnt lgkmcnt(0)
	v_fma_f64 v[66:67], v[72:73], v[76:77], v[66:67]
	s_delay_alu instid0(VALU_DEP_1)
	v_add_f64 v[64:65], v[64:65], -v[66:67]
	scratch_store_b64 off, v[64:65], off offset:16
	v_cmpx_lt_u32_e32 1, v0
	s_cbranch_execz .LBB93_187
; %bb.186:
	scratch_load_b64 v[64:65], off, off offset:8
	v_mov_b32_e32 v2, v1
	scratch_store_b64 off, v[1:2], off offset:8
	s_waitcnt vmcnt(0)
	ds_store_b64 v3, v[64:65]
.LBB93_187:
	s_or_b32 exec_lo, exec_lo, s0
	s_waitcnt lgkmcnt(0)
	s_waitcnt_vscnt null, 0x0
	s_barrier
	buffer_gl0_inv
	s_clause 0x4
	scratch_load_b128 v[64:67], off, off offset:8
	scratch_load_b128 v[68:71], off, off offset:24
	;; [unrolled: 1-line block ×5, first 2 shown]
	ds_load_b128 v[84:87], v1 offset:256
	ds_load_b128 v[88:91], v1 offset:272
	scratch_load_b128 v[92:95], off, off offset:88
	s_mov_b32 s0, exec_lo
	s_waitcnt vmcnt(5) lgkmcnt(1)
	v_fma_f64 v[66:67], v[66:67], v[84:85], 0
	s_waitcnt vmcnt(4)
	s_delay_alu instid0(VALU_DEP_1) | instskip(SKIP_1) | instid1(VALU_DEP_1)
	v_fma_f64 v[66:67], v[68:69], v[86:87], v[66:67]
	s_waitcnt lgkmcnt(0)
	v_fma_f64 v[70:71], v[70:71], v[88:89], v[66:67]
	scratch_load_b128 v[66:69], off, off offset:104
	s_waitcnt vmcnt(4)
	v_fma_f64 v[88:89], v[72:73], v[90:91], v[70:71]
	ds_load_b128 v[70:73], v1 offset:288
	ds_load_b128 v[84:87], v1 offset:304
	s_waitcnt lgkmcnt(1)
	v_fma_f64 v[70:71], v[74:75], v[70:71], v[88:89]
	scratch_load_b128 v[88:91], off, off offset:120
	s_waitcnt vmcnt(4)
	v_fma_f64 v[70:71], v[76:77], v[72:73], v[70:71]
	s_waitcnt lgkmcnt(0)
	s_delay_alu instid0(VALU_DEP_1)
	v_fma_f64 v[74:75], v[78:79], v[84:85], v[70:71]
	scratch_load_b128 v[70:73], off, off offset:136
	s_waitcnt vmcnt(4)
	v_fma_f64 v[84:85], v[80:81], v[86:87], v[74:75]
	ds_load_b128 v[74:77], v1 offset:320
	ds_load_b128 v[78:81], v1 offset:336
	s_waitcnt lgkmcnt(1)
	v_fma_f64 v[74:75], v[82:83], v[74:75], v[84:85]
	scratch_load_b128 v[82:85], off, off offset:152
	s_waitcnt vmcnt(4)
	v_fma_f64 v[74:75], v[92:93], v[76:77], v[74:75]
	s_waitcnt lgkmcnt(0)
	s_delay_alu instid0(VALU_DEP_1)
	;; [unrolled: 13-line block ×4, first 2 shown]
	v_fma_f64 v[82:83], v[84:85], v[90:91], v[82:83]
	scratch_load_b64 v[90:91], off, off offset:232
	s_waitcnt vmcnt(4)
	v_fma_f64 v[74:75], v[74:75], v[92:93], v[82:83]
	ds_load_b128 v[82:85], v1 offset:416
	ds_load_b128 v[86:89], v1 offset:432
	s_waitcnt lgkmcnt(1)
	v_fma_f64 v[74:75], v[76:77], v[82:83], v[74:75]
	s_waitcnt vmcnt(3)
	s_delay_alu instid0(VALU_DEP_1) | instskip(SKIP_1) | instid1(VALU_DEP_1)
	v_fma_f64 v[66:67], v[66:67], v[84:85], v[74:75]
	s_waitcnt lgkmcnt(0)
	v_fma_f64 v[66:67], v[68:69], v[86:87], v[66:67]
	s_waitcnt vmcnt(2)
	s_delay_alu instid0(VALU_DEP_1)
	v_fma_f64 v[78:79], v[78:79], v[88:89], v[66:67]
	ds_load_b128 v[66:69], v1 offset:448
	ds_load_b128 v[74:77], v1 offset:464
	s_waitcnt lgkmcnt(1)
	v_fma_f64 v[1:2], v[80:81], v[66:67], v[78:79]
	s_waitcnt vmcnt(1)
	s_delay_alu instid0(VALU_DEP_1) | instskip(SKIP_1) | instid1(VALU_DEP_1)
	v_fma_f64 v[1:2], v[70:71], v[68:69], v[1:2]
	s_waitcnt lgkmcnt(0)
	v_fma_f64 v[1:2], v[72:73], v[74:75], v[1:2]
	s_waitcnt vmcnt(0)
	s_delay_alu instid0(VALU_DEP_1) | instskip(NEXT) | instid1(VALU_DEP_1)
	v_fma_f64 v[1:2], v[90:91], v[76:77], v[1:2]
	v_add_f64 v[1:2], v[64:65], -v[1:2]
	scratch_store_b64 off, v[1:2], off offset:8
	v_cmpx_ne_u32_e32 0, v0
	s_cbranch_execz .LBB93_189
; %bb.188:
	scratch_load_b64 v[0:1], off, off
	v_mov_b32_e32 v64, 0
	s_delay_alu instid0(VALU_DEP_1)
	v_mov_b32_e32 v65, v64
	scratch_store_b64 off, v[64:65], off
	s_waitcnt vmcnt(0)
	ds_store_b64 v3, v[0:1]
.LBB93_189:
	s_or_b32 exec_lo, exec_lo, s0
	s_waitcnt lgkmcnt(0)
	s_waitcnt_vscnt null, 0x0
	s_barrier
	buffer_gl0_inv
	s_clause 0x4
	scratch_load_b128 v[64:67], off, off
	scratch_load_b128 v[0:3], off, off offset:16
	scratch_load_b128 v[68:71], off, off offset:32
	scratch_load_b128 v[72:75], off, off offset:48
	scratch_load_b128 v[76:79], off, off offset:64
	v_mov_b32_e32 v96, 0
	ds_load_2addr_b64 v[80:83], v96 offset0:31 offset1:32
	ds_load_2addr_b64 v[84:87], v96 offset0:33 offset1:34
	scratch_load_b128 v[88:91], off, off offset:80
	s_and_b32 vcc_lo, exec_lo, s12
	s_waitcnt vmcnt(5) lgkmcnt(1)
	v_fma_f64 v[66:67], v[66:67], v[80:81], 0
	s_waitcnt vmcnt(4)
	s_delay_alu instid0(VALU_DEP_1) | instskip(SKIP_1) | instid1(VALU_DEP_1)
	v_fma_f64 v[0:1], v[0:1], v[82:83], v[66:67]
	s_waitcnt lgkmcnt(0)
	v_fma_f64 v[66:67], v[2:3], v[84:85], v[0:1]
	scratch_load_b128 v[0:3], off, off offset:96
	s_waitcnt vmcnt(4)
	v_fma_f64 v[84:85], v[68:69], v[86:87], v[66:67]
	ds_load_2addr_b64 v[66:69], v96 offset0:35 offset1:36
	ds_load_2addr_b64 v[80:83], v96 offset0:37 offset1:38
	s_waitcnt lgkmcnt(1)
	v_fma_f64 v[66:67], v[70:71], v[66:67], v[84:85]
	scratch_load_b128 v[84:87], off, off offset:112
	s_waitcnt vmcnt(4)
	v_fma_f64 v[66:67], v[72:73], v[68:69], v[66:67]
	s_waitcnt lgkmcnt(0)
	s_delay_alu instid0(VALU_DEP_1)
	v_fma_f64 v[70:71], v[74:75], v[80:81], v[66:67]
	scratch_load_b128 v[66:69], off, off offset:128
	s_waitcnt vmcnt(4)
	v_fma_f64 v[80:81], v[76:77], v[82:83], v[70:71]
	ds_load_2addr_b64 v[70:73], v96 offset0:39 offset1:40
	ds_load_2addr_b64 v[74:77], v96 offset0:41 offset1:42
	s_waitcnt lgkmcnt(1)
	v_fma_f64 v[70:71], v[78:79], v[70:71], v[80:81]
	scratch_load_b128 v[78:81], off, off offset:144
	s_waitcnt vmcnt(4)
	v_fma_f64 v[70:71], v[88:89], v[72:73], v[70:71]
	s_waitcnt lgkmcnt(0)
	s_delay_alu instid0(VALU_DEP_1)
	v_fma_f64 v[74:75], v[90:91], v[74:75], v[70:71]
	scratch_load_b128 v[70:73], off, off offset:160
	s_waitcnt vmcnt(4)
	v_fma_f64 v[0:1], v[0:1], v[76:77], v[74:75]
	ds_load_2addr_b64 v[74:77], v96 offset0:43 offset1:44
	ds_load_2addr_b64 v[88:91], v96 offset0:45 offset1:46
	scratch_load_b128 v[92:95], off, off offset:176
	s_waitcnt lgkmcnt(1)
	v_fma_f64 v[0:1], v[2:3], v[74:75], v[0:1]
	s_waitcnt vmcnt(4)
	s_delay_alu instid0(VALU_DEP_1) | instskip(SKIP_4) | instid1(VALU_DEP_1)
	v_fma_f64 v[0:1], v[84:85], v[76:77], v[0:1]
	scratch_load_b128 v[74:77], off, off offset:192
	s_waitcnt lgkmcnt(0)
	v_fma_f64 v[0:1], v[86:87], v[88:89], v[0:1]
	s_waitcnt vmcnt(4)
	v_fma_f64 v[66:67], v[66:67], v[90:91], v[0:1]
	ds_load_2addr_b64 v[0:3], v96 offset0:47 offset1:48
	ds_load_2addr_b64 v[82:85], v96 offset0:49 offset1:50
	s_waitcnt lgkmcnt(1)
	v_fma_f64 v[0:1], v[68:69], v[0:1], v[66:67]
	scratch_load_b128 v[66:69], off, off offset:208
	s_waitcnt vmcnt(4)
	v_fma_f64 v[0:1], v[78:79], v[2:3], v[0:1]
	s_waitcnt lgkmcnt(0)
	s_delay_alu instid0(VALU_DEP_1)
	v_fma_f64 v[78:79], v[80:81], v[82:83], v[0:1]
	scratch_load_b128 v[0:3], off, off offset:224
	s_waitcnt vmcnt(4)
	v_fma_f64 v[70:71], v[70:71], v[84:85], v[78:79]
	ds_load_2addr_b64 v[78:81], v96 offset0:51 offset1:52
	ds_load_2addr_b64 v[82:85], v96 offset0:53 offset1:54
	s_waitcnt lgkmcnt(1)
	v_fma_f64 v[70:71], v[72:73], v[78:79], v[70:71]
	s_waitcnt vmcnt(3)
	s_delay_alu instid0(VALU_DEP_1) | instskip(SKIP_1) | instid1(VALU_DEP_1)
	v_fma_f64 v[70:71], v[92:93], v[80:81], v[70:71]
	s_waitcnt lgkmcnt(0)
	v_fma_f64 v[70:71], v[94:95], v[82:83], v[70:71]
	s_waitcnt vmcnt(2)
	s_delay_alu instid0(VALU_DEP_1)
	v_fma_f64 v[74:75], v[74:75], v[84:85], v[70:71]
	ds_load_2addr_b64 v[70:73], v96 offset0:55 offset1:56
	ds_load_2addr_b64 v[78:81], v96 offset0:57 offset1:58
	s_waitcnt lgkmcnt(1)
	v_fma_f64 v[70:71], v[76:77], v[70:71], v[74:75]
	s_waitcnt vmcnt(1)
	s_delay_alu instid0(VALU_DEP_1) | instskip(SKIP_1) | instid1(VALU_DEP_1)
	v_fma_f64 v[66:67], v[66:67], v[72:73], v[70:71]
	s_waitcnt lgkmcnt(0)
	v_fma_f64 v[66:67], v[68:69], v[78:79], v[66:67]
	ds_load_b64 v[68:69], v96 offset:472
	s_waitcnt vmcnt(0)
	v_fma_f64 v[66:67], v[0:1], v[80:81], v[66:67]
	s_waitcnt lgkmcnt(0)
	s_delay_alu instid0(VALU_DEP_1) | instskip(NEXT) | instid1(VALU_DEP_1)
	v_fma_f64 v[2:3], v[2:3], v[68:69], v[66:67]
	v_add_f64 v[2:3], v[64:65], -v[2:3]
	scratch_store_b64 off, v[2:3], off
	s_cbranch_vccz .LBB93_249
; %bb.190:
	v_dual_mov_b32 v2, s2 :: v_dual_mov_b32 v3, s3
	s_mov_b32 s0, exec_lo
	flat_load_b32 v2, v[2:3] offset:112
	s_waitcnt vmcnt(0) lgkmcnt(0)
	v_cmpx_ne_u32_e32 29, v2
	s_cbranch_execz .LBB93_192
; %bb.191:
	v_lshl_add_u32 v64, v2, 3, 0
	scratch_load_b64 v[2:3], v64, off offset:-8
	s_waitcnt vmcnt(0)
	scratch_store_b64 off, v[2:3], off offset:224
	scratch_store_b64 v64, v[0:1], off offset:-8
.LBB93_192:
	s_or_b32 exec_lo, exec_lo, s0
	v_dual_mov_b32 v0, s2 :: v_dual_mov_b32 v1, s3
	s_mov_b32 s0, exec_lo
	flat_load_b32 v0, v[0:1] offset:108
	s_waitcnt vmcnt(0) lgkmcnt(0)
	v_cmpx_ne_u32_e32 28, v0
	s_cbranch_execz .LBB93_194
; %bb.193:
	v_lshl_add_u32 v64, v0, 3, 0
	scratch_load_b64 v[0:1], v64, off offset:-8
	scratch_load_b64 v[2:3], off, off offset:216
	s_waitcnt vmcnt(1)
	scratch_store_b64 off, v[0:1], off offset:216
	s_waitcnt vmcnt(0)
	scratch_store_b64 v64, v[2:3], off offset:-8
.LBB93_194:
	s_or_b32 exec_lo, exec_lo, s0
	v_dual_mov_b32 v0, s2 :: v_dual_mov_b32 v1, s3
	s_mov_b32 s0, exec_lo
	flat_load_b32 v0, v[0:1] offset:104
	s_waitcnt vmcnt(0) lgkmcnt(0)
	v_cmpx_ne_u32_e32 27, v0
	s_cbranch_execz .LBB93_196
; %bb.195:
	v_lshl_add_u32 v64, v0, 3, 0
	scratch_load_b64 v[0:1], v64, off offset:-8
	scratch_load_b64 v[2:3], off, off offset:208
	s_waitcnt vmcnt(1)
	scratch_store_b64 off, v[0:1], off offset:208
	s_waitcnt vmcnt(0)
	scratch_store_b64 v64, v[2:3], off offset:-8
.LBB93_196:
	;; [unrolled: 16-line block ×27, first 2 shown]
	s_or_b32 exec_lo, exec_lo, s0
	v_dual_mov_b32 v0, s2 :: v_dual_mov_b32 v1, s3
	s_mov_b32 s0, exec_lo
	flat_load_b32 v0, v[0:1]
	scratch_load_b64 v[2:3], off, off
	s_waitcnt vmcnt(1) lgkmcnt(0)
	v_cmpx_ne_u32_e32 1, v0
	s_cbranch_execz .LBB93_248
; %bb.247:
	v_lshl_add_u32 v64, v0, 3, 0
	scratch_load_b64 v[0:1], v64, off offset:-8
	s_waitcnt vmcnt(0)
	scratch_store_b64 off, v[0:1], off
	scratch_store_b64 v64, v[2:3], off offset:-8
	scratch_load_b64 v[2:3], off, off
.LBB93_248:
	s_or_b32 exec_lo, exec_lo, s0
.LBB93_249:
	s_clause 0x6
	scratch_load_b128 v[64:67], off, off offset:8
	scratch_load_b128 v[68:71], off, off offset:24
	;; [unrolled: 1-line block ×7, first 2 shown]
	s_waitcnt vmcnt(7)
	global_store_b64 v[6:7], v[2:3], off
	scratch_load_b128 v[0:3], off, off offset:120
	s_waitcnt vmcnt(7)
	global_store_b64 v[4:5], v[64:65], off
	scratch_load_b128 v[4:7], off, off offset:136
	global_store_b64 v[10:11], v[66:67], off
	s_waitcnt vmcnt(7)
	s_clause 0x1
	global_store_b64 v[8:9], v[68:69], off
	global_store_b64 v[12:13], v[70:71], off
	s_waitcnt vmcnt(6)
	s_clause 0x1
	global_store_b64 v[14:15], v[72:73], off
	global_store_b64 v[18:19], v[74:75], off
	s_clause 0x5
	scratch_load_b128 v[64:67], off, off offset:152
	scratch_load_b128 v[8:11], off, off offset:168
	scratch_load_b128 v[68:71], off, off offset:184
	scratch_load_b128 v[12:15], off, off offset:200
	scratch_load_b128 v[72:75], off, off offset:216
	scratch_load_b64 v[18:19], off, off offset:232
	s_waitcnt vmcnt(11)
	s_clause 0x1
	global_store_b64 v[16:17], v[76:77], off
	global_store_b64 v[20:21], v[78:79], off
	s_waitcnt vmcnt(10)
	s_clause 0x1
	global_store_b64 v[22:23], v[80:81], off
	global_store_b64 v[26:27], v[82:83], off
	s_waitcnt vmcnt(9)
	s_clause 0x1
	global_store_b64 v[28:29], v[84:85], off
	global_store_b64 v[30:31], v[86:87], off
	s_waitcnt vmcnt(8)
	s_clause 0x1
	global_store_b64 v[32:33], v[88:89], off
	global_store_b64 v[34:35], v[90:91], off
	s_waitcnt vmcnt(7)
	s_clause 0x1
	global_store_b64 v[36:37], v[0:1], off
	global_store_b64 v[38:39], v[2:3], off
	s_waitcnt vmcnt(6)
	s_clause 0x1
	global_store_b64 v[40:41], v[4:5], off
	global_store_b64 v[42:43], v[6:7], off
	s_waitcnt vmcnt(5)
	s_clause 0x1
	global_store_b64 v[44:45], v[64:65], off
	global_store_b64 v[46:47], v[66:67], off
	s_waitcnt vmcnt(4)
	s_clause 0x1
	global_store_b64 v[48:49], v[8:9], off
	global_store_b64 v[50:51], v[10:11], off
	s_waitcnt vmcnt(3)
	s_clause 0x1
	global_store_b64 v[52:53], v[68:69], off
	global_store_b64 v[54:55], v[70:71], off
	s_waitcnt vmcnt(2)
	s_clause 0x1
	global_store_b64 v[56:57], v[12:13], off
	global_store_b64 v[58:59], v[14:15], off
	s_waitcnt vmcnt(1)
	s_clause 0x1
	global_store_b64 v[60:61], v[72:73], off
	global_store_b64 v[62:63], v[74:75], off
	s_waitcnt vmcnt(0)
	global_store_b64 v[24:25], v[18:19], off
	s_endpgm
	.section	.rodata,"a",@progbits
	.p2align	6, 0x0
	.amdhsa_kernel _ZN9rocsolver6v33100L18getri_kernel_smallILi30EdPKPdEEvT1_iilPiilS6_bb
		.amdhsa_group_segment_fixed_size 488
		.amdhsa_private_segment_fixed_size 256
		.amdhsa_kernarg_size 60
		.amdhsa_user_sgpr_count 15
		.amdhsa_user_sgpr_dispatch_ptr 0
		.amdhsa_user_sgpr_queue_ptr 0
		.amdhsa_user_sgpr_kernarg_segment_ptr 1
		.amdhsa_user_sgpr_dispatch_id 0
		.amdhsa_user_sgpr_private_segment_size 0
		.amdhsa_wavefront_size32 1
		.amdhsa_uses_dynamic_stack 0
		.amdhsa_enable_private_segment 1
		.amdhsa_system_sgpr_workgroup_id_x 1
		.amdhsa_system_sgpr_workgroup_id_y 0
		.amdhsa_system_sgpr_workgroup_id_z 0
		.amdhsa_system_sgpr_workgroup_info 0
		.amdhsa_system_vgpr_workitem_id 0
		.amdhsa_next_free_vgpr 98
		.amdhsa_next_free_sgpr 17
		.amdhsa_reserve_vcc 1
		.amdhsa_float_round_mode_32 0
		.amdhsa_float_round_mode_16_64 0
		.amdhsa_float_denorm_mode_32 3
		.amdhsa_float_denorm_mode_16_64 3
		.amdhsa_dx10_clamp 1
		.amdhsa_ieee_mode 1
		.amdhsa_fp16_overflow 0
		.amdhsa_workgroup_processor_mode 1
		.amdhsa_memory_ordered 1
		.amdhsa_forward_progress 0
		.amdhsa_shared_vgpr_count 0
		.amdhsa_exception_fp_ieee_invalid_op 0
		.amdhsa_exception_fp_denorm_src 0
		.amdhsa_exception_fp_ieee_div_zero 0
		.amdhsa_exception_fp_ieee_overflow 0
		.amdhsa_exception_fp_ieee_underflow 0
		.amdhsa_exception_fp_ieee_inexact 0
		.amdhsa_exception_int_div_zero 0
	.end_amdhsa_kernel
	.section	.text._ZN9rocsolver6v33100L18getri_kernel_smallILi30EdPKPdEEvT1_iilPiilS6_bb,"axG",@progbits,_ZN9rocsolver6v33100L18getri_kernel_smallILi30EdPKPdEEvT1_iilPiilS6_bb,comdat
.Lfunc_end93:
	.size	_ZN9rocsolver6v33100L18getri_kernel_smallILi30EdPKPdEEvT1_iilPiilS6_bb, .Lfunc_end93-_ZN9rocsolver6v33100L18getri_kernel_smallILi30EdPKPdEEvT1_iilPiilS6_bb
                                        ; -- End function
	.section	.AMDGPU.csdata,"",@progbits
; Kernel info:
; codeLenInByte = 22788
; NumSgprs: 19
; NumVgprs: 98
; ScratchSize: 256
; MemoryBound: 0
; FloatMode: 240
; IeeeMode: 1
; LDSByteSize: 488 bytes/workgroup (compile time only)
; SGPRBlocks: 2
; VGPRBlocks: 12
; NumSGPRsForWavesPerEU: 19
; NumVGPRsForWavesPerEU: 98
; Occupancy: 12
; WaveLimiterHint : 1
; COMPUTE_PGM_RSRC2:SCRATCH_EN: 1
; COMPUTE_PGM_RSRC2:USER_SGPR: 15
; COMPUTE_PGM_RSRC2:TRAP_HANDLER: 0
; COMPUTE_PGM_RSRC2:TGID_X_EN: 1
; COMPUTE_PGM_RSRC2:TGID_Y_EN: 0
; COMPUTE_PGM_RSRC2:TGID_Z_EN: 0
; COMPUTE_PGM_RSRC2:TIDIG_COMP_CNT: 0
	.section	.text._ZN9rocsolver6v33100L18getri_kernel_smallILi31EdPKPdEEvT1_iilPiilS6_bb,"axG",@progbits,_ZN9rocsolver6v33100L18getri_kernel_smallILi31EdPKPdEEvT1_iilPiilS6_bb,comdat
	.globl	_ZN9rocsolver6v33100L18getri_kernel_smallILi31EdPKPdEEvT1_iilPiilS6_bb ; -- Begin function _ZN9rocsolver6v33100L18getri_kernel_smallILi31EdPKPdEEvT1_iilPiilS6_bb
	.p2align	8
	.type	_ZN9rocsolver6v33100L18getri_kernel_smallILi31EdPKPdEEvT1_iilPiilS6_bb,@function
_ZN9rocsolver6v33100L18getri_kernel_smallILi31EdPKPdEEvT1_iilPiilS6_bb: ; @_ZN9rocsolver6v33100L18getri_kernel_smallILi31EdPKPdEEvT1_iilPiilS6_bb
; %bb.0:
	s_mov_b32 s2, exec_lo
	v_cmpx_gt_u32_e32 31, v0
	s_cbranch_execz .LBB94_134
; %bb.1:
	s_clause 0x1
	s_load_b32 s13, s[0:1], 0x38
	s_load_b64 s[2:3], s[0:1], 0x0
	s_mov_b32 s8, s15
	s_load_b128 s[4:7], s[0:1], 0x28
	s_waitcnt lgkmcnt(0)
	s_bitcmp1_b32 s13, 8
	s_cselect_b32 s12, -1, 0
	s_ashr_i32 s9, s15, 31
	s_delay_alu instid0(SALU_CYCLE_1) | instskip(NEXT) | instid1(SALU_CYCLE_1)
	s_lshl_b64 s[10:11], s[8:9], 3
	s_add_u32 s2, s2, s10
	s_addc_u32 s3, s3, s11
	s_load_b64 s[10:11], s[2:3], 0x0
	s_bfe_u32 s2, s13, 0x10008
	s_delay_alu instid0(SALU_CYCLE_1)
	s_cmp_eq_u32 s2, 0
                                        ; implicit-def: $sgpr2_sgpr3
	s_cbranch_scc1 .LBB94_3
; %bb.2:
	s_clause 0x1
	s_load_b32 s2, s[0:1], 0x20
	s_load_b64 s[14:15], s[0:1], 0x18
	s_mul_i32 s3, s8, s5
	s_mul_hi_u32 s5, s8, s4
	s_mul_i32 s16, s9, s4
	s_add_i32 s3, s5, s3
	s_mul_i32 s4, s8, s4
	s_add_i32 s5, s3, s16
	s_delay_alu instid0(SALU_CYCLE_1)
	s_lshl_b64 s[4:5], s[4:5], 2
	s_waitcnt lgkmcnt(0)
	s_ashr_i32 s3, s2, 31
	s_add_u32 s4, s14, s4
	s_addc_u32 s5, s15, s5
	s_lshl_b64 s[2:3], s[2:3], 2
	s_delay_alu instid0(SALU_CYCLE_1)
	s_add_u32 s2, s4, s2
	s_addc_u32 s3, s5, s3
.LBB94_3:
	s_load_b64 s[4:5], s[0:1], 0x8
	v_lshlrev_b32_e32 v3, 3, v0
	s_waitcnt lgkmcnt(0)
	s_ashr_i32 s1, s4, 31
	s_mov_b32 s0, s4
	v_add3_u32 v1, s5, s5, v0
	s_lshl_b64 s[0:1], s[0:1], 3
	s_mov_b32 s14, s5
	s_add_u32 s0, s10, s0
	s_addc_u32 s1, s11, s1
	v_add_nc_u32_e32 v8, s5, v1
	v_add_co_u32 v6, s4, s0, v3
	s_ashr_i32 s15, s5, 31
	v_add_co_ci_u32_e64 v7, null, s1, 0, s4
	s_lshl_b64 s[10:11], s[14:15], 3
	v_ashrrev_i32_e32 v2, 31, v1
	v_add_co_u32 v4, vcc_lo, v6, s10
	v_add_nc_u32_e32 v10, s5, v8
	v_add_co_ci_u32_e32 v5, vcc_lo, s11, v7, vcc_lo
	v_ashrrev_i32_e32 v9, 31, v8
	v_lshlrev_b64 v[1:2], 3, v[1:2]
	s_delay_alu instid0(VALU_DEP_4)
	v_add_nc_u32_e32 v16, s5, v10
	s_clause 0x1
	global_load_b64 v[34:35], v3, s[0:1]
	global_load_b64 v[36:37], v[4:5], off
	v_ashrrev_i32_e32 v11, 31, v10
	v_lshlrev_b64 v[8:9], 3, v[8:9]
	v_add_co_u32 v14, vcc_lo, s0, v1
	v_ashrrev_i32_e32 v17, 31, v16
	v_add_co_ci_u32_e32 v15, vcc_lo, s1, v2, vcc_lo
	v_lshlrev_b64 v[1:2], 3, v[10:11]
	v_add_co_u32 v8, vcc_lo, s0, v8
	s_delay_alu instid0(VALU_DEP_4) | instskip(SKIP_1) | instid1(VALU_DEP_4)
	v_lshlrev_b64 v[10:11], 3, v[16:17]
	v_add_co_ci_u32_e32 v9, vcc_lo, s1, v9, vcc_lo
	v_add_co_u32 v12, vcc_lo, s0, v1
	v_add_co_ci_u32_e32 v13, vcc_lo, s1, v2, vcc_lo
	s_delay_alu instid0(VALU_DEP_4)
	v_add_co_u32 v10, vcc_lo, s0, v10
	v_add_co_ci_u32_e32 v11, vcc_lo, s1, v11, vcc_lo
	s_clause 0x3
	global_load_b64 v[42:43], v[14:15], off
	global_load_b64 v[44:45], v[8:9], off
	;; [unrolled: 1-line block ×4, first 2 shown]
	v_add_nc_u32_e32 v1, s5, v16
	s_bitcmp0_b32 s13, 0
	s_delay_alu instid0(VALU_DEP_1) | instskip(SKIP_1) | instid1(VALU_DEP_2)
	v_add_nc_u32_e32 v16, s5, v1
	v_ashrrev_i32_e32 v2, 31, v1
	v_add_nc_u32_e32 v18, s5, v16
	v_ashrrev_i32_e32 v17, 31, v16
	s_delay_alu instid0(VALU_DEP_3) | instskip(NEXT) | instid1(VALU_DEP_3)
	v_lshlrev_b64 v[1:2], 3, v[1:2]
	v_add_nc_u32_e32 v20, s5, v18
	v_ashrrev_i32_e32 v19, 31, v18
	s_delay_alu instid0(VALU_DEP_4) | instskip(NEXT) | instid1(VALU_DEP_4)
	v_lshlrev_b64 v[25:26], 3, v[16:17]
	v_add_co_u32 v16, vcc_lo, s0, v1
	s_delay_alu instid0(VALU_DEP_4) | instskip(SKIP_3) | instid1(VALU_DEP_4)
	v_add_nc_u32_e32 v22, s5, v20
	v_add_co_ci_u32_e32 v17, vcc_lo, s1, v2, vcc_lo
	v_lshlrev_b64 v[1:2], 3, v[18:19]
	v_ashrrev_i32_e32 v21, 31, v20
	v_add_nc_u32_e32 v24, s5, v22
	v_add_co_u32 v18, vcc_lo, s0, v25
	v_ashrrev_i32_e32 v23, 31, v22
	v_add_co_ci_u32_e32 v19, vcc_lo, s1, v26, vcc_lo
	s_delay_alu instid0(VALU_DEP_4) | instskip(SKIP_3) | instid1(VALU_DEP_4)
	v_add_nc_u32_e32 v28, s5, v24
	v_lshlrev_b64 v[26:27], 3, v[20:21]
	v_add_co_u32 v20, vcc_lo, s0, v1
	v_ashrrev_i32_e32 v25, 31, v24
	v_add_nc_u32_e32 v30, s5, v28
	v_add_co_ci_u32_e32 v21, vcc_lo, s1, v2, vcc_lo
	v_lshlrev_b64 v[1:2], 3, v[22:23]
	v_add_co_u32 v22, vcc_lo, s0, v26
	s_delay_alu instid0(VALU_DEP_4) | instskip(SKIP_3) | instid1(VALU_DEP_4)
	v_add_nc_u32_e32 v38, s5, v30
	v_lshlrev_b64 v[24:25], 3, v[24:25]
	v_ashrrev_i32_e32 v29, 31, v28
	v_add_co_ci_u32_e32 v23, vcc_lo, s1, v27, vcc_lo
	v_add_nc_u32_e32 v40, s5, v38
	v_add_co_u32 v26, vcc_lo, s0, v1
	v_add_co_ci_u32_e32 v27, vcc_lo, s1, v2, vcc_lo
	s_delay_alu instid0(VALU_DEP_3) | instskip(SKIP_3) | instid1(VALU_DEP_4)
	v_add_nc_u32_e32 v66, s5, v40
	v_lshlrev_b64 v[1:2], 3, v[28:29]
	v_ashrrev_i32_e32 v31, 31, v30
	v_add_co_u32 v28, vcc_lo, s0, v24
	v_add_nc_u32_e32 v68, s5, v66
	v_add_co_ci_u32_e32 v29, vcc_lo, s1, v25, vcc_lo
	s_clause 0x3
	global_load_b64 v[50:51], v[16:17], off
	global_load_b64 v[52:53], v[18:19], off
	;; [unrolled: 1-line block ×4, first 2 shown]
	v_add_nc_u32_e32 v74, s5, v68
	v_lshlrev_b64 v[58:59], 3, v[30:31]
	v_add_co_u32 v30, vcc_lo, s0, v1
	v_ashrrev_i32_e32 v39, 31, v38
	s_delay_alu instid0(VALU_DEP_4) | instskip(SKIP_3) | instid1(VALU_DEP_4)
	v_add_nc_u32_e32 v76, s5, v74
	v_add_co_ci_u32_e32 v31, vcc_lo, s1, v2, vcc_lo
	v_ashrrev_i32_e32 v41, 31, v40
	v_ashrrev_i32_e32 v67, 31, v66
	v_add_nc_u32_e32 v78, s5, v76
	v_ashrrev_i32_e32 v69, 31, v68
	v_ashrrev_i32_e32 v75, 31, v74
	;; [unrolled: 1-line block ×3, first 2 shown]
	s_delay_alu instid0(VALU_DEP_4) | instskip(SKIP_1) | instid1(VALU_DEP_2)
	v_add_nc_u32_e32 v80, s5, v78
	v_ashrrev_i32_e32 v79, 31, v78
	v_add_nc_u32_e32 v82, s5, v80
	v_ashrrev_i32_e32 v81, 31, v80
	s_delay_alu instid0(VALU_DEP_2) | instskip(SKIP_1) | instid1(VALU_DEP_2)
	v_add_nc_u32_e32 v84, s5, v82
	v_ashrrev_i32_e32 v83, 31, v82
	v_add_nc_u32_e32 v86, s5, v84
	v_ashrrev_i32_e32 v85, 31, v84
	s_delay_alu instid0(VALU_DEP_2) | instskip(SKIP_1) | instid1(VALU_DEP_2)
	;; [unrolled: 5-line block ×4, first 2 shown]
	v_add_nc_u32_e32 v96, s5, v94
	v_ashrrev_i32_e32 v95, 31, v94
	v_add_nc_u32_e32 v32, s5, v96
	v_ashrrev_i32_e32 v97, 31, v96
	s_delay_alu instid0(VALU_DEP_2) | instskip(NEXT) | instid1(VALU_DEP_1)
	v_ashrrev_i32_e32 v33, 31, v32
	v_lshlrev_b64 v[24:25], 3, v[32:33]
	s_delay_alu instid0(VALU_DEP_1) | instskip(NEXT) | instid1(VALU_DEP_2)
	v_add_co_u32 v24, vcc_lo, s0, v24
	v_add_co_ci_u32_e32 v25, vcc_lo, s1, v25, vcc_lo
	v_add_co_u32 v32, vcc_lo, s0, v58
	v_add_co_ci_u32_e32 v33, vcc_lo, s1, v59, vcc_lo
	global_load_b64 v[1:2], v[24:25], off
	s_waitcnt vmcnt(9)
	scratch_store_b128 off, v[34:37], off
	v_lshlrev_b64 v[34:35], 3, v[38:39]
	s_clause 0x3
	global_load_b64 v[58:59], v[26:27], off
	global_load_b64 v[60:61], v[28:29], off
	;; [unrolled: 1-line block ×4, first 2 shown]
	v_lshlrev_b64 v[36:37], 3, v[40:41]
	v_lshlrev_b64 v[38:39], 3, v[66:67]
	v_lshlrev_b64 v[40:41], 3, v[68:69]
	s_waitcnt vmcnt(11)
	scratch_store_b128 off, v[42:45], off offset:16
	s_waitcnt vmcnt(9)
	scratch_store_b128 off, v[46:49], off offset:32
	v_add_co_u32 v34, vcc_lo, s0, v34
	v_add_co_ci_u32_e32 v35, vcc_lo, s1, v35, vcc_lo
	v_add_co_u32 v36, vcc_lo, s0, v36
	v_add_co_ci_u32_e32 v37, vcc_lo, s1, v37, vcc_lo
	;; [unrolled: 2-line block ×4, first 2 shown]
	s_clause 0x3
	global_load_b64 v[66:67], v[34:35], off
	global_load_b64 v[68:69], v[36:37], off
	;; [unrolled: 1-line block ×4, first 2 shown]
	v_lshlrev_b64 v[42:43], 3, v[74:75]
	v_lshlrev_b64 v[44:45], 3, v[76:77]
	;; [unrolled: 1-line block ×5, first 2 shown]
	s_waitcnt vmcnt(11)
	scratch_store_b128 off, v[50:53], off offset:48
	s_waitcnt vmcnt(9)
	scratch_store_b128 off, v[54:57], off offset:64
	v_add_co_u32 v42, vcc_lo, s0, v42
	v_add_co_ci_u32_e32 v43, vcc_lo, s1, v43, vcc_lo
	v_add_co_u32 v44, vcc_lo, s0, v44
	v_add_co_ci_u32_e32 v45, vcc_lo, s1, v45, vcc_lo
	;; [unrolled: 2-line block ×3, first 2 shown]
	v_add_co_u32 v48, vcc_lo, s0, v48
	v_lshlrev_b64 v[52:53], 3, v[84:85]
	v_add_co_ci_u32_e32 v49, vcc_lo, s1, v49, vcc_lo
	v_add_co_u32 v50, vcc_lo, s0, v80
	v_lshlrev_b64 v[54:55], 3, v[86:87]
	v_add_co_ci_u32_e32 v51, vcc_lo, s1, v81, vcc_lo
	;; [unrolled: 3-line block ×4, first 2 shown]
	s_clause 0x2
	global_load_b64 v[74:75], v[42:43], off
	global_load_b64 v[76:77], v[44:45], off
	global_load_b64 v[78:79], v[46:47], off
	v_add_co_u32 v56, vcc_lo, s0, v56
	v_add_co_ci_u32_e32 v57, vcc_lo, s1, v57, vcc_lo
	s_waitcnt vmcnt(9)
	scratch_store_b128 off, v[58:61], off offset:80
	s_waitcnt vmcnt(7)
	scratch_store_b128 off, v[62:65], off offset:96
	v_lshlrev_b64 v[58:59], 3, v[92:93]
	v_add_co_u32 v60, vcc_lo, s0, v88
	v_add_co_ci_u32_e32 v61, vcc_lo, s1, v89, vcc_lo
	v_lshlrev_b64 v[64:65], 3, v[94:95]
	s_delay_alu instid0(VALU_DEP_4) | instskip(SKIP_2) | instid1(VALU_DEP_4)
	v_add_co_u32 v62, vcc_lo, s0, v58
	v_add_co_ci_u32_e32 v63, vcc_lo, s1, v59, vcc_lo
	v_lshlrev_b64 v[58:59], 3, v[96:97]
	v_add_co_u32 v64, vcc_lo, s0, v64
	v_add_co_ci_u32_e32 v65, vcc_lo, s1, v65, vcc_lo
	s_clause 0x3
	global_load_b64 v[80:81], v[48:49], off
	global_load_b64 v[82:83], v[50:51], off
	;; [unrolled: 1-line block ×4, first 2 shown]
	v_add_co_u32 v58, vcc_lo, s0, v58
	v_add_co_ci_u32_e32 v59, vcc_lo, s1, v59, vcc_lo
	s_waitcnt vmcnt(9)
	scratch_store_b128 off, v[66:69], off offset:112
	s_waitcnt vmcnt(7)
	scratch_store_b128 off, v[70:73], off offset:128
	s_clause 0x4
	global_load_b64 v[88:89], v[56:57], off
	global_load_b64 v[66:67], v[60:61], off
	;; [unrolled: 1-line block ×5, first 2 shown]
	s_mov_b32 s1, -1
	s_waitcnt vmcnt(10)
	scratch_store_b128 off, v[74:77], off offset:144
	s_waitcnt vmcnt(8)
	scratch_store_b128 off, v[78:81], off offset:160
	;; [unrolled: 2-line block ×5, first 2 shown]
	s_waitcnt vmcnt(0)
	s_clause 0x1
	scratch_store_b128 off, v[70:73], off offset:224
	scratch_store_b64 off, v[1:2], off offset:240
	s_cbranch_scc1 .LBB94_132
; %bb.4:
	v_cmp_eq_u32_e64 s0, 0, v0
	s_delay_alu instid0(VALU_DEP_1)
	s_and_saveexec_b32 s1, s0
	s_cbranch_execz .LBB94_6
; %bb.5:
	v_mov_b32_e32 v1, 0
	ds_store_b32 v1, v1 offset:248
.LBB94_6:
	s_or_b32 exec_lo, exec_lo, s1
	s_waitcnt lgkmcnt(0)
	s_waitcnt_vscnt null, 0x0
	s_barrier
	buffer_gl0_inv
	scratch_load_b64 v[1:2], v3, off
	s_mov_b32 s4, exec_lo
	s_waitcnt vmcnt(0)
	v_cmpx_eq_f64_e32 0, v[1:2]
	s_cbranch_execz .LBB94_10
; %bb.7:
	v_mov_b32_e32 v1, 0
	s_mov_b32 s5, 0
	ds_load_b32 v2, v1 offset:248
	s_waitcnt lgkmcnt(0)
	v_readfirstlane_b32 s1, v2
	v_add_nc_u32_e32 v2, 1, v0
	s_delay_alu instid0(VALU_DEP_2) | instskip(NEXT) | instid1(VALU_DEP_1)
	s_cmp_eq_u32 s1, 0
	v_cmp_gt_i32_e32 vcc_lo, s1, v2
	s_cselect_b32 s10, -1, 0
	s_delay_alu instid0(SALU_CYCLE_1) | instskip(NEXT) | instid1(SALU_CYCLE_1)
	s_or_b32 s10, s10, vcc_lo
	s_and_b32 exec_lo, exec_lo, s10
	s_cbranch_execz .LBB94_10
; %bb.8:
	v_mov_b32_e32 v66, s1
.LBB94_9:                               ; =>This Inner Loop Header: Depth=1
	ds_cmpstore_rtn_b32 v66, v1, v2, v66 offset:248
	s_waitcnt lgkmcnt(0)
	v_cmp_ne_u32_e32 vcc_lo, 0, v66
	v_cmp_le_i32_e64 s1, v66, v2
	s_delay_alu instid0(VALU_DEP_1) | instskip(NEXT) | instid1(SALU_CYCLE_1)
	s_and_b32 s1, vcc_lo, s1
	s_and_b32 s1, exec_lo, s1
	s_delay_alu instid0(SALU_CYCLE_1) | instskip(NEXT) | instid1(SALU_CYCLE_1)
	s_or_b32 s5, s1, s5
	s_and_not1_b32 exec_lo, exec_lo, s5
	s_cbranch_execnz .LBB94_9
.LBB94_10:
	s_or_b32 exec_lo, exec_lo, s4
	v_mov_b32_e32 v1, 0
	s_barrier
	buffer_gl0_inv
	ds_load_b32 v2, v1 offset:248
	s_and_saveexec_b32 s1, s0
	s_cbranch_execz .LBB94_12
; %bb.11:
	s_lshl_b64 s[4:5], s[8:9], 2
	s_delay_alu instid0(SALU_CYCLE_1)
	s_add_u32 s4, s6, s4
	s_addc_u32 s5, s7, s5
	s_waitcnt lgkmcnt(0)
	global_store_b32 v1, v2, s[4:5]
.LBB94_12:
	s_or_b32 exec_lo, exec_lo, s1
	s_waitcnt lgkmcnt(0)
	v_cmp_ne_u32_e32 vcc_lo, 0, v2
	s_mov_b32 s1, 0
	s_cbranch_vccnz .LBB94_132
; %bb.13:
	v_add_nc_u32_e32 v66, 0, v3
	scratch_load_b64 v[1:2], v66, off
	s_waitcnt vmcnt(0)
	v_div_scale_f64 v[67:68], null, v[1:2], v[1:2], 1.0
	v_div_scale_f64 v[73:74], vcc_lo, 1.0, v[1:2], 1.0
	s_delay_alu instid0(VALU_DEP_2) | instskip(SKIP_2) | instid1(VALU_DEP_1)
	v_rcp_f64_e32 v[69:70], v[67:68]
	s_waitcnt_depctr 0xfff
	v_fma_f64 v[71:72], -v[67:68], v[69:70], 1.0
	v_fma_f64 v[69:70], v[69:70], v[71:72], v[69:70]
	s_delay_alu instid0(VALU_DEP_1) | instskip(NEXT) | instid1(VALU_DEP_1)
	v_fma_f64 v[71:72], -v[67:68], v[69:70], 1.0
	v_fma_f64 v[69:70], v[69:70], v[71:72], v[69:70]
	s_delay_alu instid0(VALU_DEP_1) | instskip(NEXT) | instid1(VALU_DEP_1)
	v_mul_f64 v[71:72], v[73:74], v[69:70]
	v_fma_f64 v[67:68], -v[67:68], v[71:72], v[73:74]
	s_delay_alu instid0(VALU_DEP_1) | instskip(NEXT) | instid1(VALU_DEP_1)
	v_div_fmas_f64 v[67:68], v[67:68], v[69:70], v[71:72]
	v_div_fixup_f64 v[1:2], v[67:68], v[1:2], 1.0
	v_add_nc_u32_e32 v67, 0x100, v3
	scratch_store_b64 v66, v[1:2], off
	scratch_load_b64 v[68:69], off, off offset:8
	v_xor_b32_e32 v2, 0x80000000, v2
	s_waitcnt vmcnt(0)
	ds_store_2addr_b64 v3, v[1:2], v[68:69] offset1:32
	s_waitcnt lgkmcnt(0)
	s_waitcnt_vscnt null, 0x0
	s_barrier
	buffer_gl0_inv
	s_and_saveexec_b32 s1, s0
	s_cbranch_execz .LBB94_15
; %bb.14:
	scratch_load_b64 v[1:2], v66, off
	ds_load_b64 v[68:69], v67
	s_waitcnt vmcnt(0) lgkmcnt(0)
	v_fma_f64 v[1:2], v[1:2], v[68:69], 0
	v_mov_b32_e32 v68, 0
	ds_load_b64 v[68:69], v68 offset:8
	s_waitcnt lgkmcnt(0)
	v_mul_f64 v[1:2], v[1:2], v[68:69]
	scratch_store_b64 off, v[1:2], off offset:8
.LBB94_15:
	s_or_b32 exec_lo, exec_lo, s1
	s_waitcnt_vscnt null, 0x0
	s_barrier
	buffer_gl0_inv
	scratch_load_b64 v[1:2], off, off offset:16
	s_mov_b32 s1, exec_lo
	s_waitcnt vmcnt(0)
	ds_store_b64 v67, v[1:2]
	s_waitcnt lgkmcnt(0)
	s_barrier
	buffer_gl0_inv
	v_cmpx_gt_u32_e32 2, v0
	s_cbranch_execz .LBB94_19
; %bb.16:
	scratch_load_b64 v[1:2], v66, off
	ds_load_b64 v[68:69], v67
	s_waitcnt vmcnt(0) lgkmcnt(0)
	v_fma_f64 v[1:2], v[1:2], v[68:69], 0
	s_and_saveexec_b32 s4, s0
	s_cbranch_execz .LBB94_18
; %bb.17:
	scratch_load_b64 v[68:69], off, off offset:8
	v_mov_b32_e32 v70, 0
	ds_load_b64 v[70:71], v70 offset:264
	s_waitcnt vmcnt(0) lgkmcnt(0)
	v_fma_f64 v[1:2], v[68:69], v[70:71], v[1:2]
.LBB94_18:
	s_or_b32 exec_lo, exec_lo, s4
	v_mov_b32_e32 v68, 0
	ds_load_b64 v[68:69], v68 offset:16
	s_waitcnt lgkmcnt(0)
	v_mul_f64 v[1:2], v[1:2], v[68:69]
	scratch_store_b64 off, v[1:2], off offset:16
.LBB94_19:
	s_or_b32 exec_lo, exec_lo, s1
	s_waitcnt_vscnt null, 0x0
	s_barrier
	buffer_gl0_inv
	scratch_load_b64 v[1:2], off, off offset:24
	v_add_nc_u32_e32 v68, -1, v0
	s_mov_b32 s0, exec_lo
	s_waitcnt vmcnt(0)
	ds_store_b64 v67, v[1:2]
	s_waitcnt lgkmcnt(0)
	s_barrier
	buffer_gl0_inv
	v_cmpx_gt_u32_e32 3, v0
	s_cbranch_execz .LBB94_23
; %bb.20:
	v_dual_mov_b32 v1, 0 :: v_dual_add_nc_u32 v70, 0x100, v3
	v_dual_mov_b32 v2, 0 :: v_dual_add_nc_u32 v69, -1, v0
	v_add_nc_u32_e32 v71, 0, v3
	s_mov_b32 s1, 0
.LBB94_21:                              ; =>This Inner Loop Header: Depth=1
	scratch_load_b64 v[72:73], v71, off
	ds_load_b64 v[74:75], v70
	v_add_nc_u32_e32 v69, 1, v69
	v_add_nc_u32_e32 v70, 8, v70
	v_add_nc_u32_e32 v71, 8, v71
	s_delay_alu instid0(VALU_DEP_3)
	v_cmp_lt_u32_e32 vcc_lo, 1, v69
	s_or_b32 s1, vcc_lo, s1
	s_waitcnt vmcnt(0) lgkmcnt(0)
	v_fma_f64 v[1:2], v[72:73], v[74:75], v[1:2]
	s_and_not1_b32 exec_lo, exec_lo, s1
	s_cbranch_execnz .LBB94_21
; %bb.22:
	s_or_b32 exec_lo, exec_lo, s1
	v_mov_b32_e32 v69, 0
	ds_load_b64 v[69:70], v69 offset:24
	s_waitcnt lgkmcnt(0)
	v_mul_f64 v[1:2], v[1:2], v[69:70]
	scratch_store_b64 off, v[1:2], off offset:24
.LBB94_23:
	s_or_b32 exec_lo, exec_lo, s0
	s_waitcnt_vscnt null, 0x0
	s_barrier
	buffer_gl0_inv
	scratch_load_b64 v[1:2], off, off offset:32
	s_mov_b32 s0, exec_lo
	s_waitcnt vmcnt(0)
	ds_store_b64 v67, v[1:2]
	s_waitcnt lgkmcnt(0)
	s_barrier
	buffer_gl0_inv
	v_cmpx_gt_u32_e32 4, v0
	s_cbranch_execz .LBB94_27
; %bb.24:
	v_dual_mov_b32 v1, 0 :: v_dual_add_nc_u32 v70, 0x100, v3
	v_dual_mov_b32 v2, 0 :: v_dual_add_nc_u32 v69, -1, v0
	v_add_nc_u32_e32 v71, 0, v3
	s_mov_b32 s1, 0
.LBB94_25:                              ; =>This Inner Loop Header: Depth=1
	scratch_load_b64 v[72:73], v71, off
	ds_load_b64 v[74:75], v70
	v_add_nc_u32_e32 v69, 1, v69
	v_add_nc_u32_e32 v70, 8, v70
	v_add_nc_u32_e32 v71, 8, v71
	s_delay_alu instid0(VALU_DEP_3)
	v_cmp_lt_u32_e32 vcc_lo, 2, v69
	s_or_b32 s1, vcc_lo, s1
	s_waitcnt vmcnt(0) lgkmcnt(0)
	v_fma_f64 v[1:2], v[72:73], v[74:75], v[1:2]
	s_and_not1_b32 exec_lo, exec_lo, s1
	s_cbranch_execnz .LBB94_25
; %bb.26:
	s_or_b32 exec_lo, exec_lo, s1
	v_mov_b32_e32 v69, 0
	ds_load_b64 v[69:70], v69 offset:32
	s_waitcnt lgkmcnt(0)
	v_mul_f64 v[1:2], v[1:2], v[69:70]
	scratch_store_b64 off, v[1:2], off offset:32
.LBB94_27:
	s_or_b32 exec_lo, exec_lo, s0
	s_waitcnt_vscnt null, 0x0
	s_barrier
	buffer_gl0_inv
	scratch_load_b64 v[1:2], off, off offset:40
	;; [unrolled: 39-line block ×20, first 2 shown]
	s_mov_b32 s0, exec_lo
	s_waitcnt vmcnt(0)
	ds_store_b64 v67, v[1:2]
	s_waitcnt lgkmcnt(0)
	s_barrier
	buffer_gl0_inv
	v_cmpx_gt_u32_e32 23, v0
	s_cbranch_execz .LBB94_103
; %bb.100:
	v_dual_mov_b32 v1, 0 :: v_dual_add_nc_u32 v70, 0x100, v3
	v_dual_mov_b32 v2, 0 :: v_dual_add_nc_u32 v69, -1, v0
	v_add_nc_u32_e32 v71, 0, v3
	s_mov_b32 s1, 0
.LBB94_101:                             ; =>This Inner Loop Header: Depth=1
	scratch_load_b64 v[72:73], v71, off
	ds_load_b64 v[74:75], v70
	v_add_nc_u32_e32 v69, 1, v69
	v_add_nc_u32_e32 v70, 8, v70
	v_add_nc_u32_e32 v71, 8, v71
	s_delay_alu instid0(VALU_DEP_3)
	v_cmp_lt_u32_e32 vcc_lo, 21, v69
	s_or_b32 s1, vcc_lo, s1
	s_waitcnt vmcnt(0) lgkmcnt(0)
	v_fma_f64 v[1:2], v[72:73], v[74:75], v[1:2]
	s_and_not1_b32 exec_lo, exec_lo, s1
	s_cbranch_execnz .LBB94_101
; %bb.102:
	s_or_b32 exec_lo, exec_lo, s1
	v_mov_b32_e32 v69, 0
	ds_load_b64 v[69:70], v69 offset:184
	s_waitcnt lgkmcnt(0)
	v_mul_f64 v[1:2], v[1:2], v[69:70]
	scratch_store_b64 off, v[1:2], off offset:184
.LBB94_103:
	s_or_b32 exec_lo, exec_lo, s0
	s_waitcnt_vscnt null, 0x0
	s_barrier
	buffer_gl0_inv
	scratch_load_b64 v[1:2], off, off offset:192
	s_mov_b32 s0, exec_lo
	s_waitcnt vmcnt(0)
	ds_store_b64 v67, v[1:2]
	s_waitcnt lgkmcnt(0)
	s_barrier
	buffer_gl0_inv
	v_cmpx_gt_u32_e32 24, v0
	s_cbranch_execz .LBB94_107
; %bb.104:
	v_dual_mov_b32 v1, 0 :: v_dual_add_nc_u32 v70, 0x100, v3
	v_dual_mov_b32 v2, 0 :: v_dual_add_nc_u32 v69, -1, v0
	v_add_nc_u32_e32 v71, 0, v3
	s_mov_b32 s1, 0
.LBB94_105:                             ; =>This Inner Loop Header: Depth=1
	scratch_load_b64 v[72:73], v71, off
	ds_load_b64 v[74:75], v70
	v_add_nc_u32_e32 v69, 1, v69
	v_add_nc_u32_e32 v70, 8, v70
	v_add_nc_u32_e32 v71, 8, v71
	s_delay_alu instid0(VALU_DEP_3)
	v_cmp_lt_u32_e32 vcc_lo, 22, v69
	s_or_b32 s1, vcc_lo, s1
	s_waitcnt vmcnt(0) lgkmcnt(0)
	v_fma_f64 v[1:2], v[72:73], v[74:75], v[1:2]
	s_and_not1_b32 exec_lo, exec_lo, s1
	s_cbranch_execnz .LBB94_105
; %bb.106:
	s_or_b32 exec_lo, exec_lo, s1
	v_mov_b32_e32 v69, 0
	ds_load_b64 v[69:70], v69 offset:192
	s_waitcnt lgkmcnt(0)
	v_mul_f64 v[1:2], v[1:2], v[69:70]
	scratch_store_b64 off, v[1:2], off offset:192
.LBB94_107:
	s_or_b32 exec_lo, exec_lo, s0
	s_waitcnt_vscnt null, 0x0
	s_barrier
	buffer_gl0_inv
	scratch_load_b64 v[1:2], off, off offset:200
	;; [unrolled: 39-line block ×7, first 2 shown]
	s_mov_b32 s0, exec_lo
	s_waitcnt vmcnt(0)
	ds_store_b64 v67, v[1:2]
	s_waitcnt lgkmcnt(0)
	s_barrier
	buffer_gl0_inv
	v_cmpx_ne_u32_e32 30, v0
	s_cbranch_execz .LBB94_131
; %bb.128:
	v_mov_b32_e32 v1, 0
	v_mov_b32_e32 v2, 0
	s_mov_b32 s1, 0
.LBB94_129:                             ; =>This Inner Loop Header: Depth=1
	scratch_load_b64 v[69:70], v66, off
	ds_load_b64 v[71:72], v67
	v_add_nc_u32_e32 v68, 1, v68
	v_add_nc_u32_e32 v67, 8, v67
	;; [unrolled: 1-line block ×3, first 2 shown]
	s_delay_alu instid0(VALU_DEP_3)
	v_cmp_lt_u32_e32 vcc_lo, 28, v68
	s_or_b32 s1, vcc_lo, s1
	s_waitcnt vmcnt(0) lgkmcnt(0)
	v_fma_f64 v[1:2], v[69:70], v[71:72], v[1:2]
	s_and_not1_b32 exec_lo, exec_lo, s1
	s_cbranch_execnz .LBB94_129
; %bb.130:
	s_or_b32 exec_lo, exec_lo, s1
	v_mov_b32_e32 v3, 0
	ds_load_b64 v[66:67], v3 offset:240
	s_waitcnt lgkmcnt(0)
	v_mul_f64 v[1:2], v[1:2], v[66:67]
	scratch_store_b64 off, v[1:2], off offset:240
.LBB94_131:
	s_or_b32 exec_lo, exec_lo, s0
	s_mov_b32 s1, -1
	s_waitcnt_vscnt null, 0x0
	s_barrier
	buffer_gl0_inv
.LBB94_132:
	s_and_b32 vcc_lo, exec_lo, s1
	s_cbranch_vccz .LBB94_134
; %bb.133:
	s_lshl_b64 s[0:1], s[8:9], 2
	v_mov_b32_e32 v1, 0
	s_add_u32 s0, s6, s0
	s_addc_u32 s1, s7, s1
	global_load_b32 v1, v1, s[0:1]
	s_waitcnt vmcnt(0)
	v_cmp_ne_u32_e32 vcc_lo, 0, v1
	s_cbranch_vccz .LBB94_135
.LBB94_134:
	s_endpgm
.LBB94_135:
	v_lshl_add_u32 v3, v0, 3, 0x100
	s_mov_b32 s0, exec_lo
	v_cmpx_eq_u32_e32 30, v0
	s_cbranch_execz .LBB94_137
; %bb.136:
	scratch_load_b64 v[1:2], off, off offset:232
	v_mov_b32_e32 v66, 0
	s_delay_alu instid0(VALU_DEP_1)
	v_mov_b32_e32 v67, v66
	scratch_store_b64 off, v[66:67], off offset:232
	s_waitcnt vmcnt(0)
	ds_store_b64 v3, v[1:2]
.LBB94_137:
	s_or_b32 exec_lo, exec_lo, s0
	s_waitcnt lgkmcnt(0)
	s_waitcnt_vscnt null, 0x0
	s_barrier
	buffer_gl0_inv
	scratch_load_b128 v[66:69], off, off offset:232
	v_mov_b32_e32 v1, 0
	s_mov_b32 s0, exec_lo
	ds_load_b64 v[70:71], v1 offset:496
	s_waitcnt vmcnt(0) lgkmcnt(0)
	v_fma_f64 v[68:69], v[68:69], v[70:71], 0
	s_delay_alu instid0(VALU_DEP_1)
	v_add_f64 v[66:67], v[66:67], -v[68:69]
	scratch_store_b64 off, v[66:67], off offset:232
	v_cmpx_lt_u32_e32 28, v0
	s_cbranch_execz .LBB94_139
; %bb.138:
	scratch_load_b64 v[66:67], off, off offset:224
	v_mov_b32_e32 v2, v1
	scratch_store_b64 off, v[1:2], off offset:224
	s_waitcnt vmcnt(0)
	ds_store_b64 v3, v[66:67]
.LBB94_139:
	s_or_b32 exec_lo, exec_lo, s0
	s_waitcnt lgkmcnt(0)
	s_waitcnt_vscnt null, 0x0
	s_barrier
	buffer_gl0_inv
	s_clause 0x1
	scratch_load_b128 v[66:69], off, off offset:224
	scratch_load_b64 v[74:75], off, off offset:240
	ds_load_2addr_b64 v[70:73], v1 offset0:61 offset1:62
	s_mov_b32 s0, exec_lo
	s_waitcnt vmcnt(1) lgkmcnt(0)
	v_fma_f64 v[1:2], v[68:69], v[70:71], 0
	s_waitcnt vmcnt(0)
	s_delay_alu instid0(VALU_DEP_1) | instskip(NEXT) | instid1(VALU_DEP_1)
	v_fma_f64 v[1:2], v[74:75], v[72:73], v[1:2]
	v_add_f64 v[1:2], v[66:67], -v[1:2]
	scratch_store_b64 off, v[1:2], off offset:224
	v_cmpx_lt_u32_e32 27, v0
	s_cbranch_execz .LBB94_141
; %bb.140:
	scratch_load_b64 v[1:2], off, off offset:216
	v_mov_b32_e32 v66, 0
	s_delay_alu instid0(VALU_DEP_1)
	v_mov_b32_e32 v67, v66
	scratch_store_b64 off, v[66:67], off offset:216
	s_waitcnt vmcnt(0)
	ds_store_b64 v3, v[1:2]
.LBB94_141:
	s_or_b32 exec_lo, exec_lo, s0
	s_waitcnt lgkmcnt(0)
	s_waitcnt_vscnt null, 0x0
	s_barrier
	buffer_gl0_inv
	s_clause 0x1
	scratch_load_b128 v[66:69], off, off offset:216
	scratch_load_b128 v[70:73], off, off offset:232
	v_mov_b32_e32 v1, 0
	ds_load_b128 v[74:77], v1 offset:480
	ds_load_b64 v[78:79], v1 offset:496
	s_mov_b32 s0, exec_lo
	s_waitcnt vmcnt(1) lgkmcnt(1)
	v_fma_f64 v[68:69], v[68:69], v[74:75], 0
	s_waitcnt vmcnt(0)
	s_delay_alu instid0(VALU_DEP_1) | instskip(SKIP_1) | instid1(VALU_DEP_1)
	v_fma_f64 v[68:69], v[70:71], v[76:77], v[68:69]
	s_waitcnt lgkmcnt(0)
	v_fma_f64 v[68:69], v[72:73], v[78:79], v[68:69]
	s_delay_alu instid0(VALU_DEP_1)
	v_add_f64 v[66:67], v[66:67], -v[68:69]
	scratch_store_b64 off, v[66:67], off offset:216
	v_cmpx_lt_u32_e32 26, v0
	s_cbranch_execz .LBB94_143
; %bb.142:
	scratch_load_b64 v[66:67], off, off offset:208
	v_mov_b32_e32 v2, v1
	scratch_store_b64 off, v[1:2], off offset:208
	s_waitcnt vmcnt(0)
	ds_store_b64 v3, v[66:67]
.LBB94_143:
	s_or_b32 exec_lo, exec_lo, s0
	s_waitcnt lgkmcnt(0)
	s_waitcnt_vscnt null, 0x0
	s_barrier
	buffer_gl0_inv
	s_clause 0x2
	scratch_load_b128 v[66:69], off, off offset:208
	scratch_load_b128 v[70:73], off, off offset:224
	scratch_load_b64 v[82:83], off, off offset:240
	ds_load_2addr_b64 v[74:77], v1 offset0:59 offset1:60
	ds_load_2addr_b64 v[78:81], v1 offset0:61 offset1:62
	s_mov_b32 s0, exec_lo
	s_waitcnt vmcnt(2) lgkmcnt(1)
	v_fma_f64 v[1:2], v[68:69], v[74:75], 0
	s_waitcnt vmcnt(1)
	s_delay_alu instid0(VALU_DEP_1) | instskip(SKIP_1) | instid1(VALU_DEP_1)
	v_fma_f64 v[1:2], v[70:71], v[76:77], v[1:2]
	s_waitcnt lgkmcnt(0)
	v_fma_f64 v[1:2], v[72:73], v[78:79], v[1:2]
	s_waitcnt vmcnt(0)
	s_delay_alu instid0(VALU_DEP_1) | instskip(NEXT) | instid1(VALU_DEP_1)
	v_fma_f64 v[1:2], v[82:83], v[80:81], v[1:2]
	v_add_f64 v[1:2], v[66:67], -v[1:2]
	scratch_store_b64 off, v[1:2], off offset:208
	v_cmpx_lt_u32_e32 25, v0
	s_cbranch_execz .LBB94_145
; %bb.144:
	scratch_load_b64 v[1:2], off, off offset:200
	v_mov_b32_e32 v66, 0
	s_delay_alu instid0(VALU_DEP_1)
	v_mov_b32_e32 v67, v66
	scratch_store_b64 off, v[66:67], off offset:200
	s_waitcnt vmcnt(0)
	ds_store_b64 v3, v[1:2]
.LBB94_145:
	s_or_b32 exec_lo, exec_lo, s0
	s_waitcnt lgkmcnt(0)
	s_waitcnt_vscnt null, 0x0
	s_barrier
	buffer_gl0_inv
	s_clause 0x2
	scratch_load_b128 v[66:69], off, off offset:200
	scratch_load_b128 v[70:73], off, off offset:216
	;; [unrolled: 1-line block ×3, first 2 shown]
	v_mov_b32_e32 v1, 0
	ds_load_b128 v[78:81], v1 offset:464
	ds_load_b128 v[82:85], v1 offset:480
	s_mov_b32 s0, exec_lo
	s_waitcnt vmcnt(2) lgkmcnt(1)
	v_fma_f64 v[68:69], v[68:69], v[78:79], 0
	s_waitcnt vmcnt(1)
	s_delay_alu instid0(VALU_DEP_1) | instskip(SKIP_4) | instid1(VALU_DEP_1)
	v_fma_f64 v[68:69], v[70:71], v[80:81], v[68:69]
	ds_load_b64 v[70:71], v1 offset:496
	s_waitcnt lgkmcnt(1)
	v_fma_f64 v[68:69], v[72:73], v[82:83], v[68:69]
	s_waitcnt vmcnt(0)
	v_fma_f64 v[68:69], v[74:75], v[84:85], v[68:69]
	s_waitcnt lgkmcnt(0)
	s_delay_alu instid0(VALU_DEP_1) | instskip(NEXT) | instid1(VALU_DEP_1)
	v_fma_f64 v[68:69], v[76:77], v[70:71], v[68:69]
	v_add_f64 v[66:67], v[66:67], -v[68:69]
	scratch_store_b64 off, v[66:67], off offset:200
	v_cmpx_lt_u32_e32 24, v0
	s_cbranch_execz .LBB94_147
; %bb.146:
	scratch_load_b64 v[66:67], off, off offset:192
	v_mov_b32_e32 v2, v1
	scratch_store_b64 off, v[1:2], off offset:192
	s_waitcnt vmcnt(0)
	ds_store_b64 v3, v[66:67]
.LBB94_147:
	s_or_b32 exec_lo, exec_lo, s0
	s_waitcnt lgkmcnt(0)
	s_waitcnt_vscnt null, 0x0
	s_barrier
	buffer_gl0_inv
	s_clause 0x3
	scratch_load_b128 v[66:69], off, off offset:192
	scratch_load_b128 v[70:73], off, off offset:208
	;; [unrolled: 1-line block ×3, first 2 shown]
	scratch_load_b64 v[86:87], off, off offset:240
	ds_load_2addr_b64 v[78:81], v1 offset0:57 offset1:58
	ds_load_2addr_b64 v[82:85], v1 offset0:59 offset1:60
	s_mov_b32 s0, exec_lo
	s_waitcnt vmcnt(3) lgkmcnt(1)
	v_fma_f64 v[68:69], v[68:69], v[78:79], 0
	s_waitcnt vmcnt(2)
	s_delay_alu instid0(VALU_DEP_1) | instskip(SKIP_1) | instid1(VALU_DEP_1)
	v_fma_f64 v[68:69], v[70:71], v[80:81], v[68:69]
	s_waitcnt lgkmcnt(0)
	v_fma_f64 v[68:69], v[72:73], v[82:83], v[68:69]
	s_waitcnt vmcnt(1)
	s_delay_alu instid0(VALU_DEP_1) | instskip(SKIP_4) | instid1(VALU_DEP_1)
	v_fma_f64 v[72:73], v[74:75], v[84:85], v[68:69]
	ds_load_2addr_b64 v[68:71], v1 offset0:61 offset1:62
	s_waitcnt lgkmcnt(0)
	v_fma_f64 v[1:2], v[76:77], v[68:69], v[72:73]
	s_waitcnt vmcnt(0)
	v_fma_f64 v[1:2], v[86:87], v[70:71], v[1:2]
	s_delay_alu instid0(VALU_DEP_1)
	v_add_f64 v[1:2], v[66:67], -v[1:2]
	scratch_store_b64 off, v[1:2], off offset:192
	v_cmpx_lt_u32_e32 23, v0
	s_cbranch_execz .LBB94_149
; %bb.148:
	scratch_load_b64 v[1:2], off, off offset:184
	v_mov_b32_e32 v66, 0
	s_delay_alu instid0(VALU_DEP_1)
	v_mov_b32_e32 v67, v66
	scratch_store_b64 off, v[66:67], off offset:184
	s_waitcnt vmcnt(0)
	ds_store_b64 v3, v[1:2]
.LBB94_149:
	s_or_b32 exec_lo, exec_lo, s0
	s_waitcnt lgkmcnt(0)
	s_waitcnt_vscnt null, 0x0
	s_barrier
	buffer_gl0_inv
	s_clause 0x3
	scratch_load_b128 v[66:69], off, off offset:184
	scratch_load_b128 v[70:73], off, off offset:200
	;; [unrolled: 1-line block ×4, first 2 shown]
	v_mov_b32_e32 v1, 0
	ds_load_b128 v[82:85], v1 offset:448
	ds_load_b128 v[86:89], v1 offset:464
	s_mov_b32 s0, exec_lo
	s_waitcnt vmcnt(3) lgkmcnt(1)
	v_fma_f64 v[68:69], v[68:69], v[82:83], 0
	s_waitcnt vmcnt(2)
	s_delay_alu instid0(VALU_DEP_1) | instskip(SKIP_1) | instid1(VALU_DEP_1)
	v_fma_f64 v[68:69], v[70:71], v[84:85], v[68:69]
	s_waitcnt lgkmcnt(0)
	v_fma_f64 v[68:69], v[72:73], v[86:87], v[68:69]
	s_waitcnt vmcnt(1)
	s_delay_alu instid0(VALU_DEP_1)
	v_fma_f64 v[72:73], v[74:75], v[88:89], v[68:69]
	ds_load_b128 v[68:71], v1 offset:480
	ds_load_b64 v[74:75], v1 offset:496
	s_waitcnt lgkmcnt(1)
	v_fma_f64 v[68:69], v[76:77], v[68:69], v[72:73]
	s_waitcnt vmcnt(0)
	s_delay_alu instid0(VALU_DEP_1) | instskip(SKIP_1) | instid1(VALU_DEP_1)
	v_fma_f64 v[68:69], v[78:79], v[70:71], v[68:69]
	s_waitcnt lgkmcnt(0)
	v_fma_f64 v[68:69], v[80:81], v[74:75], v[68:69]
	s_delay_alu instid0(VALU_DEP_1)
	v_add_f64 v[66:67], v[66:67], -v[68:69]
	scratch_store_b64 off, v[66:67], off offset:184
	v_cmpx_lt_u32_e32 22, v0
	s_cbranch_execz .LBB94_151
; %bb.150:
	scratch_load_b64 v[66:67], off, off offset:176
	v_mov_b32_e32 v2, v1
	scratch_store_b64 off, v[1:2], off offset:176
	s_waitcnt vmcnt(0)
	ds_store_b64 v3, v[66:67]
.LBB94_151:
	s_or_b32 exec_lo, exec_lo, s0
	s_waitcnt lgkmcnt(0)
	s_waitcnt_vscnt null, 0x0
	s_barrier
	buffer_gl0_inv
	s_clause 0x4
	scratch_load_b128 v[66:69], off, off offset:176
	scratch_load_b128 v[70:73], off, off offset:192
	;; [unrolled: 1-line block ×4, first 2 shown]
	scratch_load_b64 v[90:91], off, off offset:240
	ds_load_2addr_b64 v[82:85], v1 offset0:55 offset1:56
	ds_load_2addr_b64 v[86:89], v1 offset0:57 offset1:58
	s_mov_b32 s0, exec_lo
	s_waitcnt vmcnt(4) lgkmcnt(1)
	v_fma_f64 v[68:69], v[68:69], v[82:83], 0
	s_waitcnt vmcnt(3)
	s_delay_alu instid0(VALU_DEP_1) | instskip(SKIP_1) | instid1(VALU_DEP_1)
	v_fma_f64 v[68:69], v[70:71], v[84:85], v[68:69]
	s_waitcnt lgkmcnt(0)
	v_fma_f64 v[68:69], v[72:73], v[86:87], v[68:69]
	s_waitcnt vmcnt(2)
	s_delay_alu instid0(VALU_DEP_1)
	v_fma_f64 v[82:83], v[74:75], v[88:89], v[68:69]
	ds_load_2addr_b64 v[68:71], v1 offset0:59 offset1:60
	ds_load_2addr_b64 v[72:75], v1 offset0:61 offset1:62
	s_waitcnt lgkmcnt(1)
	v_fma_f64 v[1:2], v[76:77], v[68:69], v[82:83]
	s_waitcnt vmcnt(1)
	s_delay_alu instid0(VALU_DEP_1) | instskip(SKIP_1) | instid1(VALU_DEP_1)
	v_fma_f64 v[1:2], v[78:79], v[70:71], v[1:2]
	s_waitcnt lgkmcnt(0)
	v_fma_f64 v[1:2], v[80:81], v[72:73], v[1:2]
	s_waitcnt vmcnt(0)
	s_delay_alu instid0(VALU_DEP_1) | instskip(NEXT) | instid1(VALU_DEP_1)
	v_fma_f64 v[1:2], v[90:91], v[74:75], v[1:2]
	v_add_f64 v[1:2], v[66:67], -v[1:2]
	scratch_store_b64 off, v[1:2], off offset:176
	v_cmpx_lt_u32_e32 21, v0
	s_cbranch_execz .LBB94_153
; %bb.152:
	scratch_load_b64 v[1:2], off, off offset:168
	v_mov_b32_e32 v66, 0
	s_delay_alu instid0(VALU_DEP_1)
	v_mov_b32_e32 v67, v66
	scratch_store_b64 off, v[66:67], off offset:168
	s_waitcnt vmcnt(0)
	ds_store_b64 v3, v[1:2]
.LBB94_153:
	s_or_b32 exec_lo, exec_lo, s0
	s_waitcnt lgkmcnt(0)
	s_waitcnt_vscnt null, 0x0
	s_barrier
	buffer_gl0_inv
	s_clause 0x4
	scratch_load_b128 v[66:69], off, off offset:168
	scratch_load_b128 v[70:73], off, off offset:184
	;; [unrolled: 1-line block ×5, first 2 shown]
	v_mov_b32_e32 v1, 0
	ds_load_b128 v[86:89], v1 offset:432
	ds_load_b128 v[90:93], v1 offset:448
	s_mov_b32 s0, exec_lo
	s_waitcnt vmcnt(4) lgkmcnt(1)
	v_fma_f64 v[68:69], v[68:69], v[86:87], 0
	s_waitcnt vmcnt(3)
	s_delay_alu instid0(VALU_DEP_1) | instskip(SKIP_1) | instid1(VALU_DEP_1)
	v_fma_f64 v[68:69], v[70:71], v[88:89], v[68:69]
	s_waitcnt lgkmcnt(0)
	v_fma_f64 v[68:69], v[72:73], v[90:91], v[68:69]
	s_waitcnt vmcnt(2)
	s_delay_alu instid0(VALU_DEP_1)
	v_fma_f64 v[86:87], v[74:75], v[92:93], v[68:69]
	ds_load_b128 v[68:71], v1 offset:464
	ds_load_b128 v[72:75], v1 offset:480
	s_waitcnt lgkmcnt(1)
	v_fma_f64 v[68:69], v[76:77], v[68:69], v[86:87]
	s_waitcnt vmcnt(1)
	s_delay_alu instid0(VALU_DEP_1) | instskip(SKIP_4) | instid1(VALU_DEP_1)
	v_fma_f64 v[68:69], v[78:79], v[70:71], v[68:69]
	ds_load_b64 v[70:71], v1 offset:496
	s_waitcnt lgkmcnt(1)
	v_fma_f64 v[68:69], v[80:81], v[72:73], v[68:69]
	s_waitcnt vmcnt(0)
	v_fma_f64 v[68:69], v[82:83], v[74:75], v[68:69]
	s_waitcnt lgkmcnt(0)
	s_delay_alu instid0(VALU_DEP_1) | instskip(NEXT) | instid1(VALU_DEP_1)
	v_fma_f64 v[68:69], v[84:85], v[70:71], v[68:69]
	v_add_f64 v[66:67], v[66:67], -v[68:69]
	scratch_store_b64 off, v[66:67], off offset:168
	v_cmpx_lt_u32_e32 20, v0
	s_cbranch_execz .LBB94_155
; %bb.154:
	scratch_load_b64 v[66:67], off, off offset:160
	v_mov_b32_e32 v2, v1
	scratch_store_b64 off, v[1:2], off offset:160
	s_waitcnt vmcnt(0)
	ds_store_b64 v3, v[66:67]
.LBB94_155:
	s_or_b32 exec_lo, exec_lo, s0
	s_waitcnt lgkmcnt(0)
	s_waitcnt_vscnt null, 0x0
	s_barrier
	buffer_gl0_inv
	s_clause 0x4
	scratch_load_b128 v[66:69], off, off offset:160
	scratch_load_b128 v[70:73], off, off offset:176
	;; [unrolled: 1-line block ×5, first 2 shown]
	ds_load_2addr_b64 v[86:89], v1 offset0:53 offset1:54
	ds_load_2addr_b64 v[90:93], v1 offset0:55 offset1:56
	s_mov_b32 s0, exec_lo
	s_waitcnt vmcnt(4) lgkmcnt(1)
	v_fma_f64 v[68:69], v[68:69], v[86:87], 0
	scratch_load_b64 v[86:87], off, off offset:240
	s_waitcnt vmcnt(4)
	v_fma_f64 v[68:69], v[70:71], v[88:89], v[68:69]
	s_waitcnt lgkmcnt(0)
	s_delay_alu instid0(VALU_DEP_1) | instskip(SKIP_1) | instid1(VALU_DEP_1)
	v_fma_f64 v[68:69], v[72:73], v[90:91], v[68:69]
	s_waitcnt vmcnt(3)
	v_fma_f64 v[88:89], v[74:75], v[92:93], v[68:69]
	ds_load_2addr_b64 v[68:71], v1 offset0:57 offset1:58
	ds_load_2addr_b64 v[72:75], v1 offset0:59 offset1:60
	s_waitcnt lgkmcnt(1)
	v_fma_f64 v[68:69], v[76:77], v[68:69], v[88:89]
	s_waitcnt vmcnt(2)
	s_delay_alu instid0(VALU_DEP_1) | instskip(SKIP_1) | instid1(VALU_DEP_1)
	v_fma_f64 v[68:69], v[78:79], v[70:71], v[68:69]
	s_waitcnt lgkmcnt(0)
	v_fma_f64 v[68:69], v[80:81], v[72:73], v[68:69]
	s_waitcnt vmcnt(1)
	s_delay_alu instid0(VALU_DEP_1) | instskip(SKIP_4) | instid1(VALU_DEP_1)
	v_fma_f64 v[72:73], v[82:83], v[74:75], v[68:69]
	ds_load_2addr_b64 v[68:71], v1 offset0:61 offset1:62
	s_waitcnt lgkmcnt(0)
	v_fma_f64 v[1:2], v[84:85], v[68:69], v[72:73]
	s_waitcnt vmcnt(0)
	v_fma_f64 v[1:2], v[86:87], v[70:71], v[1:2]
	s_delay_alu instid0(VALU_DEP_1)
	v_add_f64 v[1:2], v[66:67], -v[1:2]
	scratch_store_b64 off, v[1:2], off offset:160
	v_cmpx_lt_u32_e32 19, v0
	s_cbranch_execz .LBB94_157
; %bb.156:
	scratch_load_b64 v[1:2], off, off offset:152
	v_mov_b32_e32 v66, 0
	s_delay_alu instid0(VALU_DEP_1)
	v_mov_b32_e32 v67, v66
	scratch_store_b64 off, v[66:67], off offset:152
	s_waitcnt vmcnt(0)
	ds_store_b64 v3, v[1:2]
.LBB94_157:
	s_or_b32 exec_lo, exec_lo, s0
	s_waitcnt lgkmcnt(0)
	s_waitcnt_vscnt null, 0x0
	s_barrier
	buffer_gl0_inv
	s_clause 0x4
	scratch_load_b128 v[66:69], off, off offset:152
	scratch_load_b128 v[70:73], off, off offset:168
	;; [unrolled: 1-line block ×5, first 2 shown]
	v_mov_b32_e32 v1, 0
	scratch_load_b128 v[90:93], off, off offset:232
	s_mov_b32 s0, exec_lo
	ds_load_b128 v[86:89], v1 offset:416
	s_waitcnt vmcnt(5) lgkmcnt(0)
	v_fma_f64 v[68:69], v[68:69], v[86:87], 0
	s_waitcnt vmcnt(4)
	s_delay_alu instid0(VALU_DEP_1) | instskip(SKIP_4) | instid1(VALU_DEP_1)
	v_fma_f64 v[86:87], v[70:71], v[88:89], v[68:69]
	ds_load_b128 v[68:71], v1 offset:432
	s_waitcnt lgkmcnt(0)
	v_fma_f64 v[68:69], v[72:73], v[68:69], v[86:87]
	s_waitcnt vmcnt(3)
	v_fma_f64 v[72:73], v[74:75], v[70:71], v[68:69]
	ds_load_b128 v[68:71], v1 offset:448
	s_waitcnt lgkmcnt(0)
	v_fma_f64 v[68:69], v[76:77], v[68:69], v[72:73]
	s_waitcnt vmcnt(2)
	s_delay_alu instid0(VALU_DEP_1) | instskip(SKIP_4) | instid1(VALU_DEP_1)
	v_fma_f64 v[72:73], v[78:79], v[70:71], v[68:69]
	ds_load_b128 v[68:71], v1 offset:464
	s_waitcnt lgkmcnt(0)
	v_fma_f64 v[68:69], v[80:81], v[68:69], v[72:73]
	s_waitcnt vmcnt(1)
	v_fma_f64 v[72:73], v[82:83], v[70:71], v[68:69]
	ds_load_b128 v[68:71], v1 offset:480
	s_waitcnt lgkmcnt(0)
	v_fma_f64 v[68:69], v[84:85], v[68:69], v[72:73]
	s_waitcnt vmcnt(0)
	s_delay_alu instid0(VALU_DEP_1) | instskip(SKIP_3) | instid1(VALU_DEP_1)
	v_fma_f64 v[68:69], v[90:91], v[70:71], v[68:69]
	ds_load_b64 v[70:71], v1 offset:496
	s_waitcnt lgkmcnt(0)
	v_fma_f64 v[68:69], v[92:93], v[70:71], v[68:69]
	v_add_f64 v[66:67], v[66:67], -v[68:69]
	scratch_store_b64 off, v[66:67], off offset:152
	v_cmpx_lt_u32_e32 18, v0
	s_cbranch_execz .LBB94_159
; %bb.158:
	scratch_load_b64 v[66:67], off, off offset:144
	v_mov_b32_e32 v2, v1
	scratch_store_b64 off, v[1:2], off offset:144
	s_waitcnt vmcnt(0)
	ds_store_b64 v3, v[66:67]
.LBB94_159:
	s_or_b32 exec_lo, exec_lo, s0
	s_waitcnt lgkmcnt(0)
	s_waitcnt_vscnt null, 0x0
	s_barrier
	buffer_gl0_inv
	s_clause 0x4
	scratch_load_b128 v[66:69], off, off offset:144
	scratch_load_b128 v[70:73], off, off offset:160
	;; [unrolled: 1-line block ×5, first 2 shown]
	ds_load_2addr_b64 v[86:89], v1 offset0:51 offset1:52
	scratch_load_b128 v[90:93], off, off offset:224
	s_mov_b32 s0, exec_lo
	s_waitcnt vmcnt(5) lgkmcnt(0)
	v_fma_f64 v[68:69], v[68:69], v[86:87], 0
	s_waitcnt vmcnt(4)
	s_delay_alu instid0(VALU_DEP_1)
	v_fma_f64 v[86:87], v[70:71], v[88:89], v[68:69]
	ds_load_2addr_b64 v[68:71], v1 offset0:53 offset1:54
	s_waitcnt lgkmcnt(0)
	v_fma_f64 v[68:69], v[72:73], v[68:69], v[86:87]
	scratch_load_b64 v[72:73], off, off offset:240
	s_waitcnt vmcnt(4)
	v_fma_f64 v[74:75], v[74:75], v[70:71], v[68:69]
	ds_load_2addr_b64 v[68:71], v1 offset0:55 offset1:56
	s_waitcnt lgkmcnt(0)
	v_fma_f64 v[68:69], v[76:77], v[68:69], v[74:75]
	s_waitcnt vmcnt(3)
	s_delay_alu instid0(VALU_DEP_1) | instskip(SKIP_4) | instid1(VALU_DEP_1)
	v_fma_f64 v[74:75], v[78:79], v[70:71], v[68:69]
	ds_load_2addr_b64 v[68:71], v1 offset0:57 offset1:58
	s_waitcnt lgkmcnt(0)
	v_fma_f64 v[68:69], v[80:81], v[68:69], v[74:75]
	s_waitcnt vmcnt(2)
	v_fma_f64 v[74:75], v[82:83], v[70:71], v[68:69]
	ds_load_2addr_b64 v[68:71], v1 offset0:59 offset1:60
	s_waitcnt lgkmcnt(0)
	v_fma_f64 v[68:69], v[84:85], v[68:69], v[74:75]
	s_waitcnt vmcnt(1)
	s_delay_alu instid0(VALU_DEP_1) | instskip(SKIP_4) | instid1(VALU_DEP_1)
	v_fma_f64 v[74:75], v[90:91], v[70:71], v[68:69]
	ds_load_2addr_b64 v[68:71], v1 offset0:61 offset1:62
	s_waitcnt lgkmcnt(0)
	v_fma_f64 v[1:2], v[92:93], v[68:69], v[74:75]
	s_waitcnt vmcnt(0)
	v_fma_f64 v[1:2], v[72:73], v[70:71], v[1:2]
	s_delay_alu instid0(VALU_DEP_1)
	v_add_f64 v[1:2], v[66:67], -v[1:2]
	scratch_store_b64 off, v[1:2], off offset:144
	v_cmpx_lt_u32_e32 17, v0
	s_cbranch_execz .LBB94_161
; %bb.160:
	scratch_load_b64 v[1:2], off, off offset:136
	v_mov_b32_e32 v66, 0
	s_delay_alu instid0(VALU_DEP_1)
	v_mov_b32_e32 v67, v66
	scratch_store_b64 off, v[66:67], off offset:136
	s_waitcnt vmcnt(0)
	ds_store_b64 v3, v[1:2]
.LBB94_161:
	s_or_b32 exec_lo, exec_lo, s0
	s_waitcnt lgkmcnt(0)
	s_waitcnt_vscnt null, 0x0
	s_barrier
	buffer_gl0_inv
	s_clause 0x4
	scratch_load_b128 v[66:69], off, off offset:136
	scratch_load_b128 v[70:73], off, off offset:152
	;; [unrolled: 1-line block ×5, first 2 shown]
	v_mov_b32_e32 v1, 0
	scratch_load_b128 v[90:93], off, off offset:216
	s_mov_b32 s0, exec_lo
	ds_load_b128 v[86:89], v1 offset:400
	s_waitcnt vmcnt(5) lgkmcnt(0)
	v_fma_f64 v[68:69], v[68:69], v[86:87], 0
	s_waitcnt vmcnt(4)
	s_delay_alu instid0(VALU_DEP_1)
	v_fma_f64 v[86:87], v[70:71], v[88:89], v[68:69]
	ds_load_b128 v[68:71], v1 offset:416
	s_waitcnt lgkmcnt(0)
	v_fma_f64 v[68:69], v[72:73], v[68:69], v[86:87]
	scratch_load_b128 v[86:89], off, off offset:232
	s_waitcnt vmcnt(4)
	v_fma_f64 v[72:73], v[74:75], v[70:71], v[68:69]
	ds_load_b128 v[68:71], v1 offset:432
	s_waitcnt lgkmcnt(0)
	v_fma_f64 v[68:69], v[76:77], v[68:69], v[72:73]
	s_waitcnt vmcnt(3)
	s_delay_alu instid0(VALU_DEP_1) | instskip(SKIP_4) | instid1(VALU_DEP_1)
	v_fma_f64 v[72:73], v[78:79], v[70:71], v[68:69]
	ds_load_b128 v[68:71], v1 offset:448
	s_waitcnt lgkmcnt(0)
	v_fma_f64 v[68:69], v[80:81], v[68:69], v[72:73]
	s_waitcnt vmcnt(2)
	v_fma_f64 v[72:73], v[82:83], v[70:71], v[68:69]
	ds_load_b128 v[68:71], v1 offset:464
	s_waitcnt lgkmcnt(0)
	v_fma_f64 v[68:69], v[84:85], v[68:69], v[72:73]
	s_waitcnt vmcnt(1)
	s_delay_alu instid0(VALU_DEP_1) | instskip(SKIP_4) | instid1(VALU_DEP_1)
	v_fma_f64 v[72:73], v[90:91], v[70:71], v[68:69]
	ds_load_b128 v[68:71], v1 offset:480
	s_waitcnt lgkmcnt(0)
	v_fma_f64 v[68:69], v[92:93], v[68:69], v[72:73]
	s_waitcnt vmcnt(0)
	v_fma_f64 v[68:69], v[86:87], v[70:71], v[68:69]
	ds_load_b64 v[70:71], v1 offset:496
	s_waitcnt lgkmcnt(0)
	v_fma_f64 v[68:69], v[88:89], v[70:71], v[68:69]
	s_delay_alu instid0(VALU_DEP_1)
	v_add_f64 v[66:67], v[66:67], -v[68:69]
	scratch_store_b64 off, v[66:67], off offset:136
	v_cmpx_lt_u32_e32 16, v0
	s_cbranch_execz .LBB94_163
; %bb.162:
	scratch_load_b64 v[66:67], off, off offset:128
	v_mov_b32_e32 v2, v1
	scratch_store_b64 off, v[1:2], off offset:128
	s_waitcnt vmcnt(0)
	ds_store_b64 v3, v[66:67]
.LBB94_163:
	s_or_b32 exec_lo, exec_lo, s0
	s_waitcnt lgkmcnt(0)
	s_waitcnt_vscnt null, 0x0
	s_barrier
	buffer_gl0_inv
	s_clause 0x4
	scratch_load_b128 v[66:69], off, off offset:128
	scratch_load_b128 v[70:73], off, off offset:144
	;; [unrolled: 1-line block ×5, first 2 shown]
	ds_load_2addr_b64 v[86:89], v1 offset0:49 offset1:50
	scratch_load_b128 v[90:93], off, off offset:208
	s_mov_b32 s0, exec_lo
	s_waitcnt vmcnt(5) lgkmcnt(0)
	v_fma_f64 v[68:69], v[68:69], v[86:87], 0
	s_waitcnt vmcnt(4)
	s_delay_alu instid0(VALU_DEP_1)
	v_fma_f64 v[86:87], v[70:71], v[88:89], v[68:69]
	ds_load_2addr_b64 v[68:71], v1 offset0:51 offset1:52
	s_waitcnt lgkmcnt(0)
	v_fma_f64 v[68:69], v[72:73], v[68:69], v[86:87]
	scratch_load_b128 v[86:89], off, off offset:224
	s_waitcnt vmcnt(4)
	v_fma_f64 v[72:73], v[74:75], v[70:71], v[68:69]
	ds_load_2addr_b64 v[68:71], v1 offset0:53 offset1:54
	s_waitcnt lgkmcnt(0)
	v_fma_f64 v[68:69], v[76:77], v[68:69], v[72:73]
	scratch_load_b64 v[72:73], off, off offset:240
	s_waitcnt vmcnt(4)
	v_fma_f64 v[74:75], v[78:79], v[70:71], v[68:69]
	ds_load_2addr_b64 v[68:71], v1 offset0:55 offset1:56
	s_waitcnt lgkmcnt(0)
	v_fma_f64 v[68:69], v[80:81], v[68:69], v[74:75]
	s_waitcnt vmcnt(3)
	s_delay_alu instid0(VALU_DEP_1) | instskip(SKIP_4) | instid1(VALU_DEP_1)
	v_fma_f64 v[74:75], v[82:83], v[70:71], v[68:69]
	ds_load_2addr_b64 v[68:71], v1 offset0:57 offset1:58
	s_waitcnt lgkmcnt(0)
	v_fma_f64 v[68:69], v[84:85], v[68:69], v[74:75]
	s_waitcnt vmcnt(2)
	v_fma_f64 v[74:75], v[90:91], v[70:71], v[68:69]
	ds_load_2addr_b64 v[68:71], v1 offset0:59 offset1:60
	s_waitcnt lgkmcnt(0)
	v_fma_f64 v[68:69], v[92:93], v[68:69], v[74:75]
	s_waitcnt vmcnt(1)
	s_delay_alu instid0(VALU_DEP_1) | instskip(SKIP_4) | instid1(VALU_DEP_1)
	v_fma_f64 v[74:75], v[86:87], v[70:71], v[68:69]
	ds_load_2addr_b64 v[68:71], v1 offset0:61 offset1:62
	s_waitcnt lgkmcnt(0)
	v_fma_f64 v[1:2], v[88:89], v[68:69], v[74:75]
	s_waitcnt vmcnt(0)
	v_fma_f64 v[1:2], v[72:73], v[70:71], v[1:2]
	s_delay_alu instid0(VALU_DEP_1)
	v_add_f64 v[1:2], v[66:67], -v[1:2]
	scratch_store_b64 off, v[1:2], off offset:128
	v_cmpx_lt_u32_e32 15, v0
	s_cbranch_execz .LBB94_165
; %bb.164:
	scratch_load_b64 v[1:2], off, off offset:120
	v_mov_b32_e32 v66, 0
	s_delay_alu instid0(VALU_DEP_1)
	v_mov_b32_e32 v67, v66
	scratch_store_b64 off, v[66:67], off offset:120
	s_waitcnt vmcnt(0)
	ds_store_b64 v3, v[1:2]
.LBB94_165:
	s_or_b32 exec_lo, exec_lo, s0
	s_waitcnt lgkmcnt(0)
	s_waitcnt_vscnt null, 0x0
	s_barrier
	buffer_gl0_inv
	s_clause 0x4
	scratch_load_b128 v[66:69], off, off offset:120
	scratch_load_b128 v[70:73], off, off offset:136
	;; [unrolled: 1-line block ×5, first 2 shown]
	v_mov_b32_e32 v1, 0
	scratch_load_b128 v[90:93], off, off offset:200
	s_mov_b32 s0, exec_lo
	ds_load_b128 v[86:89], v1 offset:384
	s_waitcnt vmcnt(5) lgkmcnt(0)
	v_fma_f64 v[68:69], v[68:69], v[86:87], 0
	s_waitcnt vmcnt(4)
	s_delay_alu instid0(VALU_DEP_1)
	v_fma_f64 v[86:87], v[70:71], v[88:89], v[68:69]
	ds_load_b128 v[68:71], v1 offset:400
	s_waitcnt lgkmcnt(0)
	v_fma_f64 v[68:69], v[72:73], v[68:69], v[86:87]
	scratch_load_b128 v[86:89], off, off offset:216
	s_waitcnt vmcnt(4)
	v_fma_f64 v[72:73], v[74:75], v[70:71], v[68:69]
	ds_load_b128 v[68:71], v1 offset:416
	s_waitcnt lgkmcnt(0)
	v_fma_f64 v[68:69], v[76:77], v[68:69], v[72:73]
	scratch_load_b128 v[72:75], off, off offset:232
	s_waitcnt vmcnt(4)
	v_fma_f64 v[76:77], v[78:79], v[70:71], v[68:69]
	ds_load_b128 v[68:71], v1 offset:432
	s_waitcnt lgkmcnt(0)
	v_fma_f64 v[68:69], v[80:81], v[68:69], v[76:77]
	s_waitcnt vmcnt(3)
	s_delay_alu instid0(VALU_DEP_1) | instskip(SKIP_4) | instid1(VALU_DEP_1)
	v_fma_f64 v[76:77], v[82:83], v[70:71], v[68:69]
	ds_load_b128 v[68:71], v1 offset:448
	s_waitcnt lgkmcnt(0)
	v_fma_f64 v[68:69], v[84:85], v[68:69], v[76:77]
	s_waitcnt vmcnt(2)
	v_fma_f64 v[76:77], v[90:91], v[70:71], v[68:69]
	ds_load_b128 v[68:71], v1 offset:464
	s_waitcnt lgkmcnt(0)
	v_fma_f64 v[68:69], v[92:93], v[68:69], v[76:77]
	s_waitcnt vmcnt(1)
	s_delay_alu instid0(VALU_DEP_1) | instskip(SKIP_4) | instid1(VALU_DEP_1)
	v_fma_f64 v[76:77], v[86:87], v[70:71], v[68:69]
	ds_load_b128 v[68:71], v1 offset:480
	s_waitcnt lgkmcnt(0)
	v_fma_f64 v[68:69], v[88:89], v[68:69], v[76:77]
	s_waitcnt vmcnt(0)
	v_fma_f64 v[68:69], v[72:73], v[70:71], v[68:69]
	ds_load_b64 v[70:71], v1 offset:496
	s_waitcnt lgkmcnt(0)
	v_fma_f64 v[68:69], v[74:75], v[70:71], v[68:69]
	s_delay_alu instid0(VALU_DEP_1)
	v_add_f64 v[66:67], v[66:67], -v[68:69]
	scratch_store_b64 off, v[66:67], off offset:120
	v_cmpx_lt_u32_e32 14, v0
	s_cbranch_execz .LBB94_167
; %bb.166:
	scratch_load_b64 v[66:67], off, off offset:112
	v_mov_b32_e32 v2, v1
	scratch_store_b64 off, v[1:2], off offset:112
	s_waitcnt vmcnt(0)
	ds_store_b64 v3, v[66:67]
.LBB94_167:
	s_or_b32 exec_lo, exec_lo, s0
	s_waitcnt lgkmcnt(0)
	s_waitcnt_vscnt null, 0x0
	s_barrier
	buffer_gl0_inv
	s_clause 0x4
	scratch_load_b128 v[66:69], off, off offset:112
	scratch_load_b128 v[70:73], off, off offset:128
	;; [unrolled: 1-line block ×5, first 2 shown]
	ds_load_2addr_b64 v[86:89], v1 offset0:47 offset1:48
	scratch_load_b128 v[90:93], off, off offset:192
	s_mov_b32 s0, exec_lo
	s_waitcnt vmcnt(5) lgkmcnt(0)
	v_fma_f64 v[68:69], v[68:69], v[86:87], 0
	s_waitcnt vmcnt(4)
	s_delay_alu instid0(VALU_DEP_1)
	v_fma_f64 v[86:87], v[70:71], v[88:89], v[68:69]
	ds_load_2addr_b64 v[68:71], v1 offset0:49 offset1:50
	s_waitcnt lgkmcnt(0)
	v_fma_f64 v[68:69], v[72:73], v[68:69], v[86:87]
	scratch_load_b128 v[86:89], off, off offset:208
	s_waitcnt vmcnt(4)
	v_fma_f64 v[72:73], v[74:75], v[70:71], v[68:69]
	ds_load_2addr_b64 v[68:71], v1 offset0:51 offset1:52
	s_waitcnt lgkmcnt(0)
	v_fma_f64 v[68:69], v[76:77], v[68:69], v[72:73]
	scratch_load_b128 v[72:75], off, off offset:224
	s_waitcnt vmcnt(4)
	v_fma_f64 v[76:77], v[78:79], v[70:71], v[68:69]
	ds_load_2addr_b64 v[68:71], v1 offset0:53 offset1:54
	s_waitcnt lgkmcnt(0)
	v_fma_f64 v[68:69], v[80:81], v[68:69], v[76:77]
	scratch_load_b64 v[76:77], off, off offset:240
	s_waitcnt vmcnt(4)
	v_fma_f64 v[78:79], v[82:83], v[70:71], v[68:69]
	ds_load_2addr_b64 v[68:71], v1 offset0:55 offset1:56
	s_waitcnt lgkmcnt(0)
	v_fma_f64 v[68:69], v[84:85], v[68:69], v[78:79]
	s_waitcnt vmcnt(3)
	s_delay_alu instid0(VALU_DEP_1) | instskip(SKIP_4) | instid1(VALU_DEP_1)
	v_fma_f64 v[78:79], v[90:91], v[70:71], v[68:69]
	ds_load_2addr_b64 v[68:71], v1 offset0:57 offset1:58
	s_waitcnt lgkmcnt(0)
	v_fma_f64 v[68:69], v[92:93], v[68:69], v[78:79]
	s_waitcnt vmcnt(2)
	v_fma_f64 v[78:79], v[86:87], v[70:71], v[68:69]
	ds_load_2addr_b64 v[68:71], v1 offset0:59 offset1:60
	s_waitcnt lgkmcnt(0)
	v_fma_f64 v[68:69], v[88:89], v[68:69], v[78:79]
	s_waitcnt vmcnt(1)
	s_delay_alu instid0(VALU_DEP_1) | instskip(SKIP_4) | instid1(VALU_DEP_1)
	v_fma_f64 v[72:73], v[72:73], v[70:71], v[68:69]
	ds_load_2addr_b64 v[68:71], v1 offset0:61 offset1:62
	s_waitcnt lgkmcnt(0)
	v_fma_f64 v[1:2], v[74:75], v[68:69], v[72:73]
	s_waitcnt vmcnt(0)
	v_fma_f64 v[1:2], v[76:77], v[70:71], v[1:2]
	s_delay_alu instid0(VALU_DEP_1)
	v_add_f64 v[1:2], v[66:67], -v[1:2]
	scratch_store_b64 off, v[1:2], off offset:112
	v_cmpx_lt_u32_e32 13, v0
	s_cbranch_execz .LBB94_169
; %bb.168:
	scratch_load_b64 v[1:2], off, off offset:104
	v_mov_b32_e32 v66, 0
	s_delay_alu instid0(VALU_DEP_1)
	v_mov_b32_e32 v67, v66
	scratch_store_b64 off, v[66:67], off offset:104
	s_waitcnt vmcnt(0)
	ds_store_b64 v3, v[1:2]
.LBB94_169:
	s_or_b32 exec_lo, exec_lo, s0
	s_waitcnt lgkmcnt(0)
	s_waitcnt_vscnt null, 0x0
	s_barrier
	buffer_gl0_inv
	s_clause 0x4
	scratch_load_b128 v[66:69], off, off offset:104
	scratch_load_b128 v[70:73], off, off offset:120
	;; [unrolled: 1-line block ×5, first 2 shown]
	v_mov_b32_e32 v1, 0
	scratch_load_b128 v[90:93], off, off offset:184
	s_mov_b32 s0, exec_lo
	ds_load_b128 v[86:89], v1 offset:368
	s_waitcnt vmcnt(5) lgkmcnt(0)
	v_fma_f64 v[68:69], v[68:69], v[86:87], 0
	s_waitcnt vmcnt(4)
	s_delay_alu instid0(VALU_DEP_1)
	v_fma_f64 v[86:87], v[70:71], v[88:89], v[68:69]
	ds_load_b128 v[68:71], v1 offset:384
	s_waitcnt lgkmcnt(0)
	v_fma_f64 v[68:69], v[72:73], v[68:69], v[86:87]
	scratch_load_b128 v[86:89], off, off offset:200
	s_waitcnt vmcnt(4)
	v_fma_f64 v[72:73], v[74:75], v[70:71], v[68:69]
	ds_load_b128 v[68:71], v1 offset:400
	s_waitcnt lgkmcnt(0)
	v_fma_f64 v[68:69], v[76:77], v[68:69], v[72:73]
	scratch_load_b128 v[72:75], off, off offset:216
	s_waitcnt vmcnt(4)
	;; [unrolled: 6-line block ×3, first 2 shown]
	v_fma_f64 v[80:81], v[82:83], v[70:71], v[68:69]
	ds_load_b128 v[68:71], v1 offset:432
	s_waitcnt lgkmcnt(0)
	v_fma_f64 v[68:69], v[84:85], v[68:69], v[80:81]
	s_waitcnt vmcnt(3)
	s_delay_alu instid0(VALU_DEP_1) | instskip(SKIP_4) | instid1(VALU_DEP_1)
	v_fma_f64 v[80:81], v[90:91], v[70:71], v[68:69]
	ds_load_b128 v[68:71], v1 offset:448
	s_waitcnt lgkmcnt(0)
	v_fma_f64 v[68:69], v[92:93], v[68:69], v[80:81]
	s_waitcnt vmcnt(2)
	v_fma_f64 v[80:81], v[86:87], v[70:71], v[68:69]
	ds_load_b128 v[68:71], v1 offset:464
	s_waitcnt lgkmcnt(0)
	v_fma_f64 v[68:69], v[88:89], v[68:69], v[80:81]
	s_waitcnt vmcnt(1)
	s_delay_alu instid0(VALU_DEP_1) | instskip(SKIP_4) | instid1(VALU_DEP_1)
	v_fma_f64 v[72:73], v[72:73], v[70:71], v[68:69]
	ds_load_b128 v[68:71], v1 offset:480
	s_waitcnt lgkmcnt(0)
	v_fma_f64 v[68:69], v[74:75], v[68:69], v[72:73]
	s_waitcnt vmcnt(0)
	v_fma_f64 v[68:69], v[76:77], v[70:71], v[68:69]
	ds_load_b64 v[70:71], v1 offset:496
	s_waitcnt lgkmcnt(0)
	v_fma_f64 v[68:69], v[78:79], v[70:71], v[68:69]
	s_delay_alu instid0(VALU_DEP_1)
	v_add_f64 v[66:67], v[66:67], -v[68:69]
	scratch_store_b64 off, v[66:67], off offset:104
	v_cmpx_lt_u32_e32 12, v0
	s_cbranch_execz .LBB94_171
; %bb.170:
	scratch_load_b64 v[66:67], off, off offset:96
	v_mov_b32_e32 v2, v1
	scratch_store_b64 off, v[1:2], off offset:96
	s_waitcnt vmcnt(0)
	ds_store_b64 v3, v[66:67]
.LBB94_171:
	s_or_b32 exec_lo, exec_lo, s0
	s_waitcnt lgkmcnt(0)
	s_waitcnt_vscnt null, 0x0
	s_barrier
	buffer_gl0_inv
	s_clause 0x4
	scratch_load_b128 v[66:69], off, off offset:96
	scratch_load_b128 v[70:73], off, off offset:112
	;; [unrolled: 1-line block ×5, first 2 shown]
	ds_load_2addr_b64 v[86:89], v1 offset0:45 offset1:46
	scratch_load_b128 v[90:93], off, off offset:176
	s_mov_b32 s0, exec_lo
	s_waitcnt vmcnt(5) lgkmcnt(0)
	v_fma_f64 v[68:69], v[68:69], v[86:87], 0
	s_waitcnt vmcnt(4)
	s_delay_alu instid0(VALU_DEP_1)
	v_fma_f64 v[86:87], v[70:71], v[88:89], v[68:69]
	ds_load_2addr_b64 v[68:71], v1 offset0:47 offset1:48
	s_waitcnt lgkmcnt(0)
	v_fma_f64 v[68:69], v[72:73], v[68:69], v[86:87]
	scratch_load_b128 v[86:89], off, off offset:192
	s_waitcnt vmcnt(4)
	v_fma_f64 v[72:73], v[74:75], v[70:71], v[68:69]
	ds_load_2addr_b64 v[68:71], v1 offset0:49 offset1:50
	s_waitcnt lgkmcnt(0)
	v_fma_f64 v[68:69], v[76:77], v[68:69], v[72:73]
	scratch_load_b128 v[72:75], off, off offset:208
	s_waitcnt vmcnt(4)
	;; [unrolled: 6-line block ×3, first 2 shown]
	v_fma_f64 v[80:81], v[82:83], v[70:71], v[68:69]
	ds_load_2addr_b64 v[68:71], v1 offset0:53 offset1:54
	s_waitcnt lgkmcnt(0)
	v_fma_f64 v[68:69], v[84:85], v[68:69], v[80:81]
	scratch_load_b64 v[80:81], off, off offset:240
	s_waitcnt vmcnt(4)
	v_fma_f64 v[82:83], v[90:91], v[70:71], v[68:69]
	ds_load_2addr_b64 v[68:71], v1 offset0:55 offset1:56
	s_waitcnt lgkmcnt(0)
	v_fma_f64 v[68:69], v[92:93], v[68:69], v[82:83]
	s_waitcnt vmcnt(3)
	s_delay_alu instid0(VALU_DEP_1) | instskip(SKIP_4) | instid1(VALU_DEP_1)
	v_fma_f64 v[82:83], v[86:87], v[70:71], v[68:69]
	ds_load_2addr_b64 v[68:71], v1 offset0:57 offset1:58
	s_waitcnt lgkmcnt(0)
	v_fma_f64 v[68:69], v[88:89], v[68:69], v[82:83]
	s_waitcnt vmcnt(2)
	v_fma_f64 v[72:73], v[72:73], v[70:71], v[68:69]
	ds_load_2addr_b64 v[68:71], v1 offset0:59 offset1:60
	s_waitcnt lgkmcnt(0)
	v_fma_f64 v[68:69], v[74:75], v[68:69], v[72:73]
	s_waitcnt vmcnt(1)
	s_delay_alu instid0(VALU_DEP_1) | instskip(SKIP_4) | instid1(VALU_DEP_1)
	v_fma_f64 v[72:73], v[76:77], v[70:71], v[68:69]
	ds_load_2addr_b64 v[68:71], v1 offset0:61 offset1:62
	s_waitcnt lgkmcnt(0)
	v_fma_f64 v[1:2], v[78:79], v[68:69], v[72:73]
	s_waitcnt vmcnt(0)
	v_fma_f64 v[1:2], v[80:81], v[70:71], v[1:2]
	s_delay_alu instid0(VALU_DEP_1)
	v_add_f64 v[1:2], v[66:67], -v[1:2]
	scratch_store_b64 off, v[1:2], off offset:96
	v_cmpx_lt_u32_e32 11, v0
	s_cbranch_execz .LBB94_173
; %bb.172:
	scratch_load_b64 v[1:2], off, off offset:88
	v_mov_b32_e32 v66, 0
	s_delay_alu instid0(VALU_DEP_1)
	v_mov_b32_e32 v67, v66
	scratch_store_b64 off, v[66:67], off offset:88
	s_waitcnt vmcnt(0)
	ds_store_b64 v3, v[1:2]
.LBB94_173:
	s_or_b32 exec_lo, exec_lo, s0
	s_waitcnt lgkmcnt(0)
	s_waitcnt_vscnt null, 0x0
	s_barrier
	buffer_gl0_inv
	s_clause 0x4
	scratch_load_b128 v[66:69], off, off offset:88
	scratch_load_b128 v[70:73], off, off offset:104
	;; [unrolled: 1-line block ×5, first 2 shown]
	v_mov_b32_e32 v1, 0
	scratch_load_b128 v[90:93], off, off offset:168
	s_mov_b32 s0, exec_lo
	ds_load_b128 v[86:89], v1 offset:352
	s_waitcnt vmcnt(5) lgkmcnt(0)
	v_fma_f64 v[68:69], v[68:69], v[86:87], 0
	s_waitcnt vmcnt(4)
	s_delay_alu instid0(VALU_DEP_1)
	v_fma_f64 v[86:87], v[70:71], v[88:89], v[68:69]
	ds_load_b128 v[68:71], v1 offset:368
	s_waitcnt lgkmcnt(0)
	v_fma_f64 v[68:69], v[72:73], v[68:69], v[86:87]
	scratch_load_b128 v[86:89], off, off offset:184
	s_waitcnt vmcnt(4)
	v_fma_f64 v[72:73], v[74:75], v[70:71], v[68:69]
	ds_load_b128 v[68:71], v1 offset:384
	s_waitcnt lgkmcnt(0)
	v_fma_f64 v[68:69], v[76:77], v[68:69], v[72:73]
	scratch_load_b128 v[72:75], off, off offset:200
	s_waitcnt vmcnt(4)
	;; [unrolled: 6-line block ×4, first 2 shown]
	v_fma_f64 v[84:85], v[90:91], v[70:71], v[68:69]
	ds_load_b128 v[68:71], v1 offset:432
	s_waitcnt lgkmcnt(0)
	v_fma_f64 v[68:69], v[92:93], v[68:69], v[84:85]
	s_waitcnt vmcnt(3)
	s_delay_alu instid0(VALU_DEP_1) | instskip(SKIP_4) | instid1(VALU_DEP_1)
	v_fma_f64 v[84:85], v[86:87], v[70:71], v[68:69]
	ds_load_b128 v[68:71], v1 offset:448
	s_waitcnt lgkmcnt(0)
	v_fma_f64 v[68:69], v[88:89], v[68:69], v[84:85]
	s_waitcnt vmcnt(2)
	v_fma_f64 v[72:73], v[72:73], v[70:71], v[68:69]
	ds_load_b128 v[68:71], v1 offset:464
	s_waitcnt lgkmcnt(0)
	v_fma_f64 v[68:69], v[74:75], v[68:69], v[72:73]
	s_waitcnt vmcnt(1)
	s_delay_alu instid0(VALU_DEP_1) | instskip(SKIP_4) | instid1(VALU_DEP_1)
	v_fma_f64 v[72:73], v[76:77], v[70:71], v[68:69]
	ds_load_b128 v[68:71], v1 offset:480
	s_waitcnt lgkmcnt(0)
	v_fma_f64 v[68:69], v[78:79], v[68:69], v[72:73]
	s_waitcnt vmcnt(0)
	v_fma_f64 v[68:69], v[80:81], v[70:71], v[68:69]
	ds_load_b64 v[70:71], v1 offset:496
	s_waitcnt lgkmcnt(0)
	v_fma_f64 v[68:69], v[82:83], v[70:71], v[68:69]
	s_delay_alu instid0(VALU_DEP_1)
	v_add_f64 v[66:67], v[66:67], -v[68:69]
	scratch_store_b64 off, v[66:67], off offset:88
	v_cmpx_lt_u32_e32 10, v0
	s_cbranch_execz .LBB94_175
; %bb.174:
	scratch_load_b64 v[66:67], off, off offset:80
	v_mov_b32_e32 v2, v1
	scratch_store_b64 off, v[1:2], off offset:80
	s_waitcnt vmcnt(0)
	ds_store_b64 v3, v[66:67]
.LBB94_175:
	s_or_b32 exec_lo, exec_lo, s0
	s_waitcnt lgkmcnt(0)
	s_waitcnt_vscnt null, 0x0
	s_barrier
	buffer_gl0_inv
	s_clause 0x4
	scratch_load_b128 v[66:69], off, off offset:80
	scratch_load_b128 v[70:73], off, off offset:96
	;; [unrolled: 1-line block ×5, first 2 shown]
	ds_load_2addr_b64 v[86:89], v1 offset0:43 offset1:44
	scratch_load_b128 v[90:93], off, off offset:160
	s_mov_b32 s0, exec_lo
	s_waitcnt vmcnt(5) lgkmcnt(0)
	v_fma_f64 v[68:69], v[68:69], v[86:87], 0
	s_waitcnt vmcnt(4)
	s_delay_alu instid0(VALU_DEP_1)
	v_fma_f64 v[86:87], v[70:71], v[88:89], v[68:69]
	ds_load_2addr_b64 v[68:71], v1 offset0:45 offset1:46
	s_waitcnt lgkmcnt(0)
	v_fma_f64 v[68:69], v[72:73], v[68:69], v[86:87]
	scratch_load_b128 v[86:89], off, off offset:176
	s_waitcnt vmcnt(4)
	v_fma_f64 v[72:73], v[74:75], v[70:71], v[68:69]
	ds_load_2addr_b64 v[68:71], v1 offset0:47 offset1:48
	s_waitcnt lgkmcnt(0)
	v_fma_f64 v[68:69], v[76:77], v[68:69], v[72:73]
	scratch_load_b128 v[72:75], off, off offset:192
	s_waitcnt vmcnt(4)
	;; [unrolled: 6-line block ×4, first 2 shown]
	v_fma_f64 v[84:85], v[90:91], v[70:71], v[68:69]
	ds_load_2addr_b64 v[68:71], v1 offset0:53 offset1:54
	s_waitcnt lgkmcnt(0)
	v_fma_f64 v[68:69], v[92:93], v[68:69], v[84:85]
	scratch_load_b64 v[84:85], off, off offset:240
	s_waitcnt vmcnt(4)
	v_fma_f64 v[86:87], v[86:87], v[70:71], v[68:69]
	ds_load_2addr_b64 v[68:71], v1 offset0:55 offset1:56
	s_waitcnt lgkmcnt(0)
	v_fma_f64 v[68:69], v[88:89], v[68:69], v[86:87]
	s_waitcnt vmcnt(3)
	s_delay_alu instid0(VALU_DEP_1) | instskip(SKIP_4) | instid1(VALU_DEP_1)
	v_fma_f64 v[72:73], v[72:73], v[70:71], v[68:69]
	ds_load_2addr_b64 v[68:71], v1 offset0:57 offset1:58
	s_waitcnt lgkmcnt(0)
	v_fma_f64 v[68:69], v[74:75], v[68:69], v[72:73]
	s_waitcnt vmcnt(2)
	v_fma_f64 v[72:73], v[76:77], v[70:71], v[68:69]
	ds_load_2addr_b64 v[68:71], v1 offset0:59 offset1:60
	s_waitcnt lgkmcnt(0)
	v_fma_f64 v[68:69], v[78:79], v[68:69], v[72:73]
	s_waitcnt vmcnt(1)
	s_delay_alu instid0(VALU_DEP_1) | instskip(SKIP_4) | instid1(VALU_DEP_1)
	v_fma_f64 v[72:73], v[80:81], v[70:71], v[68:69]
	ds_load_2addr_b64 v[68:71], v1 offset0:61 offset1:62
	s_waitcnt lgkmcnt(0)
	v_fma_f64 v[1:2], v[82:83], v[68:69], v[72:73]
	s_waitcnt vmcnt(0)
	v_fma_f64 v[1:2], v[84:85], v[70:71], v[1:2]
	s_delay_alu instid0(VALU_DEP_1)
	v_add_f64 v[1:2], v[66:67], -v[1:2]
	scratch_store_b64 off, v[1:2], off offset:80
	v_cmpx_lt_u32_e32 9, v0
	s_cbranch_execz .LBB94_177
; %bb.176:
	scratch_load_b64 v[1:2], off, off offset:72
	v_mov_b32_e32 v66, 0
	s_delay_alu instid0(VALU_DEP_1)
	v_mov_b32_e32 v67, v66
	scratch_store_b64 off, v[66:67], off offset:72
	s_waitcnt vmcnt(0)
	ds_store_b64 v3, v[1:2]
.LBB94_177:
	s_or_b32 exec_lo, exec_lo, s0
	s_waitcnt lgkmcnt(0)
	s_waitcnt_vscnt null, 0x0
	s_barrier
	buffer_gl0_inv
	s_clause 0x4
	scratch_load_b128 v[66:69], off, off offset:72
	scratch_load_b128 v[70:73], off, off offset:88
	;; [unrolled: 1-line block ×5, first 2 shown]
	v_mov_b32_e32 v1, 0
	scratch_load_b128 v[90:93], off, off offset:152
	s_mov_b32 s0, exec_lo
	ds_load_b128 v[86:89], v1 offset:336
	s_waitcnt vmcnt(5) lgkmcnt(0)
	v_fma_f64 v[68:69], v[68:69], v[86:87], 0
	s_waitcnt vmcnt(4)
	s_delay_alu instid0(VALU_DEP_1)
	v_fma_f64 v[86:87], v[70:71], v[88:89], v[68:69]
	ds_load_b128 v[68:71], v1 offset:352
	s_waitcnt lgkmcnt(0)
	v_fma_f64 v[68:69], v[72:73], v[68:69], v[86:87]
	scratch_load_b128 v[86:89], off, off offset:168
	s_waitcnt vmcnt(4)
	v_fma_f64 v[72:73], v[74:75], v[70:71], v[68:69]
	ds_load_b128 v[68:71], v1 offset:368
	s_waitcnt lgkmcnt(0)
	v_fma_f64 v[68:69], v[76:77], v[68:69], v[72:73]
	scratch_load_b128 v[72:75], off, off offset:184
	s_waitcnt vmcnt(4)
	;; [unrolled: 6-line block ×5, first 2 shown]
	v_fma_f64 v[84:85], v[86:87], v[70:71], v[68:69]
	ds_load_b128 v[68:71], v1 offset:432
	s_waitcnt lgkmcnt(0)
	v_fma_f64 v[68:69], v[88:89], v[68:69], v[84:85]
	s_waitcnt vmcnt(3)
	s_delay_alu instid0(VALU_DEP_1) | instskip(SKIP_4) | instid1(VALU_DEP_1)
	v_fma_f64 v[72:73], v[72:73], v[70:71], v[68:69]
	ds_load_b128 v[68:71], v1 offset:448
	s_waitcnt lgkmcnt(0)
	v_fma_f64 v[68:69], v[74:75], v[68:69], v[72:73]
	s_waitcnt vmcnt(2)
	v_fma_f64 v[72:73], v[76:77], v[70:71], v[68:69]
	ds_load_b128 v[68:71], v1 offset:464
	s_waitcnt lgkmcnt(0)
	v_fma_f64 v[68:69], v[78:79], v[68:69], v[72:73]
	s_waitcnt vmcnt(1)
	s_delay_alu instid0(VALU_DEP_1) | instskip(SKIP_4) | instid1(VALU_DEP_1)
	v_fma_f64 v[72:73], v[80:81], v[70:71], v[68:69]
	ds_load_b128 v[68:71], v1 offset:480
	s_waitcnt lgkmcnt(0)
	v_fma_f64 v[68:69], v[82:83], v[68:69], v[72:73]
	s_waitcnt vmcnt(0)
	v_fma_f64 v[68:69], v[90:91], v[70:71], v[68:69]
	ds_load_b64 v[70:71], v1 offset:496
	s_waitcnt lgkmcnt(0)
	v_fma_f64 v[68:69], v[92:93], v[70:71], v[68:69]
	s_delay_alu instid0(VALU_DEP_1)
	v_add_f64 v[66:67], v[66:67], -v[68:69]
	scratch_store_b64 off, v[66:67], off offset:72
	v_cmpx_lt_u32_e32 8, v0
	s_cbranch_execz .LBB94_179
; %bb.178:
	scratch_load_b64 v[66:67], off, off offset:64
	v_mov_b32_e32 v2, v1
	scratch_store_b64 off, v[1:2], off offset:64
	s_waitcnt vmcnt(0)
	ds_store_b64 v3, v[66:67]
.LBB94_179:
	s_or_b32 exec_lo, exec_lo, s0
	s_waitcnt lgkmcnt(0)
	s_waitcnt_vscnt null, 0x0
	s_barrier
	buffer_gl0_inv
	s_clause 0x4
	scratch_load_b128 v[66:69], off, off offset:64
	scratch_load_b128 v[70:73], off, off offset:80
	;; [unrolled: 1-line block ×5, first 2 shown]
	ds_load_2addr_b64 v[86:89], v1 offset0:41 offset1:42
	scratch_load_b128 v[90:93], off, off offset:144
	s_mov_b32 s0, exec_lo
	s_waitcnt vmcnt(5) lgkmcnt(0)
	v_fma_f64 v[68:69], v[68:69], v[86:87], 0
	s_waitcnt vmcnt(4)
	s_delay_alu instid0(VALU_DEP_1)
	v_fma_f64 v[86:87], v[70:71], v[88:89], v[68:69]
	ds_load_2addr_b64 v[68:71], v1 offset0:43 offset1:44
	s_waitcnt lgkmcnt(0)
	v_fma_f64 v[68:69], v[72:73], v[68:69], v[86:87]
	scratch_load_b128 v[86:89], off, off offset:160
	s_waitcnt vmcnt(4)
	v_fma_f64 v[72:73], v[74:75], v[70:71], v[68:69]
	ds_load_2addr_b64 v[68:71], v1 offset0:45 offset1:46
	s_waitcnt lgkmcnt(0)
	v_fma_f64 v[68:69], v[76:77], v[68:69], v[72:73]
	scratch_load_b128 v[72:75], off, off offset:176
	s_waitcnt vmcnt(4)
	;; [unrolled: 6-line block ×5, first 2 shown]
	v_fma_f64 v[84:85], v[86:87], v[70:71], v[68:69]
	ds_load_2addr_b64 v[68:71], v1 offset0:53 offset1:54
	s_waitcnt lgkmcnt(0)
	v_fma_f64 v[68:69], v[88:89], v[68:69], v[84:85]
	scratch_load_b64 v[84:85], off, off offset:240
	s_waitcnt vmcnt(4)
	v_fma_f64 v[72:73], v[72:73], v[70:71], v[68:69]
	ds_load_2addr_b64 v[68:71], v1 offset0:55 offset1:56
	s_waitcnt lgkmcnt(0)
	v_fma_f64 v[68:69], v[74:75], v[68:69], v[72:73]
	s_waitcnt vmcnt(3)
	s_delay_alu instid0(VALU_DEP_1) | instskip(SKIP_4) | instid1(VALU_DEP_1)
	v_fma_f64 v[72:73], v[76:77], v[70:71], v[68:69]
	ds_load_2addr_b64 v[68:71], v1 offset0:57 offset1:58
	s_waitcnt lgkmcnt(0)
	v_fma_f64 v[68:69], v[78:79], v[68:69], v[72:73]
	s_waitcnt vmcnt(2)
	v_fma_f64 v[72:73], v[80:81], v[70:71], v[68:69]
	ds_load_2addr_b64 v[68:71], v1 offset0:59 offset1:60
	s_waitcnt lgkmcnt(0)
	v_fma_f64 v[68:69], v[82:83], v[68:69], v[72:73]
	s_waitcnt vmcnt(1)
	s_delay_alu instid0(VALU_DEP_1) | instskip(SKIP_4) | instid1(VALU_DEP_1)
	v_fma_f64 v[72:73], v[90:91], v[70:71], v[68:69]
	ds_load_2addr_b64 v[68:71], v1 offset0:61 offset1:62
	s_waitcnt lgkmcnt(0)
	v_fma_f64 v[1:2], v[92:93], v[68:69], v[72:73]
	s_waitcnt vmcnt(0)
	v_fma_f64 v[1:2], v[84:85], v[70:71], v[1:2]
	s_delay_alu instid0(VALU_DEP_1)
	v_add_f64 v[1:2], v[66:67], -v[1:2]
	scratch_store_b64 off, v[1:2], off offset:64
	v_cmpx_lt_u32_e32 7, v0
	s_cbranch_execz .LBB94_181
; %bb.180:
	scratch_load_b64 v[1:2], off, off offset:56
	v_mov_b32_e32 v66, 0
	s_delay_alu instid0(VALU_DEP_1)
	v_mov_b32_e32 v67, v66
	scratch_store_b64 off, v[66:67], off offset:56
	s_waitcnt vmcnt(0)
	ds_store_b64 v3, v[1:2]
.LBB94_181:
	s_or_b32 exec_lo, exec_lo, s0
	s_waitcnt lgkmcnt(0)
	s_waitcnt_vscnt null, 0x0
	s_barrier
	buffer_gl0_inv
	s_clause 0x4
	scratch_load_b128 v[66:69], off, off offset:56
	scratch_load_b128 v[70:73], off, off offset:72
	;; [unrolled: 1-line block ×5, first 2 shown]
	v_mov_b32_e32 v1, 0
	scratch_load_b128 v[90:93], off, off offset:136
	s_mov_b32 s0, exec_lo
	ds_load_b128 v[86:89], v1 offset:320
	s_waitcnt vmcnt(5) lgkmcnt(0)
	v_fma_f64 v[68:69], v[68:69], v[86:87], 0
	s_waitcnt vmcnt(4)
	s_delay_alu instid0(VALU_DEP_1)
	v_fma_f64 v[86:87], v[70:71], v[88:89], v[68:69]
	ds_load_b128 v[68:71], v1 offset:336
	s_waitcnt lgkmcnt(0)
	v_fma_f64 v[68:69], v[72:73], v[68:69], v[86:87]
	scratch_load_b128 v[86:89], off, off offset:152
	s_waitcnt vmcnt(4)
	v_fma_f64 v[72:73], v[74:75], v[70:71], v[68:69]
	ds_load_b128 v[68:71], v1 offset:352
	s_waitcnt lgkmcnt(0)
	v_fma_f64 v[68:69], v[76:77], v[68:69], v[72:73]
	scratch_load_b128 v[72:75], off, off offset:168
	s_waitcnt vmcnt(4)
	;; [unrolled: 6-line block ×6, first 2 shown]
	v_fma_f64 v[72:73], v[72:73], v[70:71], v[68:69]
	ds_load_b128 v[68:71], v1 offset:432
	s_waitcnt lgkmcnt(0)
	v_fma_f64 v[68:69], v[74:75], v[68:69], v[72:73]
	s_waitcnt vmcnt(3)
	s_delay_alu instid0(VALU_DEP_1) | instskip(SKIP_4) | instid1(VALU_DEP_1)
	v_fma_f64 v[72:73], v[76:77], v[70:71], v[68:69]
	ds_load_b128 v[68:71], v1 offset:448
	s_waitcnt lgkmcnt(0)
	v_fma_f64 v[68:69], v[78:79], v[68:69], v[72:73]
	s_waitcnt vmcnt(2)
	v_fma_f64 v[72:73], v[80:81], v[70:71], v[68:69]
	ds_load_b128 v[68:71], v1 offset:464
	s_waitcnt lgkmcnt(0)
	v_fma_f64 v[68:69], v[82:83], v[68:69], v[72:73]
	s_waitcnt vmcnt(1)
	s_delay_alu instid0(VALU_DEP_1) | instskip(SKIP_4) | instid1(VALU_DEP_1)
	v_fma_f64 v[72:73], v[90:91], v[70:71], v[68:69]
	ds_load_b128 v[68:71], v1 offset:480
	s_waitcnt lgkmcnt(0)
	v_fma_f64 v[68:69], v[92:93], v[68:69], v[72:73]
	s_waitcnt vmcnt(0)
	v_fma_f64 v[68:69], v[84:85], v[70:71], v[68:69]
	ds_load_b64 v[70:71], v1 offset:496
	s_waitcnt lgkmcnt(0)
	v_fma_f64 v[68:69], v[86:87], v[70:71], v[68:69]
	s_delay_alu instid0(VALU_DEP_1)
	v_add_f64 v[66:67], v[66:67], -v[68:69]
	scratch_store_b64 off, v[66:67], off offset:56
	v_cmpx_lt_u32_e32 6, v0
	s_cbranch_execz .LBB94_183
; %bb.182:
	scratch_load_b64 v[66:67], off, off offset:48
	v_mov_b32_e32 v2, v1
	scratch_store_b64 off, v[1:2], off offset:48
	s_waitcnt vmcnt(0)
	ds_store_b64 v3, v[66:67]
.LBB94_183:
	s_or_b32 exec_lo, exec_lo, s0
	s_waitcnt lgkmcnt(0)
	s_waitcnt_vscnt null, 0x0
	s_barrier
	buffer_gl0_inv
	s_clause 0x4
	scratch_load_b128 v[66:69], off, off offset:48
	scratch_load_b128 v[70:73], off, off offset:64
	;; [unrolled: 1-line block ×5, first 2 shown]
	ds_load_2addr_b64 v[86:89], v1 offset0:39 offset1:40
	scratch_load_b128 v[90:93], off, off offset:128
	s_mov_b32 s0, exec_lo
	s_waitcnt vmcnt(5) lgkmcnt(0)
	v_fma_f64 v[68:69], v[68:69], v[86:87], 0
	s_waitcnt vmcnt(4)
	s_delay_alu instid0(VALU_DEP_1)
	v_fma_f64 v[86:87], v[70:71], v[88:89], v[68:69]
	ds_load_2addr_b64 v[68:71], v1 offset0:41 offset1:42
	s_waitcnt lgkmcnt(0)
	v_fma_f64 v[68:69], v[72:73], v[68:69], v[86:87]
	scratch_load_b128 v[86:89], off, off offset:144
	s_waitcnt vmcnt(4)
	v_fma_f64 v[72:73], v[74:75], v[70:71], v[68:69]
	ds_load_2addr_b64 v[68:71], v1 offset0:43 offset1:44
	s_waitcnt lgkmcnt(0)
	v_fma_f64 v[68:69], v[76:77], v[68:69], v[72:73]
	scratch_load_b128 v[72:75], off, off offset:160
	s_waitcnt vmcnt(4)
	;; [unrolled: 6-line block ×6, first 2 shown]
	v_fma_f64 v[72:73], v[72:73], v[70:71], v[68:69]
	ds_load_2addr_b64 v[68:71], v1 offset0:53 offset1:54
	s_waitcnt lgkmcnt(0)
	v_fma_f64 v[68:69], v[74:75], v[68:69], v[72:73]
	scratch_load_b64 v[72:73], off, off offset:240
	s_waitcnt vmcnt(4)
	v_fma_f64 v[74:75], v[76:77], v[70:71], v[68:69]
	ds_load_2addr_b64 v[68:71], v1 offset0:55 offset1:56
	s_waitcnt lgkmcnt(0)
	v_fma_f64 v[68:69], v[78:79], v[68:69], v[74:75]
	s_waitcnt vmcnt(3)
	s_delay_alu instid0(VALU_DEP_1) | instskip(SKIP_4) | instid1(VALU_DEP_1)
	v_fma_f64 v[74:75], v[80:81], v[70:71], v[68:69]
	ds_load_2addr_b64 v[68:71], v1 offset0:57 offset1:58
	s_waitcnt lgkmcnt(0)
	v_fma_f64 v[68:69], v[82:83], v[68:69], v[74:75]
	s_waitcnt vmcnt(2)
	v_fma_f64 v[74:75], v[90:91], v[70:71], v[68:69]
	ds_load_2addr_b64 v[68:71], v1 offset0:59 offset1:60
	s_waitcnt lgkmcnt(0)
	v_fma_f64 v[68:69], v[92:93], v[68:69], v[74:75]
	s_waitcnt vmcnt(1)
	s_delay_alu instid0(VALU_DEP_1) | instskip(SKIP_4) | instid1(VALU_DEP_1)
	v_fma_f64 v[74:75], v[84:85], v[70:71], v[68:69]
	ds_load_2addr_b64 v[68:71], v1 offset0:61 offset1:62
	s_waitcnt lgkmcnt(0)
	v_fma_f64 v[1:2], v[86:87], v[68:69], v[74:75]
	s_waitcnt vmcnt(0)
	v_fma_f64 v[1:2], v[72:73], v[70:71], v[1:2]
	s_delay_alu instid0(VALU_DEP_1)
	v_add_f64 v[1:2], v[66:67], -v[1:2]
	scratch_store_b64 off, v[1:2], off offset:48
	v_cmpx_lt_u32_e32 5, v0
	s_cbranch_execz .LBB94_185
; %bb.184:
	scratch_load_b64 v[1:2], off, off offset:40
	v_mov_b32_e32 v66, 0
	s_delay_alu instid0(VALU_DEP_1)
	v_mov_b32_e32 v67, v66
	scratch_store_b64 off, v[66:67], off offset:40
	s_waitcnt vmcnt(0)
	ds_store_b64 v3, v[1:2]
.LBB94_185:
	s_or_b32 exec_lo, exec_lo, s0
	s_waitcnt lgkmcnt(0)
	s_waitcnt_vscnt null, 0x0
	s_barrier
	buffer_gl0_inv
	s_clause 0x4
	scratch_load_b128 v[66:69], off, off offset:40
	scratch_load_b128 v[70:73], off, off offset:56
	;; [unrolled: 1-line block ×5, first 2 shown]
	v_mov_b32_e32 v1, 0
	scratch_load_b128 v[90:93], off, off offset:120
	s_mov_b32 s0, exec_lo
	ds_load_b128 v[86:89], v1 offset:304
	s_waitcnt vmcnt(5) lgkmcnt(0)
	v_fma_f64 v[68:69], v[68:69], v[86:87], 0
	s_waitcnt vmcnt(4)
	s_delay_alu instid0(VALU_DEP_1)
	v_fma_f64 v[86:87], v[70:71], v[88:89], v[68:69]
	ds_load_b128 v[68:71], v1 offset:320
	s_waitcnt lgkmcnt(0)
	v_fma_f64 v[68:69], v[72:73], v[68:69], v[86:87]
	scratch_load_b128 v[86:89], off, off offset:136
	s_waitcnt vmcnt(4)
	v_fma_f64 v[72:73], v[74:75], v[70:71], v[68:69]
	ds_load_b128 v[68:71], v1 offset:336
	s_waitcnt lgkmcnt(0)
	v_fma_f64 v[68:69], v[76:77], v[68:69], v[72:73]
	scratch_load_b128 v[72:75], off, off offset:152
	s_waitcnt vmcnt(4)
	;; [unrolled: 6-line block ×7, first 2 shown]
	v_fma_f64 v[76:77], v[76:77], v[70:71], v[68:69]
	ds_load_b128 v[68:71], v1 offset:432
	s_waitcnt lgkmcnt(0)
	v_fma_f64 v[68:69], v[78:79], v[68:69], v[76:77]
	s_waitcnt vmcnt(3)
	s_delay_alu instid0(VALU_DEP_1) | instskip(SKIP_4) | instid1(VALU_DEP_1)
	v_fma_f64 v[76:77], v[80:81], v[70:71], v[68:69]
	ds_load_b128 v[68:71], v1 offset:448
	s_waitcnt lgkmcnt(0)
	v_fma_f64 v[68:69], v[82:83], v[68:69], v[76:77]
	s_waitcnt vmcnt(2)
	v_fma_f64 v[76:77], v[90:91], v[70:71], v[68:69]
	ds_load_b128 v[68:71], v1 offset:464
	s_waitcnt lgkmcnt(0)
	v_fma_f64 v[68:69], v[92:93], v[68:69], v[76:77]
	s_waitcnt vmcnt(1)
	s_delay_alu instid0(VALU_DEP_1) | instskip(SKIP_4) | instid1(VALU_DEP_1)
	v_fma_f64 v[76:77], v[84:85], v[70:71], v[68:69]
	ds_load_b128 v[68:71], v1 offset:480
	s_waitcnt lgkmcnt(0)
	v_fma_f64 v[68:69], v[86:87], v[68:69], v[76:77]
	s_waitcnt vmcnt(0)
	v_fma_f64 v[68:69], v[72:73], v[70:71], v[68:69]
	ds_load_b64 v[70:71], v1 offset:496
	s_waitcnt lgkmcnt(0)
	v_fma_f64 v[68:69], v[74:75], v[70:71], v[68:69]
	s_delay_alu instid0(VALU_DEP_1)
	v_add_f64 v[66:67], v[66:67], -v[68:69]
	scratch_store_b64 off, v[66:67], off offset:40
	v_cmpx_lt_u32_e32 4, v0
	s_cbranch_execz .LBB94_187
; %bb.186:
	scratch_load_b64 v[66:67], off, off offset:32
	v_mov_b32_e32 v2, v1
	scratch_store_b64 off, v[1:2], off offset:32
	s_waitcnt vmcnt(0)
	ds_store_b64 v3, v[66:67]
.LBB94_187:
	s_or_b32 exec_lo, exec_lo, s0
	s_waitcnt lgkmcnt(0)
	s_waitcnt_vscnt null, 0x0
	s_barrier
	buffer_gl0_inv
	s_clause 0x4
	scratch_load_b128 v[66:69], off, off offset:32
	scratch_load_b128 v[70:73], off, off offset:48
	;; [unrolled: 1-line block ×5, first 2 shown]
	ds_load_2addr_b64 v[86:89], v1 offset0:37 offset1:38
	scratch_load_b128 v[90:93], off, off offset:112
	s_mov_b32 s0, exec_lo
	s_waitcnt vmcnt(5) lgkmcnt(0)
	v_fma_f64 v[68:69], v[68:69], v[86:87], 0
	s_waitcnt vmcnt(4)
	s_delay_alu instid0(VALU_DEP_1)
	v_fma_f64 v[86:87], v[70:71], v[88:89], v[68:69]
	ds_load_2addr_b64 v[68:71], v1 offset0:39 offset1:40
	s_waitcnt lgkmcnt(0)
	v_fma_f64 v[68:69], v[72:73], v[68:69], v[86:87]
	scratch_load_b128 v[86:89], off, off offset:128
	s_waitcnt vmcnt(4)
	v_fma_f64 v[72:73], v[74:75], v[70:71], v[68:69]
	ds_load_2addr_b64 v[68:71], v1 offset0:41 offset1:42
	s_waitcnt lgkmcnt(0)
	v_fma_f64 v[68:69], v[76:77], v[68:69], v[72:73]
	scratch_load_b128 v[72:75], off, off offset:144
	s_waitcnt vmcnt(4)
	;; [unrolled: 6-line block ×7, first 2 shown]
	v_fma_f64 v[76:77], v[76:77], v[70:71], v[68:69]
	ds_load_2addr_b64 v[68:71], v1 offset0:53 offset1:54
	s_waitcnt lgkmcnt(0)
	v_fma_f64 v[68:69], v[78:79], v[68:69], v[76:77]
	scratch_load_b64 v[76:77], off, off offset:240
	s_waitcnt vmcnt(4)
	v_fma_f64 v[78:79], v[80:81], v[70:71], v[68:69]
	ds_load_2addr_b64 v[68:71], v1 offset0:55 offset1:56
	s_waitcnt lgkmcnt(0)
	v_fma_f64 v[68:69], v[82:83], v[68:69], v[78:79]
	s_waitcnt vmcnt(3)
	s_delay_alu instid0(VALU_DEP_1) | instskip(SKIP_4) | instid1(VALU_DEP_1)
	v_fma_f64 v[78:79], v[90:91], v[70:71], v[68:69]
	ds_load_2addr_b64 v[68:71], v1 offset0:57 offset1:58
	s_waitcnt lgkmcnt(0)
	v_fma_f64 v[68:69], v[92:93], v[68:69], v[78:79]
	s_waitcnt vmcnt(2)
	v_fma_f64 v[78:79], v[84:85], v[70:71], v[68:69]
	ds_load_2addr_b64 v[68:71], v1 offset0:59 offset1:60
	s_waitcnt lgkmcnt(0)
	v_fma_f64 v[68:69], v[86:87], v[68:69], v[78:79]
	s_waitcnt vmcnt(1)
	s_delay_alu instid0(VALU_DEP_1) | instskip(SKIP_4) | instid1(VALU_DEP_1)
	v_fma_f64 v[72:73], v[72:73], v[70:71], v[68:69]
	ds_load_2addr_b64 v[68:71], v1 offset0:61 offset1:62
	s_waitcnt lgkmcnt(0)
	v_fma_f64 v[1:2], v[74:75], v[68:69], v[72:73]
	s_waitcnt vmcnt(0)
	v_fma_f64 v[1:2], v[76:77], v[70:71], v[1:2]
	s_delay_alu instid0(VALU_DEP_1)
	v_add_f64 v[1:2], v[66:67], -v[1:2]
	scratch_store_b64 off, v[1:2], off offset:32
	v_cmpx_lt_u32_e32 3, v0
	s_cbranch_execz .LBB94_189
; %bb.188:
	scratch_load_b64 v[1:2], off, off offset:24
	v_mov_b32_e32 v66, 0
	s_delay_alu instid0(VALU_DEP_1)
	v_mov_b32_e32 v67, v66
	scratch_store_b64 off, v[66:67], off offset:24
	s_waitcnt vmcnt(0)
	ds_store_b64 v3, v[1:2]
.LBB94_189:
	s_or_b32 exec_lo, exec_lo, s0
	s_waitcnt lgkmcnt(0)
	s_waitcnt_vscnt null, 0x0
	s_barrier
	buffer_gl0_inv
	s_clause 0x4
	scratch_load_b128 v[66:69], off, off offset:24
	scratch_load_b128 v[70:73], off, off offset:40
	;; [unrolled: 1-line block ×5, first 2 shown]
	v_mov_b32_e32 v1, 0
	scratch_load_b128 v[90:93], off, off offset:104
	s_mov_b32 s0, exec_lo
	ds_load_b128 v[86:89], v1 offset:288
	s_waitcnt vmcnt(5) lgkmcnt(0)
	v_fma_f64 v[68:69], v[68:69], v[86:87], 0
	s_waitcnt vmcnt(4)
	s_delay_alu instid0(VALU_DEP_1)
	v_fma_f64 v[86:87], v[70:71], v[88:89], v[68:69]
	ds_load_b128 v[68:71], v1 offset:304
	s_waitcnt lgkmcnt(0)
	v_fma_f64 v[68:69], v[72:73], v[68:69], v[86:87]
	scratch_load_b128 v[86:89], off, off offset:120
	s_waitcnt vmcnt(4)
	v_fma_f64 v[72:73], v[74:75], v[70:71], v[68:69]
	ds_load_b128 v[68:71], v1 offset:320
	s_waitcnt lgkmcnt(0)
	v_fma_f64 v[68:69], v[76:77], v[68:69], v[72:73]
	scratch_load_b128 v[72:75], off, off offset:136
	s_waitcnt vmcnt(4)
	;; [unrolled: 6-line block ×8, first 2 shown]
	v_fma_f64 v[80:81], v[80:81], v[70:71], v[68:69]
	ds_load_b128 v[68:71], v1 offset:432
	s_waitcnt lgkmcnt(0)
	v_fma_f64 v[68:69], v[82:83], v[68:69], v[80:81]
	s_waitcnt vmcnt(3)
	s_delay_alu instid0(VALU_DEP_1) | instskip(SKIP_4) | instid1(VALU_DEP_1)
	v_fma_f64 v[80:81], v[90:91], v[70:71], v[68:69]
	ds_load_b128 v[68:71], v1 offset:448
	s_waitcnt lgkmcnt(0)
	v_fma_f64 v[68:69], v[92:93], v[68:69], v[80:81]
	s_waitcnt vmcnt(2)
	v_fma_f64 v[80:81], v[84:85], v[70:71], v[68:69]
	ds_load_b128 v[68:71], v1 offset:464
	s_waitcnt lgkmcnt(0)
	v_fma_f64 v[68:69], v[86:87], v[68:69], v[80:81]
	s_waitcnt vmcnt(1)
	s_delay_alu instid0(VALU_DEP_1) | instskip(SKIP_4) | instid1(VALU_DEP_1)
	v_fma_f64 v[72:73], v[72:73], v[70:71], v[68:69]
	ds_load_b128 v[68:71], v1 offset:480
	s_waitcnt lgkmcnt(0)
	v_fma_f64 v[68:69], v[74:75], v[68:69], v[72:73]
	s_waitcnt vmcnt(0)
	v_fma_f64 v[68:69], v[76:77], v[70:71], v[68:69]
	ds_load_b64 v[70:71], v1 offset:496
	s_waitcnt lgkmcnt(0)
	v_fma_f64 v[68:69], v[78:79], v[70:71], v[68:69]
	s_delay_alu instid0(VALU_DEP_1)
	v_add_f64 v[66:67], v[66:67], -v[68:69]
	scratch_store_b64 off, v[66:67], off offset:24
	v_cmpx_lt_u32_e32 2, v0
	s_cbranch_execz .LBB94_191
; %bb.190:
	scratch_load_b64 v[66:67], off, off offset:16
	v_mov_b32_e32 v2, v1
	scratch_store_b64 off, v[1:2], off offset:16
	s_waitcnt vmcnt(0)
	ds_store_b64 v3, v[66:67]
.LBB94_191:
	s_or_b32 exec_lo, exec_lo, s0
	s_waitcnt lgkmcnt(0)
	s_waitcnt_vscnt null, 0x0
	s_barrier
	buffer_gl0_inv
	s_clause 0x4
	scratch_load_b128 v[66:69], off, off offset:16
	scratch_load_b128 v[70:73], off, off offset:32
	scratch_load_b128 v[74:77], off, off offset:48
	scratch_load_b128 v[78:81], off, off offset:64
	scratch_load_b128 v[82:85], off, off offset:80
	ds_load_2addr_b64 v[86:89], v1 offset0:35 offset1:36
	scratch_load_b128 v[90:93], off, off offset:96
	s_mov_b32 s0, exec_lo
	s_waitcnt vmcnt(5) lgkmcnt(0)
	v_fma_f64 v[68:69], v[68:69], v[86:87], 0
	s_waitcnt vmcnt(4)
	s_delay_alu instid0(VALU_DEP_1)
	v_fma_f64 v[86:87], v[70:71], v[88:89], v[68:69]
	ds_load_2addr_b64 v[68:71], v1 offset0:37 offset1:38
	s_waitcnt lgkmcnt(0)
	v_fma_f64 v[68:69], v[72:73], v[68:69], v[86:87]
	scratch_load_b128 v[86:89], off, off offset:112
	s_waitcnt vmcnt(4)
	v_fma_f64 v[72:73], v[74:75], v[70:71], v[68:69]
	ds_load_2addr_b64 v[68:71], v1 offset0:39 offset1:40
	s_waitcnt lgkmcnt(0)
	v_fma_f64 v[68:69], v[76:77], v[68:69], v[72:73]
	scratch_load_b128 v[72:75], off, off offset:128
	s_waitcnt vmcnt(4)
	;; [unrolled: 6-line block ×8, first 2 shown]
	v_fma_f64 v[80:81], v[80:81], v[70:71], v[68:69]
	ds_load_2addr_b64 v[68:71], v1 offset0:53 offset1:54
	s_waitcnt lgkmcnt(0)
	v_fma_f64 v[68:69], v[82:83], v[68:69], v[80:81]
	scratch_load_b64 v[80:81], off, off offset:240
	s_waitcnt vmcnt(4)
	v_fma_f64 v[82:83], v[90:91], v[70:71], v[68:69]
	ds_load_2addr_b64 v[68:71], v1 offset0:55 offset1:56
	s_waitcnt lgkmcnt(0)
	v_fma_f64 v[68:69], v[92:93], v[68:69], v[82:83]
	s_waitcnt vmcnt(3)
	s_delay_alu instid0(VALU_DEP_1) | instskip(SKIP_4) | instid1(VALU_DEP_1)
	v_fma_f64 v[82:83], v[84:85], v[70:71], v[68:69]
	ds_load_2addr_b64 v[68:71], v1 offset0:57 offset1:58
	s_waitcnt lgkmcnt(0)
	v_fma_f64 v[68:69], v[86:87], v[68:69], v[82:83]
	s_waitcnt vmcnt(2)
	v_fma_f64 v[72:73], v[72:73], v[70:71], v[68:69]
	ds_load_2addr_b64 v[68:71], v1 offset0:59 offset1:60
	s_waitcnt lgkmcnt(0)
	v_fma_f64 v[68:69], v[74:75], v[68:69], v[72:73]
	s_waitcnt vmcnt(1)
	s_delay_alu instid0(VALU_DEP_1) | instskip(SKIP_4) | instid1(VALU_DEP_1)
	v_fma_f64 v[72:73], v[76:77], v[70:71], v[68:69]
	ds_load_2addr_b64 v[68:71], v1 offset0:61 offset1:62
	s_waitcnt lgkmcnt(0)
	v_fma_f64 v[1:2], v[78:79], v[68:69], v[72:73]
	s_waitcnt vmcnt(0)
	v_fma_f64 v[1:2], v[80:81], v[70:71], v[1:2]
	s_delay_alu instid0(VALU_DEP_1)
	v_add_f64 v[1:2], v[66:67], -v[1:2]
	scratch_store_b64 off, v[1:2], off offset:16
	v_cmpx_lt_u32_e32 1, v0
	s_cbranch_execz .LBB94_193
; %bb.192:
	scratch_load_b64 v[1:2], off, off offset:8
	v_mov_b32_e32 v66, 0
	s_delay_alu instid0(VALU_DEP_1)
	v_mov_b32_e32 v67, v66
	scratch_store_b64 off, v[66:67], off offset:8
	s_waitcnt vmcnt(0)
	ds_store_b64 v3, v[1:2]
.LBB94_193:
	s_or_b32 exec_lo, exec_lo, s0
	s_waitcnt lgkmcnt(0)
	s_waitcnt_vscnt null, 0x0
	s_barrier
	buffer_gl0_inv
	s_clause 0x4
	scratch_load_b128 v[67:70], off, off offset:8
	scratch_load_b128 v[71:74], off, off offset:24
	;; [unrolled: 1-line block ×5, first 2 shown]
	v_mov_b32_e32 v66, 0
	scratch_load_b128 v[91:94], off, off offset:88
	s_mov_b32 s0, exec_lo
	ds_load_b128 v[87:90], v66 offset:272
	s_waitcnt vmcnt(5) lgkmcnt(0)
	v_fma_f64 v[1:2], v[69:70], v[87:88], 0
	s_waitcnt vmcnt(4)
	s_delay_alu instid0(VALU_DEP_1)
	v_fma_f64 v[1:2], v[71:72], v[89:90], v[1:2]
	scratch_load_b128 v[87:90], off, off offset:104
	ds_load_b128 v[69:72], v66 offset:288
	s_waitcnt lgkmcnt(0)
	v_fma_f64 v[1:2], v[73:74], v[69:70], v[1:2]
	s_waitcnt vmcnt(4)
	s_delay_alu instid0(VALU_DEP_1)
	v_fma_f64 v[1:2], v[75:76], v[71:72], v[1:2]
	ds_load_b128 v[69:72], v66 offset:304
	scratch_load_b128 v[73:76], off, off offset:120
	s_waitcnt lgkmcnt(0)
	v_fma_f64 v[1:2], v[77:78], v[69:70], v[1:2]
	s_waitcnt vmcnt(4)
	s_delay_alu instid0(VALU_DEP_1)
	v_fma_f64 v[1:2], v[79:80], v[71:72], v[1:2]
	scratch_load_b128 v[77:80], off, off offset:136
	ds_load_b128 v[69:72], v66 offset:320
	s_waitcnt lgkmcnt(0)
	v_fma_f64 v[1:2], v[81:82], v[69:70], v[1:2]
	s_waitcnt vmcnt(4)
	s_delay_alu instid0(VALU_DEP_1)
	v_fma_f64 v[1:2], v[83:84], v[71:72], v[1:2]
	ds_load_b128 v[69:72], v66 offset:336
	scratch_load_b128 v[81:84], off, off offset:152
	s_waitcnt lgkmcnt(0)
	v_fma_f64 v[1:2], v[85:86], v[69:70], v[1:2]
	s_waitcnt vmcnt(4)
	s_delay_alu instid0(VALU_DEP_1)
	v_fma_f64 v[1:2], v[91:92], v[71:72], v[1:2]
	ds_load_b128 v[69:72], v66 offset:352
	s_waitcnt lgkmcnt(0)
	v_fma_f64 v[1:2], v[93:94], v[69:70], v[1:2]
	scratch_load_b128 v[91:94], off, off offset:168
	s_waitcnt vmcnt(4)
	v_fma_f64 v[1:2], v[87:88], v[71:72], v[1:2]
	ds_load_b128 v[69:72], v66 offset:368
	scratch_load_b128 v[85:88], off, off offset:184
	s_waitcnt lgkmcnt(0)
	v_fma_f64 v[1:2], v[89:90], v[69:70], v[1:2]
	s_waitcnt vmcnt(4)
	s_delay_alu instid0(VALU_DEP_1)
	v_fma_f64 v[1:2], v[73:74], v[71:72], v[1:2]
	ds_load_b128 v[69:72], v66 offset:384
	s_waitcnt lgkmcnt(0)
	v_fma_f64 v[1:2], v[75:76], v[69:70], v[1:2]
	scratch_load_b128 v[73:76], off, off offset:200
	s_waitcnt vmcnt(4)
	v_fma_f64 v[1:2], v[77:78], v[71:72], v[1:2]
	ds_load_b128 v[69:72], v66 offset:400
	s_waitcnt lgkmcnt(0)
	v_fma_f64 v[1:2], v[79:80], v[69:70], v[1:2]
	scratch_load_b128 v[77:80], off, off offset:216
	s_waitcnt vmcnt(4)
	;; [unrolled: 6-line block ×3, first 2 shown]
	v_fma_f64 v[1:2], v[91:92], v[71:72], v[1:2]
	ds_load_b128 v[69:72], v66 offset:432
	s_waitcnt lgkmcnt(0)
	v_fma_f64 v[1:2], v[93:94], v[69:70], v[1:2]
	s_waitcnt vmcnt(3)
	s_delay_alu instid0(VALU_DEP_1) | instskip(SKIP_4) | instid1(VALU_DEP_1)
	v_fma_f64 v[1:2], v[85:86], v[71:72], v[1:2]
	ds_load_b128 v[69:72], v66 offset:448
	s_waitcnt lgkmcnt(0)
	v_fma_f64 v[1:2], v[87:88], v[69:70], v[1:2]
	s_waitcnt vmcnt(2)
	v_fma_f64 v[1:2], v[73:74], v[71:72], v[1:2]
	ds_load_b128 v[69:72], v66 offset:464
	s_waitcnt lgkmcnt(0)
	v_fma_f64 v[1:2], v[75:76], v[69:70], v[1:2]
	s_waitcnt vmcnt(1)
	s_delay_alu instid0(VALU_DEP_1)
	v_fma_f64 v[1:2], v[77:78], v[71:72], v[1:2]
	ds_load_b128 v[69:72], v66 offset:480
	s_waitcnt lgkmcnt(0)
	v_fma_f64 v[1:2], v[79:80], v[69:70], v[1:2]
	ds_load_b64 v[69:70], v66 offset:496
	s_waitcnt vmcnt(0)
	v_fma_f64 v[1:2], v[81:82], v[71:72], v[1:2]
	s_waitcnt lgkmcnt(0)
	s_delay_alu instid0(VALU_DEP_1) | instskip(NEXT) | instid1(VALU_DEP_1)
	v_fma_f64 v[1:2], v[83:84], v[69:70], v[1:2]
	v_add_f64 v[1:2], v[67:68], -v[1:2]
	scratch_store_b64 off, v[1:2], off offset:8
	v_cmpx_ne_u32_e32 0, v0
	s_cbranch_execz .LBB94_195
; %bb.194:
	scratch_load_b64 v[0:1], off, off
	v_mov_b32_e32 v67, v66
	scratch_store_b64 off, v[66:67], off
	s_waitcnt vmcnt(0)
	ds_store_b64 v3, v[0:1]
.LBB94_195:
	s_or_b32 exec_lo, exec_lo, s0
	s_waitcnt lgkmcnt(0)
	s_waitcnt_vscnt null, 0x0
	s_barrier
	buffer_gl0_inv
	s_clause 0x4
	scratch_load_b128 v[67:70], off, off
	scratch_load_b128 v[0:3], off, off offset:16
	scratch_load_b128 v[71:74], off, off offset:32
	;; [unrolled: 1-line block ×4, first 2 shown]
	ds_load_2addr_b64 v[83:86], v66 offset0:33 offset1:34
	ds_load_2addr_b64 v[87:90], v66 offset0:35 offset1:36
	scratch_load_b128 v[91:94], off, off offset:80
	s_and_b32 vcc_lo, exec_lo, s12
	s_waitcnt vmcnt(5) lgkmcnt(1)
	v_fma_f64 v[69:70], v[69:70], v[83:84], 0
	s_waitcnt vmcnt(4)
	s_delay_alu instid0(VALU_DEP_1) | instskip(SKIP_1) | instid1(VALU_DEP_1)
	v_fma_f64 v[0:1], v[0:1], v[85:86], v[69:70]
	s_waitcnt lgkmcnt(0)
	v_fma_f64 v[69:70], v[2:3], v[87:88], v[0:1]
	scratch_load_b128 v[0:3], off, off offset:96
	s_waitcnt vmcnt(4)
	v_fma_f64 v[87:88], v[71:72], v[89:90], v[69:70]
	ds_load_2addr_b64 v[69:72], v66 offset0:37 offset1:38
	ds_load_2addr_b64 v[83:86], v66 offset0:39 offset1:40
	s_waitcnt lgkmcnt(1)
	v_fma_f64 v[69:70], v[73:74], v[69:70], v[87:88]
	scratch_load_b128 v[87:90], off, off offset:112
	s_waitcnt vmcnt(4)
	v_fma_f64 v[69:70], v[75:76], v[71:72], v[69:70]
	s_waitcnt lgkmcnt(0)
	s_delay_alu instid0(VALU_DEP_1)
	v_fma_f64 v[73:74], v[77:78], v[83:84], v[69:70]
	scratch_load_b128 v[69:72], off, off offset:128
	s_waitcnt vmcnt(4)
	v_fma_f64 v[83:84], v[79:80], v[85:86], v[73:74]
	ds_load_2addr_b64 v[73:76], v66 offset0:41 offset1:42
	ds_load_2addr_b64 v[77:80], v66 offset0:43 offset1:44
	s_waitcnt lgkmcnt(1)
	v_fma_f64 v[73:74], v[81:82], v[73:74], v[83:84]
	scratch_load_b128 v[81:84], off, off offset:144
	s_waitcnt vmcnt(4)
	v_fma_f64 v[73:74], v[91:92], v[75:76], v[73:74]
	s_waitcnt lgkmcnt(0)
	s_delay_alu instid0(VALU_DEP_1)
	v_fma_f64 v[77:78], v[93:94], v[77:78], v[73:74]
	scratch_load_b128 v[73:76], off, off offset:160
	s_waitcnt vmcnt(4)
	v_fma_f64 v[0:1], v[0:1], v[79:80], v[77:78]
	ds_load_2addr_b64 v[77:80], v66 offset0:45 offset1:46
	ds_load_2addr_b64 v[91:94], v66 offset0:47 offset1:48
	scratch_load_b128 v[95:98], off, off offset:176
	s_waitcnt lgkmcnt(1)
	v_fma_f64 v[0:1], v[2:3], v[77:78], v[0:1]
	s_waitcnt vmcnt(4)
	s_delay_alu instid0(VALU_DEP_1) | instskip(SKIP_4) | instid1(VALU_DEP_1)
	v_fma_f64 v[0:1], v[87:88], v[79:80], v[0:1]
	scratch_load_b128 v[77:80], off, off offset:192
	s_waitcnt lgkmcnt(0)
	v_fma_f64 v[0:1], v[89:90], v[91:92], v[0:1]
	s_waitcnt vmcnt(4)
	v_fma_f64 v[69:70], v[69:70], v[93:94], v[0:1]
	ds_load_2addr_b64 v[0:3], v66 offset0:49 offset1:50
	ds_load_2addr_b64 v[85:88], v66 offset0:51 offset1:52
	s_waitcnt lgkmcnt(1)
	v_fma_f64 v[0:1], v[71:72], v[0:1], v[69:70]
	scratch_load_b128 v[69:72], off, off offset:208
	s_waitcnt vmcnt(4)
	v_fma_f64 v[0:1], v[81:82], v[2:3], v[0:1]
	s_waitcnt lgkmcnt(0)
	s_delay_alu instid0(VALU_DEP_1)
	v_fma_f64 v[81:82], v[83:84], v[85:86], v[0:1]
	scratch_load_b128 v[0:3], off, off offset:224
	s_waitcnt vmcnt(4)
	v_fma_f64 v[73:74], v[73:74], v[87:88], v[81:82]
	ds_load_2addr_b64 v[81:84], v66 offset0:53 offset1:54
	ds_load_2addr_b64 v[85:88], v66 offset0:55 offset1:56
	scratch_load_b64 v[89:90], off, off offset:240
	s_waitcnt lgkmcnt(1)
	v_fma_f64 v[73:74], v[75:76], v[81:82], v[73:74]
	s_waitcnt vmcnt(4)
	s_delay_alu instid0(VALU_DEP_1) | instskip(SKIP_1) | instid1(VALU_DEP_1)
	v_fma_f64 v[73:74], v[95:96], v[83:84], v[73:74]
	s_waitcnt lgkmcnt(0)
	v_fma_f64 v[73:74], v[97:98], v[85:86], v[73:74]
	s_waitcnt vmcnt(3)
	s_delay_alu instid0(VALU_DEP_1)
	v_fma_f64 v[77:78], v[77:78], v[87:88], v[73:74]
	ds_load_2addr_b64 v[73:76], v66 offset0:57 offset1:58
	ds_load_2addr_b64 v[81:84], v66 offset0:59 offset1:60
	s_waitcnt lgkmcnt(1)
	v_fma_f64 v[73:74], v[79:80], v[73:74], v[77:78]
	s_waitcnt vmcnt(2)
	s_delay_alu instid0(VALU_DEP_1) | instskip(SKIP_1) | instid1(VALU_DEP_1)
	v_fma_f64 v[69:70], v[69:70], v[75:76], v[73:74]
	s_waitcnt lgkmcnt(0)
	v_fma_f64 v[69:70], v[71:72], v[81:82], v[69:70]
	s_waitcnt vmcnt(1)
	s_delay_alu instid0(VALU_DEP_1) | instskip(SKIP_4) | instid1(VALU_DEP_1)
	v_fma_f64 v[0:1], v[0:1], v[83:84], v[69:70]
	ds_load_2addr_b64 v[69:72], v66 offset0:61 offset1:62
	s_waitcnt lgkmcnt(0)
	v_fma_f64 v[0:1], v[2:3], v[69:70], v[0:1]
	s_waitcnt vmcnt(0)
	v_fma_f64 v[0:1], v[89:90], v[71:72], v[0:1]
	s_delay_alu instid0(VALU_DEP_1)
	v_add_f64 v[0:1], v[67:68], -v[0:1]
	scratch_store_b64 off, v[0:1], off
	s_cbranch_vccz .LBB94_257
; %bb.196:
	v_dual_mov_b32 v0, s2 :: v_dual_mov_b32 v1, s3
	s_mov_b32 s0, exec_lo
	flat_load_b32 v0, v[0:1] offset:116
	s_waitcnt vmcnt(0) lgkmcnt(0)
	v_cmpx_ne_u32_e32 30, v0
	s_cbranch_execz .LBB94_198
; %bb.197:
	v_lshl_add_u32 v66, v0, 3, 0
	scratch_load_b64 v[0:1], v66, off offset:-8
	s_waitcnt vmcnt(0)
	scratch_store_b64 off, v[0:1], off offset:232
	scratch_store_b64 v66, v[2:3], off offset:-8
.LBB94_198:
	s_or_b32 exec_lo, exec_lo, s0
	v_dual_mov_b32 v0, s2 :: v_dual_mov_b32 v1, s3
	s_mov_b32 s0, exec_lo
	flat_load_b32 v0, v[0:1] offset:112
	s_waitcnt vmcnt(0) lgkmcnt(0)
	v_cmpx_ne_u32_e32 29, v0
	s_cbranch_execz .LBB94_200
; %bb.199:
	v_lshl_add_u32 v66, v0, 3, 0
	scratch_load_b64 v[0:1], v66, off offset:-8
	scratch_load_b64 v[2:3], off, off offset:224
	s_waitcnt vmcnt(1)
	scratch_store_b64 off, v[0:1], off offset:224
	s_waitcnt vmcnt(0)
	scratch_store_b64 v66, v[2:3], off offset:-8
.LBB94_200:
	s_or_b32 exec_lo, exec_lo, s0
	v_dual_mov_b32 v0, s2 :: v_dual_mov_b32 v1, s3
	s_mov_b32 s0, exec_lo
	flat_load_b32 v0, v[0:1] offset:108
	s_waitcnt vmcnt(0) lgkmcnt(0)
	v_cmpx_ne_u32_e32 28, v0
	s_cbranch_execz .LBB94_202
; %bb.201:
	v_lshl_add_u32 v66, v0, 3, 0
	scratch_load_b64 v[0:1], v66, off offset:-8
	scratch_load_b64 v[2:3], off, off offset:216
	s_waitcnt vmcnt(1)
	scratch_store_b64 off, v[0:1], off offset:216
	s_waitcnt vmcnt(0)
	scratch_store_b64 v66, v[2:3], off offset:-8
.LBB94_202:
	;; [unrolled: 16-line block ×28, first 2 shown]
	s_or_b32 exec_lo, exec_lo, s0
	v_dual_mov_b32 v0, s2 :: v_dual_mov_b32 v1, s3
	s_mov_b32 s0, exec_lo
	flat_load_b32 v2, v[0:1]
	scratch_load_b64 v[0:1], off, off
	s_waitcnt vmcnt(1) lgkmcnt(0)
	v_cmpx_ne_u32_e32 1, v2
	s_cbranch_execz .LBB94_256
; %bb.255:
	v_lshl_add_u32 v66, v2, 3, 0
	scratch_load_b64 v[2:3], v66, off offset:-8
	s_waitcnt vmcnt(0)
	scratch_store_b64 off, v[2:3], off
	scratch_store_b64 v66, v[0:1], off offset:-8
	scratch_load_b64 v[0:1], off, off
.LBB94_256:
	s_or_b32 exec_lo, exec_lo, s0
.LBB94_257:
	s_clause 0x5
	scratch_load_b128 v[66:69], off, off offset:8
	scratch_load_b128 v[70:73], off, off offset:24
	scratch_load_b128 v[74:77], off, off offset:40
	scratch_load_b128 v[78:81], off, off offset:56
	scratch_load_b128 v[82:85], off, off offset:72
	scratch_load_b128 v[86:89], off, off offset:88
	s_waitcnt vmcnt(6)
	global_store_b64 v[6:7], v[0:1], off
	s_clause 0x1
	scratch_load_b128 v[0:3], off, off offset:104
	scratch_load_b128 v[90:93], off, off offset:120
	s_waitcnt vmcnt(7)
	s_clause 0x1
	global_store_b64 v[4:5], v[66:67], off
	global_store_b64 v[14:15], v[68:69], off
	s_clause 0x1
	scratch_load_b128 v[4:7], off, off offset:136
	scratch_load_b128 v[66:69], off, off offset:152
	s_waitcnt vmcnt(8)
	s_clause 0x1
	global_store_b64 v[8:9], v[70:71], off
	;; [unrolled: 7-line block ×4, first 2 shown]
	global_store_b64 v[20:21], v[80:81], off
	scratch_load_b128 v[16:19], off, off offset:232
	s_waitcnt vmcnt(10)
	s_clause 0x1
	global_store_b64 v[22:23], v[82:83], off
	global_store_b64 v[26:27], v[84:85], off
	s_waitcnt vmcnt(9)
	s_clause 0x1
	global_store_b64 v[28:29], v[86:87], off
	global_store_b64 v[30:31], v[88:89], off
	;; [unrolled: 4-line block ×11, first 2 shown]
	s_endpgm
	.section	.rodata,"a",@progbits
	.p2align	6, 0x0
	.amdhsa_kernel _ZN9rocsolver6v33100L18getri_kernel_smallILi31EdPKPdEEvT1_iilPiilS6_bb
		.amdhsa_group_segment_fixed_size 504
		.amdhsa_private_segment_fixed_size 256
		.amdhsa_kernarg_size 60
		.amdhsa_user_sgpr_count 15
		.amdhsa_user_sgpr_dispatch_ptr 0
		.amdhsa_user_sgpr_queue_ptr 0
		.amdhsa_user_sgpr_kernarg_segment_ptr 1
		.amdhsa_user_sgpr_dispatch_id 0
		.amdhsa_user_sgpr_private_segment_size 0
		.amdhsa_wavefront_size32 1
		.amdhsa_uses_dynamic_stack 0
		.amdhsa_enable_private_segment 1
		.amdhsa_system_sgpr_workgroup_id_x 1
		.amdhsa_system_sgpr_workgroup_id_y 0
		.amdhsa_system_sgpr_workgroup_id_z 0
		.amdhsa_system_sgpr_workgroup_info 0
		.amdhsa_system_vgpr_workitem_id 0
		.amdhsa_next_free_vgpr 99
		.amdhsa_next_free_sgpr 17
		.amdhsa_reserve_vcc 1
		.amdhsa_float_round_mode_32 0
		.amdhsa_float_round_mode_16_64 0
		.amdhsa_float_denorm_mode_32 3
		.amdhsa_float_denorm_mode_16_64 3
		.amdhsa_dx10_clamp 1
		.amdhsa_ieee_mode 1
		.amdhsa_fp16_overflow 0
		.amdhsa_workgroup_processor_mode 1
		.amdhsa_memory_ordered 1
		.amdhsa_forward_progress 0
		.amdhsa_shared_vgpr_count 0
		.amdhsa_exception_fp_ieee_invalid_op 0
		.amdhsa_exception_fp_denorm_src 0
		.amdhsa_exception_fp_ieee_div_zero 0
		.amdhsa_exception_fp_ieee_overflow 0
		.amdhsa_exception_fp_ieee_underflow 0
		.amdhsa_exception_fp_ieee_inexact 0
		.amdhsa_exception_int_div_zero 0
	.end_amdhsa_kernel
	.section	.text._ZN9rocsolver6v33100L18getri_kernel_smallILi31EdPKPdEEvT1_iilPiilS6_bb,"axG",@progbits,_ZN9rocsolver6v33100L18getri_kernel_smallILi31EdPKPdEEvT1_iilPiilS6_bb,comdat
.Lfunc_end94:
	.size	_ZN9rocsolver6v33100L18getri_kernel_smallILi31EdPKPdEEvT1_iilPiilS6_bb, .Lfunc_end94-_ZN9rocsolver6v33100L18getri_kernel_smallILi31EdPKPdEEvT1_iilPiilS6_bb
                                        ; -- End function
	.section	.AMDGPU.csdata,"",@progbits
; Kernel info:
; codeLenInByte = 23652
; NumSgprs: 19
; NumVgprs: 99
; ScratchSize: 256
; MemoryBound: 0
; FloatMode: 240
; IeeeMode: 1
; LDSByteSize: 504 bytes/workgroup (compile time only)
; SGPRBlocks: 2
; VGPRBlocks: 12
; NumSGPRsForWavesPerEU: 19
; NumVGPRsForWavesPerEU: 99
; Occupancy: 12
; WaveLimiterHint : 1
; COMPUTE_PGM_RSRC2:SCRATCH_EN: 1
; COMPUTE_PGM_RSRC2:USER_SGPR: 15
; COMPUTE_PGM_RSRC2:TRAP_HANDLER: 0
; COMPUTE_PGM_RSRC2:TGID_X_EN: 1
; COMPUTE_PGM_RSRC2:TGID_Y_EN: 0
; COMPUTE_PGM_RSRC2:TGID_Z_EN: 0
; COMPUTE_PGM_RSRC2:TIDIG_COMP_CNT: 0
	.section	.text._ZN9rocsolver6v33100L18getri_kernel_smallILi32EdPKPdEEvT1_iilPiilS6_bb,"axG",@progbits,_ZN9rocsolver6v33100L18getri_kernel_smallILi32EdPKPdEEvT1_iilPiilS6_bb,comdat
	.globl	_ZN9rocsolver6v33100L18getri_kernel_smallILi32EdPKPdEEvT1_iilPiilS6_bb ; -- Begin function _ZN9rocsolver6v33100L18getri_kernel_smallILi32EdPKPdEEvT1_iilPiilS6_bb
	.p2align	8
	.type	_ZN9rocsolver6v33100L18getri_kernel_smallILi32EdPKPdEEvT1_iilPiilS6_bb,@function
_ZN9rocsolver6v33100L18getri_kernel_smallILi32EdPKPdEEvT1_iilPiilS6_bb: ; @_ZN9rocsolver6v33100L18getri_kernel_smallILi32EdPKPdEEvT1_iilPiilS6_bb
; %bb.0:
	s_mov_b32 s2, exec_lo
	v_cmpx_gt_u32_e32 32, v0
	s_cbranch_execz .LBB95_138
; %bb.1:
	s_clause 0x1
	s_load_b32 s13, s[0:1], 0x38
	s_load_b64 s[2:3], s[0:1], 0x0
	s_mov_b32 s8, s15
	s_load_b128 s[4:7], s[0:1], 0x28
	s_waitcnt lgkmcnt(0)
	s_bitcmp1_b32 s13, 8
	s_cselect_b32 s12, -1, 0
	s_ashr_i32 s9, s15, 31
	s_delay_alu instid0(SALU_CYCLE_1) | instskip(NEXT) | instid1(SALU_CYCLE_1)
	s_lshl_b64 s[10:11], s[8:9], 3
	s_add_u32 s2, s2, s10
	s_addc_u32 s3, s3, s11
	s_load_b64 s[10:11], s[2:3], 0x0
	s_bfe_u32 s2, s13, 0x10008
	s_delay_alu instid0(SALU_CYCLE_1)
	s_cmp_eq_u32 s2, 0
                                        ; implicit-def: $sgpr2_sgpr3
	s_cbranch_scc1 .LBB95_3
; %bb.2:
	s_clause 0x1
	s_load_b32 s2, s[0:1], 0x20
	s_load_b64 s[14:15], s[0:1], 0x18
	s_mul_i32 s3, s8, s5
	s_mul_hi_u32 s5, s8, s4
	s_mul_i32 s16, s9, s4
	s_add_i32 s3, s5, s3
	s_mul_i32 s4, s8, s4
	s_add_i32 s5, s3, s16
	s_delay_alu instid0(SALU_CYCLE_1)
	s_lshl_b64 s[4:5], s[4:5], 2
	s_waitcnt lgkmcnt(0)
	s_ashr_i32 s3, s2, 31
	s_add_u32 s4, s14, s4
	s_addc_u32 s5, s15, s5
	s_lshl_b64 s[2:3], s[2:3], 2
	s_delay_alu instid0(SALU_CYCLE_1)
	s_add_u32 s2, s4, s2
	s_addc_u32 s3, s5, s3
.LBB95_3:
	s_load_b64 s[4:5], s[0:1], 0x8
	v_lshlrev_b32_e32 v3, 3, v0
	s_waitcnt lgkmcnt(0)
	v_add3_u32 v1, s5, s5, v0
	s_ashr_i32 s1, s4, 31
	s_mov_b32 s0, s4
	s_mov_b32 s14, s5
	s_lshl_b64 s[0:1], s[0:1], 3
	v_add_nc_u32_e32 v4, s5, v1
	s_add_u32 s0, s10, s0
	v_ashrrev_i32_e32 v2, 31, v1
	s_addc_u32 s1, s11, s1
	v_add_co_u32 v6, s4, s0, v3
	s_ashr_i32 s15, s5, 31
	v_add_nc_u32_e32 v10, s5, v4
	v_add_co_ci_u32_e64 v7, null, s1, 0, s4
	s_lshl_b64 s[10:11], s[14:15], 3
	v_ashrrev_i32_e32 v5, 31, v4
	v_lshlrev_b64 v[1:2], 3, v[1:2]
	v_add_co_u32 v8, vcc_lo, v6, s10
	v_ashrrev_i32_e32 v11, 31, v10
	v_add_co_ci_u32_e32 v9, vcc_lo, s11, v7, vcc_lo
	v_add_nc_u32_e32 v14, s5, v10
	v_lshlrev_b64 v[12:13], 3, v[4:5]
	v_add_co_u32 v4, vcc_lo, s0, v1
	v_add_co_ci_u32_e32 v5, vcc_lo, s1, v2, vcc_lo
	v_lshlrev_b64 v[1:2], 3, v[10:11]
	s_clause 0x1
	global_load_b64 v[30:31], v3, s[0:1]
	global_load_b64 v[32:33], v[8:9], off
	v_ashrrev_i32_e32 v15, 31, v14
	v_add_nc_u32_e32 v16, s5, v14
	v_add_co_u32 v12, vcc_lo, s0, v12
	v_add_co_ci_u32_e32 v13, vcc_lo, s1, v13, vcc_lo
	s_delay_alu instid0(VALU_DEP_4)
	v_lshlrev_b64 v[10:11], 3, v[14:15]
	v_add_co_u32 v14, vcc_lo, s0, v1
	v_add_nc_u32_e32 v1, s5, v16
	v_ashrrev_i32_e32 v17, 31, v16
	v_add_co_ci_u32_e32 v15, vcc_lo, s1, v2, vcc_lo
	v_add_co_u32 v10, vcc_lo, s0, v10
	s_delay_alu instid0(VALU_DEP_4) | instskip(SKIP_3) | instid1(VALU_DEP_4)
	v_ashrrev_i32_e32 v2, 31, v1
	v_add_nc_u32_e32 v20, s5, v1
	v_lshlrev_b64 v[16:17], 3, v[16:17]
	v_add_co_ci_u32_e32 v11, vcc_lo, s1, v11, vcc_lo
	v_lshlrev_b64 v[1:2], 3, v[1:2]
	s_delay_alu instid0(VALU_DEP_4)
	v_add_nc_u32_e32 v24, s5, v20
	v_ashrrev_i32_e32 v21, 31, v20
	v_add_co_u32 v18, vcc_lo, s0, v16
	s_clause 0x3
	global_load_b64 v[38:39], v[4:5], off
	global_load_b64 v[40:41], v[12:13], off
	;; [unrolled: 1-line block ×4, first 2 shown]
	v_add_co_ci_u32_e32 v19, vcc_lo, s1, v17, vcc_lo
	v_add_co_u32 v16, vcc_lo, s0, v1
	v_ashrrev_i32_e32 v25, 31, v24
	v_add_co_ci_u32_e32 v17, vcc_lo, s1, v2, vcc_lo
	v_lshlrev_b64 v[1:2], 3, v[20:21]
	s_clause 0x1
	global_load_b64 v[46:47], v[18:19], off
	global_load_b64 v[48:49], v[16:17], off
	v_lshlrev_b64 v[20:21], 3, v[24:25]
	s_bitcmp0_b32 s13, 0
	v_add_co_u32 v22, vcc_lo, s0, v1
	v_add_co_ci_u32_e32 v23, vcc_lo, s1, v2, vcc_lo
	s_delay_alu instid0(VALU_DEP_3) | instskip(NEXT) | instid1(VALU_DEP_4)
	v_add_co_u32 v20, vcc_lo, s0, v20
	v_add_co_ci_u32_e32 v21, vcc_lo, s1, v21, vcc_lo
	s_clause 0x1
	global_load_b64 v[50:51], v[22:23], off
	global_load_b64 v[52:53], v[20:21], off
	v_add_nc_u32_e32 v1, s5, v24
	s_delay_alu instid0(VALU_DEP_1) | instskip(SKIP_1) | instid1(VALU_DEP_2)
	v_add_nc_u32_e32 v24, s5, v1
	v_ashrrev_i32_e32 v2, 31, v1
	v_add_nc_u32_e32 v28, s5, v24
	v_ashrrev_i32_e32 v25, 31, v24
	s_delay_alu instid0(VALU_DEP_3) | instskip(NEXT) | instid1(VALU_DEP_3)
	v_lshlrev_b64 v[1:2], 3, v[1:2]
	v_add_nc_u32_e32 v34, s5, v28
	s_delay_alu instid0(VALU_DEP_3) | instskip(SKIP_1) | instid1(VALU_DEP_3)
	v_lshlrev_b64 v[54:55], 3, v[24:25]
	v_ashrrev_i32_e32 v29, 31, v28
	v_add_nc_u32_e32 v36, s5, v34
	v_ashrrev_i32_e32 v35, 31, v34
	s_delay_alu instid0(VALU_DEP_2) | instskip(SKIP_1) | instid1(VALU_DEP_2)
	v_add_nc_u32_e32 v58, s5, v36
	v_ashrrev_i32_e32 v37, 31, v36
	v_add_nc_u32_e32 v66, s5, v58
	v_ashrrev_i32_e32 v59, 31, v58
	s_delay_alu instid0(VALU_DEP_2) | instskip(SKIP_1) | instid1(VALU_DEP_2)
	v_add_nc_u32_e32 v68, s5, v66
	;; [unrolled: 5-line block ×9, first 2 shown]
	v_ashrrev_i32_e32 v101, 31, v100
	v_ashrrev_i32_e32 v27, 31, v26
	s_delay_alu instid0(VALU_DEP_1) | instskip(SKIP_3) | instid1(VALU_DEP_4)
	v_lshlrev_b64 v[24:25], 3, v[26:27]
	v_add_co_u32 v26, vcc_lo, s0, v1
	v_add_co_ci_u32_e32 v27, vcc_lo, s1, v2, vcc_lo
	v_lshlrev_b64 v[1:2], 3, v[28:29]
	v_add_co_u32 v24, vcc_lo, s0, v24
	v_add_co_ci_u32_e32 v25, vcc_lo, s1, v25, vcc_lo
	v_add_co_u32 v28, vcc_lo, s0, v54
	v_add_co_ci_u32_e32 v29, vcc_lo, s1, v55, vcc_lo
	global_load_b64 v[70:71], v[24:25], off
	s_waitcnt vmcnt(9)
	scratch_store_b128 off, v[30:33], off
	v_lshlrev_b64 v[32:33], 3, v[34:35]
	v_add_co_u32 v30, vcc_lo, s0, v1
	v_add_co_ci_u32_e32 v31, vcc_lo, s1, v2, vcc_lo
	v_lshlrev_b64 v[1:2], 3, v[36:37]
	s_delay_alu instid0(VALU_DEP_4)
	v_add_co_u32 v32, vcc_lo, s0, v32
	s_clause 0x1
	global_load_b64 v[54:55], v[26:27], off
	global_load_b64 v[56:57], v[28:29], off
	v_add_co_ci_u32_e32 v33, vcc_lo, s1, v33, vcc_lo
	v_lshlrev_b64 v[36:37], 3, v[58:59]
	v_add_co_u32 v34, vcc_lo, s0, v1
	v_add_co_ci_u32_e32 v35, vcc_lo, s1, v2, vcc_lo
	v_lshlrev_b64 v[1:2], 3, v[66:67]
	s_delay_alu instid0(VALU_DEP_4)
	v_add_co_u32 v36, vcc_lo, s0, v36
	v_add_co_ci_u32_e32 v37, vcc_lo, s1, v37, vcc_lo
	global_load_b64 v[58:59], v[30:31], off
	v_lshlrev_b64 v[66:67], 3, v[92:93]
	s_waitcnt vmcnt(10)
	scratch_store_b128 off, v[38:41], off offset:16
	v_add_co_u32 v38, vcc_lo, s0, v1
	s_waitcnt vmcnt(8)
	scratch_store_b128 off, v[42:45], off offset:32
	v_add_co_ci_u32_e32 v39, vcc_lo, s1, v2, vcc_lo
	v_lshlrev_b64 v[1:2], 3, v[68:69]
	s_clause 0x2
	global_load_b64 v[60:61], v[32:33], off
	global_load_b64 v[62:63], v[34:35], off
	;; [unrolled: 1-line block ×3, first 2 shown]
	v_lshlrev_b64 v[42:43], 3, v[72:73]
	global_load_b64 v[72:73], v[38:39], off
	v_add_co_u32 v40, vcc_lo, s0, v1
	v_add_co_ci_u32_e32 v41, vcc_lo, s1, v2, vcc_lo
	v_lshlrev_b64 v[1:2], 3, v[74:75]
	v_add_co_u32 v42, vcc_lo, s0, v42
	global_load_b64 v[74:75], v[40:41], off
	v_add_co_ci_u32_e32 v43, vcc_lo, s1, v43, vcc_lo
	v_add_co_u32 v44, vcc_lo, s0, v1
	v_add_co_ci_u32_e32 v45, vcc_lo, s1, v2, vcc_lo
	s_waitcnt vmcnt(11)
	scratch_store_b128 off, v[46:49], off offset:48
	s_waitcnt vmcnt(9)
	scratch_store_b128 off, v[50:53], off offset:64
	s_clause 0x1
	global_load_b64 v[76:77], v[42:43], off
	global_load_b64 v[78:79], v[44:45], off
	v_lshlrev_b64 v[1:2], 3, v[80:81]
	v_lshlrev_b64 v[50:51], 3, v[84:85]
	s_delay_alu instid0(VALU_DEP_2) | instskip(NEXT) | instid1(VALU_DEP_3)
	v_add_co_u32 v46, vcc_lo, s0, v1
	v_add_co_ci_u32_e32 v47, vcc_lo, s1, v2, vcc_lo
	v_lshlrev_b64 v[1:2], 3, v[82:83]
	global_load_b64 v[80:81], v[46:47], off
	v_add_co_u32 v48, vcc_lo, s0, v1
	v_add_co_ci_u32_e32 v49, vcc_lo, s1, v2, vcc_lo
	v_lshlrev_b64 v[1:2], 3, v[86:87]
	v_add_co_u32 v50, vcc_lo, s0, v50
	v_add_co_ci_u32_e32 v51, vcc_lo, s1, v51, vcc_lo
	s_delay_alu instid0(VALU_DEP_3) | instskip(NEXT) | instid1(VALU_DEP_4)
	v_add_co_u32 v52, vcc_lo, s0, v1
	v_add_co_ci_u32_e32 v53, vcc_lo, s1, v2, vcc_lo
	v_lshlrev_b64 v[1:2], 3, v[90:91]
	s_waitcnt vmcnt(9)
	scratch_store_b128 off, v[54:57], off offset:80
	v_lshlrev_b64 v[54:55], 3, v[88:89]
	s_waitcnt vmcnt(7)
	scratch_store_b128 off, v[58:61], off offset:96
	s_waitcnt vmcnt(5)
	scratch_store_b128 off, v[62:65], off offset:112
	v_add_co_u32 v54, vcc_lo, s0, v54
	v_add_co_ci_u32_e32 v55, vcc_lo, s1, v55, vcc_lo
	v_add_co_u32 v56, vcc_lo, s0, v1
	v_add_co_ci_u32_e32 v57, vcc_lo, s1, v2, vcc_lo
	v_lshlrev_b64 v[1:2], 3, v[94:95]
	v_add_co_u32 v58, vcc_lo, s0, v66
	v_add_co_ci_u32_e32 v59, vcc_lo, s1, v67, vcc_lo
	v_lshlrev_b64 v[62:63], 3, v[96:97]
	s_delay_alu instid0(VALU_DEP_4) | instskip(SKIP_2) | instid1(VALU_DEP_4)
	v_add_co_u32 v60, vcc_lo, s0, v1
	v_add_co_ci_u32_e32 v61, vcc_lo, s1, v2, vcc_lo
	v_lshlrev_b64 v[1:2], 3, v[98:99]
	v_add_co_u32 v62, vcc_lo, s0, v62
	v_lshlrev_b64 v[66:67], 3, v[100:101]
	v_add_co_ci_u32_e32 v63, vcc_lo, s1, v63, vcc_lo
	s_delay_alu instid0(VALU_DEP_4) | instskip(SKIP_1) | instid1(VALU_DEP_4)
	v_add_co_u32 v64, vcc_lo, s0, v1
	v_add_co_ci_u32_e32 v65, vcc_lo, s1, v2, vcc_lo
	v_add_co_u32 v66, vcc_lo, s0, v66
	v_add_co_ci_u32_e32 v67, vcc_lo, s1, v67, vcc_lo
	s_clause 0x3
	global_load_b64 v[82:83], v[48:49], off
	global_load_b64 v[84:85], v[50:51], off
	;; [unrolled: 1-line block ×4, first 2 shown]
	s_waitcnt vmcnt(7)
	scratch_store_b128 off, v[72:75], off offset:128
	s_clause 0x2
	global_load_b64 v[90:91], v[56:57], off
	global_load_b64 v[72:73], v[58:59], off
	;; [unrolled: 1-line block ×3, first 2 shown]
	s_waitcnt vmcnt(8)
	scratch_store_b128 off, v[76:79], off offset:144
	s_clause 0x2
	global_load_b64 v[76:77], v[62:63], off
	global_load_b64 v[78:79], v[64:65], off
	;; [unrolled: 1-line block ×3, first 2 shown]
	s_mov_b32 s1, -1
	s_waitcnt vmcnt(9)
	scratch_store_b128 off, v[80:83], off offset:160
	s_waitcnt vmcnt(7)
	scratch_store_b128 off, v[84:87], off offset:176
	;; [unrolled: 2-line block ×6, first 2 shown]
	s_cbranch_scc1 .LBB95_136
; %bb.4:
	v_cmp_eq_u32_e64 s0, 0, v0
	s_delay_alu instid0(VALU_DEP_1)
	s_and_saveexec_b32 s1, s0
	s_cbranch_execz .LBB95_6
; %bb.5:
	v_mov_b32_e32 v1, 0
	ds_store_b32 v1, v1 offset:512
.LBB95_6:
	s_or_b32 exec_lo, exec_lo, s1
	s_waitcnt lgkmcnt(0)
	s_waitcnt_vscnt null, 0x0
	s_barrier
	buffer_gl0_inv
	scratch_load_b64 v[1:2], v3, off
	s_mov_b32 s4, exec_lo
	s_waitcnt vmcnt(0)
	v_cmpx_eq_f64_e32 0, v[1:2]
	s_cbranch_execz .LBB95_10
; %bb.7:
	v_mov_b32_e32 v1, 0
	s_mov_b32 s5, 0
	ds_load_b32 v2, v1 offset:512
	s_waitcnt lgkmcnt(0)
	v_readfirstlane_b32 s1, v2
	v_add_nc_u32_e32 v2, 1, v0
	s_delay_alu instid0(VALU_DEP_2) | instskip(NEXT) | instid1(VALU_DEP_1)
	s_cmp_eq_u32 s1, 0
	v_cmp_gt_i32_e32 vcc_lo, s1, v2
	s_cselect_b32 s10, -1, 0
	s_delay_alu instid0(SALU_CYCLE_1) | instskip(NEXT) | instid1(SALU_CYCLE_1)
	s_or_b32 s10, s10, vcc_lo
	s_and_b32 exec_lo, exec_lo, s10
	s_cbranch_execz .LBB95_10
; %bb.8:
	v_mov_b32_e32 v68, s1
.LBB95_9:                               ; =>This Inner Loop Header: Depth=1
	ds_cmpstore_rtn_b32 v68, v1, v2, v68 offset:512
	s_waitcnt lgkmcnt(0)
	v_cmp_ne_u32_e32 vcc_lo, 0, v68
	v_cmp_le_i32_e64 s1, v68, v2
	s_delay_alu instid0(VALU_DEP_1) | instskip(NEXT) | instid1(SALU_CYCLE_1)
	s_and_b32 s1, vcc_lo, s1
	s_and_b32 s1, exec_lo, s1
	s_delay_alu instid0(SALU_CYCLE_1) | instskip(NEXT) | instid1(SALU_CYCLE_1)
	s_or_b32 s5, s1, s5
	s_and_not1_b32 exec_lo, exec_lo, s5
	s_cbranch_execnz .LBB95_9
.LBB95_10:
	s_or_b32 exec_lo, exec_lo, s4
	v_mov_b32_e32 v1, 0
	s_barrier
	buffer_gl0_inv
	ds_load_b32 v2, v1 offset:512
	s_and_saveexec_b32 s1, s0
	s_cbranch_execz .LBB95_12
; %bb.11:
	s_lshl_b64 s[4:5], s[8:9], 2
	s_delay_alu instid0(SALU_CYCLE_1)
	s_add_u32 s4, s6, s4
	s_addc_u32 s5, s7, s5
	s_waitcnt lgkmcnt(0)
	global_store_b32 v1, v2, s[4:5]
.LBB95_12:
	s_or_b32 exec_lo, exec_lo, s1
	s_waitcnt lgkmcnt(0)
	v_cmp_ne_u32_e32 vcc_lo, 0, v2
	s_mov_b32 s1, 0
	s_cbranch_vccnz .LBB95_136
; %bb.13:
	v_add_nc_u32_e32 v68, 0, v3
	scratch_load_b64 v[1:2], v68, off
	s_waitcnt vmcnt(0)
	v_div_scale_f64 v[69:70], null, v[1:2], v[1:2], 1.0
	v_div_scale_f64 v[75:76], vcc_lo, 1.0, v[1:2], 1.0
	s_delay_alu instid0(VALU_DEP_2) | instskip(SKIP_2) | instid1(VALU_DEP_1)
	v_rcp_f64_e32 v[71:72], v[69:70]
	s_waitcnt_depctr 0xfff
	v_fma_f64 v[73:74], -v[69:70], v[71:72], 1.0
	v_fma_f64 v[71:72], v[71:72], v[73:74], v[71:72]
	s_delay_alu instid0(VALU_DEP_1) | instskip(NEXT) | instid1(VALU_DEP_1)
	v_fma_f64 v[73:74], -v[69:70], v[71:72], 1.0
	v_fma_f64 v[71:72], v[71:72], v[73:74], v[71:72]
	s_delay_alu instid0(VALU_DEP_1) | instskip(NEXT) | instid1(VALU_DEP_1)
	v_mul_f64 v[73:74], v[75:76], v[71:72]
	v_fma_f64 v[69:70], -v[69:70], v[73:74], v[75:76]
	s_delay_alu instid0(VALU_DEP_1) | instskip(NEXT) | instid1(VALU_DEP_1)
	v_div_fmas_f64 v[69:70], v[69:70], v[71:72], v[73:74]
	v_div_fixup_f64 v[1:2], v[69:70], v[1:2], 1.0
	v_add_nc_u32_e32 v69, 0x100, v3
	scratch_store_b64 v68, v[1:2], off
	scratch_load_b64 v[70:71], off, off offset:8
	v_xor_b32_e32 v2, 0x80000000, v2
	s_waitcnt vmcnt(0)
	ds_store_2addr_b64 v3, v[1:2], v[70:71] offset1:32
	s_waitcnt lgkmcnt(0)
	s_waitcnt_vscnt null, 0x0
	s_barrier
	buffer_gl0_inv
	s_and_saveexec_b32 s1, s0
	s_cbranch_execz .LBB95_15
; %bb.14:
	scratch_load_b64 v[1:2], v68, off
	ds_load_b64 v[70:71], v69
	s_waitcnt vmcnt(0) lgkmcnt(0)
	v_fma_f64 v[1:2], v[1:2], v[70:71], 0
	v_mov_b32_e32 v70, 0
	ds_load_b64 v[70:71], v70 offset:8
	s_waitcnt lgkmcnt(0)
	v_mul_f64 v[1:2], v[1:2], v[70:71]
	scratch_store_b64 off, v[1:2], off offset:8
.LBB95_15:
	s_or_b32 exec_lo, exec_lo, s1
	s_waitcnt_vscnt null, 0x0
	s_barrier
	buffer_gl0_inv
	scratch_load_b64 v[1:2], off, off offset:16
	s_mov_b32 s1, exec_lo
	s_waitcnt vmcnt(0)
	ds_store_b64 v69, v[1:2]
	s_waitcnt lgkmcnt(0)
	s_barrier
	buffer_gl0_inv
	v_cmpx_gt_u32_e32 2, v0
	s_cbranch_execz .LBB95_19
; %bb.16:
	scratch_load_b64 v[1:2], v68, off
	ds_load_b64 v[70:71], v69
	s_waitcnt vmcnt(0) lgkmcnt(0)
	v_fma_f64 v[1:2], v[1:2], v[70:71], 0
	s_and_saveexec_b32 s4, s0
	s_cbranch_execz .LBB95_18
; %bb.17:
	scratch_load_b64 v[70:71], off, off offset:8
	v_mov_b32_e32 v72, 0
	ds_load_b64 v[72:73], v72 offset:264
	s_waitcnt vmcnt(0) lgkmcnt(0)
	v_fma_f64 v[1:2], v[70:71], v[72:73], v[1:2]
.LBB95_18:
	s_or_b32 exec_lo, exec_lo, s4
	v_mov_b32_e32 v70, 0
	ds_load_b64 v[70:71], v70 offset:16
	s_waitcnt lgkmcnt(0)
	v_mul_f64 v[1:2], v[1:2], v[70:71]
	scratch_store_b64 off, v[1:2], off offset:16
.LBB95_19:
	s_or_b32 exec_lo, exec_lo, s1
	s_waitcnt_vscnt null, 0x0
	s_barrier
	buffer_gl0_inv
	scratch_load_b64 v[1:2], off, off offset:24
	v_add_nc_u32_e32 v70, -1, v0
	s_mov_b32 s0, exec_lo
	s_waitcnt vmcnt(0)
	ds_store_b64 v69, v[1:2]
	s_waitcnt lgkmcnt(0)
	s_barrier
	buffer_gl0_inv
	v_cmpx_gt_u32_e32 3, v0
	s_cbranch_execz .LBB95_23
; %bb.20:
	v_dual_mov_b32 v1, 0 :: v_dual_add_nc_u32 v72, 0x100, v3
	v_dual_mov_b32 v2, 0 :: v_dual_add_nc_u32 v71, -1, v0
	v_add_nc_u32_e32 v73, 0, v3
	s_mov_b32 s1, 0
.LBB95_21:                              ; =>This Inner Loop Header: Depth=1
	scratch_load_b64 v[74:75], v73, off
	ds_load_b64 v[76:77], v72
	v_add_nc_u32_e32 v71, 1, v71
	v_add_nc_u32_e32 v72, 8, v72
	v_add_nc_u32_e32 v73, 8, v73
	s_delay_alu instid0(VALU_DEP_3)
	v_cmp_lt_u32_e32 vcc_lo, 1, v71
	s_or_b32 s1, vcc_lo, s1
	s_waitcnt vmcnt(0) lgkmcnt(0)
	v_fma_f64 v[1:2], v[74:75], v[76:77], v[1:2]
	s_and_not1_b32 exec_lo, exec_lo, s1
	s_cbranch_execnz .LBB95_21
; %bb.22:
	s_or_b32 exec_lo, exec_lo, s1
	v_mov_b32_e32 v71, 0
	ds_load_b64 v[71:72], v71 offset:24
	s_waitcnt lgkmcnt(0)
	v_mul_f64 v[1:2], v[1:2], v[71:72]
	scratch_store_b64 off, v[1:2], off offset:24
.LBB95_23:
	s_or_b32 exec_lo, exec_lo, s0
	s_waitcnt_vscnt null, 0x0
	s_barrier
	buffer_gl0_inv
	scratch_load_b64 v[1:2], off, off offset:32
	s_mov_b32 s0, exec_lo
	s_waitcnt vmcnt(0)
	ds_store_b64 v69, v[1:2]
	s_waitcnt lgkmcnt(0)
	s_barrier
	buffer_gl0_inv
	v_cmpx_gt_u32_e32 4, v0
	s_cbranch_execz .LBB95_27
; %bb.24:
	v_dual_mov_b32 v1, 0 :: v_dual_add_nc_u32 v72, 0x100, v3
	v_dual_mov_b32 v2, 0 :: v_dual_add_nc_u32 v71, -1, v0
	v_add_nc_u32_e32 v73, 0, v3
	s_mov_b32 s1, 0
.LBB95_25:                              ; =>This Inner Loop Header: Depth=1
	scratch_load_b64 v[74:75], v73, off
	ds_load_b64 v[76:77], v72
	v_add_nc_u32_e32 v71, 1, v71
	v_add_nc_u32_e32 v72, 8, v72
	v_add_nc_u32_e32 v73, 8, v73
	s_delay_alu instid0(VALU_DEP_3)
	v_cmp_lt_u32_e32 vcc_lo, 2, v71
	s_or_b32 s1, vcc_lo, s1
	s_waitcnt vmcnt(0) lgkmcnt(0)
	v_fma_f64 v[1:2], v[74:75], v[76:77], v[1:2]
	s_and_not1_b32 exec_lo, exec_lo, s1
	s_cbranch_execnz .LBB95_25
; %bb.26:
	s_or_b32 exec_lo, exec_lo, s1
	v_mov_b32_e32 v71, 0
	ds_load_b64 v[71:72], v71 offset:32
	s_waitcnt lgkmcnt(0)
	v_mul_f64 v[1:2], v[1:2], v[71:72]
	scratch_store_b64 off, v[1:2], off offset:32
.LBB95_27:
	s_or_b32 exec_lo, exec_lo, s0
	s_waitcnt_vscnt null, 0x0
	s_barrier
	buffer_gl0_inv
	scratch_load_b64 v[1:2], off, off offset:40
	;; [unrolled: 39-line block ×20, first 2 shown]
	s_mov_b32 s0, exec_lo
	s_waitcnt vmcnt(0)
	ds_store_b64 v69, v[1:2]
	s_waitcnt lgkmcnt(0)
	s_barrier
	buffer_gl0_inv
	v_cmpx_gt_u32_e32 23, v0
	s_cbranch_execz .LBB95_103
; %bb.100:
	v_dual_mov_b32 v1, 0 :: v_dual_add_nc_u32 v72, 0x100, v3
	v_dual_mov_b32 v2, 0 :: v_dual_add_nc_u32 v71, -1, v0
	v_add_nc_u32_e32 v73, 0, v3
	s_mov_b32 s1, 0
.LBB95_101:                             ; =>This Inner Loop Header: Depth=1
	scratch_load_b64 v[74:75], v73, off
	ds_load_b64 v[76:77], v72
	v_add_nc_u32_e32 v71, 1, v71
	v_add_nc_u32_e32 v72, 8, v72
	v_add_nc_u32_e32 v73, 8, v73
	s_delay_alu instid0(VALU_DEP_3)
	v_cmp_lt_u32_e32 vcc_lo, 21, v71
	s_or_b32 s1, vcc_lo, s1
	s_waitcnt vmcnt(0) lgkmcnt(0)
	v_fma_f64 v[1:2], v[74:75], v[76:77], v[1:2]
	s_and_not1_b32 exec_lo, exec_lo, s1
	s_cbranch_execnz .LBB95_101
; %bb.102:
	s_or_b32 exec_lo, exec_lo, s1
	v_mov_b32_e32 v71, 0
	ds_load_b64 v[71:72], v71 offset:184
	s_waitcnt lgkmcnt(0)
	v_mul_f64 v[1:2], v[1:2], v[71:72]
	scratch_store_b64 off, v[1:2], off offset:184
.LBB95_103:
	s_or_b32 exec_lo, exec_lo, s0
	s_waitcnt_vscnt null, 0x0
	s_barrier
	buffer_gl0_inv
	scratch_load_b64 v[1:2], off, off offset:192
	s_mov_b32 s0, exec_lo
	s_waitcnt vmcnt(0)
	ds_store_b64 v69, v[1:2]
	s_waitcnt lgkmcnt(0)
	s_barrier
	buffer_gl0_inv
	v_cmpx_gt_u32_e32 24, v0
	s_cbranch_execz .LBB95_107
; %bb.104:
	v_dual_mov_b32 v1, 0 :: v_dual_add_nc_u32 v72, 0x100, v3
	v_dual_mov_b32 v2, 0 :: v_dual_add_nc_u32 v71, -1, v0
	v_add_nc_u32_e32 v73, 0, v3
	s_mov_b32 s1, 0
.LBB95_105:                             ; =>This Inner Loop Header: Depth=1
	scratch_load_b64 v[74:75], v73, off
	ds_load_b64 v[76:77], v72
	v_add_nc_u32_e32 v71, 1, v71
	v_add_nc_u32_e32 v72, 8, v72
	v_add_nc_u32_e32 v73, 8, v73
	s_delay_alu instid0(VALU_DEP_3)
	v_cmp_lt_u32_e32 vcc_lo, 22, v71
	s_or_b32 s1, vcc_lo, s1
	s_waitcnt vmcnt(0) lgkmcnt(0)
	v_fma_f64 v[1:2], v[74:75], v[76:77], v[1:2]
	s_and_not1_b32 exec_lo, exec_lo, s1
	s_cbranch_execnz .LBB95_105
; %bb.106:
	s_or_b32 exec_lo, exec_lo, s1
	v_mov_b32_e32 v71, 0
	ds_load_b64 v[71:72], v71 offset:192
	s_waitcnt lgkmcnt(0)
	v_mul_f64 v[1:2], v[1:2], v[71:72]
	scratch_store_b64 off, v[1:2], off offset:192
.LBB95_107:
	s_or_b32 exec_lo, exec_lo, s0
	s_waitcnt_vscnt null, 0x0
	s_barrier
	buffer_gl0_inv
	scratch_load_b64 v[1:2], off, off offset:200
	;; [unrolled: 39-line block ×8, first 2 shown]
	s_mov_b32 s0, exec_lo
	s_waitcnt vmcnt(0)
	ds_store_b64 v69, v[1:2]
	s_waitcnt lgkmcnt(0)
	s_barrier
	buffer_gl0_inv
	v_cmpx_ne_u32_e32 31, v0
	s_cbranch_execz .LBB95_135
; %bb.132:
	v_mov_b32_e32 v1, 0
	v_mov_b32_e32 v2, 0
	s_mov_b32 s1, 0
.LBB95_133:                             ; =>This Inner Loop Header: Depth=1
	scratch_load_b64 v[71:72], v68, off
	ds_load_b64 v[73:74], v69
	v_add_nc_u32_e32 v70, 1, v70
	v_add_nc_u32_e32 v69, 8, v69
	v_add_nc_u32_e32 v68, 8, v68
	s_delay_alu instid0(VALU_DEP_3)
	v_cmp_lt_u32_e32 vcc_lo, 29, v70
	s_or_b32 s1, vcc_lo, s1
	s_waitcnt vmcnt(0) lgkmcnt(0)
	v_fma_f64 v[1:2], v[71:72], v[73:74], v[1:2]
	s_and_not1_b32 exec_lo, exec_lo, s1
	s_cbranch_execnz .LBB95_133
; %bb.134:
	s_or_b32 exec_lo, exec_lo, s1
	v_mov_b32_e32 v3, 0
	ds_load_b64 v[68:69], v3 offset:248
	s_waitcnt lgkmcnt(0)
	v_mul_f64 v[1:2], v[1:2], v[68:69]
	scratch_store_b64 off, v[1:2], off offset:248
.LBB95_135:
	s_or_b32 exec_lo, exec_lo, s0
	s_mov_b32 s1, -1
	s_waitcnt_vscnt null, 0x0
	s_barrier
	buffer_gl0_inv
.LBB95_136:
	s_and_b32 vcc_lo, exec_lo, s1
	s_cbranch_vccz .LBB95_138
; %bb.137:
	s_lshl_b64 s[0:1], s[8:9], 2
	v_mov_b32_e32 v1, 0
	s_add_u32 s0, s6, s0
	s_addc_u32 s1, s7, s1
	global_load_b32 v1, v1, s[0:1]
	s_waitcnt vmcnt(0)
	v_cmp_ne_u32_e32 vcc_lo, 0, v1
	s_cbranch_vccz .LBB95_139
.LBB95_138:
	s_endpgm
.LBB95_139:
	v_lshl_add_u32 v3, v0, 3, 0x100
	s_mov_b32 s0, exec_lo
	v_cmpx_eq_u32_e32 31, v0
	s_cbranch_execz .LBB95_141
; %bb.140:
	scratch_load_b64 v[1:2], off, off offset:240
	v_mov_b32_e32 v68, 0
	s_delay_alu instid0(VALU_DEP_1)
	v_mov_b32_e32 v69, v68
	scratch_store_b64 off, v[68:69], off offset:240
	s_waitcnt vmcnt(0)
	ds_store_b64 v3, v[1:2]
.LBB95_141:
	s_or_b32 exec_lo, exec_lo, s0
	s_waitcnt lgkmcnt(0)
	s_waitcnt_vscnt null, 0x0
	s_barrier
	buffer_gl0_inv
	scratch_load_b128 v[68:71], off, off offset:240
	v_mov_b32_e32 v1, 0
	s_mov_b32 s0, exec_lo
	ds_load_b64 v[72:73], v1 offset:504
	s_waitcnt vmcnt(0) lgkmcnt(0)
	v_fma_f64 v[70:71], v[70:71], v[72:73], 0
	s_delay_alu instid0(VALU_DEP_1)
	v_add_f64 v[68:69], v[68:69], -v[70:71]
	scratch_store_b64 off, v[68:69], off offset:240
	v_cmpx_lt_u32_e32 29, v0
	s_cbranch_execz .LBB95_143
; %bb.142:
	scratch_load_b64 v[68:69], off, off offset:232
	v_mov_b32_e32 v2, v1
	scratch_store_b64 off, v[1:2], off offset:232
	s_waitcnt vmcnt(0)
	ds_store_b64 v3, v[68:69]
.LBB95_143:
	s_or_b32 exec_lo, exec_lo, s0
	s_waitcnt lgkmcnt(0)
	s_waitcnt_vscnt null, 0x0
	s_barrier
	buffer_gl0_inv
	s_clause 0x1
	scratch_load_b128 v[68:71], off, off offset:232
	scratch_load_b64 v[76:77], off, off offset:248
	ds_load_b128 v[72:75], v1 offset:496
	s_mov_b32 s0, exec_lo
	s_waitcnt vmcnt(1) lgkmcnt(0)
	v_fma_f64 v[1:2], v[70:71], v[72:73], 0
	s_waitcnt vmcnt(0)
	s_delay_alu instid0(VALU_DEP_1) | instskip(NEXT) | instid1(VALU_DEP_1)
	v_fma_f64 v[1:2], v[76:77], v[74:75], v[1:2]
	v_add_f64 v[1:2], v[68:69], -v[1:2]
	scratch_store_b64 off, v[1:2], off offset:232
	v_cmpx_lt_u32_e32 28, v0
	s_cbranch_execz .LBB95_145
; %bb.144:
	scratch_load_b64 v[1:2], off, off offset:224
	v_mov_b32_e32 v68, 0
	s_delay_alu instid0(VALU_DEP_1)
	v_mov_b32_e32 v69, v68
	scratch_store_b64 off, v[68:69], off offset:224
	s_waitcnt vmcnt(0)
	ds_store_b64 v3, v[1:2]
.LBB95_145:
	s_or_b32 exec_lo, exec_lo, s0
	s_waitcnt lgkmcnt(0)
	s_waitcnt_vscnt null, 0x0
	s_barrier
	buffer_gl0_inv
	s_clause 0x1
	scratch_load_b128 v[68:71], off, off offset:224
	scratch_load_b128 v[72:75], off, off offset:240
	v_mov_b32_e32 v1, 0
	ds_load_2addr_b64 v[76:79], v1 offset0:61 offset1:62
	ds_load_b64 v[80:81], v1 offset:504
	s_mov_b32 s0, exec_lo
	s_waitcnt vmcnt(1) lgkmcnt(1)
	v_fma_f64 v[70:71], v[70:71], v[76:77], 0
	s_waitcnt vmcnt(0)
	s_delay_alu instid0(VALU_DEP_1) | instskip(SKIP_1) | instid1(VALU_DEP_1)
	v_fma_f64 v[70:71], v[72:73], v[78:79], v[70:71]
	s_waitcnt lgkmcnt(0)
	v_fma_f64 v[70:71], v[74:75], v[80:81], v[70:71]
	s_delay_alu instid0(VALU_DEP_1)
	v_add_f64 v[68:69], v[68:69], -v[70:71]
	scratch_store_b64 off, v[68:69], off offset:224
	v_cmpx_lt_u32_e32 27, v0
	s_cbranch_execz .LBB95_147
; %bb.146:
	scratch_load_b64 v[68:69], off, off offset:216
	v_mov_b32_e32 v2, v1
	scratch_store_b64 off, v[1:2], off offset:216
	s_waitcnt vmcnt(0)
	ds_store_b64 v3, v[68:69]
.LBB95_147:
	s_or_b32 exec_lo, exec_lo, s0
	s_waitcnt lgkmcnt(0)
	s_waitcnt_vscnt null, 0x0
	s_barrier
	buffer_gl0_inv
	s_clause 0x2
	scratch_load_b128 v[68:71], off, off offset:216
	scratch_load_b128 v[72:75], off, off offset:232
	scratch_load_b64 v[84:85], off, off offset:248
	ds_load_b128 v[76:79], v1 offset:480
	ds_load_b128 v[80:83], v1 offset:496
	s_mov_b32 s0, exec_lo
	s_waitcnt vmcnt(2) lgkmcnt(1)
	v_fma_f64 v[1:2], v[70:71], v[76:77], 0
	s_waitcnt vmcnt(1)
	s_delay_alu instid0(VALU_DEP_1) | instskip(SKIP_1) | instid1(VALU_DEP_1)
	v_fma_f64 v[1:2], v[72:73], v[78:79], v[1:2]
	s_waitcnt lgkmcnt(0)
	v_fma_f64 v[1:2], v[74:75], v[80:81], v[1:2]
	s_waitcnt vmcnt(0)
	s_delay_alu instid0(VALU_DEP_1) | instskip(NEXT) | instid1(VALU_DEP_1)
	v_fma_f64 v[1:2], v[84:85], v[82:83], v[1:2]
	v_add_f64 v[1:2], v[68:69], -v[1:2]
	scratch_store_b64 off, v[1:2], off offset:216
	v_cmpx_lt_u32_e32 26, v0
	s_cbranch_execz .LBB95_149
; %bb.148:
	scratch_load_b64 v[1:2], off, off offset:208
	v_mov_b32_e32 v68, 0
	s_delay_alu instid0(VALU_DEP_1)
	v_mov_b32_e32 v69, v68
	scratch_store_b64 off, v[68:69], off offset:208
	s_waitcnt vmcnt(0)
	ds_store_b64 v3, v[1:2]
.LBB95_149:
	s_or_b32 exec_lo, exec_lo, s0
	s_waitcnt lgkmcnt(0)
	s_waitcnt_vscnt null, 0x0
	s_barrier
	buffer_gl0_inv
	s_clause 0x2
	scratch_load_b128 v[68:71], off, off offset:208
	scratch_load_b128 v[72:75], off, off offset:224
	;; [unrolled: 1-line block ×3, first 2 shown]
	v_mov_b32_e32 v1, 0
	ds_load_2addr_b64 v[80:83], v1 offset0:59 offset1:60
	ds_load_2addr_b64 v[84:87], v1 offset0:61 offset1:62
	s_mov_b32 s0, exec_lo
	s_waitcnt vmcnt(2) lgkmcnt(1)
	v_fma_f64 v[70:71], v[70:71], v[80:81], 0
	s_waitcnt vmcnt(1)
	s_delay_alu instid0(VALU_DEP_1) | instskip(SKIP_4) | instid1(VALU_DEP_1)
	v_fma_f64 v[70:71], v[72:73], v[82:83], v[70:71]
	ds_load_b64 v[72:73], v1 offset:504
	s_waitcnt lgkmcnt(1)
	v_fma_f64 v[70:71], v[74:75], v[84:85], v[70:71]
	s_waitcnt vmcnt(0)
	v_fma_f64 v[70:71], v[76:77], v[86:87], v[70:71]
	s_waitcnt lgkmcnt(0)
	s_delay_alu instid0(VALU_DEP_1) | instskip(NEXT) | instid1(VALU_DEP_1)
	v_fma_f64 v[70:71], v[78:79], v[72:73], v[70:71]
	v_add_f64 v[68:69], v[68:69], -v[70:71]
	scratch_store_b64 off, v[68:69], off offset:208
	v_cmpx_lt_u32_e32 25, v0
	s_cbranch_execz .LBB95_151
; %bb.150:
	scratch_load_b64 v[68:69], off, off offset:200
	v_mov_b32_e32 v2, v1
	scratch_store_b64 off, v[1:2], off offset:200
	s_waitcnt vmcnt(0)
	ds_store_b64 v3, v[68:69]
.LBB95_151:
	s_or_b32 exec_lo, exec_lo, s0
	s_waitcnt lgkmcnt(0)
	s_waitcnt_vscnt null, 0x0
	s_barrier
	buffer_gl0_inv
	s_clause 0x3
	scratch_load_b128 v[68:71], off, off offset:200
	scratch_load_b128 v[72:75], off, off offset:216
	;; [unrolled: 1-line block ×3, first 2 shown]
	scratch_load_b64 v[88:89], off, off offset:248
	ds_load_b128 v[80:83], v1 offset:464
	ds_load_b128 v[84:87], v1 offset:480
	s_mov_b32 s0, exec_lo
	s_waitcnt vmcnt(3) lgkmcnt(1)
	v_fma_f64 v[70:71], v[70:71], v[80:81], 0
	s_waitcnt vmcnt(2)
	s_delay_alu instid0(VALU_DEP_1) | instskip(SKIP_1) | instid1(VALU_DEP_1)
	v_fma_f64 v[70:71], v[72:73], v[82:83], v[70:71]
	s_waitcnt lgkmcnt(0)
	v_fma_f64 v[70:71], v[74:75], v[84:85], v[70:71]
	s_waitcnt vmcnt(1)
	s_delay_alu instid0(VALU_DEP_1) | instskip(SKIP_4) | instid1(VALU_DEP_1)
	v_fma_f64 v[74:75], v[76:77], v[86:87], v[70:71]
	ds_load_b128 v[70:73], v1 offset:496
	s_waitcnt lgkmcnt(0)
	v_fma_f64 v[1:2], v[78:79], v[70:71], v[74:75]
	s_waitcnt vmcnt(0)
	v_fma_f64 v[1:2], v[88:89], v[72:73], v[1:2]
	s_delay_alu instid0(VALU_DEP_1)
	v_add_f64 v[1:2], v[68:69], -v[1:2]
	scratch_store_b64 off, v[1:2], off offset:200
	v_cmpx_lt_u32_e32 24, v0
	s_cbranch_execz .LBB95_153
; %bb.152:
	scratch_load_b64 v[1:2], off, off offset:192
	v_mov_b32_e32 v68, 0
	s_delay_alu instid0(VALU_DEP_1)
	v_mov_b32_e32 v69, v68
	scratch_store_b64 off, v[68:69], off offset:192
	s_waitcnt vmcnt(0)
	ds_store_b64 v3, v[1:2]
.LBB95_153:
	s_or_b32 exec_lo, exec_lo, s0
	s_waitcnt lgkmcnt(0)
	s_waitcnt_vscnt null, 0x0
	s_barrier
	buffer_gl0_inv
	s_clause 0x3
	scratch_load_b128 v[68:71], off, off offset:192
	scratch_load_b128 v[72:75], off, off offset:208
	;; [unrolled: 1-line block ×4, first 2 shown]
	v_mov_b32_e32 v1, 0
	ds_load_2addr_b64 v[84:87], v1 offset0:57 offset1:58
	ds_load_2addr_b64 v[88:91], v1 offset0:59 offset1:60
	s_mov_b32 s0, exec_lo
	s_waitcnt vmcnt(3) lgkmcnt(1)
	v_fma_f64 v[70:71], v[70:71], v[84:85], 0
	s_waitcnt vmcnt(2)
	s_delay_alu instid0(VALU_DEP_1) | instskip(SKIP_1) | instid1(VALU_DEP_1)
	v_fma_f64 v[70:71], v[72:73], v[86:87], v[70:71]
	s_waitcnt lgkmcnt(0)
	v_fma_f64 v[70:71], v[74:75], v[88:89], v[70:71]
	s_waitcnt vmcnt(1)
	s_delay_alu instid0(VALU_DEP_1)
	v_fma_f64 v[74:75], v[76:77], v[90:91], v[70:71]
	ds_load_2addr_b64 v[70:73], v1 offset0:61 offset1:62
	ds_load_b64 v[76:77], v1 offset:504
	s_waitcnt lgkmcnt(1)
	v_fma_f64 v[70:71], v[78:79], v[70:71], v[74:75]
	s_waitcnt vmcnt(0)
	s_delay_alu instid0(VALU_DEP_1) | instskip(SKIP_1) | instid1(VALU_DEP_1)
	v_fma_f64 v[70:71], v[80:81], v[72:73], v[70:71]
	s_waitcnt lgkmcnt(0)
	v_fma_f64 v[70:71], v[82:83], v[76:77], v[70:71]
	s_delay_alu instid0(VALU_DEP_1)
	v_add_f64 v[68:69], v[68:69], -v[70:71]
	scratch_store_b64 off, v[68:69], off offset:192
	v_cmpx_lt_u32_e32 23, v0
	s_cbranch_execz .LBB95_155
; %bb.154:
	scratch_load_b64 v[68:69], off, off offset:184
	v_mov_b32_e32 v2, v1
	scratch_store_b64 off, v[1:2], off offset:184
	s_waitcnt vmcnt(0)
	ds_store_b64 v3, v[68:69]
.LBB95_155:
	s_or_b32 exec_lo, exec_lo, s0
	s_waitcnt lgkmcnt(0)
	s_waitcnt_vscnt null, 0x0
	s_barrier
	buffer_gl0_inv
	s_clause 0x4
	scratch_load_b128 v[68:71], off, off offset:184
	scratch_load_b128 v[72:75], off, off offset:200
	;; [unrolled: 1-line block ×4, first 2 shown]
	scratch_load_b64 v[92:93], off, off offset:248
	ds_load_b128 v[84:87], v1 offset:448
	ds_load_b128 v[88:91], v1 offset:464
	s_mov_b32 s0, exec_lo
	s_waitcnt vmcnt(4) lgkmcnt(1)
	v_fma_f64 v[70:71], v[70:71], v[84:85], 0
	s_waitcnt vmcnt(3)
	s_delay_alu instid0(VALU_DEP_1) | instskip(SKIP_1) | instid1(VALU_DEP_1)
	v_fma_f64 v[70:71], v[72:73], v[86:87], v[70:71]
	s_waitcnt lgkmcnt(0)
	v_fma_f64 v[70:71], v[74:75], v[88:89], v[70:71]
	s_waitcnt vmcnt(2)
	s_delay_alu instid0(VALU_DEP_1)
	v_fma_f64 v[84:85], v[76:77], v[90:91], v[70:71]
	ds_load_b128 v[70:73], v1 offset:480
	ds_load_b128 v[74:77], v1 offset:496
	s_waitcnt lgkmcnt(1)
	v_fma_f64 v[1:2], v[78:79], v[70:71], v[84:85]
	s_waitcnt vmcnt(1)
	s_delay_alu instid0(VALU_DEP_1) | instskip(SKIP_1) | instid1(VALU_DEP_1)
	v_fma_f64 v[1:2], v[80:81], v[72:73], v[1:2]
	s_waitcnt lgkmcnt(0)
	v_fma_f64 v[1:2], v[82:83], v[74:75], v[1:2]
	s_waitcnt vmcnt(0)
	s_delay_alu instid0(VALU_DEP_1) | instskip(NEXT) | instid1(VALU_DEP_1)
	v_fma_f64 v[1:2], v[92:93], v[76:77], v[1:2]
	v_add_f64 v[1:2], v[68:69], -v[1:2]
	scratch_store_b64 off, v[1:2], off offset:184
	v_cmpx_lt_u32_e32 22, v0
	s_cbranch_execz .LBB95_157
; %bb.156:
	scratch_load_b64 v[1:2], off, off offset:176
	v_mov_b32_e32 v68, 0
	s_delay_alu instid0(VALU_DEP_1)
	v_mov_b32_e32 v69, v68
	scratch_store_b64 off, v[68:69], off offset:176
	s_waitcnt vmcnt(0)
	ds_store_b64 v3, v[1:2]
.LBB95_157:
	s_or_b32 exec_lo, exec_lo, s0
	s_waitcnt lgkmcnt(0)
	s_waitcnt_vscnt null, 0x0
	s_barrier
	buffer_gl0_inv
	s_clause 0x4
	scratch_load_b128 v[68:71], off, off offset:176
	scratch_load_b128 v[72:75], off, off offset:192
	;; [unrolled: 1-line block ×5, first 2 shown]
	v_mov_b32_e32 v1, 0
	s_mov_b32 s0, exec_lo
	ds_load_2addr_b64 v[88:91], v1 offset0:55 offset1:56
	s_waitcnt vmcnt(4) lgkmcnt(0)
	v_fma_f64 v[70:71], v[70:71], v[88:89], 0
	s_waitcnt vmcnt(3)
	s_delay_alu instid0(VALU_DEP_1) | instskip(SKIP_4) | instid1(VALU_DEP_1)
	v_fma_f64 v[88:89], v[72:73], v[90:91], v[70:71]
	ds_load_2addr_b64 v[70:73], v1 offset0:57 offset1:58
	s_waitcnt lgkmcnt(0)
	v_fma_f64 v[70:71], v[74:75], v[70:71], v[88:89]
	s_waitcnt vmcnt(2)
	v_fma_f64 v[74:75], v[76:77], v[72:73], v[70:71]
	ds_load_2addr_b64 v[70:73], v1 offset0:59 offset1:60
	s_waitcnt lgkmcnt(0)
	v_fma_f64 v[70:71], v[78:79], v[70:71], v[74:75]
	s_waitcnt vmcnt(1)
	s_delay_alu instid0(VALU_DEP_1) | instskip(SKIP_4) | instid1(VALU_DEP_1)
	v_fma_f64 v[74:75], v[80:81], v[72:73], v[70:71]
	ds_load_2addr_b64 v[70:73], v1 offset0:61 offset1:62
	s_waitcnt lgkmcnt(0)
	v_fma_f64 v[70:71], v[82:83], v[70:71], v[74:75]
	s_waitcnt vmcnt(0)
	v_fma_f64 v[70:71], v[84:85], v[72:73], v[70:71]
	ds_load_b64 v[72:73], v1 offset:504
	s_waitcnt lgkmcnt(0)
	v_fma_f64 v[70:71], v[86:87], v[72:73], v[70:71]
	s_delay_alu instid0(VALU_DEP_1)
	v_add_f64 v[68:69], v[68:69], -v[70:71]
	scratch_store_b64 off, v[68:69], off offset:176
	v_cmpx_lt_u32_e32 21, v0
	s_cbranch_execz .LBB95_159
; %bb.158:
	scratch_load_b64 v[68:69], off, off offset:168
	v_mov_b32_e32 v2, v1
	scratch_store_b64 off, v[1:2], off offset:168
	s_waitcnt vmcnt(0)
	ds_store_b64 v3, v[68:69]
.LBB95_159:
	s_or_b32 exec_lo, exec_lo, s0
	s_waitcnt lgkmcnt(0)
	s_waitcnt_vscnt null, 0x0
	s_barrier
	buffer_gl0_inv
	s_clause 0x4
	scratch_load_b128 v[68:71], off, off offset:168
	scratch_load_b128 v[72:75], off, off offset:184
	;; [unrolled: 1-line block ×5, first 2 shown]
	ds_load_b128 v[88:91], v1 offset:432
	s_mov_b32 s0, exec_lo
	s_waitcnt vmcnt(4) lgkmcnt(0)
	v_fma_f64 v[70:71], v[70:71], v[88:89], 0
	scratch_load_b64 v[88:89], off, off offset:248
	s_waitcnt vmcnt(4)
	v_fma_f64 v[90:91], v[72:73], v[90:91], v[70:71]
	ds_load_b128 v[70:73], v1 offset:448
	s_waitcnt lgkmcnt(0)
	v_fma_f64 v[70:71], v[74:75], v[70:71], v[90:91]
	s_waitcnt vmcnt(3)
	s_delay_alu instid0(VALU_DEP_1) | instskip(SKIP_4) | instid1(VALU_DEP_1)
	v_fma_f64 v[74:75], v[76:77], v[72:73], v[70:71]
	ds_load_b128 v[70:73], v1 offset:464
	s_waitcnt lgkmcnt(0)
	v_fma_f64 v[70:71], v[78:79], v[70:71], v[74:75]
	s_waitcnt vmcnt(2)
	v_fma_f64 v[74:75], v[80:81], v[72:73], v[70:71]
	ds_load_b128 v[70:73], v1 offset:480
	s_waitcnt lgkmcnt(0)
	v_fma_f64 v[70:71], v[82:83], v[70:71], v[74:75]
	s_waitcnt vmcnt(1)
	s_delay_alu instid0(VALU_DEP_1) | instskip(SKIP_4) | instid1(VALU_DEP_1)
	v_fma_f64 v[74:75], v[84:85], v[72:73], v[70:71]
	ds_load_b128 v[70:73], v1 offset:496
	s_waitcnt lgkmcnt(0)
	v_fma_f64 v[1:2], v[86:87], v[70:71], v[74:75]
	s_waitcnt vmcnt(0)
	v_fma_f64 v[1:2], v[88:89], v[72:73], v[1:2]
	s_delay_alu instid0(VALU_DEP_1)
	v_add_f64 v[1:2], v[68:69], -v[1:2]
	scratch_store_b64 off, v[1:2], off offset:168
	v_cmpx_lt_u32_e32 20, v0
	s_cbranch_execz .LBB95_161
; %bb.160:
	scratch_load_b64 v[1:2], off, off offset:160
	v_mov_b32_e32 v68, 0
	s_delay_alu instid0(VALU_DEP_1)
	v_mov_b32_e32 v69, v68
	scratch_store_b64 off, v[68:69], off offset:160
	s_waitcnt vmcnt(0)
	ds_store_b64 v3, v[1:2]
.LBB95_161:
	s_or_b32 exec_lo, exec_lo, s0
	s_waitcnt lgkmcnt(0)
	s_waitcnt_vscnt null, 0x0
	s_barrier
	buffer_gl0_inv
	s_clause 0x4
	scratch_load_b128 v[68:71], off, off offset:160
	scratch_load_b128 v[72:75], off, off offset:176
	;; [unrolled: 1-line block ×5, first 2 shown]
	v_mov_b32_e32 v1, 0
	scratch_load_b128 v[92:95], off, off offset:240
	s_mov_b32 s0, exec_lo
	ds_load_2addr_b64 v[88:91], v1 offset0:53 offset1:54
	s_waitcnt vmcnt(5) lgkmcnt(0)
	v_fma_f64 v[70:71], v[70:71], v[88:89], 0
	s_waitcnt vmcnt(4)
	s_delay_alu instid0(VALU_DEP_1) | instskip(SKIP_4) | instid1(VALU_DEP_1)
	v_fma_f64 v[88:89], v[72:73], v[90:91], v[70:71]
	ds_load_2addr_b64 v[70:73], v1 offset0:55 offset1:56
	s_waitcnt lgkmcnt(0)
	v_fma_f64 v[70:71], v[74:75], v[70:71], v[88:89]
	s_waitcnt vmcnt(3)
	v_fma_f64 v[74:75], v[76:77], v[72:73], v[70:71]
	ds_load_2addr_b64 v[70:73], v1 offset0:57 offset1:58
	s_waitcnt lgkmcnt(0)
	v_fma_f64 v[70:71], v[78:79], v[70:71], v[74:75]
	s_waitcnt vmcnt(2)
	s_delay_alu instid0(VALU_DEP_1) | instskip(SKIP_4) | instid1(VALU_DEP_1)
	v_fma_f64 v[74:75], v[80:81], v[72:73], v[70:71]
	ds_load_2addr_b64 v[70:73], v1 offset0:59 offset1:60
	s_waitcnt lgkmcnt(0)
	v_fma_f64 v[70:71], v[82:83], v[70:71], v[74:75]
	s_waitcnt vmcnt(1)
	v_fma_f64 v[74:75], v[84:85], v[72:73], v[70:71]
	ds_load_2addr_b64 v[70:73], v1 offset0:61 offset1:62
	s_waitcnt lgkmcnt(0)
	v_fma_f64 v[70:71], v[86:87], v[70:71], v[74:75]
	s_waitcnt vmcnt(0)
	s_delay_alu instid0(VALU_DEP_1) | instskip(SKIP_3) | instid1(VALU_DEP_1)
	v_fma_f64 v[70:71], v[92:93], v[72:73], v[70:71]
	ds_load_b64 v[72:73], v1 offset:504
	s_waitcnt lgkmcnt(0)
	v_fma_f64 v[70:71], v[94:95], v[72:73], v[70:71]
	v_add_f64 v[68:69], v[68:69], -v[70:71]
	scratch_store_b64 off, v[68:69], off offset:160
	v_cmpx_lt_u32_e32 19, v0
	s_cbranch_execz .LBB95_163
; %bb.162:
	scratch_load_b64 v[68:69], off, off offset:152
	v_mov_b32_e32 v2, v1
	scratch_store_b64 off, v[1:2], off offset:152
	s_waitcnt vmcnt(0)
	ds_store_b64 v3, v[68:69]
.LBB95_163:
	s_or_b32 exec_lo, exec_lo, s0
	s_waitcnt lgkmcnt(0)
	s_waitcnt_vscnt null, 0x0
	s_barrier
	buffer_gl0_inv
	s_clause 0x4
	scratch_load_b128 v[68:71], off, off offset:152
	scratch_load_b128 v[72:75], off, off offset:168
	;; [unrolled: 1-line block ×5, first 2 shown]
	ds_load_b128 v[88:91], v1 offset:416
	scratch_load_b128 v[92:95], off, off offset:232
	s_mov_b32 s0, exec_lo
	s_waitcnt vmcnt(5) lgkmcnt(0)
	v_fma_f64 v[70:71], v[70:71], v[88:89], 0
	s_waitcnt vmcnt(4)
	s_delay_alu instid0(VALU_DEP_1)
	v_fma_f64 v[88:89], v[72:73], v[90:91], v[70:71]
	ds_load_b128 v[70:73], v1 offset:432
	s_waitcnt lgkmcnt(0)
	v_fma_f64 v[70:71], v[74:75], v[70:71], v[88:89]
	scratch_load_b64 v[74:75], off, off offset:248
	s_waitcnt vmcnt(4)
	v_fma_f64 v[76:77], v[76:77], v[72:73], v[70:71]
	ds_load_b128 v[70:73], v1 offset:448
	s_waitcnt lgkmcnt(0)
	v_fma_f64 v[70:71], v[78:79], v[70:71], v[76:77]
	s_waitcnt vmcnt(3)
	s_delay_alu instid0(VALU_DEP_1) | instskip(SKIP_4) | instid1(VALU_DEP_1)
	v_fma_f64 v[76:77], v[80:81], v[72:73], v[70:71]
	ds_load_b128 v[70:73], v1 offset:464
	s_waitcnt lgkmcnt(0)
	v_fma_f64 v[70:71], v[82:83], v[70:71], v[76:77]
	s_waitcnt vmcnt(2)
	v_fma_f64 v[76:77], v[84:85], v[72:73], v[70:71]
	ds_load_b128 v[70:73], v1 offset:480
	s_waitcnt lgkmcnt(0)
	v_fma_f64 v[70:71], v[86:87], v[70:71], v[76:77]
	s_waitcnt vmcnt(1)
	s_delay_alu instid0(VALU_DEP_1) | instskip(SKIP_4) | instid1(VALU_DEP_1)
	v_fma_f64 v[76:77], v[92:93], v[72:73], v[70:71]
	ds_load_b128 v[70:73], v1 offset:496
	s_waitcnt lgkmcnt(0)
	v_fma_f64 v[1:2], v[94:95], v[70:71], v[76:77]
	s_waitcnt vmcnt(0)
	v_fma_f64 v[1:2], v[74:75], v[72:73], v[1:2]
	s_delay_alu instid0(VALU_DEP_1)
	v_add_f64 v[1:2], v[68:69], -v[1:2]
	scratch_store_b64 off, v[1:2], off offset:152
	v_cmpx_lt_u32_e32 18, v0
	s_cbranch_execz .LBB95_165
; %bb.164:
	scratch_load_b64 v[1:2], off, off offset:144
	v_mov_b32_e32 v68, 0
	s_delay_alu instid0(VALU_DEP_1)
	v_mov_b32_e32 v69, v68
	scratch_store_b64 off, v[68:69], off offset:144
	s_waitcnt vmcnt(0)
	ds_store_b64 v3, v[1:2]
.LBB95_165:
	s_or_b32 exec_lo, exec_lo, s0
	s_waitcnt lgkmcnt(0)
	s_waitcnt_vscnt null, 0x0
	s_barrier
	buffer_gl0_inv
	s_clause 0x4
	scratch_load_b128 v[68:71], off, off offset:144
	scratch_load_b128 v[72:75], off, off offset:160
	scratch_load_b128 v[76:79], off, off offset:176
	scratch_load_b128 v[80:83], off, off offset:192
	scratch_load_b128 v[84:87], off, off offset:208
	v_mov_b32_e32 v1, 0
	scratch_load_b128 v[92:95], off, off offset:224
	s_mov_b32 s0, exec_lo
	ds_load_2addr_b64 v[88:91], v1 offset0:51 offset1:52
	s_waitcnt vmcnt(5) lgkmcnt(0)
	v_fma_f64 v[70:71], v[70:71], v[88:89], 0
	s_waitcnt vmcnt(4)
	s_delay_alu instid0(VALU_DEP_1)
	v_fma_f64 v[88:89], v[72:73], v[90:91], v[70:71]
	ds_load_2addr_b64 v[70:73], v1 offset0:53 offset1:54
	s_waitcnt lgkmcnt(0)
	v_fma_f64 v[70:71], v[74:75], v[70:71], v[88:89]
	scratch_load_b128 v[88:91], off, off offset:240
	s_waitcnt vmcnt(4)
	v_fma_f64 v[74:75], v[76:77], v[72:73], v[70:71]
	ds_load_2addr_b64 v[70:73], v1 offset0:55 offset1:56
	s_waitcnt lgkmcnt(0)
	v_fma_f64 v[70:71], v[78:79], v[70:71], v[74:75]
	s_waitcnt vmcnt(3)
	s_delay_alu instid0(VALU_DEP_1) | instskip(SKIP_4) | instid1(VALU_DEP_1)
	v_fma_f64 v[74:75], v[80:81], v[72:73], v[70:71]
	ds_load_2addr_b64 v[70:73], v1 offset0:57 offset1:58
	s_waitcnt lgkmcnt(0)
	v_fma_f64 v[70:71], v[82:83], v[70:71], v[74:75]
	s_waitcnt vmcnt(2)
	v_fma_f64 v[74:75], v[84:85], v[72:73], v[70:71]
	ds_load_2addr_b64 v[70:73], v1 offset0:59 offset1:60
	s_waitcnt lgkmcnt(0)
	v_fma_f64 v[70:71], v[86:87], v[70:71], v[74:75]
	s_waitcnt vmcnt(1)
	s_delay_alu instid0(VALU_DEP_1) | instskip(SKIP_4) | instid1(VALU_DEP_1)
	v_fma_f64 v[74:75], v[92:93], v[72:73], v[70:71]
	ds_load_2addr_b64 v[70:73], v1 offset0:61 offset1:62
	s_waitcnt lgkmcnt(0)
	v_fma_f64 v[70:71], v[94:95], v[70:71], v[74:75]
	s_waitcnt vmcnt(0)
	v_fma_f64 v[70:71], v[88:89], v[72:73], v[70:71]
	ds_load_b64 v[72:73], v1 offset:504
	s_waitcnt lgkmcnt(0)
	v_fma_f64 v[70:71], v[90:91], v[72:73], v[70:71]
	s_delay_alu instid0(VALU_DEP_1)
	v_add_f64 v[68:69], v[68:69], -v[70:71]
	scratch_store_b64 off, v[68:69], off offset:144
	v_cmpx_lt_u32_e32 17, v0
	s_cbranch_execz .LBB95_167
; %bb.166:
	scratch_load_b64 v[68:69], off, off offset:136
	v_mov_b32_e32 v2, v1
	scratch_store_b64 off, v[1:2], off offset:136
	s_waitcnt vmcnt(0)
	ds_store_b64 v3, v[68:69]
.LBB95_167:
	s_or_b32 exec_lo, exec_lo, s0
	s_waitcnt lgkmcnt(0)
	s_waitcnt_vscnt null, 0x0
	s_barrier
	buffer_gl0_inv
	s_clause 0x4
	scratch_load_b128 v[68:71], off, off offset:136
	scratch_load_b128 v[72:75], off, off offset:152
	;; [unrolled: 1-line block ×5, first 2 shown]
	ds_load_b128 v[88:91], v1 offset:400
	scratch_load_b128 v[92:95], off, off offset:216
	s_mov_b32 s0, exec_lo
	s_waitcnt vmcnt(5) lgkmcnt(0)
	v_fma_f64 v[70:71], v[70:71], v[88:89], 0
	s_waitcnt vmcnt(4)
	s_delay_alu instid0(VALU_DEP_1)
	v_fma_f64 v[88:89], v[72:73], v[90:91], v[70:71]
	ds_load_b128 v[70:73], v1 offset:416
	s_waitcnt lgkmcnt(0)
	v_fma_f64 v[70:71], v[74:75], v[70:71], v[88:89]
	scratch_load_b128 v[88:91], off, off offset:232
	s_waitcnt vmcnt(4)
	v_fma_f64 v[74:75], v[76:77], v[72:73], v[70:71]
	ds_load_b128 v[70:73], v1 offset:432
	s_waitcnt lgkmcnt(0)
	v_fma_f64 v[70:71], v[78:79], v[70:71], v[74:75]
	scratch_load_b64 v[74:75], off, off offset:248
	s_waitcnt vmcnt(4)
	v_fma_f64 v[76:77], v[80:81], v[72:73], v[70:71]
	ds_load_b128 v[70:73], v1 offset:448
	s_waitcnt lgkmcnt(0)
	v_fma_f64 v[70:71], v[82:83], v[70:71], v[76:77]
	s_waitcnt vmcnt(3)
	s_delay_alu instid0(VALU_DEP_1) | instskip(SKIP_4) | instid1(VALU_DEP_1)
	v_fma_f64 v[76:77], v[84:85], v[72:73], v[70:71]
	ds_load_b128 v[70:73], v1 offset:464
	s_waitcnt lgkmcnt(0)
	v_fma_f64 v[70:71], v[86:87], v[70:71], v[76:77]
	s_waitcnt vmcnt(2)
	v_fma_f64 v[76:77], v[92:93], v[72:73], v[70:71]
	ds_load_b128 v[70:73], v1 offset:480
	s_waitcnt lgkmcnt(0)
	v_fma_f64 v[70:71], v[94:95], v[70:71], v[76:77]
	s_waitcnt vmcnt(1)
	s_delay_alu instid0(VALU_DEP_1) | instskip(SKIP_4) | instid1(VALU_DEP_1)
	v_fma_f64 v[76:77], v[88:89], v[72:73], v[70:71]
	ds_load_b128 v[70:73], v1 offset:496
	s_waitcnt lgkmcnt(0)
	v_fma_f64 v[1:2], v[90:91], v[70:71], v[76:77]
	s_waitcnt vmcnt(0)
	v_fma_f64 v[1:2], v[74:75], v[72:73], v[1:2]
	s_delay_alu instid0(VALU_DEP_1)
	v_add_f64 v[1:2], v[68:69], -v[1:2]
	scratch_store_b64 off, v[1:2], off offset:136
	v_cmpx_lt_u32_e32 16, v0
	s_cbranch_execz .LBB95_169
; %bb.168:
	scratch_load_b64 v[1:2], off, off offset:128
	v_mov_b32_e32 v68, 0
	s_delay_alu instid0(VALU_DEP_1)
	v_mov_b32_e32 v69, v68
	scratch_store_b64 off, v[68:69], off offset:128
	s_waitcnt vmcnt(0)
	ds_store_b64 v3, v[1:2]
.LBB95_169:
	s_or_b32 exec_lo, exec_lo, s0
	s_waitcnt lgkmcnt(0)
	s_waitcnt_vscnt null, 0x0
	s_barrier
	buffer_gl0_inv
	s_clause 0x4
	scratch_load_b128 v[68:71], off, off offset:128
	scratch_load_b128 v[72:75], off, off offset:144
	scratch_load_b128 v[76:79], off, off offset:160
	scratch_load_b128 v[80:83], off, off offset:176
	scratch_load_b128 v[84:87], off, off offset:192
	v_mov_b32_e32 v1, 0
	scratch_load_b128 v[92:95], off, off offset:208
	s_mov_b32 s0, exec_lo
	ds_load_2addr_b64 v[88:91], v1 offset0:49 offset1:50
	s_waitcnt vmcnt(5) lgkmcnt(0)
	v_fma_f64 v[70:71], v[70:71], v[88:89], 0
	s_waitcnt vmcnt(4)
	s_delay_alu instid0(VALU_DEP_1)
	v_fma_f64 v[88:89], v[72:73], v[90:91], v[70:71]
	ds_load_2addr_b64 v[70:73], v1 offset0:51 offset1:52
	s_waitcnt lgkmcnt(0)
	v_fma_f64 v[70:71], v[74:75], v[70:71], v[88:89]
	scratch_load_b128 v[88:91], off, off offset:224
	s_waitcnt vmcnt(4)
	v_fma_f64 v[74:75], v[76:77], v[72:73], v[70:71]
	ds_load_2addr_b64 v[70:73], v1 offset0:53 offset1:54
	s_waitcnt lgkmcnt(0)
	v_fma_f64 v[70:71], v[78:79], v[70:71], v[74:75]
	scratch_load_b128 v[74:77], off, off offset:240
	s_waitcnt vmcnt(4)
	v_fma_f64 v[78:79], v[80:81], v[72:73], v[70:71]
	ds_load_2addr_b64 v[70:73], v1 offset0:55 offset1:56
	s_waitcnt lgkmcnt(0)
	v_fma_f64 v[70:71], v[82:83], v[70:71], v[78:79]
	s_waitcnt vmcnt(3)
	s_delay_alu instid0(VALU_DEP_1) | instskip(SKIP_4) | instid1(VALU_DEP_1)
	v_fma_f64 v[78:79], v[84:85], v[72:73], v[70:71]
	ds_load_2addr_b64 v[70:73], v1 offset0:57 offset1:58
	s_waitcnt lgkmcnt(0)
	v_fma_f64 v[70:71], v[86:87], v[70:71], v[78:79]
	s_waitcnt vmcnt(2)
	v_fma_f64 v[78:79], v[92:93], v[72:73], v[70:71]
	ds_load_2addr_b64 v[70:73], v1 offset0:59 offset1:60
	s_waitcnt lgkmcnt(0)
	v_fma_f64 v[70:71], v[94:95], v[70:71], v[78:79]
	s_waitcnt vmcnt(1)
	s_delay_alu instid0(VALU_DEP_1) | instskip(SKIP_4) | instid1(VALU_DEP_1)
	v_fma_f64 v[78:79], v[88:89], v[72:73], v[70:71]
	ds_load_2addr_b64 v[70:73], v1 offset0:61 offset1:62
	s_waitcnt lgkmcnt(0)
	v_fma_f64 v[70:71], v[90:91], v[70:71], v[78:79]
	s_waitcnt vmcnt(0)
	v_fma_f64 v[70:71], v[74:75], v[72:73], v[70:71]
	ds_load_b64 v[72:73], v1 offset:504
	s_waitcnt lgkmcnt(0)
	v_fma_f64 v[70:71], v[76:77], v[72:73], v[70:71]
	s_delay_alu instid0(VALU_DEP_1)
	v_add_f64 v[68:69], v[68:69], -v[70:71]
	scratch_store_b64 off, v[68:69], off offset:128
	v_cmpx_lt_u32_e32 15, v0
	s_cbranch_execz .LBB95_171
; %bb.170:
	scratch_load_b64 v[68:69], off, off offset:120
	v_mov_b32_e32 v2, v1
	scratch_store_b64 off, v[1:2], off offset:120
	s_waitcnt vmcnt(0)
	ds_store_b64 v3, v[68:69]
.LBB95_171:
	s_or_b32 exec_lo, exec_lo, s0
	s_waitcnt lgkmcnt(0)
	s_waitcnt_vscnt null, 0x0
	s_barrier
	buffer_gl0_inv
	s_clause 0x4
	scratch_load_b128 v[68:71], off, off offset:120
	scratch_load_b128 v[72:75], off, off offset:136
	;; [unrolled: 1-line block ×5, first 2 shown]
	ds_load_b128 v[88:91], v1 offset:384
	scratch_load_b128 v[92:95], off, off offset:200
	s_mov_b32 s0, exec_lo
	s_waitcnt vmcnt(5) lgkmcnt(0)
	v_fma_f64 v[70:71], v[70:71], v[88:89], 0
	s_waitcnt vmcnt(4)
	s_delay_alu instid0(VALU_DEP_1)
	v_fma_f64 v[88:89], v[72:73], v[90:91], v[70:71]
	ds_load_b128 v[70:73], v1 offset:400
	s_waitcnt lgkmcnt(0)
	v_fma_f64 v[70:71], v[74:75], v[70:71], v[88:89]
	scratch_load_b128 v[88:91], off, off offset:216
	s_waitcnt vmcnt(4)
	v_fma_f64 v[74:75], v[76:77], v[72:73], v[70:71]
	ds_load_b128 v[70:73], v1 offset:416
	s_waitcnt lgkmcnt(0)
	v_fma_f64 v[70:71], v[78:79], v[70:71], v[74:75]
	scratch_load_b128 v[74:77], off, off offset:232
	s_waitcnt vmcnt(4)
	v_fma_f64 v[78:79], v[80:81], v[72:73], v[70:71]
	ds_load_b128 v[70:73], v1 offset:432
	s_waitcnt lgkmcnt(0)
	v_fma_f64 v[70:71], v[82:83], v[70:71], v[78:79]
	scratch_load_b64 v[78:79], off, off offset:248
	s_waitcnt vmcnt(4)
	v_fma_f64 v[80:81], v[84:85], v[72:73], v[70:71]
	ds_load_b128 v[70:73], v1 offset:448
	s_waitcnt lgkmcnt(0)
	v_fma_f64 v[70:71], v[86:87], v[70:71], v[80:81]
	s_waitcnt vmcnt(3)
	s_delay_alu instid0(VALU_DEP_1) | instskip(SKIP_4) | instid1(VALU_DEP_1)
	v_fma_f64 v[80:81], v[92:93], v[72:73], v[70:71]
	ds_load_b128 v[70:73], v1 offset:464
	s_waitcnt lgkmcnt(0)
	v_fma_f64 v[70:71], v[94:95], v[70:71], v[80:81]
	s_waitcnt vmcnt(2)
	v_fma_f64 v[80:81], v[88:89], v[72:73], v[70:71]
	ds_load_b128 v[70:73], v1 offset:480
	s_waitcnt lgkmcnt(0)
	v_fma_f64 v[70:71], v[90:91], v[70:71], v[80:81]
	s_waitcnt vmcnt(1)
	s_delay_alu instid0(VALU_DEP_1) | instskip(SKIP_4) | instid1(VALU_DEP_1)
	v_fma_f64 v[74:75], v[74:75], v[72:73], v[70:71]
	ds_load_b128 v[70:73], v1 offset:496
	s_waitcnt lgkmcnt(0)
	v_fma_f64 v[1:2], v[76:77], v[70:71], v[74:75]
	s_waitcnt vmcnt(0)
	v_fma_f64 v[1:2], v[78:79], v[72:73], v[1:2]
	s_delay_alu instid0(VALU_DEP_1)
	v_add_f64 v[1:2], v[68:69], -v[1:2]
	scratch_store_b64 off, v[1:2], off offset:120
	v_cmpx_lt_u32_e32 14, v0
	s_cbranch_execz .LBB95_173
; %bb.172:
	scratch_load_b64 v[1:2], off, off offset:112
	v_mov_b32_e32 v68, 0
	s_delay_alu instid0(VALU_DEP_1)
	v_mov_b32_e32 v69, v68
	scratch_store_b64 off, v[68:69], off offset:112
	s_waitcnt vmcnt(0)
	ds_store_b64 v3, v[1:2]
.LBB95_173:
	s_or_b32 exec_lo, exec_lo, s0
	s_waitcnt lgkmcnt(0)
	s_waitcnt_vscnt null, 0x0
	s_barrier
	buffer_gl0_inv
	s_clause 0x4
	scratch_load_b128 v[68:71], off, off offset:112
	scratch_load_b128 v[72:75], off, off offset:128
	;; [unrolled: 1-line block ×5, first 2 shown]
	v_mov_b32_e32 v1, 0
	scratch_load_b128 v[92:95], off, off offset:192
	s_mov_b32 s0, exec_lo
	ds_load_2addr_b64 v[88:91], v1 offset0:47 offset1:48
	s_waitcnt vmcnt(5) lgkmcnt(0)
	v_fma_f64 v[70:71], v[70:71], v[88:89], 0
	s_waitcnt vmcnt(4)
	s_delay_alu instid0(VALU_DEP_1)
	v_fma_f64 v[88:89], v[72:73], v[90:91], v[70:71]
	ds_load_2addr_b64 v[70:73], v1 offset0:49 offset1:50
	s_waitcnt lgkmcnt(0)
	v_fma_f64 v[70:71], v[74:75], v[70:71], v[88:89]
	scratch_load_b128 v[88:91], off, off offset:208
	s_waitcnt vmcnt(4)
	v_fma_f64 v[74:75], v[76:77], v[72:73], v[70:71]
	ds_load_2addr_b64 v[70:73], v1 offset0:51 offset1:52
	s_waitcnt lgkmcnt(0)
	v_fma_f64 v[70:71], v[78:79], v[70:71], v[74:75]
	scratch_load_b128 v[74:77], off, off offset:224
	s_waitcnt vmcnt(4)
	;; [unrolled: 6-line block ×3, first 2 shown]
	v_fma_f64 v[82:83], v[84:85], v[72:73], v[70:71]
	ds_load_2addr_b64 v[70:73], v1 offset0:55 offset1:56
	s_waitcnt lgkmcnt(0)
	v_fma_f64 v[70:71], v[86:87], v[70:71], v[82:83]
	s_waitcnt vmcnt(3)
	s_delay_alu instid0(VALU_DEP_1) | instskip(SKIP_4) | instid1(VALU_DEP_1)
	v_fma_f64 v[82:83], v[92:93], v[72:73], v[70:71]
	ds_load_2addr_b64 v[70:73], v1 offset0:57 offset1:58
	s_waitcnt lgkmcnt(0)
	v_fma_f64 v[70:71], v[94:95], v[70:71], v[82:83]
	s_waitcnt vmcnt(2)
	v_fma_f64 v[82:83], v[88:89], v[72:73], v[70:71]
	ds_load_2addr_b64 v[70:73], v1 offset0:59 offset1:60
	s_waitcnt lgkmcnt(0)
	v_fma_f64 v[70:71], v[90:91], v[70:71], v[82:83]
	s_waitcnt vmcnt(1)
	s_delay_alu instid0(VALU_DEP_1) | instskip(SKIP_4) | instid1(VALU_DEP_1)
	v_fma_f64 v[74:75], v[74:75], v[72:73], v[70:71]
	ds_load_2addr_b64 v[70:73], v1 offset0:61 offset1:62
	s_waitcnt lgkmcnt(0)
	v_fma_f64 v[70:71], v[76:77], v[70:71], v[74:75]
	s_waitcnt vmcnt(0)
	v_fma_f64 v[70:71], v[78:79], v[72:73], v[70:71]
	ds_load_b64 v[72:73], v1 offset:504
	s_waitcnt lgkmcnt(0)
	v_fma_f64 v[70:71], v[80:81], v[72:73], v[70:71]
	s_delay_alu instid0(VALU_DEP_1)
	v_add_f64 v[68:69], v[68:69], -v[70:71]
	scratch_store_b64 off, v[68:69], off offset:112
	v_cmpx_lt_u32_e32 13, v0
	s_cbranch_execz .LBB95_175
; %bb.174:
	scratch_load_b64 v[68:69], off, off offset:104
	v_mov_b32_e32 v2, v1
	scratch_store_b64 off, v[1:2], off offset:104
	s_waitcnt vmcnt(0)
	ds_store_b64 v3, v[68:69]
.LBB95_175:
	s_or_b32 exec_lo, exec_lo, s0
	s_waitcnt lgkmcnt(0)
	s_waitcnt_vscnt null, 0x0
	s_barrier
	buffer_gl0_inv
	s_clause 0x4
	scratch_load_b128 v[68:71], off, off offset:104
	scratch_load_b128 v[72:75], off, off offset:120
	;; [unrolled: 1-line block ×5, first 2 shown]
	ds_load_b128 v[88:91], v1 offset:368
	scratch_load_b128 v[92:95], off, off offset:184
	s_mov_b32 s0, exec_lo
	s_waitcnt vmcnt(5) lgkmcnt(0)
	v_fma_f64 v[70:71], v[70:71], v[88:89], 0
	s_waitcnt vmcnt(4)
	s_delay_alu instid0(VALU_DEP_1)
	v_fma_f64 v[88:89], v[72:73], v[90:91], v[70:71]
	ds_load_b128 v[70:73], v1 offset:384
	s_waitcnt lgkmcnt(0)
	v_fma_f64 v[70:71], v[74:75], v[70:71], v[88:89]
	scratch_load_b128 v[88:91], off, off offset:200
	s_waitcnt vmcnt(4)
	v_fma_f64 v[74:75], v[76:77], v[72:73], v[70:71]
	ds_load_b128 v[70:73], v1 offset:400
	s_waitcnt lgkmcnt(0)
	v_fma_f64 v[70:71], v[78:79], v[70:71], v[74:75]
	scratch_load_b128 v[74:77], off, off offset:216
	s_waitcnt vmcnt(4)
	;; [unrolled: 6-line block ×3, first 2 shown]
	v_fma_f64 v[82:83], v[84:85], v[72:73], v[70:71]
	ds_load_b128 v[70:73], v1 offset:432
	s_waitcnt lgkmcnt(0)
	v_fma_f64 v[70:71], v[86:87], v[70:71], v[82:83]
	scratch_load_b64 v[82:83], off, off offset:248
	s_waitcnt vmcnt(4)
	v_fma_f64 v[84:85], v[92:93], v[72:73], v[70:71]
	ds_load_b128 v[70:73], v1 offset:448
	s_waitcnt lgkmcnt(0)
	v_fma_f64 v[70:71], v[94:95], v[70:71], v[84:85]
	s_waitcnt vmcnt(3)
	s_delay_alu instid0(VALU_DEP_1) | instskip(SKIP_4) | instid1(VALU_DEP_1)
	v_fma_f64 v[84:85], v[88:89], v[72:73], v[70:71]
	ds_load_b128 v[70:73], v1 offset:464
	s_waitcnt lgkmcnt(0)
	v_fma_f64 v[70:71], v[90:91], v[70:71], v[84:85]
	s_waitcnt vmcnt(2)
	v_fma_f64 v[74:75], v[74:75], v[72:73], v[70:71]
	ds_load_b128 v[70:73], v1 offset:480
	s_waitcnt lgkmcnt(0)
	v_fma_f64 v[70:71], v[76:77], v[70:71], v[74:75]
	s_waitcnt vmcnt(1)
	s_delay_alu instid0(VALU_DEP_1) | instskip(SKIP_4) | instid1(VALU_DEP_1)
	v_fma_f64 v[74:75], v[78:79], v[72:73], v[70:71]
	ds_load_b128 v[70:73], v1 offset:496
	s_waitcnt lgkmcnt(0)
	v_fma_f64 v[1:2], v[80:81], v[70:71], v[74:75]
	s_waitcnt vmcnt(0)
	v_fma_f64 v[1:2], v[82:83], v[72:73], v[1:2]
	s_delay_alu instid0(VALU_DEP_1)
	v_add_f64 v[1:2], v[68:69], -v[1:2]
	scratch_store_b64 off, v[1:2], off offset:104
	v_cmpx_lt_u32_e32 12, v0
	s_cbranch_execz .LBB95_177
; %bb.176:
	scratch_load_b64 v[1:2], off, off offset:96
	v_mov_b32_e32 v68, 0
	s_delay_alu instid0(VALU_DEP_1)
	v_mov_b32_e32 v69, v68
	scratch_store_b64 off, v[68:69], off offset:96
	s_waitcnt vmcnt(0)
	ds_store_b64 v3, v[1:2]
.LBB95_177:
	s_or_b32 exec_lo, exec_lo, s0
	s_waitcnt lgkmcnt(0)
	s_waitcnt_vscnt null, 0x0
	s_barrier
	buffer_gl0_inv
	s_clause 0x4
	scratch_load_b128 v[68:71], off, off offset:96
	scratch_load_b128 v[72:75], off, off offset:112
	;; [unrolled: 1-line block ×5, first 2 shown]
	v_mov_b32_e32 v1, 0
	scratch_load_b128 v[92:95], off, off offset:176
	s_mov_b32 s0, exec_lo
	ds_load_2addr_b64 v[88:91], v1 offset0:45 offset1:46
	s_waitcnt vmcnt(5) lgkmcnt(0)
	v_fma_f64 v[70:71], v[70:71], v[88:89], 0
	s_waitcnt vmcnt(4)
	s_delay_alu instid0(VALU_DEP_1)
	v_fma_f64 v[88:89], v[72:73], v[90:91], v[70:71]
	ds_load_2addr_b64 v[70:73], v1 offset0:47 offset1:48
	s_waitcnt lgkmcnt(0)
	v_fma_f64 v[70:71], v[74:75], v[70:71], v[88:89]
	scratch_load_b128 v[88:91], off, off offset:192
	s_waitcnt vmcnt(4)
	v_fma_f64 v[74:75], v[76:77], v[72:73], v[70:71]
	ds_load_2addr_b64 v[70:73], v1 offset0:49 offset1:50
	s_waitcnt lgkmcnt(0)
	v_fma_f64 v[70:71], v[78:79], v[70:71], v[74:75]
	scratch_load_b128 v[74:77], off, off offset:208
	s_waitcnt vmcnt(4)
	;; [unrolled: 6-line block ×4, first 2 shown]
	v_fma_f64 v[86:87], v[92:93], v[72:73], v[70:71]
	ds_load_2addr_b64 v[70:73], v1 offset0:55 offset1:56
	s_waitcnt lgkmcnt(0)
	v_fma_f64 v[70:71], v[94:95], v[70:71], v[86:87]
	s_waitcnt vmcnt(3)
	s_delay_alu instid0(VALU_DEP_1) | instskip(SKIP_4) | instid1(VALU_DEP_1)
	v_fma_f64 v[86:87], v[88:89], v[72:73], v[70:71]
	ds_load_2addr_b64 v[70:73], v1 offset0:57 offset1:58
	s_waitcnt lgkmcnt(0)
	v_fma_f64 v[70:71], v[90:91], v[70:71], v[86:87]
	s_waitcnt vmcnt(2)
	v_fma_f64 v[74:75], v[74:75], v[72:73], v[70:71]
	ds_load_2addr_b64 v[70:73], v1 offset0:59 offset1:60
	s_waitcnt lgkmcnt(0)
	v_fma_f64 v[70:71], v[76:77], v[70:71], v[74:75]
	s_waitcnt vmcnt(1)
	s_delay_alu instid0(VALU_DEP_1) | instskip(SKIP_4) | instid1(VALU_DEP_1)
	v_fma_f64 v[74:75], v[78:79], v[72:73], v[70:71]
	ds_load_2addr_b64 v[70:73], v1 offset0:61 offset1:62
	s_waitcnt lgkmcnt(0)
	v_fma_f64 v[70:71], v[80:81], v[70:71], v[74:75]
	s_waitcnt vmcnt(0)
	v_fma_f64 v[70:71], v[82:83], v[72:73], v[70:71]
	ds_load_b64 v[72:73], v1 offset:504
	s_waitcnt lgkmcnt(0)
	v_fma_f64 v[70:71], v[84:85], v[72:73], v[70:71]
	s_delay_alu instid0(VALU_DEP_1)
	v_add_f64 v[68:69], v[68:69], -v[70:71]
	scratch_store_b64 off, v[68:69], off offset:96
	v_cmpx_lt_u32_e32 11, v0
	s_cbranch_execz .LBB95_179
; %bb.178:
	scratch_load_b64 v[68:69], off, off offset:88
	v_mov_b32_e32 v2, v1
	scratch_store_b64 off, v[1:2], off offset:88
	s_waitcnt vmcnt(0)
	ds_store_b64 v3, v[68:69]
.LBB95_179:
	s_or_b32 exec_lo, exec_lo, s0
	s_waitcnt lgkmcnt(0)
	s_waitcnt_vscnt null, 0x0
	s_barrier
	buffer_gl0_inv
	s_clause 0x4
	scratch_load_b128 v[68:71], off, off offset:88
	scratch_load_b128 v[72:75], off, off offset:104
	;; [unrolled: 1-line block ×5, first 2 shown]
	ds_load_b128 v[88:91], v1 offset:352
	scratch_load_b128 v[92:95], off, off offset:168
	s_mov_b32 s0, exec_lo
	s_waitcnt vmcnt(5) lgkmcnt(0)
	v_fma_f64 v[70:71], v[70:71], v[88:89], 0
	s_waitcnt vmcnt(4)
	s_delay_alu instid0(VALU_DEP_1)
	v_fma_f64 v[88:89], v[72:73], v[90:91], v[70:71]
	ds_load_b128 v[70:73], v1 offset:368
	s_waitcnt lgkmcnt(0)
	v_fma_f64 v[70:71], v[74:75], v[70:71], v[88:89]
	scratch_load_b128 v[88:91], off, off offset:184
	s_waitcnt vmcnt(4)
	v_fma_f64 v[74:75], v[76:77], v[72:73], v[70:71]
	ds_load_b128 v[70:73], v1 offset:384
	s_waitcnt lgkmcnt(0)
	v_fma_f64 v[70:71], v[78:79], v[70:71], v[74:75]
	scratch_load_b128 v[74:77], off, off offset:200
	s_waitcnt vmcnt(4)
	;; [unrolled: 6-line block ×4, first 2 shown]
	v_fma_f64 v[86:87], v[92:93], v[72:73], v[70:71]
	ds_load_b128 v[70:73], v1 offset:432
	s_waitcnt lgkmcnt(0)
	v_fma_f64 v[70:71], v[94:95], v[70:71], v[86:87]
	scratch_load_b64 v[86:87], off, off offset:248
	s_waitcnt vmcnt(4)
	v_fma_f64 v[88:89], v[88:89], v[72:73], v[70:71]
	ds_load_b128 v[70:73], v1 offset:448
	s_waitcnt lgkmcnt(0)
	v_fma_f64 v[70:71], v[90:91], v[70:71], v[88:89]
	s_waitcnt vmcnt(3)
	s_delay_alu instid0(VALU_DEP_1) | instskip(SKIP_4) | instid1(VALU_DEP_1)
	v_fma_f64 v[74:75], v[74:75], v[72:73], v[70:71]
	ds_load_b128 v[70:73], v1 offset:464
	s_waitcnt lgkmcnt(0)
	v_fma_f64 v[70:71], v[76:77], v[70:71], v[74:75]
	s_waitcnt vmcnt(2)
	v_fma_f64 v[74:75], v[78:79], v[72:73], v[70:71]
	ds_load_b128 v[70:73], v1 offset:480
	s_waitcnt lgkmcnt(0)
	v_fma_f64 v[70:71], v[80:81], v[70:71], v[74:75]
	s_waitcnt vmcnt(1)
	s_delay_alu instid0(VALU_DEP_1) | instskip(SKIP_4) | instid1(VALU_DEP_1)
	v_fma_f64 v[74:75], v[82:83], v[72:73], v[70:71]
	ds_load_b128 v[70:73], v1 offset:496
	s_waitcnt lgkmcnt(0)
	v_fma_f64 v[1:2], v[84:85], v[70:71], v[74:75]
	s_waitcnt vmcnt(0)
	v_fma_f64 v[1:2], v[86:87], v[72:73], v[1:2]
	s_delay_alu instid0(VALU_DEP_1)
	v_add_f64 v[1:2], v[68:69], -v[1:2]
	scratch_store_b64 off, v[1:2], off offset:88
	v_cmpx_lt_u32_e32 10, v0
	s_cbranch_execz .LBB95_181
; %bb.180:
	scratch_load_b64 v[1:2], off, off offset:80
	v_mov_b32_e32 v68, 0
	s_delay_alu instid0(VALU_DEP_1)
	v_mov_b32_e32 v69, v68
	scratch_store_b64 off, v[68:69], off offset:80
	s_waitcnt vmcnt(0)
	ds_store_b64 v3, v[1:2]
.LBB95_181:
	s_or_b32 exec_lo, exec_lo, s0
	s_waitcnt lgkmcnt(0)
	s_waitcnt_vscnt null, 0x0
	s_barrier
	buffer_gl0_inv
	s_clause 0x4
	scratch_load_b128 v[68:71], off, off offset:80
	scratch_load_b128 v[72:75], off, off offset:96
	scratch_load_b128 v[76:79], off, off offset:112
	scratch_load_b128 v[80:83], off, off offset:128
	scratch_load_b128 v[84:87], off, off offset:144
	v_mov_b32_e32 v1, 0
	scratch_load_b128 v[92:95], off, off offset:160
	s_mov_b32 s0, exec_lo
	ds_load_2addr_b64 v[88:91], v1 offset0:43 offset1:44
	s_waitcnt vmcnt(5) lgkmcnt(0)
	v_fma_f64 v[70:71], v[70:71], v[88:89], 0
	s_waitcnt vmcnt(4)
	s_delay_alu instid0(VALU_DEP_1)
	v_fma_f64 v[88:89], v[72:73], v[90:91], v[70:71]
	ds_load_2addr_b64 v[70:73], v1 offset0:45 offset1:46
	s_waitcnt lgkmcnt(0)
	v_fma_f64 v[70:71], v[74:75], v[70:71], v[88:89]
	scratch_load_b128 v[88:91], off, off offset:176
	s_waitcnt vmcnt(4)
	v_fma_f64 v[74:75], v[76:77], v[72:73], v[70:71]
	ds_load_2addr_b64 v[70:73], v1 offset0:47 offset1:48
	s_waitcnt lgkmcnt(0)
	v_fma_f64 v[70:71], v[78:79], v[70:71], v[74:75]
	scratch_load_b128 v[74:77], off, off offset:192
	s_waitcnt vmcnt(4)
	;; [unrolled: 6-line block ×5, first 2 shown]
	v_fma_f64 v[86:87], v[88:89], v[72:73], v[70:71]
	ds_load_2addr_b64 v[70:73], v1 offset0:55 offset1:56
	s_waitcnt lgkmcnt(0)
	v_fma_f64 v[70:71], v[90:91], v[70:71], v[86:87]
	s_waitcnt vmcnt(3)
	s_delay_alu instid0(VALU_DEP_1) | instskip(SKIP_4) | instid1(VALU_DEP_1)
	v_fma_f64 v[74:75], v[74:75], v[72:73], v[70:71]
	ds_load_2addr_b64 v[70:73], v1 offset0:57 offset1:58
	s_waitcnt lgkmcnt(0)
	v_fma_f64 v[70:71], v[76:77], v[70:71], v[74:75]
	s_waitcnt vmcnt(2)
	v_fma_f64 v[74:75], v[78:79], v[72:73], v[70:71]
	ds_load_2addr_b64 v[70:73], v1 offset0:59 offset1:60
	s_waitcnt lgkmcnt(0)
	v_fma_f64 v[70:71], v[80:81], v[70:71], v[74:75]
	s_waitcnt vmcnt(1)
	s_delay_alu instid0(VALU_DEP_1) | instskip(SKIP_4) | instid1(VALU_DEP_1)
	v_fma_f64 v[74:75], v[82:83], v[72:73], v[70:71]
	ds_load_2addr_b64 v[70:73], v1 offset0:61 offset1:62
	s_waitcnt lgkmcnt(0)
	v_fma_f64 v[70:71], v[84:85], v[70:71], v[74:75]
	s_waitcnt vmcnt(0)
	v_fma_f64 v[70:71], v[92:93], v[72:73], v[70:71]
	ds_load_b64 v[72:73], v1 offset:504
	s_waitcnt lgkmcnt(0)
	v_fma_f64 v[70:71], v[94:95], v[72:73], v[70:71]
	s_delay_alu instid0(VALU_DEP_1)
	v_add_f64 v[68:69], v[68:69], -v[70:71]
	scratch_store_b64 off, v[68:69], off offset:80
	v_cmpx_lt_u32_e32 9, v0
	s_cbranch_execz .LBB95_183
; %bb.182:
	scratch_load_b64 v[68:69], off, off offset:72
	v_mov_b32_e32 v2, v1
	scratch_store_b64 off, v[1:2], off offset:72
	s_waitcnt vmcnt(0)
	ds_store_b64 v3, v[68:69]
.LBB95_183:
	s_or_b32 exec_lo, exec_lo, s0
	s_waitcnt lgkmcnt(0)
	s_waitcnt_vscnt null, 0x0
	s_barrier
	buffer_gl0_inv
	s_clause 0x4
	scratch_load_b128 v[68:71], off, off offset:72
	scratch_load_b128 v[72:75], off, off offset:88
	scratch_load_b128 v[76:79], off, off offset:104
	scratch_load_b128 v[80:83], off, off offset:120
	scratch_load_b128 v[84:87], off, off offset:136
	ds_load_b128 v[88:91], v1 offset:336
	scratch_load_b128 v[92:95], off, off offset:152
	s_mov_b32 s0, exec_lo
	s_waitcnt vmcnt(5) lgkmcnt(0)
	v_fma_f64 v[70:71], v[70:71], v[88:89], 0
	s_waitcnt vmcnt(4)
	s_delay_alu instid0(VALU_DEP_1)
	v_fma_f64 v[88:89], v[72:73], v[90:91], v[70:71]
	ds_load_b128 v[70:73], v1 offset:352
	s_waitcnt lgkmcnt(0)
	v_fma_f64 v[70:71], v[74:75], v[70:71], v[88:89]
	scratch_load_b128 v[88:91], off, off offset:168
	s_waitcnt vmcnt(4)
	v_fma_f64 v[74:75], v[76:77], v[72:73], v[70:71]
	ds_load_b128 v[70:73], v1 offset:368
	s_waitcnt lgkmcnt(0)
	v_fma_f64 v[70:71], v[78:79], v[70:71], v[74:75]
	scratch_load_b128 v[74:77], off, off offset:184
	s_waitcnt vmcnt(4)
	;; [unrolled: 6-line block ×5, first 2 shown]
	v_fma_f64 v[86:87], v[88:89], v[72:73], v[70:71]
	ds_load_b128 v[70:73], v1 offset:432
	s_waitcnt lgkmcnt(0)
	v_fma_f64 v[70:71], v[90:91], v[70:71], v[86:87]
	scratch_load_b64 v[86:87], off, off offset:248
	s_waitcnt vmcnt(4)
	v_fma_f64 v[74:75], v[74:75], v[72:73], v[70:71]
	ds_load_b128 v[70:73], v1 offset:448
	s_waitcnt lgkmcnt(0)
	v_fma_f64 v[70:71], v[76:77], v[70:71], v[74:75]
	s_waitcnt vmcnt(3)
	s_delay_alu instid0(VALU_DEP_1) | instskip(SKIP_4) | instid1(VALU_DEP_1)
	v_fma_f64 v[74:75], v[78:79], v[72:73], v[70:71]
	ds_load_b128 v[70:73], v1 offset:464
	s_waitcnt lgkmcnt(0)
	v_fma_f64 v[70:71], v[80:81], v[70:71], v[74:75]
	s_waitcnt vmcnt(2)
	v_fma_f64 v[74:75], v[82:83], v[72:73], v[70:71]
	ds_load_b128 v[70:73], v1 offset:480
	s_waitcnt lgkmcnt(0)
	v_fma_f64 v[70:71], v[84:85], v[70:71], v[74:75]
	s_waitcnt vmcnt(1)
	s_delay_alu instid0(VALU_DEP_1) | instskip(SKIP_4) | instid1(VALU_DEP_1)
	v_fma_f64 v[74:75], v[92:93], v[72:73], v[70:71]
	ds_load_b128 v[70:73], v1 offset:496
	s_waitcnt lgkmcnt(0)
	v_fma_f64 v[1:2], v[94:95], v[70:71], v[74:75]
	s_waitcnt vmcnt(0)
	v_fma_f64 v[1:2], v[86:87], v[72:73], v[1:2]
	s_delay_alu instid0(VALU_DEP_1)
	v_add_f64 v[1:2], v[68:69], -v[1:2]
	scratch_store_b64 off, v[1:2], off offset:72
	v_cmpx_lt_u32_e32 8, v0
	s_cbranch_execz .LBB95_185
; %bb.184:
	scratch_load_b64 v[1:2], off, off offset:64
	v_mov_b32_e32 v68, 0
	s_delay_alu instid0(VALU_DEP_1)
	v_mov_b32_e32 v69, v68
	scratch_store_b64 off, v[68:69], off offset:64
	s_waitcnt vmcnt(0)
	ds_store_b64 v3, v[1:2]
.LBB95_185:
	s_or_b32 exec_lo, exec_lo, s0
	s_waitcnt lgkmcnt(0)
	s_waitcnt_vscnt null, 0x0
	s_barrier
	buffer_gl0_inv
	s_clause 0x4
	scratch_load_b128 v[68:71], off, off offset:64
	scratch_load_b128 v[72:75], off, off offset:80
	;; [unrolled: 1-line block ×5, first 2 shown]
	v_mov_b32_e32 v1, 0
	scratch_load_b128 v[92:95], off, off offset:144
	s_mov_b32 s0, exec_lo
	ds_load_2addr_b64 v[88:91], v1 offset0:41 offset1:42
	s_waitcnt vmcnt(5) lgkmcnt(0)
	v_fma_f64 v[70:71], v[70:71], v[88:89], 0
	s_waitcnt vmcnt(4)
	s_delay_alu instid0(VALU_DEP_1)
	v_fma_f64 v[88:89], v[72:73], v[90:91], v[70:71]
	ds_load_2addr_b64 v[70:73], v1 offset0:43 offset1:44
	s_waitcnt lgkmcnt(0)
	v_fma_f64 v[70:71], v[74:75], v[70:71], v[88:89]
	scratch_load_b128 v[88:91], off, off offset:160
	s_waitcnt vmcnt(4)
	v_fma_f64 v[74:75], v[76:77], v[72:73], v[70:71]
	ds_load_2addr_b64 v[70:73], v1 offset0:45 offset1:46
	s_waitcnt lgkmcnt(0)
	v_fma_f64 v[70:71], v[78:79], v[70:71], v[74:75]
	scratch_load_b128 v[74:77], off, off offset:176
	s_waitcnt vmcnt(4)
	;; [unrolled: 6-line block ×6, first 2 shown]
	v_fma_f64 v[74:75], v[74:75], v[72:73], v[70:71]
	ds_load_2addr_b64 v[70:73], v1 offset0:55 offset1:56
	s_waitcnt lgkmcnt(0)
	v_fma_f64 v[70:71], v[76:77], v[70:71], v[74:75]
	s_waitcnt vmcnt(3)
	s_delay_alu instid0(VALU_DEP_1) | instskip(SKIP_4) | instid1(VALU_DEP_1)
	v_fma_f64 v[74:75], v[78:79], v[72:73], v[70:71]
	ds_load_2addr_b64 v[70:73], v1 offset0:57 offset1:58
	s_waitcnt lgkmcnt(0)
	v_fma_f64 v[70:71], v[80:81], v[70:71], v[74:75]
	s_waitcnt vmcnt(2)
	v_fma_f64 v[74:75], v[82:83], v[72:73], v[70:71]
	ds_load_2addr_b64 v[70:73], v1 offset0:59 offset1:60
	s_waitcnt lgkmcnt(0)
	v_fma_f64 v[70:71], v[84:85], v[70:71], v[74:75]
	s_waitcnt vmcnt(1)
	s_delay_alu instid0(VALU_DEP_1) | instskip(SKIP_4) | instid1(VALU_DEP_1)
	v_fma_f64 v[74:75], v[92:93], v[72:73], v[70:71]
	ds_load_2addr_b64 v[70:73], v1 offset0:61 offset1:62
	s_waitcnt lgkmcnt(0)
	v_fma_f64 v[70:71], v[94:95], v[70:71], v[74:75]
	s_waitcnt vmcnt(0)
	v_fma_f64 v[70:71], v[86:87], v[72:73], v[70:71]
	ds_load_b64 v[72:73], v1 offset:504
	s_waitcnt lgkmcnt(0)
	v_fma_f64 v[70:71], v[88:89], v[72:73], v[70:71]
	s_delay_alu instid0(VALU_DEP_1)
	v_add_f64 v[68:69], v[68:69], -v[70:71]
	scratch_store_b64 off, v[68:69], off offset:64
	v_cmpx_lt_u32_e32 7, v0
	s_cbranch_execz .LBB95_187
; %bb.186:
	scratch_load_b64 v[68:69], off, off offset:56
	v_mov_b32_e32 v2, v1
	scratch_store_b64 off, v[1:2], off offset:56
	s_waitcnt vmcnt(0)
	ds_store_b64 v3, v[68:69]
.LBB95_187:
	s_or_b32 exec_lo, exec_lo, s0
	s_waitcnt lgkmcnt(0)
	s_waitcnt_vscnt null, 0x0
	s_barrier
	buffer_gl0_inv
	s_clause 0x4
	scratch_load_b128 v[68:71], off, off offset:56
	scratch_load_b128 v[72:75], off, off offset:72
	;; [unrolled: 1-line block ×5, first 2 shown]
	ds_load_b128 v[88:91], v1 offset:320
	scratch_load_b128 v[92:95], off, off offset:136
	s_mov_b32 s0, exec_lo
	s_waitcnt vmcnt(5) lgkmcnt(0)
	v_fma_f64 v[70:71], v[70:71], v[88:89], 0
	s_waitcnt vmcnt(4)
	s_delay_alu instid0(VALU_DEP_1)
	v_fma_f64 v[88:89], v[72:73], v[90:91], v[70:71]
	ds_load_b128 v[70:73], v1 offset:336
	s_waitcnt lgkmcnt(0)
	v_fma_f64 v[70:71], v[74:75], v[70:71], v[88:89]
	scratch_load_b128 v[88:91], off, off offset:152
	s_waitcnt vmcnt(4)
	v_fma_f64 v[74:75], v[76:77], v[72:73], v[70:71]
	ds_load_b128 v[70:73], v1 offset:352
	s_waitcnt lgkmcnt(0)
	v_fma_f64 v[70:71], v[78:79], v[70:71], v[74:75]
	scratch_load_b128 v[74:77], off, off offset:168
	s_waitcnt vmcnt(4)
	;; [unrolled: 6-line block ×6, first 2 shown]
	v_fma_f64 v[74:75], v[74:75], v[72:73], v[70:71]
	ds_load_b128 v[70:73], v1 offset:432
	s_waitcnt lgkmcnt(0)
	v_fma_f64 v[70:71], v[76:77], v[70:71], v[74:75]
	scratch_load_b64 v[74:75], off, off offset:248
	s_waitcnt vmcnt(4)
	v_fma_f64 v[76:77], v[78:79], v[72:73], v[70:71]
	ds_load_b128 v[70:73], v1 offset:448
	s_waitcnt lgkmcnt(0)
	v_fma_f64 v[70:71], v[80:81], v[70:71], v[76:77]
	s_waitcnt vmcnt(3)
	s_delay_alu instid0(VALU_DEP_1) | instskip(SKIP_4) | instid1(VALU_DEP_1)
	v_fma_f64 v[76:77], v[82:83], v[72:73], v[70:71]
	ds_load_b128 v[70:73], v1 offset:464
	s_waitcnt lgkmcnt(0)
	v_fma_f64 v[70:71], v[84:85], v[70:71], v[76:77]
	s_waitcnt vmcnt(2)
	v_fma_f64 v[76:77], v[92:93], v[72:73], v[70:71]
	ds_load_b128 v[70:73], v1 offset:480
	s_waitcnt lgkmcnt(0)
	v_fma_f64 v[70:71], v[94:95], v[70:71], v[76:77]
	s_waitcnt vmcnt(1)
	s_delay_alu instid0(VALU_DEP_1) | instskip(SKIP_4) | instid1(VALU_DEP_1)
	v_fma_f64 v[76:77], v[86:87], v[72:73], v[70:71]
	ds_load_b128 v[70:73], v1 offset:496
	s_waitcnt lgkmcnt(0)
	v_fma_f64 v[1:2], v[88:89], v[70:71], v[76:77]
	s_waitcnt vmcnt(0)
	v_fma_f64 v[1:2], v[74:75], v[72:73], v[1:2]
	s_delay_alu instid0(VALU_DEP_1)
	v_add_f64 v[1:2], v[68:69], -v[1:2]
	scratch_store_b64 off, v[1:2], off offset:56
	v_cmpx_lt_u32_e32 6, v0
	s_cbranch_execz .LBB95_189
; %bb.188:
	scratch_load_b64 v[1:2], off, off offset:48
	v_mov_b32_e32 v68, 0
	s_delay_alu instid0(VALU_DEP_1)
	v_mov_b32_e32 v69, v68
	scratch_store_b64 off, v[68:69], off offset:48
	s_waitcnt vmcnt(0)
	ds_store_b64 v3, v[1:2]
.LBB95_189:
	s_or_b32 exec_lo, exec_lo, s0
	s_waitcnt lgkmcnt(0)
	s_waitcnt_vscnt null, 0x0
	s_barrier
	buffer_gl0_inv
	s_clause 0x4
	scratch_load_b128 v[68:71], off, off offset:48
	scratch_load_b128 v[72:75], off, off offset:64
	;; [unrolled: 1-line block ×5, first 2 shown]
	v_mov_b32_e32 v1, 0
	scratch_load_b128 v[92:95], off, off offset:128
	s_mov_b32 s0, exec_lo
	ds_load_2addr_b64 v[88:91], v1 offset0:39 offset1:40
	s_waitcnt vmcnt(5) lgkmcnt(0)
	v_fma_f64 v[70:71], v[70:71], v[88:89], 0
	s_waitcnt vmcnt(4)
	s_delay_alu instid0(VALU_DEP_1)
	v_fma_f64 v[88:89], v[72:73], v[90:91], v[70:71]
	ds_load_2addr_b64 v[70:73], v1 offset0:41 offset1:42
	s_waitcnt lgkmcnt(0)
	v_fma_f64 v[70:71], v[74:75], v[70:71], v[88:89]
	scratch_load_b128 v[88:91], off, off offset:144
	s_waitcnt vmcnt(4)
	v_fma_f64 v[74:75], v[76:77], v[72:73], v[70:71]
	ds_load_2addr_b64 v[70:73], v1 offset0:43 offset1:44
	s_waitcnt lgkmcnt(0)
	v_fma_f64 v[70:71], v[78:79], v[70:71], v[74:75]
	scratch_load_b128 v[74:77], off, off offset:160
	s_waitcnt vmcnt(4)
	;; [unrolled: 6-line block ×7, first 2 shown]
	v_fma_f64 v[78:79], v[78:79], v[72:73], v[70:71]
	ds_load_2addr_b64 v[70:73], v1 offset0:55 offset1:56
	s_waitcnt lgkmcnt(0)
	v_fma_f64 v[70:71], v[80:81], v[70:71], v[78:79]
	s_waitcnt vmcnt(3)
	s_delay_alu instid0(VALU_DEP_1) | instskip(SKIP_4) | instid1(VALU_DEP_1)
	v_fma_f64 v[78:79], v[82:83], v[72:73], v[70:71]
	ds_load_2addr_b64 v[70:73], v1 offset0:57 offset1:58
	s_waitcnt lgkmcnt(0)
	v_fma_f64 v[70:71], v[84:85], v[70:71], v[78:79]
	s_waitcnt vmcnt(2)
	v_fma_f64 v[78:79], v[92:93], v[72:73], v[70:71]
	ds_load_2addr_b64 v[70:73], v1 offset0:59 offset1:60
	s_waitcnt lgkmcnt(0)
	v_fma_f64 v[70:71], v[94:95], v[70:71], v[78:79]
	s_waitcnt vmcnt(1)
	s_delay_alu instid0(VALU_DEP_1) | instskip(SKIP_4) | instid1(VALU_DEP_1)
	v_fma_f64 v[78:79], v[86:87], v[72:73], v[70:71]
	ds_load_2addr_b64 v[70:73], v1 offset0:61 offset1:62
	s_waitcnt lgkmcnt(0)
	v_fma_f64 v[70:71], v[88:89], v[70:71], v[78:79]
	s_waitcnt vmcnt(0)
	v_fma_f64 v[70:71], v[74:75], v[72:73], v[70:71]
	ds_load_b64 v[72:73], v1 offset:504
	s_waitcnt lgkmcnt(0)
	v_fma_f64 v[70:71], v[76:77], v[72:73], v[70:71]
	s_delay_alu instid0(VALU_DEP_1)
	v_add_f64 v[68:69], v[68:69], -v[70:71]
	scratch_store_b64 off, v[68:69], off offset:48
	v_cmpx_lt_u32_e32 5, v0
	s_cbranch_execz .LBB95_191
; %bb.190:
	scratch_load_b64 v[68:69], off, off offset:40
	v_mov_b32_e32 v2, v1
	scratch_store_b64 off, v[1:2], off offset:40
	s_waitcnt vmcnt(0)
	ds_store_b64 v3, v[68:69]
.LBB95_191:
	s_or_b32 exec_lo, exec_lo, s0
	s_waitcnt lgkmcnt(0)
	s_waitcnt_vscnt null, 0x0
	s_barrier
	buffer_gl0_inv
	s_clause 0x4
	scratch_load_b128 v[68:71], off, off offset:40
	scratch_load_b128 v[72:75], off, off offset:56
	;; [unrolled: 1-line block ×5, first 2 shown]
	ds_load_b128 v[88:91], v1 offset:304
	scratch_load_b128 v[92:95], off, off offset:120
	s_mov_b32 s0, exec_lo
	s_waitcnt vmcnt(5) lgkmcnt(0)
	v_fma_f64 v[70:71], v[70:71], v[88:89], 0
	s_waitcnt vmcnt(4)
	s_delay_alu instid0(VALU_DEP_1)
	v_fma_f64 v[88:89], v[72:73], v[90:91], v[70:71]
	ds_load_b128 v[70:73], v1 offset:320
	s_waitcnt lgkmcnt(0)
	v_fma_f64 v[70:71], v[74:75], v[70:71], v[88:89]
	scratch_load_b128 v[88:91], off, off offset:136
	s_waitcnt vmcnt(4)
	v_fma_f64 v[74:75], v[76:77], v[72:73], v[70:71]
	ds_load_b128 v[70:73], v1 offset:336
	s_waitcnt lgkmcnt(0)
	v_fma_f64 v[70:71], v[78:79], v[70:71], v[74:75]
	scratch_load_b128 v[74:77], off, off offset:152
	s_waitcnt vmcnt(4)
	v_fma_f64 v[78:79], v[80:81], v[72:73], v[70:71]
	ds_load_b128 v[70:73], v1 offset:352
	s_waitcnt lgkmcnt(0)
	v_fma_f64 v[70:71], v[82:83], v[70:71], v[78:79]
	scratch_load_b128 v[78:81], off, off offset:168
	s_waitcnt vmcnt(4)
	v_fma_f64 v[82:83], v[84:85], v[72:73], v[70:71]
	ds_load_b128 v[70:73], v1 offset:368
	s_waitcnt lgkmcnt(0)
	v_fma_f64 v[70:71], v[86:87], v[70:71], v[82:83]
	scratch_load_b128 v[82:85], off, off offset:184
	s_waitcnt vmcnt(4)
	v_fma_f64 v[86:87], v[92:93], v[72:73], v[70:71]
	ds_load_b128 v[70:73], v1 offset:384
	s_waitcnt lgkmcnt(0)
	v_fma_f64 v[70:71], v[94:95], v[70:71], v[86:87]
	scratch_load_b128 v[92:95], off, off offset:200
	s_waitcnt vmcnt(4)
	v_fma_f64 v[86:87], v[88:89], v[72:73], v[70:71]
	ds_load_b128 v[70:73], v1 offset:400
	s_waitcnt lgkmcnt(0)
	v_fma_f64 v[70:71], v[90:91], v[70:71], v[86:87]
	scratch_load_b128 v[86:89], off, off offset:216
	s_waitcnt vmcnt(4)
	v_fma_f64 v[74:75], v[74:75], v[72:73], v[70:71]
	ds_load_b128 v[70:73], v1 offset:416
	s_waitcnt lgkmcnt(0)
	v_fma_f64 v[70:71], v[76:77], v[70:71], v[74:75]
	scratch_load_b128 v[74:77], off, off offset:232
	s_waitcnt vmcnt(4)
	v_fma_f64 v[78:79], v[78:79], v[72:73], v[70:71]
	ds_load_b128 v[70:73], v1 offset:432
	s_waitcnt lgkmcnt(0)
	v_fma_f64 v[70:71], v[80:81], v[70:71], v[78:79]
	scratch_load_b64 v[78:79], off, off offset:248
	s_waitcnt vmcnt(4)
	v_fma_f64 v[80:81], v[82:83], v[72:73], v[70:71]
	ds_load_b128 v[70:73], v1 offset:448
	s_waitcnt lgkmcnt(0)
	v_fma_f64 v[70:71], v[84:85], v[70:71], v[80:81]
	s_waitcnt vmcnt(3)
	s_delay_alu instid0(VALU_DEP_1) | instskip(SKIP_4) | instid1(VALU_DEP_1)
	v_fma_f64 v[80:81], v[92:93], v[72:73], v[70:71]
	ds_load_b128 v[70:73], v1 offset:464
	s_waitcnt lgkmcnt(0)
	v_fma_f64 v[70:71], v[94:95], v[70:71], v[80:81]
	s_waitcnt vmcnt(2)
	v_fma_f64 v[80:81], v[86:87], v[72:73], v[70:71]
	ds_load_b128 v[70:73], v1 offset:480
	s_waitcnt lgkmcnt(0)
	v_fma_f64 v[70:71], v[88:89], v[70:71], v[80:81]
	s_waitcnt vmcnt(1)
	s_delay_alu instid0(VALU_DEP_1) | instskip(SKIP_4) | instid1(VALU_DEP_1)
	v_fma_f64 v[74:75], v[74:75], v[72:73], v[70:71]
	ds_load_b128 v[70:73], v1 offset:496
	s_waitcnt lgkmcnt(0)
	v_fma_f64 v[1:2], v[76:77], v[70:71], v[74:75]
	s_waitcnt vmcnt(0)
	v_fma_f64 v[1:2], v[78:79], v[72:73], v[1:2]
	s_delay_alu instid0(VALU_DEP_1)
	v_add_f64 v[1:2], v[68:69], -v[1:2]
	scratch_store_b64 off, v[1:2], off offset:40
	v_cmpx_lt_u32_e32 4, v0
	s_cbranch_execz .LBB95_193
; %bb.192:
	scratch_load_b64 v[1:2], off, off offset:32
	v_mov_b32_e32 v68, 0
	s_delay_alu instid0(VALU_DEP_1)
	v_mov_b32_e32 v69, v68
	scratch_store_b64 off, v[68:69], off offset:32
	s_waitcnt vmcnt(0)
	ds_store_b64 v3, v[1:2]
.LBB95_193:
	s_or_b32 exec_lo, exec_lo, s0
	s_waitcnt lgkmcnt(0)
	s_waitcnt_vscnt null, 0x0
	s_barrier
	buffer_gl0_inv
	s_clause 0x4
	scratch_load_b128 v[68:71], off, off offset:32
	scratch_load_b128 v[72:75], off, off offset:48
	;; [unrolled: 1-line block ×5, first 2 shown]
	v_mov_b32_e32 v1, 0
	scratch_load_b128 v[92:95], off, off offset:112
	s_mov_b32 s0, exec_lo
	ds_load_2addr_b64 v[88:91], v1 offset0:37 offset1:38
	s_waitcnt vmcnt(5) lgkmcnt(0)
	v_fma_f64 v[70:71], v[70:71], v[88:89], 0
	s_waitcnt vmcnt(4)
	s_delay_alu instid0(VALU_DEP_1)
	v_fma_f64 v[88:89], v[72:73], v[90:91], v[70:71]
	ds_load_2addr_b64 v[70:73], v1 offset0:39 offset1:40
	s_waitcnt lgkmcnt(0)
	v_fma_f64 v[70:71], v[74:75], v[70:71], v[88:89]
	scratch_load_b128 v[88:91], off, off offset:128
	s_waitcnt vmcnt(4)
	v_fma_f64 v[74:75], v[76:77], v[72:73], v[70:71]
	ds_load_2addr_b64 v[70:73], v1 offset0:41 offset1:42
	s_waitcnt lgkmcnt(0)
	v_fma_f64 v[70:71], v[78:79], v[70:71], v[74:75]
	scratch_load_b128 v[74:77], off, off offset:144
	s_waitcnt vmcnt(4)
	;; [unrolled: 6-line block ×8, first 2 shown]
	v_fma_f64 v[82:83], v[82:83], v[72:73], v[70:71]
	ds_load_2addr_b64 v[70:73], v1 offset0:55 offset1:56
	s_waitcnt lgkmcnt(0)
	v_fma_f64 v[70:71], v[84:85], v[70:71], v[82:83]
	s_waitcnt vmcnt(3)
	s_delay_alu instid0(VALU_DEP_1) | instskip(SKIP_4) | instid1(VALU_DEP_1)
	v_fma_f64 v[82:83], v[92:93], v[72:73], v[70:71]
	ds_load_2addr_b64 v[70:73], v1 offset0:57 offset1:58
	s_waitcnt lgkmcnt(0)
	v_fma_f64 v[70:71], v[94:95], v[70:71], v[82:83]
	s_waitcnt vmcnt(2)
	v_fma_f64 v[82:83], v[86:87], v[72:73], v[70:71]
	ds_load_2addr_b64 v[70:73], v1 offset0:59 offset1:60
	s_waitcnt lgkmcnt(0)
	v_fma_f64 v[70:71], v[88:89], v[70:71], v[82:83]
	s_waitcnt vmcnt(1)
	s_delay_alu instid0(VALU_DEP_1) | instskip(SKIP_4) | instid1(VALU_DEP_1)
	v_fma_f64 v[74:75], v[74:75], v[72:73], v[70:71]
	ds_load_2addr_b64 v[70:73], v1 offset0:61 offset1:62
	s_waitcnt lgkmcnt(0)
	v_fma_f64 v[70:71], v[76:77], v[70:71], v[74:75]
	s_waitcnt vmcnt(0)
	v_fma_f64 v[70:71], v[78:79], v[72:73], v[70:71]
	ds_load_b64 v[72:73], v1 offset:504
	s_waitcnt lgkmcnt(0)
	v_fma_f64 v[70:71], v[80:81], v[72:73], v[70:71]
	s_delay_alu instid0(VALU_DEP_1)
	v_add_f64 v[68:69], v[68:69], -v[70:71]
	scratch_store_b64 off, v[68:69], off offset:32
	v_cmpx_lt_u32_e32 3, v0
	s_cbranch_execz .LBB95_195
; %bb.194:
	scratch_load_b64 v[68:69], off, off offset:24
	v_mov_b32_e32 v2, v1
	scratch_store_b64 off, v[1:2], off offset:24
	s_waitcnt vmcnt(0)
	ds_store_b64 v3, v[68:69]
.LBB95_195:
	s_or_b32 exec_lo, exec_lo, s0
	s_waitcnt lgkmcnt(0)
	s_waitcnt_vscnt null, 0x0
	s_barrier
	buffer_gl0_inv
	s_clause 0x4
	scratch_load_b128 v[68:71], off, off offset:24
	scratch_load_b128 v[72:75], off, off offset:40
	;; [unrolled: 1-line block ×5, first 2 shown]
	ds_load_b128 v[88:91], v1 offset:288
	scratch_load_b128 v[92:95], off, off offset:104
	s_mov_b32 s0, exec_lo
	s_waitcnt vmcnt(5) lgkmcnt(0)
	v_fma_f64 v[70:71], v[70:71], v[88:89], 0
	s_waitcnt vmcnt(4)
	s_delay_alu instid0(VALU_DEP_1)
	v_fma_f64 v[88:89], v[72:73], v[90:91], v[70:71]
	ds_load_b128 v[70:73], v1 offset:304
	s_waitcnt lgkmcnt(0)
	v_fma_f64 v[70:71], v[74:75], v[70:71], v[88:89]
	scratch_load_b128 v[88:91], off, off offset:120
	s_waitcnt vmcnt(4)
	v_fma_f64 v[74:75], v[76:77], v[72:73], v[70:71]
	ds_load_b128 v[70:73], v1 offset:320
	s_waitcnt lgkmcnt(0)
	v_fma_f64 v[70:71], v[78:79], v[70:71], v[74:75]
	scratch_load_b128 v[74:77], off, off offset:136
	s_waitcnt vmcnt(4)
	;; [unrolled: 6-line block ×8, first 2 shown]
	v_fma_f64 v[82:83], v[82:83], v[72:73], v[70:71]
	ds_load_b128 v[70:73], v1 offset:432
	s_waitcnt lgkmcnt(0)
	v_fma_f64 v[70:71], v[84:85], v[70:71], v[82:83]
	scratch_load_b64 v[82:83], off, off offset:248
	s_waitcnt vmcnt(4)
	v_fma_f64 v[84:85], v[92:93], v[72:73], v[70:71]
	ds_load_b128 v[70:73], v1 offset:448
	s_waitcnt lgkmcnt(0)
	v_fma_f64 v[70:71], v[94:95], v[70:71], v[84:85]
	s_waitcnt vmcnt(3)
	s_delay_alu instid0(VALU_DEP_1) | instskip(SKIP_4) | instid1(VALU_DEP_1)
	v_fma_f64 v[84:85], v[86:87], v[72:73], v[70:71]
	ds_load_b128 v[70:73], v1 offset:464
	s_waitcnt lgkmcnt(0)
	v_fma_f64 v[70:71], v[88:89], v[70:71], v[84:85]
	s_waitcnt vmcnt(2)
	v_fma_f64 v[74:75], v[74:75], v[72:73], v[70:71]
	ds_load_b128 v[70:73], v1 offset:480
	s_waitcnt lgkmcnt(0)
	v_fma_f64 v[70:71], v[76:77], v[70:71], v[74:75]
	s_waitcnt vmcnt(1)
	s_delay_alu instid0(VALU_DEP_1) | instskip(SKIP_4) | instid1(VALU_DEP_1)
	v_fma_f64 v[74:75], v[78:79], v[72:73], v[70:71]
	ds_load_b128 v[70:73], v1 offset:496
	s_waitcnt lgkmcnt(0)
	v_fma_f64 v[1:2], v[80:81], v[70:71], v[74:75]
	s_waitcnt vmcnt(0)
	v_fma_f64 v[1:2], v[82:83], v[72:73], v[1:2]
	s_delay_alu instid0(VALU_DEP_1)
	v_add_f64 v[1:2], v[68:69], -v[1:2]
	scratch_store_b64 off, v[1:2], off offset:24
	v_cmpx_lt_u32_e32 2, v0
	s_cbranch_execz .LBB95_197
; %bb.196:
	scratch_load_b64 v[1:2], off, off offset:16
	v_mov_b32_e32 v68, 0
	s_delay_alu instid0(VALU_DEP_1)
	v_mov_b32_e32 v69, v68
	scratch_store_b64 off, v[68:69], off offset:16
	s_waitcnt vmcnt(0)
	ds_store_b64 v3, v[1:2]
.LBB95_197:
	s_or_b32 exec_lo, exec_lo, s0
	s_waitcnt lgkmcnt(0)
	s_waitcnt_vscnt null, 0x0
	s_barrier
	buffer_gl0_inv
	s_clause 0x4
	scratch_load_b128 v[68:71], off, off offset:16
	scratch_load_b128 v[72:75], off, off offset:32
	;; [unrolled: 1-line block ×5, first 2 shown]
	v_mov_b32_e32 v1, 0
	scratch_load_b128 v[92:95], off, off offset:96
	s_mov_b32 s0, exec_lo
	ds_load_2addr_b64 v[88:91], v1 offset0:35 offset1:36
	s_waitcnt vmcnt(5) lgkmcnt(0)
	v_fma_f64 v[70:71], v[70:71], v[88:89], 0
	s_waitcnt vmcnt(4)
	s_delay_alu instid0(VALU_DEP_1)
	v_fma_f64 v[88:89], v[72:73], v[90:91], v[70:71]
	ds_load_2addr_b64 v[70:73], v1 offset0:37 offset1:38
	s_waitcnt lgkmcnt(0)
	v_fma_f64 v[70:71], v[74:75], v[70:71], v[88:89]
	scratch_load_b128 v[88:91], off, off offset:112
	s_waitcnt vmcnt(4)
	v_fma_f64 v[74:75], v[76:77], v[72:73], v[70:71]
	ds_load_2addr_b64 v[70:73], v1 offset0:39 offset1:40
	s_waitcnt lgkmcnt(0)
	v_fma_f64 v[70:71], v[78:79], v[70:71], v[74:75]
	scratch_load_b128 v[74:77], off, off offset:128
	s_waitcnt vmcnt(4)
	;; [unrolled: 6-line block ×9, first 2 shown]
	v_fma_f64 v[90:91], v[92:93], v[72:73], v[70:71]
	ds_load_2addr_b64 v[70:73], v1 offset0:55 offset1:56
	s_waitcnt lgkmcnt(0)
	v_fma_f64 v[70:71], v[94:95], v[70:71], v[90:91]
	s_waitcnt vmcnt(3)
	s_delay_alu instid0(VALU_DEP_1) | instskip(SKIP_4) | instid1(VALU_DEP_1)
	v_fma_f64 v[86:87], v[86:87], v[72:73], v[70:71]
	ds_load_2addr_b64 v[70:73], v1 offset0:57 offset1:58
	s_waitcnt lgkmcnt(0)
	v_fma_f64 v[70:71], v[88:89], v[70:71], v[86:87]
	s_waitcnt vmcnt(2)
	v_fma_f64 v[74:75], v[74:75], v[72:73], v[70:71]
	ds_load_2addr_b64 v[70:73], v1 offset0:59 offset1:60
	s_waitcnt lgkmcnt(0)
	v_fma_f64 v[70:71], v[76:77], v[70:71], v[74:75]
	s_waitcnt vmcnt(1)
	s_delay_alu instid0(VALU_DEP_1) | instskip(SKIP_4) | instid1(VALU_DEP_1)
	v_fma_f64 v[74:75], v[78:79], v[72:73], v[70:71]
	ds_load_2addr_b64 v[70:73], v1 offset0:61 offset1:62
	s_waitcnt lgkmcnt(0)
	v_fma_f64 v[70:71], v[80:81], v[70:71], v[74:75]
	s_waitcnt vmcnt(0)
	v_fma_f64 v[70:71], v[82:83], v[72:73], v[70:71]
	ds_load_b64 v[72:73], v1 offset:504
	s_waitcnt lgkmcnt(0)
	v_fma_f64 v[70:71], v[84:85], v[72:73], v[70:71]
	s_delay_alu instid0(VALU_DEP_1)
	v_add_f64 v[68:69], v[68:69], -v[70:71]
	scratch_store_b64 off, v[68:69], off offset:16
	v_cmpx_lt_u32_e32 1, v0
	s_cbranch_execz .LBB95_199
; %bb.198:
	scratch_load_b64 v[68:69], off, off offset:8
	v_mov_b32_e32 v2, v1
	scratch_store_b64 off, v[1:2], off offset:8
	s_waitcnt vmcnt(0)
	ds_store_b64 v3, v[68:69]
.LBB95_199:
	s_or_b32 exec_lo, exec_lo, s0
	s_waitcnt lgkmcnt(0)
	s_waitcnt_vscnt null, 0x0
	s_barrier
	buffer_gl0_inv
	s_clause 0x4
	scratch_load_b128 v[68:71], off, off offset:8
	scratch_load_b128 v[72:75], off, off offset:24
	;; [unrolled: 1-line block ×5, first 2 shown]
	ds_load_b128 v[88:91], v1 offset:272
	scratch_load_b128 v[92:95], off, off offset:88
	s_mov_b32 s0, exec_lo
	s_waitcnt vmcnt(5) lgkmcnt(0)
	v_fma_f64 v[70:71], v[70:71], v[88:89], 0
	s_waitcnt vmcnt(4)
	s_delay_alu instid0(VALU_DEP_1)
	v_fma_f64 v[88:89], v[72:73], v[90:91], v[70:71]
	ds_load_b128 v[70:73], v1 offset:288
	s_waitcnt lgkmcnt(0)
	v_fma_f64 v[70:71], v[74:75], v[70:71], v[88:89]
	scratch_load_b128 v[88:91], off, off offset:104
	s_waitcnt vmcnt(4)
	v_fma_f64 v[74:75], v[76:77], v[72:73], v[70:71]
	ds_load_b128 v[70:73], v1 offset:304
	s_waitcnt lgkmcnt(0)
	v_fma_f64 v[70:71], v[78:79], v[70:71], v[74:75]
	scratch_load_b128 v[74:77], off, off offset:120
	s_waitcnt vmcnt(4)
	;; [unrolled: 6-line block ×9, first 2 shown]
	v_fma_f64 v[90:91], v[92:93], v[72:73], v[70:71]
	ds_load_b128 v[70:73], v1 offset:432
	s_waitcnt lgkmcnt(0)
	v_fma_f64 v[70:71], v[94:95], v[70:71], v[90:91]
	scratch_load_b64 v[90:91], off, off offset:248
	s_waitcnt vmcnt(4)
	v_fma_f64 v[86:87], v[86:87], v[72:73], v[70:71]
	ds_load_b128 v[70:73], v1 offset:448
	s_waitcnt lgkmcnt(0)
	v_fma_f64 v[70:71], v[88:89], v[70:71], v[86:87]
	s_waitcnt vmcnt(3)
	s_delay_alu instid0(VALU_DEP_1) | instskip(SKIP_4) | instid1(VALU_DEP_1)
	v_fma_f64 v[74:75], v[74:75], v[72:73], v[70:71]
	ds_load_b128 v[70:73], v1 offset:464
	s_waitcnt lgkmcnt(0)
	v_fma_f64 v[70:71], v[76:77], v[70:71], v[74:75]
	s_waitcnt vmcnt(2)
	v_fma_f64 v[74:75], v[78:79], v[72:73], v[70:71]
	ds_load_b128 v[70:73], v1 offset:480
	s_waitcnt lgkmcnt(0)
	v_fma_f64 v[70:71], v[80:81], v[70:71], v[74:75]
	s_waitcnt vmcnt(1)
	s_delay_alu instid0(VALU_DEP_1) | instskip(SKIP_4) | instid1(VALU_DEP_1)
	v_fma_f64 v[74:75], v[82:83], v[72:73], v[70:71]
	ds_load_b128 v[70:73], v1 offset:496
	s_waitcnt lgkmcnt(0)
	v_fma_f64 v[1:2], v[84:85], v[70:71], v[74:75]
	s_waitcnt vmcnt(0)
	v_fma_f64 v[1:2], v[90:91], v[72:73], v[1:2]
	s_delay_alu instid0(VALU_DEP_1)
	v_add_f64 v[1:2], v[68:69], -v[1:2]
	scratch_store_b64 off, v[1:2], off offset:8
	v_cmpx_ne_u32_e32 0, v0
	s_cbranch_execz .LBB95_201
; %bb.200:
	scratch_load_b64 v[0:1], off, off
	v_mov_b32_e32 v68, 0
	s_delay_alu instid0(VALU_DEP_1)
	v_mov_b32_e32 v69, v68
	scratch_store_b64 off, v[68:69], off
	s_waitcnt vmcnt(0)
	ds_store_b64 v3, v[0:1]
.LBB95_201:
	s_or_b32 exec_lo, exec_lo, s0
	s_waitcnt lgkmcnt(0)
	s_waitcnt_vscnt null, 0x0
	s_barrier
	buffer_gl0_inv
	s_clause 0x4
	scratch_load_b128 v[68:71], off, off
	scratch_load_b128 v[0:3], off, off offset:16
	scratch_load_b128 v[72:75], off, off offset:32
	;; [unrolled: 1-line block ×4, first 2 shown]
	v_mov_b32_e32 v96, 0
	s_clause 0x1
	scratch_load_b128 v[88:91], off, off offset:80
	scratch_load_b128 v[92:95], off, off offset:176
	s_and_b32 vcc_lo, exec_lo, s12
	ds_load_2addr_b64 v[84:87], v96 offset0:33 offset1:34
	s_waitcnt vmcnt(6) lgkmcnt(0)
	v_fma_f64 v[70:71], v[70:71], v[84:85], 0
	s_waitcnt vmcnt(5)
	s_delay_alu instid0(VALU_DEP_1)
	v_fma_f64 v[0:1], v[0:1], v[86:87], v[70:71]
	ds_load_2addr_b64 v[84:87], v96 offset0:35 offset1:36
	s_waitcnt lgkmcnt(0)
	v_fma_f64 v[70:71], v[2:3], v[84:85], v[0:1]
	scratch_load_b128 v[0:3], off, off offset:96
	s_waitcnt vmcnt(5)
	v_fma_f64 v[84:85], v[72:73], v[86:87], v[70:71]
	ds_load_2addr_b64 v[70:73], v96 offset0:37 offset1:38
	s_waitcnt lgkmcnt(0)
	v_fma_f64 v[70:71], v[74:75], v[70:71], v[84:85]
	scratch_load_b128 v[84:87], off, off offset:112
	s_waitcnt vmcnt(5)
	;; [unrolled: 6-line block ×5, first 2 shown]
	v_fma_f64 v[0:1], v[0:1], v[72:73], v[70:71]
	ds_load_2addr_b64 v[70:73], v96 offset0:45 offset1:46
	s_waitcnt lgkmcnt(0)
	v_fma_f64 v[0:1], v[2:3], v[70:71], v[0:1]
	s_waitcnt vmcnt(3)
	s_delay_alu instid0(VALU_DEP_1)
	v_fma_f64 v[70:71], v[84:85], v[72:73], v[0:1]
	ds_load_2addr_b64 v[0:3], v96 offset0:47 offset1:48
	ds_load_2addr_b64 v[82:85], v96 offset0:53 offset1:54
	s_waitcnt lgkmcnt(1)
	v_fma_f64 v[0:1], v[86:87], v[0:1], v[70:71]
	scratch_load_b128 v[70:73], off, off offset:192
	s_waitcnt vmcnt(3)
	v_fma_f64 v[74:75], v[74:75], v[2:3], v[0:1]
	ds_load_2addr_b64 v[0:3], v96 offset0:49 offset1:50
	s_waitcnt lgkmcnt(0)
	v_fma_f64 v[0:1], v[76:77], v[0:1], v[74:75]
	scratch_load_b128 v[74:77], off, off offset:208
	s_waitcnt vmcnt(3)
	v_fma_f64 v[78:79], v[78:79], v[2:3], v[0:1]
	;; [unrolled: 6-line block ×3, first 2 shown]
	s_delay_alu instid0(VALU_DEP_1)
	v_fma_f64 v[82:83], v[90:91], v[82:83], v[0:1]
	scratch_load_b128 v[0:3], off, off offset:240
	v_fma_f64 v[86:87], v[92:93], v[84:85], v[82:83]
	ds_load_2addr_b64 v[82:85], v96 offset0:55 offset1:56
	s_waitcnt lgkmcnt(0)
	v_fma_f64 v[82:83], v[94:95], v[82:83], v[86:87]
	s_waitcnt vmcnt(3)
	s_delay_alu instid0(VALU_DEP_1) | instskip(SKIP_4) | instid1(VALU_DEP_1)
	v_fma_f64 v[70:71], v[70:71], v[84:85], v[82:83]
	ds_load_2addr_b64 v[82:85], v96 offset0:57 offset1:58
	s_waitcnt lgkmcnt(0)
	v_fma_f64 v[70:71], v[72:73], v[82:83], v[70:71]
	s_waitcnt vmcnt(2)
	v_fma_f64 v[74:75], v[74:75], v[84:85], v[70:71]
	ds_load_2addr_b64 v[70:73], v96 offset0:59 offset1:60
	s_waitcnt lgkmcnt(0)
	v_fma_f64 v[70:71], v[76:77], v[70:71], v[74:75]
	s_waitcnt vmcnt(1)
	s_delay_alu instid0(VALU_DEP_1) | instskip(SKIP_4) | instid1(VALU_DEP_1)
	v_fma_f64 v[74:75], v[78:79], v[72:73], v[70:71]
	ds_load_2addr_b64 v[70:73], v96 offset0:61 offset1:62
	s_waitcnt lgkmcnt(0)
	v_fma_f64 v[70:71], v[80:81], v[70:71], v[74:75]
	s_waitcnt vmcnt(0)
	v_fma_f64 v[70:71], v[0:1], v[72:73], v[70:71]
	ds_load_b64 v[72:73], v96 offset:504
	s_waitcnt lgkmcnt(0)
	v_fma_f64 v[2:3], v[2:3], v[72:73], v[70:71]
	s_delay_alu instid0(VALU_DEP_1)
	v_add_f64 v[2:3], v[68:69], -v[2:3]
	scratch_store_b64 off, v[2:3], off
	s_cbranch_vccz .LBB95_265
; %bb.202:
	v_dual_mov_b32 v2, s2 :: v_dual_mov_b32 v3, s3
	s_mov_b32 s0, exec_lo
	flat_load_b32 v2, v[2:3] offset:120
	s_waitcnt vmcnt(0) lgkmcnt(0)
	v_cmpx_ne_u32_e32 31, v2
	s_cbranch_execz .LBB95_204
; %bb.203:
	v_lshl_add_u32 v68, v2, 3, 0
	scratch_load_b64 v[2:3], v68, off offset:-8
	s_waitcnt vmcnt(0)
	scratch_store_b64 off, v[2:3], off offset:240
	scratch_store_b64 v68, v[0:1], off offset:-8
.LBB95_204:
	s_or_b32 exec_lo, exec_lo, s0
	v_dual_mov_b32 v0, s2 :: v_dual_mov_b32 v1, s3
	s_mov_b32 s0, exec_lo
	flat_load_b32 v0, v[0:1] offset:116
	s_waitcnt vmcnt(0) lgkmcnt(0)
	v_cmpx_ne_u32_e32 30, v0
	s_cbranch_execz .LBB95_206
; %bb.205:
	v_lshl_add_u32 v68, v0, 3, 0
	scratch_load_b64 v[0:1], v68, off offset:-8
	scratch_load_b64 v[2:3], off, off offset:232
	s_waitcnt vmcnt(1)
	scratch_store_b64 off, v[0:1], off offset:232
	s_waitcnt vmcnt(0)
	scratch_store_b64 v68, v[2:3], off offset:-8
.LBB95_206:
	s_or_b32 exec_lo, exec_lo, s0
	v_dual_mov_b32 v0, s2 :: v_dual_mov_b32 v1, s3
	s_mov_b32 s0, exec_lo
	flat_load_b32 v0, v[0:1] offset:112
	s_waitcnt vmcnt(0) lgkmcnt(0)
	v_cmpx_ne_u32_e32 29, v0
	s_cbranch_execz .LBB95_208
; %bb.207:
	v_lshl_add_u32 v68, v0, 3, 0
	scratch_load_b64 v[0:1], v68, off offset:-8
	scratch_load_b64 v[2:3], off, off offset:224
	s_waitcnt vmcnt(1)
	scratch_store_b64 off, v[0:1], off offset:224
	s_waitcnt vmcnt(0)
	scratch_store_b64 v68, v[2:3], off offset:-8
.LBB95_208:
	;; [unrolled: 16-line block ×29, first 2 shown]
	s_or_b32 exec_lo, exec_lo, s0
	v_dual_mov_b32 v0, s2 :: v_dual_mov_b32 v1, s3
	s_mov_b32 s0, exec_lo
	flat_load_b32 v0, v[0:1]
	scratch_load_b64 v[2:3], off, off
	s_waitcnt vmcnt(1) lgkmcnt(0)
	v_cmpx_ne_u32_e32 1, v0
	s_cbranch_execz .LBB95_264
; %bb.263:
	v_lshl_add_u32 v68, v0, 3, 0
	scratch_load_b64 v[0:1], v68, off offset:-8
	s_waitcnt vmcnt(0)
	scratch_store_b64 off, v[0:1], off
	scratch_store_b64 v68, v[2:3], off offset:-8
	scratch_load_b64 v[2:3], off, off
.LBB95_264:
	s_or_b32 exec_lo, exec_lo, s0
.LBB95_265:
	s_clause 0x5
	scratch_load_b128 v[68:71], off, off offset:8
	scratch_load_b128 v[72:75], off, off offset:24
	;; [unrolled: 1-line block ×6, first 2 shown]
	s_waitcnt vmcnt(6)
	global_store_b64 v[6:7], v[2:3], off
	s_clause 0x1
	scratch_load_b128 v[0:3], off, off offset:104
	scratch_load_b128 v[92:95], off, off offset:152
	s_waitcnt vmcnt(7)
	global_store_b64 v[8:9], v[68:69], off
	scratch_load_b128 v[6:9], off, off offset:120
	global_store_b64 v[4:5], v[70:71], off
	s_waitcnt vmcnt(7)
	s_clause 0x1
	global_store_b64 v[12:13], v[72:73], off
	global_store_b64 v[14:15], v[74:75], off
	s_waitcnt vmcnt(6)
	s_clause 0x1
	global_store_b64 v[10:11], v[76:77], off
	;; [unrolled: 4-line block ×3, first 2 shown]
	global_store_b64 v[22:23], v[82:83], off
	s_clause 0x6
	scratch_load_b128 v[68:71], off, off offset:136
	scratch_load_b128 v[12:15], off, off offset:168
	;; [unrolled: 1-line block ×6, first 2 shown]
	scratch_load_b64 v[4:5], off, off offset:248
	s_waitcnt vmcnt(11)
	s_clause 0x1
	global_store_b64 v[20:21], v[84:85], off
	global_store_b64 v[26:27], v[86:87], off
	s_waitcnt vmcnt(10)
	s_clause 0x1
	global_store_b64 v[28:29], v[88:89], off
	global_store_b64 v[30:31], v[90:91], off
	;; [unrolled: 4-line block ×5, first 2 shown]
	global_store_b64 v[44:45], v[92:93], off
	global_store_b64 v[46:47], v[94:95], off
	s_waitcnt vmcnt(5)
	s_clause 0x1
	global_store_b64 v[48:49], v[12:13], off
	global_store_b64 v[50:51], v[14:15], off
	s_waitcnt vmcnt(4)
	s_clause 0x1
	;; [unrolled: 4-line block ×5, first 2 shown]
	global_store_b64 v[64:65], v[80:81], off
	global_store_b64 v[66:67], v[82:83], off
	s_waitcnt vmcnt(0)
	global_store_b64 v[24:25], v[4:5], off
	s_endpgm
	.section	.rodata,"a",@progbits
	.p2align	6, 0x0
	.amdhsa_kernel _ZN9rocsolver6v33100L18getri_kernel_smallILi32EdPKPdEEvT1_iilPiilS6_bb
		.amdhsa_group_segment_fixed_size 520
		.amdhsa_private_segment_fixed_size 272
		.amdhsa_kernarg_size 60
		.amdhsa_user_sgpr_count 15
		.amdhsa_user_sgpr_dispatch_ptr 0
		.amdhsa_user_sgpr_queue_ptr 0
		.amdhsa_user_sgpr_kernarg_segment_ptr 1
		.amdhsa_user_sgpr_dispatch_id 0
		.amdhsa_user_sgpr_private_segment_size 0
		.amdhsa_wavefront_size32 1
		.amdhsa_uses_dynamic_stack 0
		.amdhsa_enable_private_segment 1
		.amdhsa_system_sgpr_workgroup_id_x 1
		.amdhsa_system_sgpr_workgroup_id_y 0
		.amdhsa_system_sgpr_workgroup_id_z 0
		.amdhsa_system_sgpr_workgroup_info 0
		.amdhsa_system_vgpr_workitem_id 0
		.amdhsa_next_free_vgpr 102
		.amdhsa_next_free_sgpr 17
		.amdhsa_reserve_vcc 1
		.amdhsa_float_round_mode_32 0
		.amdhsa_float_round_mode_16_64 0
		.amdhsa_float_denorm_mode_32 3
		.amdhsa_float_denorm_mode_16_64 3
		.amdhsa_dx10_clamp 1
		.amdhsa_ieee_mode 1
		.amdhsa_fp16_overflow 0
		.amdhsa_workgroup_processor_mode 1
		.amdhsa_memory_ordered 1
		.amdhsa_forward_progress 0
		.amdhsa_shared_vgpr_count 0
		.amdhsa_exception_fp_ieee_invalid_op 0
		.amdhsa_exception_fp_denorm_src 0
		.amdhsa_exception_fp_ieee_div_zero 0
		.amdhsa_exception_fp_ieee_overflow 0
		.amdhsa_exception_fp_ieee_underflow 0
		.amdhsa_exception_fp_ieee_inexact 0
		.amdhsa_exception_int_div_zero 0
	.end_amdhsa_kernel
	.section	.text._ZN9rocsolver6v33100L18getri_kernel_smallILi32EdPKPdEEvT1_iilPiilS6_bb,"axG",@progbits,_ZN9rocsolver6v33100L18getri_kernel_smallILi32EdPKPdEEvT1_iilPiilS6_bb,comdat
.Lfunc_end95:
	.size	_ZN9rocsolver6v33100L18getri_kernel_smallILi32EdPKPdEEvT1_iilPiilS6_bb, .Lfunc_end95-_ZN9rocsolver6v33100L18getri_kernel_smallILi32EdPKPdEEvT1_iilPiilS6_bb
                                        ; -- End function
	.section	.AMDGPU.csdata,"",@progbits
; Kernel info:
; codeLenInByte = 24684
; NumSgprs: 19
; NumVgprs: 102
; ScratchSize: 272
; MemoryBound: 0
; FloatMode: 240
; IeeeMode: 1
; LDSByteSize: 520 bytes/workgroup (compile time only)
; SGPRBlocks: 2
; VGPRBlocks: 12
; NumSGPRsForWavesPerEU: 19
; NumVGPRsForWavesPerEU: 102
; Occupancy: 12
; WaveLimiterHint : 1
; COMPUTE_PGM_RSRC2:SCRATCH_EN: 1
; COMPUTE_PGM_RSRC2:USER_SGPR: 15
; COMPUTE_PGM_RSRC2:TRAP_HANDLER: 0
; COMPUTE_PGM_RSRC2:TGID_X_EN: 1
; COMPUTE_PGM_RSRC2:TGID_Y_EN: 0
; COMPUTE_PGM_RSRC2:TGID_Z_EN: 0
; COMPUTE_PGM_RSRC2:TIDIG_COMP_CNT: 0
	.section	.text._ZN9rocsolver6v33100L18getri_kernel_smallILi33EdPKPdEEvT1_iilPiilS6_bb,"axG",@progbits,_ZN9rocsolver6v33100L18getri_kernel_smallILi33EdPKPdEEvT1_iilPiilS6_bb,comdat
	.globl	_ZN9rocsolver6v33100L18getri_kernel_smallILi33EdPKPdEEvT1_iilPiilS6_bb ; -- Begin function _ZN9rocsolver6v33100L18getri_kernel_smallILi33EdPKPdEEvT1_iilPiilS6_bb
	.p2align	8
	.type	_ZN9rocsolver6v33100L18getri_kernel_smallILi33EdPKPdEEvT1_iilPiilS6_bb,@function
_ZN9rocsolver6v33100L18getri_kernel_smallILi33EdPKPdEEvT1_iilPiilS6_bb: ; @_ZN9rocsolver6v33100L18getri_kernel_smallILi33EdPKPdEEvT1_iilPiilS6_bb
; %bb.0:
	s_mov_b32 s2, exec_lo
	v_cmpx_gt_u32_e32 33, v0
	s_cbranch_execz .LBB96_142
; %bb.1:
	s_clause 0x1
	s_load_b32 s13, s[0:1], 0x38
	s_load_b64 s[2:3], s[0:1], 0x0
	s_mov_b32 s8, s15
	s_load_b128 s[4:7], s[0:1], 0x28
	s_waitcnt lgkmcnt(0)
	s_bitcmp1_b32 s13, 8
	s_cselect_b32 s12, -1, 0
	s_ashr_i32 s9, s15, 31
	s_delay_alu instid0(SALU_CYCLE_1) | instskip(NEXT) | instid1(SALU_CYCLE_1)
	s_lshl_b64 s[10:11], s[8:9], 3
	s_add_u32 s2, s2, s10
	s_addc_u32 s3, s3, s11
	s_load_b64 s[10:11], s[2:3], 0x0
	s_bfe_u32 s2, s13, 0x10008
	s_delay_alu instid0(SALU_CYCLE_1)
	s_cmp_eq_u32 s2, 0
                                        ; implicit-def: $sgpr2_sgpr3
	s_cbranch_scc1 .LBB96_3
; %bb.2:
	s_clause 0x1
	s_load_b32 s2, s[0:1], 0x20
	s_load_b64 s[14:15], s[0:1], 0x18
	s_mul_i32 s3, s8, s5
	s_mul_hi_u32 s5, s8, s4
	s_mul_i32 s16, s9, s4
	s_add_i32 s3, s5, s3
	s_mul_i32 s4, s8, s4
	s_add_i32 s5, s3, s16
	s_delay_alu instid0(SALU_CYCLE_1)
	s_lshl_b64 s[4:5], s[4:5], 2
	s_waitcnt lgkmcnt(0)
	s_ashr_i32 s3, s2, 31
	s_add_u32 s4, s14, s4
	s_addc_u32 s5, s15, s5
	s_lshl_b64 s[2:3], s[2:3], 2
	s_delay_alu instid0(SALU_CYCLE_1)
	s_add_u32 s2, s4, s2
	s_addc_u32 s3, s5, s3
.LBB96_3:
	s_load_b64 s[0:1], s[0:1], 0x8
	v_lshlrev_b32_e32 v87, 3, v0
	s_waitcnt lgkmcnt(0)
	v_add3_u32 v3, s1, s1, v0
	s_ashr_i32 s5, s0, 31
	s_mov_b32 s4, s0
	s_mov_b32 s14, s1
	s_lshl_b64 s[4:5], s[4:5], 3
	v_add_nc_u32_e32 v5, s1, v3
	v_ashrrev_i32_e32 v4, 31, v3
	s_add_u32 s4, s10, s4
	s_addc_u32 s5, s11, s5
	v_add_co_u32 v21, s0, s4, v87
	v_add_nc_u32_e32 v7, s1, v5
	v_ashrrev_i32_e32 v6, 31, v5
	s_ashr_i32 s15, s1, 31
	v_add_co_ci_u32_e64 v22, null, s5, 0, s0
	s_delay_alu instid0(VALU_DEP_3)
	v_add_nc_u32_e32 v9, s1, v7
	v_lshlrev_b64 v[3:4], 3, v[3:4]
	s_lshl_b64 s[10:11], s[14:15], 3
	v_lshlrev_b64 v[5:6], 3, v[5:6]
	v_add_co_u32 v23, vcc_lo, v21, s10
	v_add_nc_u32_e32 v11, s1, v9
	v_ashrrev_i32_e32 v8, 31, v7
	v_add_co_ci_u32_e32 v24, vcc_lo, s11, v22, vcc_lo
	v_add_co_u32 v25, vcc_lo, s4, v3
	s_delay_alu instid0(VALU_DEP_4)
	v_add_nc_u32_e32 v13, s1, v11
	v_ashrrev_i32_e32 v10, 31, v9
	v_add_co_ci_u32_e32 v26, vcc_lo, s5, v4, vcc_lo
	v_lshlrev_b64 v[3:4], 3, v[7:8]
	v_add_co_u32 v27, vcc_lo, s4, v5
	v_ashrrev_i32_e32 v12, 31, v11
	v_add_nc_u32_e32 v15, s1, v13
	v_add_co_ci_u32_e32 v28, vcc_lo, s5, v6, vcc_lo
	v_lshlrev_b64 v[5:6], 3, v[9:10]
	v_ashrrev_i32_e32 v14, 31, v13
	v_add_co_u32 v29, vcc_lo, s4, v3
	v_lshlrev_b64 v[17:18], 3, v[11:12]
	v_add_nc_u32_e32 v41, s1, v15
	v_add_co_ci_u32_e32 v30, vcc_lo, s5, v4, vcc_lo
	v_add_co_u32 v31, vcc_lo, s4, v5
	v_lshlrev_b64 v[13:14], 3, v[13:14]
	v_ashrrev_i32_e32 v16, 31, v15
	v_add_co_ci_u32_e32 v32, vcc_lo, s5, v6, vcc_lo
	v_add_co_u32 v33, vcc_lo, s4, v17
	v_ashrrev_i32_e32 v42, 31, v41
	v_add_co_ci_u32_e32 v34, vcc_lo, s5, v18, vcc_lo
	v_lshlrev_b64 v[15:16], 3, v[15:16]
	v_add_co_u32 v35, vcc_lo, s4, v13
	v_add_co_ci_u32_e32 v36, vcc_lo, s5, v14, vcc_lo
	v_lshlrev_b64 v[13:14], 3, v[41:42]
	s_delay_alu instid0(VALU_DEP_4)
	v_add_co_u32 v37, vcc_lo, s4, v15
	v_add_co_ci_u32_e32 v38, vcc_lo, s5, v16, vcc_lo
	global_load_b64 v[1:2], v87, s[4:5]
	v_add_co_u32 v39, vcc_lo, s4, v13
	s_clause 0x3
	global_load_b64 v[3:4], v[23:24], off
	global_load_b64 v[5:6], v[25:26], off
	;; [unrolled: 1-line block ×4, first 2 shown]
	v_add_co_ci_u32_e32 v40, vcc_lo, s5, v14, vcc_lo
	s_clause 0x4
	global_load_b64 v[11:12], v[31:32], off
	global_load_b64 v[17:18], v[33:34], off
	;; [unrolled: 1-line block ×5, first 2 shown]
	v_add_nc_u32_e32 v41, s1, v41
	s_bitcmp0_b32 s13, 0
	s_delay_alu instid0(VALU_DEP_1) | instskip(SKIP_1) | instid1(VALU_DEP_2)
	v_add_nc_u32_e32 v43, s1, v41
	v_ashrrev_i32_e32 v42, 31, v41
	v_add_nc_u32_e32 v45, s1, v43
	v_ashrrev_i32_e32 v44, 31, v43
	s_delay_alu instid0(VALU_DEP_3) | instskip(NEXT) | instid1(VALU_DEP_3)
	v_lshlrev_b64 v[41:42], 3, v[41:42]
	v_add_nc_u32_e32 v47, s1, v45
	v_ashrrev_i32_e32 v46, 31, v45
	s_delay_alu instid0(VALU_DEP_4) | instskip(NEXT) | instid1(VALU_DEP_4)
	v_lshlrev_b64 v[43:44], 3, v[43:44]
	v_add_co_u32 v41, vcc_lo, s4, v41
	s_delay_alu instid0(VALU_DEP_4) | instskip(SKIP_3) | instid1(VALU_DEP_4)
	v_add_nc_u32_e32 v49, s1, v47
	v_ashrrev_i32_e32 v48, 31, v47
	v_lshlrev_b64 v[45:46], 3, v[45:46]
	v_add_co_ci_u32_e32 v42, vcc_lo, s5, v42, vcc_lo
	v_add_nc_u32_e32 v51, s1, v49
	v_ashrrev_i32_e32 v50, 31, v49
	v_add_co_u32 v43, vcc_lo, s4, v43
	v_lshlrev_b64 v[47:48], 3, v[47:48]
	s_delay_alu instid0(VALU_DEP_4) | instskip(SKIP_3) | instid1(VALU_DEP_4)
	v_add_nc_u32_e32 v53, s1, v51
	v_ashrrev_i32_e32 v52, 31, v51
	v_add_co_ci_u32_e32 v44, vcc_lo, s5, v44, vcc_lo
	v_add_co_u32 v45, vcc_lo, s4, v45
	v_add_nc_u32_e32 v55, s1, v53
	v_lshlrev_b64 v[49:50], 3, v[49:50]
	v_ashrrev_i32_e32 v54, 31, v53
	v_add_co_ci_u32_e32 v46, vcc_lo, s5, v46, vcc_lo
	s_delay_alu instid0(VALU_DEP_4) | instskip(SKIP_3) | instid1(VALU_DEP_4)
	v_add_nc_u32_e32 v57, s1, v55
	v_add_co_u32 v47, vcc_lo, s4, v47
	v_lshlrev_b64 v[51:52], 3, v[51:52]
	v_ashrrev_i32_e32 v56, 31, v55
	v_add_nc_u32_e32 v59, s1, v57
	v_add_co_ci_u32_e32 v48, vcc_lo, s5, v48, vcc_lo
	v_add_co_u32 v49, vcc_lo, s4, v49
	s_delay_alu instid0(VALU_DEP_3) | instskip(SKIP_3) | instid1(VALU_DEP_4)
	v_add_nc_u32_e32 v61, s1, v59
	v_lshlrev_b64 v[53:54], 3, v[53:54]
	v_ashrrev_i32_e32 v58, 31, v57
	v_add_co_ci_u32_e32 v50, vcc_lo, s5, v50, vcc_lo
	v_add_nc_u32_e32 v63, s1, v61
	v_add_co_u32 v51, vcc_lo, s4, v51
	v_lshlrev_b64 v[55:56], 3, v[55:56]
	v_ashrrev_i32_e32 v60, 31, v59
	s_delay_alu instid0(VALU_DEP_4) | instskip(SKIP_2) | instid1(VALU_DEP_3)
	v_add_nc_u32_e32 v65, s1, v63
	v_add_co_ci_u32_e32 v52, vcc_lo, s5, v52, vcc_lo
	v_add_co_u32 v53, vcc_lo, s4, v53
	v_add_nc_u32_e32 v67, s1, v65
	v_lshlrev_b64 v[57:58], 3, v[57:58]
	v_ashrrev_i32_e32 v62, 31, v61
	v_add_co_ci_u32_e32 v54, vcc_lo, s5, v54, vcc_lo
	s_delay_alu instid0(VALU_DEP_4) | instskip(SKIP_3) | instid1(VALU_DEP_4)
	v_add_nc_u32_e32 v69, s1, v67
	v_add_co_u32 v55, vcc_lo, s4, v55
	v_lshlrev_b64 v[59:60], 3, v[59:60]
	v_ashrrev_i32_e32 v64, 31, v63
	v_add_nc_u32_e32 v71, s1, v69
	v_add_co_ci_u32_e32 v56, vcc_lo, s5, v56, vcc_lo
	v_add_co_u32 v57, vcc_lo, s4, v57
	s_delay_alu instid0(VALU_DEP_3)
	v_add_nc_u32_e32 v73, s1, v71
	v_lshlrev_b64 v[61:62], 3, v[61:62]
	v_ashrrev_i32_e32 v66, 31, v65
	v_add_co_ci_u32_e32 v58, vcc_lo, s5, v58, vcc_lo
	v_add_co_u32 v59, vcc_lo, s4, v59
	v_lshlrev_b64 v[63:64], 3, v[63:64]
	v_add_nc_u32_e32 v75, s1, v73
	v_ashrrev_i32_e32 v68, 31, v67
	v_add_co_ci_u32_e32 v60, vcc_lo, s5, v60, vcc_lo
	v_add_co_u32 v61, vcc_lo, s4, v61
	v_lshlrev_b64 v[65:66], 3, v[65:66]
	v_ashrrev_i32_e32 v70, 31, v69
	v_add_co_ci_u32_e32 v62, vcc_lo, s5, v62, vcc_lo
	v_add_nc_u32_e32 v77, s1, v75
	v_add_co_u32 v63, vcc_lo, s4, v63
	v_lshlrev_b64 v[67:68], 3, v[67:68]
	v_ashrrev_i32_e32 v72, 31, v71
	v_add_co_ci_u32_e32 v64, vcc_lo, s5, v64, vcc_lo
	v_add_co_u32 v65, vcc_lo, s4, v65
	v_lshlrev_b64 v[69:70], 3, v[69:70]
	v_ashrrev_i32_e32 v74, 31, v73
	v_add_nc_u32_e32 v79, s1, v77
	v_add_co_ci_u32_e32 v66, vcc_lo, s5, v66, vcc_lo
	v_add_co_u32 v67, vcc_lo, s4, v67
	v_lshlrev_b64 v[71:72], 3, v[71:72]
	v_ashrrev_i32_e32 v76, 31, v75
	v_add_co_ci_u32_e32 v68, vcc_lo, s5, v68, vcc_lo
	v_add_co_u32 v69, vcc_lo, s4, v69
	v_lshlrev_b64 v[73:74], 3, v[73:74]
	v_add_nc_u32_e32 v81, s1, v79
	v_ashrrev_i32_e32 v78, 31, v77
	v_add_co_ci_u32_e32 v70, vcc_lo, s5, v70, vcc_lo
	v_add_co_u32 v71, vcc_lo, s4, v71
	v_lshlrev_b64 v[75:76], 3, v[75:76]
	v_ashrrev_i32_e32 v80, 31, v79
	v_add_co_ci_u32_e32 v72, vcc_lo, s5, v72, vcc_lo
	v_add_nc_u32_e32 v85, s1, v81
	v_add_co_u32 v73, vcc_lo, s4, v73
	v_lshlrev_b64 v[77:78], 3, v[77:78]
	v_ashrrev_i32_e32 v82, 31, v81
	v_add_co_ci_u32_e32 v74, vcc_lo, s5, v74, vcc_lo
	v_add_co_u32 v75, vcc_lo, s4, v75
	v_lshlrev_b64 v[79:80], 3, v[79:80]
	v_add_nc_u32_e32 v110, s1, v85
	v_add_co_ci_u32_e32 v76, vcc_lo, s5, v76, vcc_lo
	v_add_co_u32 v77, vcc_lo, s4, v77
	v_lshlrev_b64 v[81:82], 3, v[81:82]
	v_ashrrev_i32_e32 v86, 31, v85
	v_add_co_ci_u32_e32 v78, vcc_lo, s5, v78, vcc_lo
	v_add_co_u32 v83, vcc_lo, s4, v79
	v_ashrrev_i32_e32 v111, 31, v110
	v_add_co_ci_u32_e32 v84, vcc_lo, s5, v80, vcc_lo
	v_lshlrev_b64 v[79:80], 3, v[85:86]
	v_add_co_u32 v85, vcc_lo, s4, v81
	v_add_co_ci_u32_e32 v86, vcc_lo, s5, v82, vcc_lo
	v_lshlrev_b64 v[81:82], 3, v[110:111]
	s_delay_alu instid0(VALU_DEP_4)
	v_add_co_u32 v79, vcc_lo, s4, v79
	v_add_co_ci_u32_e32 v80, vcc_lo, s5, v80, vcc_lo
	s_clause 0x2
	global_load_b64 v[88:89], v[41:42], off
	global_load_b64 v[90:91], v[43:44], off
	;; [unrolled: 1-line block ×3, first 2 shown]
	v_add_co_u32 v81, vcc_lo, s4, v81
	v_add_co_ci_u32_e32 v82, vcc_lo, s5, v82, vcc_lo
	s_clause 0x7
	global_load_b64 v[94:95], v[47:48], off
	global_load_b64 v[96:97], v[49:50], off
	;; [unrolled: 1-line block ×8, first 2 shown]
	s_mov_b32 s1, -1
	s_waitcnt vmcnt(19)
	scratch_store_b128 off, v[1:4], off
	s_clause 0x3
	global_load_b64 v[110:111], v[63:64], off
	global_load_b64 v[1:2], v[65:66], off
	;; [unrolled: 1-line block ×4, first 2 shown]
	s_waitcnt vmcnt(21)
	scratch_store_b128 off, v[5:8], off offset:16
	s_waitcnt vmcnt(19)
	scratch_store_b128 off, v[9:12], off offset:32
	s_clause 0x3
	global_load_b64 v[114:115], v[71:72], off
	global_load_b64 v[5:6], v[73:74], off
	;; [unrolled: 1-line block ×4, first 2 shown]
	s_waitcnt vmcnt(21)
	scratch_store_b128 off, v[17:20], off offset:48
	s_clause 0x2
	global_load_b64 v[11:12], v[83:84], off
	global_load_b64 v[17:18], v[85:86], off
	;; [unrolled: 1-line block ×3, first 2 shown]
	s_waitcnt vmcnt(22)
	scratch_store_b128 off, v[13:16], off offset:64
	global_load_b64 v[13:14], v[81:82], off
	s_waitcnt vmcnt(21)
	scratch_store_b128 off, v[88:91], off offset:80
	s_waitcnt vmcnt(19)
	scratch_store_b128 off, v[92:95], off offset:96
	;; [unrolled: 2-line block ×11, first 2 shown]
	s_waitcnt vmcnt(0)
	scratch_store_b64 off, v[13:14], off offset:256
	s_cbranch_scc1 .LBB96_140
; %bb.4:
	v_cmp_eq_u32_e64 s0, 0, v0
	s_delay_alu instid0(VALU_DEP_1)
	s_and_saveexec_b32 s1, s0
	s_cbranch_execz .LBB96_6
; %bb.5:
	v_mov_b32_e32 v1, 0
	ds_store_b32 v1, v1 offset:264
.LBB96_6:
	s_or_b32 exec_lo, exec_lo, s1
	s_waitcnt lgkmcnt(0)
	s_waitcnt_vscnt null, 0x0
	s_barrier
	buffer_gl0_inv
	scratch_load_b64 v[1:2], v87, off
	s_mov_b32 s4, exec_lo
	s_waitcnt vmcnt(0)
	v_cmpx_eq_f64_e32 0, v[1:2]
	s_cbranch_execz .LBB96_10
; %bb.7:
	v_mov_b32_e32 v1, 0
	s_mov_b32 s5, 0
	ds_load_b32 v2, v1 offset:264
	s_waitcnt lgkmcnt(0)
	v_readfirstlane_b32 s1, v2
	v_add_nc_u32_e32 v2, 1, v0
	s_delay_alu instid0(VALU_DEP_2) | instskip(NEXT) | instid1(VALU_DEP_1)
	s_cmp_eq_u32 s1, 0
	v_cmp_gt_i32_e32 vcc_lo, s1, v2
	s_cselect_b32 s10, -1, 0
	s_delay_alu instid0(SALU_CYCLE_1) | instskip(NEXT) | instid1(SALU_CYCLE_1)
	s_or_b32 s10, s10, vcc_lo
	s_and_b32 exec_lo, exec_lo, s10
	s_cbranch_execz .LBB96_10
; %bb.8:
	v_mov_b32_e32 v3, s1
.LBB96_9:                               ; =>This Inner Loop Header: Depth=1
	ds_cmpstore_rtn_b32 v3, v1, v2, v3 offset:264
	s_waitcnt lgkmcnt(0)
	v_cmp_ne_u32_e32 vcc_lo, 0, v3
	v_cmp_le_i32_e64 s1, v3, v2
	s_delay_alu instid0(VALU_DEP_1) | instskip(NEXT) | instid1(SALU_CYCLE_1)
	s_and_b32 s1, vcc_lo, s1
	s_and_b32 s1, exec_lo, s1
	s_delay_alu instid0(SALU_CYCLE_1) | instskip(NEXT) | instid1(SALU_CYCLE_1)
	s_or_b32 s5, s1, s5
	s_and_not1_b32 exec_lo, exec_lo, s5
	s_cbranch_execnz .LBB96_9
.LBB96_10:
	s_or_b32 exec_lo, exec_lo, s4
	v_mov_b32_e32 v1, 0
	s_barrier
	buffer_gl0_inv
	ds_load_b32 v2, v1 offset:264
	s_and_saveexec_b32 s1, s0
	s_cbranch_execz .LBB96_12
; %bb.11:
	s_lshl_b64 s[4:5], s[8:9], 2
	s_delay_alu instid0(SALU_CYCLE_1)
	s_add_u32 s4, s6, s4
	s_addc_u32 s5, s7, s5
	s_waitcnt lgkmcnt(0)
	global_store_b32 v1, v2, s[4:5]
.LBB96_12:
	s_or_b32 exec_lo, exec_lo, s1
	s_waitcnt lgkmcnt(0)
	v_cmp_ne_u32_e32 vcc_lo, 0, v2
	s_mov_b32 s1, 0
	s_cbranch_vccnz .LBB96_140
; %bb.13:
	v_add_nc_u32_e32 v3, 0, v87
	scratch_load_b64 v[1:2], v3, off
	s_waitcnt vmcnt(0)
	v_div_scale_f64 v[4:5], null, v[1:2], v[1:2], 1.0
	v_div_scale_f64 v[10:11], vcc_lo, 1.0, v[1:2], 1.0
	s_delay_alu instid0(VALU_DEP_2) | instskip(SKIP_2) | instid1(VALU_DEP_1)
	v_rcp_f64_e32 v[6:7], v[4:5]
	s_waitcnt_depctr 0xfff
	v_fma_f64 v[8:9], -v[4:5], v[6:7], 1.0
	v_fma_f64 v[6:7], v[6:7], v[8:9], v[6:7]
	s_delay_alu instid0(VALU_DEP_1) | instskip(NEXT) | instid1(VALU_DEP_1)
	v_fma_f64 v[8:9], -v[4:5], v[6:7], 1.0
	v_fma_f64 v[6:7], v[6:7], v[8:9], v[6:7]
	s_delay_alu instid0(VALU_DEP_1) | instskip(NEXT) | instid1(VALU_DEP_1)
	v_mul_f64 v[8:9], v[10:11], v[6:7]
	v_fma_f64 v[4:5], -v[4:5], v[8:9], v[10:11]
	s_delay_alu instid0(VALU_DEP_1) | instskip(NEXT) | instid1(VALU_DEP_1)
	v_div_fmas_f64 v[4:5], v[4:5], v[6:7], v[8:9]
	v_div_fixup_f64 v[1:2], v[4:5], v[1:2], 1.0
	v_add_nc_u32_e32 v4, 0x110, v87
	scratch_store_b64 v3, v[1:2], off
	scratch_load_b64 v[5:6], off, off offset:8
	v_xor_b32_e32 v2, 0x80000000, v2
	s_waitcnt vmcnt(0)
	ds_store_2addr_b64 v87, v[1:2], v[5:6] offset1:34
	s_waitcnt lgkmcnt(0)
	s_waitcnt_vscnt null, 0x0
	s_barrier
	buffer_gl0_inv
	s_and_saveexec_b32 s1, s0
	s_cbranch_execz .LBB96_15
; %bb.14:
	scratch_load_b64 v[1:2], v3, off
	ds_load_b64 v[5:6], v4
	s_waitcnt vmcnt(0) lgkmcnt(0)
	v_fma_f64 v[1:2], v[1:2], v[5:6], 0
	v_mov_b32_e32 v5, 0
	ds_load_b64 v[5:6], v5 offset:8
	s_waitcnt lgkmcnt(0)
	v_mul_f64 v[1:2], v[1:2], v[5:6]
	scratch_store_b64 off, v[1:2], off offset:8
.LBB96_15:
	s_or_b32 exec_lo, exec_lo, s1
	s_waitcnt_vscnt null, 0x0
	s_barrier
	buffer_gl0_inv
	scratch_load_b64 v[1:2], off, off offset:16
	s_mov_b32 s1, exec_lo
	s_waitcnt vmcnt(0)
	ds_store_b64 v4, v[1:2]
	s_waitcnt lgkmcnt(0)
	s_barrier
	buffer_gl0_inv
	v_cmpx_gt_u32_e32 2, v0
	s_cbranch_execz .LBB96_19
; %bb.16:
	scratch_load_b64 v[1:2], v3, off
	ds_load_b64 v[5:6], v4
	s_waitcnt vmcnt(0) lgkmcnt(0)
	v_fma_f64 v[1:2], v[1:2], v[5:6], 0
	s_and_saveexec_b32 s4, s0
	s_cbranch_execz .LBB96_18
; %bb.17:
	scratch_load_b64 v[5:6], off, off offset:8
	v_mov_b32_e32 v7, 0
	ds_load_b64 v[7:8], v7 offset:280
	s_waitcnt vmcnt(0) lgkmcnt(0)
	v_fma_f64 v[1:2], v[5:6], v[7:8], v[1:2]
.LBB96_18:
	s_or_b32 exec_lo, exec_lo, s4
	v_mov_b32_e32 v5, 0
	ds_load_b64 v[5:6], v5 offset:16
	s_waitcnt lgkmcnt(0)
	v_mul_f64 v[1:2], v[1:2], v[5:6]
	scratch_store_b64 off, v[1:2], off offset:16
.LBB96_19:
	s_or_b32 exec_lo, exec_lo, s1
	s_waitcnt_vscnt null, 0x0
	s_barrier
	buffer_gl0_inv
	scratch_load_b64 v[1:2], off, off offset:24
	v_add_nc_u32_e32 v5, -1, v0
	s_mov_b32 s0, exec_lo
	s_waitcnt vmcnt(0)
	ds_store_b64 v4, v[1:2]
	s_waitcnt lgkmcnt(0)
	s_barrier
	buffer_gl0_inv
	v_cmpx_gt_u32_e32 3, v0
	s_cbranch_execz .LBB96_23
; %bb.20:
	v_dual_mov_b32 v1, 0 :: v_dual_add_nc_u32 v6, -1, v0
	v_dual_mov_b32 v2, 0 :: v_dual_add_nc_u32 v7, 0x110, v87
	v_add_nc_u32_e32 v8, 0, v87
	s_mov_b32 s1, 0
.LBB96_21:                              ; =>This Inner Loop Header: Depth=1
	scratch_load_b64 v[9:10], v8, off
	ds_load_b64 v[11:12], v7
	v_add_nc_u32_e32 v6, 1, v6
	v_add_nc_u32_e32 v7, 8, v7
	v_add_nc_u32_e32 v8, 8, v8
	s_delay_alu instid0(VALU_DEP_3)
	v_cmp_lt_u32_e32 vcc_lo, 1, v6
	s_or_b32 s1, vcc_lo, s1
	s_waitcnt vmcnt(0) lgkmcnt(0)
	v_fma_f64 v[1:2], v[9:10], v[11:12], v[1:2]
	s_and_not1_b32 exec_lo, exec_lo, s1
	s_cbranch_execnz .LBB96_21
; %bb.22:
	s_or_b32 exec_lo, exec_lo, s1
	v_mov_b32_e32 v6, 0
	ds_load_b64 v[6:7], v6 offset:24
	s_waitcnt lgkmcnt(0)
	v_mul_f64 v[1:2], v[1:2], v[6:7]
	scratch_store_b64 off, v[1:2], off offset:24
.LBB96_23:
	s_or_b32 exec_lo, exec_lo, s0
	s_waitcnt_vscnt null, 0x0
	s_barrier
	buffer_gl0_inv
	scratch_load_b64 v[1:2], off, off offset:32
	s_mov_b32 s0, exec_lo
	s_waitcnt vmcnt(0)
	ds_store_b64 v4, v[1:2]
	s_waitcnt lgkmcnt(0)
	s_barrier
	buffer_gl0_inv
	v_cmpx_gt_u32_e32 4, v0
	s_cbranch_execz .LBB96_27
; %bb.24:
	v_dual_mov_b32 v1, 0 :: v_dual_add_nc_u32 v6, -1, v0
	v_dual_mov_b32 v2, 0 :: v_dual_add_nc_u32 v7, 0x110, v87
	v_add_nc_u32_e32 v8, 0, v87
	s_mov_b32 s1, 0
.LBB96_25:                              ; =>This Inner Loop Header: Depth=1
	scratch_load_b64 v[9:10], v8, off
	ds_load_b64 v[11:12], v7
	v_add_nc_u32_e32 v6, 1, v6
	v_add_nc_u32_e32 v7, 8, v7
	v_add_nc_u32_e32 v8, 8, v8
	s_delay_alu instid0(VALU_DEP_3)
	v_cmp_lt_u32_e32 vcc_lo, 2, v6
	s_or_b32 s1, vcc_lo, s1
	s_waitcnt vmcnt(0) lgkmcnt(0)
	v_fma_f64 v[1:2], v[9:10], v[11:12], v[1:2]
	s_and_not1_b32 exec_lo, exec_lo, s1
	s_cbranch_execnz .LBB96_25
; %bb.26:
	s_or_b32 exec_lo, exec_lo, s1
	v_mov_b32_e32 v6, 0
	ds_load_b64 v[6:7], v6 offset:32
	s_waitcnt lgkmcnt(0)
	v_mul_f64 v[1:2], v[1:2], v[6:7]
	scratch_store_b64 off, v[1:2], off offset:32
.LBB96_27:
	s_or_b32 exec_lo, exec_lo, s0
	s_waitcnt_vscnt null, 0x0
	s_barrier
	buffer_gl0_inv
	scratch_load_b64 v[1:2], off, off offset:40
	;; [unrolled: 39-line block ×20, first 2 shown]
	s_mov_b32 s0, exec_lo
	s_waitcnt vmcnt(0)
	ds_store_b64 v4, v[1:2]
	s_waitcnt lgkmcnt(0)
	s_barrier
	buffer_gl0_inv
	v_cmpx_gt_u32_e32 23, v0
	s_cbranch_execz .LBB96_103
; %bb.100:
	v_dual_mov_b32 v1, 0 :: v_dual_add_nc_u32 v6, -1, v0
	v_dual_mov_b32 v2, 0 :: v_dual_add_nc_u32 v7, 0x110, v87
	v_add_nc_u32_e32 v8, 0, v87
	s_mov_b32 s1, 0
.LBB96_101:                             ; =>This Inner Loop Header: Depth=1
	scratch_load_b64 v[9:10], v8, off
	ds_load_b64 v[11:12], v7
	v_add_nc_u32_e32 v6, 1, v6
	v_add_nc_u32_e32 v7, 8, v7
	v_add_nc_u32_e32 v8, 8, v8
	s_delay_alu instid0(VALU_DEP_3)
	v_cmp_lt_u32_e32 vcc_lo, 21, v6
	s_or_b32 s1, vcc_lo, s1
	s_waitcnt vmcnt(0) lgkmcnt(0)
	v_fma_f64 v[1:2], v[9:10], v[11:12], v[1:2]
	s_and_not1_b32 exec_lo, exec_lo, s1
	s_cbranch_execnz .LBB96_101
; %bb.102:
	s_or_b32 exec_lo, exec_lo, s1
	v_mov_b32_e32 v6, 0
	ds_load_b64 v[6:7], v6 offset:184
	s_waitcnt lgkmcnt(0)
	v_mul_f64 v[1:2], v[1:2], v[6:7]
	scratch_store_b64 off, v[1:2], off offset:184
.LBB96_103:
	s_or_b32 exec_lo, exec_lo, s0
	s_waitcnt_vscnt null, 0x0
	s_barrier
	buffer_gl0_inv
	scratch_load_b64 v[1:2], off, off offset:192
	s_mov_b32 s0, exec_lo
	s_waitcnt vmcnt(0)
	ds_store_b64 v4, v[1:2]
	s_waitcnt lgkmcnt(0)
	s_barrier
	buffer_gl0_inv
	v_cmpx_gt_u32_e32 24, v0
	s_cbranch_execz .LBB96_107
; %bb.104:
	v_dual_mov_b32 v1, 0 :: v_dual_add_nc_u32 v6, -1, v0
	v_dual_mov_b32 v2, 0 :: v_dual_add_nc_u32 v7, 0x110, v87
	v_add_nc_u32_e32 v8, 0, v87
	s_mov_b32 s1, 0
.LBB96_105:                             ; =>This Inner Loop Header: Depth=1
	scratch_load_b64 v[9:10], v8, off
	ds_load_b64 v[11:12], v7
	v_add_nc_u32_e32 v6, 1, v6
	v_add_nc_u32_e32 v7, 8, v7
	v_add_nc_u32_e32 v8, 8, v8
	s_delay_alu instid0(VALU_DEP_3)
	v_cmp_lt_u32_e32 vcc_lo, 22, v6
	s_or_b32 s1, vcc_lo, s1
	s_waitcnt vmcnt(0) lgkmcnt(0)
	v_fma_f64 v[1:2], v[9:10], v[11:12], v[1:2]
	s_and_not1_b32 exec_lo, exec_lo, s1
	s_cbranch_execnz .LBB96_105
; %bb.106:
	s_or_b32 exec_lo, exec_lo, s1
	v_mov_b32_e32 v6, 0
	ds_load_b64 v[6:7], v6 offset:192
	s_waitcnt lgkmcnt(0)
	v_mul_f64 v[1:2], v[1:2], v[6:7]
	scratch_store_b64 off, v[1:2], off offset:192
.LBB96_107:
	s_or_b32 exec_lo, exec_lo, s0
	s_waitcnt_vscnt null, 0x0
	s_barrier
	buffer_gl0_inv
	scratch_load_b64 v[1:2], off, off offset:200
	;; [unrolled: 39-line block ×9, first 2 shown]
	s_mov_b32 s0, exec_lo
	s_waitcnt vmcnt(0)
	ds_store_b64 v4, v[1:2]
	s_waitcnt lgkmcnt(0)
	s_barrier
	buffer_gl0_inv
	v_cmpx_ne_u32_e32 32, v0
	s_cbranch_execz .LBB96_139
; %bb.136:
	v_mov_b32_e32 v1, 0
	v_mov_b32_e32 v2, 0
	s_mov_b32 s1, 0
.LBB96_137:                             ; =>This Inner Loop Header: Depth=1
	scratch_load_b64 v[6:7], v3, off
	ds_load_b64 v[8:9], v4
	v_add_nc_u32_e32 v5, 1, v5
	v_add_nc_u32_e32 v4, 8, v4
	;; [unrolled: 1-line block ×3, first 2 shown]
	s_delay_alu instid0(VALU_DEP_3)
	v_cmp_lt_u32_e32 vcc_lo, 30, v5
	s_or_b32 s1, vcc_lo, s1
	s_waitcnt vmcnt(0) lgkmcnt(0)
	v_fma_f64 v[1:2], v[6:7], v[8:9], v[1:2]
	s_and_not1_b32 exec_lo, exec_lo, s1
	s_cbranch_execnz .LBB96_137
; %bb.138:
	s_or_b32 exec_lo, exec_lo, s1
	v_mov_b32_e32 v3, 0
	ds_load_b64 v[3:4], v3 offset:256
	s_waitcnt lgkmcnt(0)
	v_mul_f64 v[1:2], v[1:2], v[3:4]
	scratch_store_b64 off, v[1:2], off offset:256
.LBB96_139:
	s_or_b32 exec_lo, exec_lo, s0
	s_mov_b32 s1, -1
	s_waitcnt_vscnt null, 0x0
	s_barrier
	buffer_gl0_inv
.LBB96_140:
	s_and_b32 vcc_lo, exec_lo, s1
	s_cbranch_vccz .LBB96_142
; %bb.141:
	s_lshl_b64 s[0:1], s[8:9], 2
	v_mov_b32_e32 v1, 0
	s_add_u32 s0, s6, s0
	s_addc_u32 s1, s7, s1
	global_load_b32 v1, v1, s[0:1]
	s_waitcnt vmcnt(0)
	v_cmp_ne_u32_e32 vcc_lo, 0, v1
	s_cbranch_vccz .LBB96_143
.LBB96_142:
	s_endpgm
.LBB96_143:
	v_lshl_add_u32 v3, v0, 3, 0x110
	s_mov_b32 s0, exec_lo
	v_cmpx_eq_u32_e32 32, v0
	s_cbranch_execz .LBB96_145
; %bb.144:
	scratch_load_b64 v[1:2], off, off offset:248
	v_mov_b32_e32 v4, 0
	s_delay_alu instid0(VALU_DEP_1)
	v_mov_b32_e32 v5, v4
	scratch_store_b64 off, v[4:5], off offset:248
	s_waitcnt vmcnt(0)
	ds_store_b64 v3, v[1:2]
.LBB96_145:
	s_or_b32 exec_lo, exec_lo, s0
	s_waitcnt lgkmcnt(0)
	s_waitcnt_vscnt null, 0x0
	s_barrier
	buffer_gl0_inv
	scratch_load_b128 v[4:7], off, off offset:248
	v_mov_b32_e32 v1, 0
	s_mov_b32 s0, exec_lo
	ds_load_b64 v[8:9], v1 offset:528
	s_waitcnt vmcnt(0) lgkmcnt(0)
	v_fma_f64 v[6:7], v[6:7], v[8:9], 0
	s_delay_alu instid0(VALU_DEP_1)
	v_add_f64 v[4:5], v[4:5], -v[6:7]
	scratch_store_b64 off, v[4:5], off offset:248
	v_cmpx_lt_u32_e32 30, v0
	s_cbranch_execz .LBB96_147
; %bb.146:
	scratch_load_b64 v[4:5], off, off offset:240
	v_mov_b32_e32 v2, v1
	scratch_store_b64 off, v[1:2], off offset:240
	s_waitcnt vmcnt(0)
	ds_store_b64 v3, v[4:5]
.LBB96_147:
	s_or_b32 exec_lo, exec_lo, s0
	s_waitcnt lgkmcnt(0)
	s_waitcnt_vscnt null, 0x0
	s_barrier
	buffer_gl0_inv
	s_clause 0x1
	scratch_load_b128 v[4:7], off, off offset:240
	scratch_load_b64 v[12:13], off, off offset:256
	ds_load_2addr_b64 v[8:11], v1 offset0:65 offset1:66
	s_mov_b32 s0, exec_lo
	s_waitcnt vmcnt(1) lgkmcnt(0)
	v_fma_f64 v[1:2], v[6:7], v[8:9], 0
	s_waitcnt vmcnt(0)
	s_delay_alu instid0(VALU_DEP_1) | instskip(NEXT) | instid1(VALU_DEP_1)
	v_fma_f64 v[1:2], v[12:13], v[10:11], v[1:2]
	v_add_f64 v[1:2], v[4:5], -v[1:2]
	scratch_store_b64 off, v[1:2], off offset:240
	v_cmpx_lt_u32_e32 29, v0
	s_cbranch_execz .LBB96_149
; %bb.148:
	scratch_load_b64 v[1:2], off, off offset:232
	v_mov_b32_e32 v4, 0
	s_delay_alu instid0(VALU_DEP_1)
	v_mov_b32_e32 v5, v4
	scratch_store_b64 off, v[4:5], off offset:232
	s_waitcnt vmcnt(0)
	ds_store_b64 v3, v[1:2]
.LBB96_149:
	s_or_b32 exec_lo, exec_lo, s0
	s_waitcnt lgkmcnt(0)
	s_waitcnt_vscnt null, 0x0
	s_barrier
	buffer_gl0_inv
	s_clause 0x1
	scratch_load_b128 v[4:7], off, off offset:232
	scratch_load_b128 v[8:11], off, off offset:248
	v_mov_b32_e32 v1, 0
	ds_load_b128 v[12:15], v1 offset:512
	ds_load_b64 v[16:17], v1 offset:528
	s_mov_b32 s0, exec_lo
	s_waitcnt vmcnt(1) lgkmcnt(1)
	v_fma_f64 v[6:7], v[6:7], v[12:13], 0
	s_waitcnt vmcnt(0)
	s_delay_alu instid0(VALU_DEP_1) | instskip(SKIP_1) | instid1(VALU_DEP_1)
	v_fma_f64 v[6:7], v[8:9], v[14:15], v[6:7]
	s_waitcnt lgkmcnt(0)
	v_fma_f64 v[6:7], v[10:11], v[16:17], v[6:7]
	s_delay_alu instid0(VALU_DEP_1)
	v_add_f64 v[4:5], v[4:5], -v[6:7]
	scratch_store_b64 off, v[4:5], off offset:232
	v_cmpx_lt_u32_e32 28, v0
	s_cbranch_execz .LBB96_151
; %bb.150:
	scratch_load_b64 v[4:5], off, off offset:224
	v_mov_b32_e32 v2, v1
	scratch_store_b64 off, v[1:2], off offset:224
	s_waitcnt vmcnt(0)
	ds_store_b64 v3, v[4:5]
.LBB96_151:
	s_or_b32 exec_lo, exec_lo, s0
	s_waitcnt lgkmcnt(0)
	s_waitcnt_vscnt null, 0x0
	s_barrier
	buffer_gl0_inv
	s_clause 0x2
	scratch_load_b128 v[4:7], off, off offset:224
	scratch_load_b128 v[8:11], off, off offset:240
	scratch_load_b64 v[87:88], off, off offset:256
	ds_load_2addr_b64 v[12:15], v1 offset0:63 offset1:64
	ds_load_2addr_b64 v[16:19], v1 offset0:65 offset1:66
	s_mov_b32 s0, exec_lo
	s_waitcnt vmcnt(2) lgkmcnt(1)
	v_fma_f64 v[1:2], v[6:7], v[12:13], 0
	s_waitcnt vmcnt(1)
	s_delay_alu instid0(VALU_DEP_1) | instskip(SKIP_1) | instid1(VALU_DEP_1)
	v_fma_f64 v[1:2], v[8:9], v[14:15], v[1:2]
	s_waitcnt lgkmcnt(0)
	v_fma_f64 v[1:2], v[10:11], v[16:17], v[1:2]
	s_waitcnt vmcnt(0)
	s_delay_alu instid0(VALU_DEP_1) | instskip(NEXT) | instid1(VALU_DEP_1)
	v_fma_f64 v[1:2], v[87:88], v[18:19], v[1:2]
	v_add_f64 v[1:2], v[4:5], -v[1:2]
	scratch_store_b64 off, v[1:2], off offset:224
	v_cmpx_lt_u32_e32 27, v0
	s_cbranch_execz .LBB96_153
; %bb.152:
	scratch_load_b64 v[1:2], off, off offset:216
	v_mov_b32_e32 v4, 0
	s_delay_alu instid0(VALU_DEP_1)
	v_mov_b32_e32 v5, v4
	scratch_store_b64 off, v[4:5], off offset:216
	s_waitcnt vmcnt(0)
	ds_store_b64 v3, v[1:2]
.LBB96_153:
	s_or_b32 exec_lo, exec_lo, s0
	s_waitcnt lgkmcnt(0)
	s_waitcnt_vscnt null, 0x0
	s_barrier
	buffer_gl0_inv
	s_clause 0x2
	scratch_load_b128 v[4:7], off, off offset:216
	scratch_load_b128 v[8:11], off, off offset:232
	;; [unrolled: 1-line block ×3, first 2 shown]
	v_mov_b32_e32 v1, 0
	ds_load_b128 v[16:19], v1 offset:496
	ds_load_b128 v[87:90], v1 offset:512
	s_mov_b32 s0, exec_lo
	s_waitcnt vmcnt(2) lgkmcnt(1)
	v_fma_f64 v[6:7], v[6:7], v[16:17], 0
	s_waitcnt vmcnt(1)
	s_delay_alu instid0(VALU_DEP_1) | instskip(SKIP_4) | instid1(VALU_DEP_1)
	v_fma_f64 v[6:7], v[8:9], v[18:19], v[6:7]
	ds_load_b64 v[8:9], v1 offset:528
	s_waitcnt lgkmcnt(1)
	v_fma_f64 v[6:7], v[10:11], v[87:88], v[6:7]
	s_waitcnt vmcnt(0)
	v_fma_f64 v[6:7], v[12:13], v[89:90], v[6:7]
	s_waitcnt lgkmcnt(0)
	s_delay_alu instid0(VALU_DEP_1) | instskip(NEXT) | instid1(VALU_DEP_1)
	v_fma_f64 v[6:7], v[14:15], v[8:9], v[6:7]
	v_add_f64 v[4:5], v[4:5], -v[6:7]
	scratch_store_b64 off, v[4:5], off offset:216
	v_cmpx_lt_u32_e32 26, v0
	s_cbranch_execz .LBB96_155
; %bb.154:
	scratch_load_b64 v[4:5], off, off offset:208
	v_mov_b32_e32 v2, v1
	scratch_store_b64 off, v[1:2], off offset:208
	s_waitcnt vmcnt(0)
	ds_store_b64 v3, v[4:5]
.LBB96_155:
	s_or_b32 exec_lo, exec_lo, s0
	s_waitcnt lgkmcnt(0)
	s_waitcnt_vscnt null, 0x0
	s_barrier
	buffer_gl0_inv
	s_clause 0x3
	scratch_load_b128 v[4:7], off, off offset:208
	scratch_load_b128 v[8:11], off, off offset:224
	scratch_load_b128 v[12:15], off, off offset:240
	scratch_load_b64 v[91:92], off, off offset:256
	ds_load_2addr_b64 v[16:19], v1 offset0:61 offset1:62
	ds_load_2addr_b64 v[87:90], v1 offset0:63 offset1:64
	s_mov_b32 s0, exec_lo
	s_waitcnt vmcnt(3) lgkmcnt(1)
	v_fma_f64 v[6:7], v[6:7], v[16:17], 0
	s_waitcnt vmcnt(2)
	s_delay_alu instid0(VALU_DEP_1) | instskip(SKIP_1) | instid1(VALU_DEP_1)
	v_fma_f64 v[6:7], v[8:9], v[18:19], v[6:7]
	s_waitcnt lgkmcnt(0)
	v_fma_f64 v[6:7], v[10:11], v[87:88], v[6:7]
	s_waitcnt vmcnt(1)
	s_delay_alu instid0(VALU_DEP_1) | instskip(SKIP_4) | instid1(VALU_DEP_1)
	v_fma_f64 v[10:11], v[12:13], v[89:90], v[6:7]
	ds_load_2addr_b64 v[6:9], v1 offset0:65 offset1:66
	s_waitcnt lgkmcnt(0)
	v_fma_f64 v[1:2], v[14:15], v[6:7], v[10:11]
	s_waitcnt vmcnt(0)
	v_fma_f64 v[1:2], v[91:92], v[8:9], v[1:2]
	s_delay_alu instid0(VALU_DEP_1)
	v_add_f64 v[1:2], v[4:5], -v[1:2]
	scratch_store_b64 off, v[1:2], off offset:208
	v_cmpx_lt_u32_e32 25, v0
	s_cbranch_execz .LBB96_157
; %bb.156:
	scratch_load_b64 v[1:2], off, off offset:200
	v_mov_b32_e32 v4, 0
	s_delay_alu instid0(VALU_DEP_1)
	v_mov_b32_e32 v5, v4
	scratch_store_b64 off, v[4:5], off offset:200
	s_waitcnt vmcnt(0)
	ds_store_b64 v3, v[1:2]
.LBB96_157:
	s_or_b32 exec_lo, exec_lo, s0
	s_waitcnt lgkmcnt(0)
	s_waitcnt_vscnt null, 0x0
	s_barrier
	buffer_gl0_inv
	s_clause 0x3
	scratch_load_b128 v[4:7], off, off offset:200
	scratch_load_b128 v[8:11], off, off offset:216
	;; [unrolled: 1-line block ×4, first 2 shown]
	v_mov_b32_e32 v1, 0
	ds_load_b128 v[87:90], v1 offset:480
	ds_load_b128 v[91:94], v1 offset:496
	s_mov_b32 s0, exec_lo
	s_waitcnt vmcnt(3) lgkmcnt(1)
	v_fma_f64 v[6:7], v[6:7], v[87:88], 0
	s_waitcnt vmcnt(2)
	s_delay_alu instid0(VALU_DEP_1) | instskip(SKIP_1) | instid1(VALU_DEP_1)
	v_fma_f64 v[6:7], v[8:9], v[89:90], v[6:7]
	s_waitcnt lgkmcnt(0)
	v_fma_f64 v[6:7], v[10:11], v[91:92], v[6:7]
	s_waitcnt vmcnt(1)
	s_delay_alu instid0(VALU_DEP_1)
	v_fma_f64 v[10:11], v[12:13], v[93:94], v[6:7]
	ds_load_b128 v[6:9], v1 offset:512
	ds_load_b64 v[12:13], v1 offset:528
	s_waitcnt lgkmcnt(1)
	v_fma_f64 v[6:7], v[14:15], v[6:7], v[10:11]
	s_waitcnt vmcnt(0)
	s_delay_alu instid0(VALU_DEP_1) | instskip(SKIP_1) | instid1(VALU_DEP_1)
	v_fma_f64 v[6:7], v[16:17], v[8:9], v[6:7]
	s_waitcnt lgkmcnt(0)
	v_fma_f64 v[6:7], v[18:19], v[12:13], v[6:7]
	s_delay_alu instid0(VALU_DEP_1)
	v_add_f64 v[4:5], v[4:5], -v[6:7]
	scratch_store_b64 off, v[4:5], off offset:200
	v_cmpx_lt_u32_e32 24, v0
	s_cbranch_execz .LBB96_159
; %bb.158:
	scratch_load_b64 v[4:5], off, off offset:192
	v_mov_b32_e32 v2, v1
	scratch_store_b64 off, v[1:2], off offset:192
	s_waitcnt vmcnt(0)
	ds_store_b64 v3, v[4:5]
.LBB96_159:
	s_or_b32 exec_lo, exec_lo, s0
	s_waitcnt lgkmcnt(0)
	s_waitcnt_vscnt null, 0x0
	s_barrier
	buffer_gl0_inv
	s_clause 0x4
	scratch_load_b128 v[4:7], off, off offset:192
	scratch_load_b128 v[8:11], off, off offset:208
	;; [unrolled: 1-line block ×4, first 2 shown]
	scratch_load_b64 v[91:92], off, off offset:256
	ds_load_2addr_b64 v[87:90], v1 offset0:59 offset1:60
	s_mov_b32 s0, exec_lo
	s_waitcnt vmcnt(4) lgkmcnt(0)
	v_fma_f64 v[6:7], v[6:7], v[87:88], 0
	s_waitcnt vmcnt(3)
	s_delay_alu instid0(VALU_DEP_1) | instskip(SKIP_4) | instid1(VALU_DEP_1)
	v_fma_f64 v[87:88], v[8:9], v[89:90], v[6:7]
	ds_load_2addr_b64 v[6:9], v1 offset0:61 offset1:62
	s_waitcnt lgkmcnt(0)
	v_fma_f64 v[6:7], v[10:11], v[6:7], v[87:88]
	s_waitcnt vmcnt(2)
	v_fma_f64 v[10:11], v[12:13], v[8:9], v[6:7]
	ds_load_2addr_b64 v[6:9], v1 offset0:63 offset1:64
	s_waitcnt lgkmcnt(0)
	v_fma_f64 v[6:7], v[14:15], v[6:7], v[10:11]
	s_waitcnt vmcnt(1)
	s_delay_alu instid0(VALU_DEP_1) | instskip(SKIP_4) | instid1(VALU_DEP_1)
	v_fma_f64 v[10:11], v[16:17], v[8:9], v[6:7]
	ds_load_2addr_b64 v[6:9], v1 offset0:65 offset1:66
	s_waitcnt lgkmcnt(0)
	v_fma_f64 v[1:2], v[18:19], v[6:7], v[10:11]
	s_waitcnt vmcnt(0)
	v_fma_f64 v[1:2], v[91:92], v[8:9], v[1:2]
	s_delay_alu instid0(VALU_DEP_1)
	v_add_f64 v[1:2], v[4:5], -v[1:2]
	scratch_store_b64 off, v[1:2], off offset:192
	v_cmpx_lt_u32_e32 23, v0
	s_cbranch_execz .LBB96_161
; %bb.160:
	scratch_load_b64 v[1:2], off, off offset:184
	v_mov_b32_e32 v4, 0
	s_delay_alu instid0(VALU_DEP_1)
	v_mov_b32_e32 v5, v4
	scratch_store_b64 off, v[4:5], off offset:184
	s_waitcnt vmcnt(0)
	ds_store_b64 v3, v[1:2]
.LBB96_161:
	s_or_b32 exec_lo, exec_lo, s0
	s_waitcnt lgkmcnt(0)
	s_waitcnt_vscnt null, 0x0
	s_barrier
	buffer_gl0_inv
	s_clause 0x4
	scratch_load_b128 v[4:7], off, off offset:184
	scratch_load_b128 v[8:11], off, off offset:200
	;; [unrolled: 1-line block ×5, first 2 shown]
	v_mov_b32_e32 v1, 0
	s_mov_b32 s0, exec_lo
	ds_load_b128 v[91:94], v1 offset:464
	s_waitcnt vmcnt(4) lgkmcnt(0)
	v_fma_f64 v[6:7], v[6:7], v[91:92], 0
	s_waitcnt vmcnt(3)
	s_delay_alu instid0(VALU_DEP_1) | instskip(SKIP_4) | instid1(VALU_DEP_1)
	v_fma_f64 v[91:92], v[8:9], v[93:94], v[6:7]
	ds_load_b128 v[6:9], v1 offset:480
	s_waitcnt lgkmcnt(0)
	v_fma_f64 v[6:7], v[10:11], v[6:7], v[91:92]
	s_waitcnt vmcnt(2)
	v_fma_f64 v[10:11], v[12:13], v[8:9], v[6:7]
	ds_load_b128 v[6:9], v1 offset:496
	s_waitcnt lgkmcnt(0)
	v_fma_f64 v[6:7], v[14:15], v[6:7], v[10:11]
	s_waitcnt vmcnt(1)
	s_delay_alu instid0(VALU_DEP_1) | instskip(SKIP_4) | instid1(VALU_DEP_1)
	v_fma_f64 v[10:11], v[16:17], v[8:9], v[6:7]
	ds_load_b128 v[6:9], v1 offset:512
	s_waitcnt lgkmcnt(0)
	v_fma_f64 v[6:7], v[18:19], v[6:7], v[10:11]
	s_waitcnt vmcnt(0)
	v_fma_f64 v[6:7], v[87:88], v[8:9], v[6:7]
	ds_load_b64 v[8:9], v1 offset:528
	s_waitcnt lgkmcnt(0)
	v_fma_f64 v[6:7], v[89:90], v[8:9], v[6:7]
	s_delay_alu instid0(VALU_DEP_1)
	v_add_f64 v[4:5], v[4:5], -v[6:7]
	scratch_store_b64 off, v[4:5], off offset:184
	v_cmpx_lt_u32_e32 22, v0
	s_cbranch_execz .LBB96_163
; %bb.162:
	scratch_load_b64 v[4:5], off, off offset:176
	v_mov_b32_e32 v2, v1
	scratch_store_b64 off, v[1:2], off offset:176
	s_waitcnt vmcnt(0)
	ds_store_b64 v3, v[4:5]
.LBB96_163:
	s_or_b32 exec_lo, exec_lo, s0
	s_waitcnt lgkmcnt(0)
	s_waitcnt_vscnt null, 0x0
	s_barrier
	buffer_gl0_inv
	s_clause 0x4
	scratch_load_b128 v[4:7], off, off offset:176
	scratch_load_b128 v[8:11], off, off offset:192
	;; [unrolled: 1-line block ×5, first 2 shown]
	ds_load_2addr_b64 v[91:94], v1 offset0:57 offset1:58
	s_mov_b32 s0, exec_lo
	s_waitcnt vmcnt(4) lgkmcnt(0)
	v_fma_f64 v[6:7], v[6:7], v[91:92], 0
	scratch_load_b64 v[91:92], off, off offset:256
	s_waitcnt vmcnt(4)
	v_fma_f64 v[93:94], v[8:9], v[93:94], v[6:7]
	ds_load_2addr_b64 v[6:9], v1 offset0:59 offset1:60
	s_waitcnt lgkmcnt(0)
	v_fma_f64 v[6:7], v[10:11], v[6:7], v[93:94]
	s_waitcnt vmcnt(3)
	s_delay_alu instid0(VALU_DEP_1) | instskip(SKIP_4) | instid1(VALU_DEP_1)
	v_fma_f64 v[10:11], v[12:13], v[8:9], v[6:7]
	ds_load_2addr_b64 v[6:9], v1 offset0:61 offset1:62
	s_waitcnt lgkmcnt(0)
	v_fma_f64 v[6:7], v[14:15], v[6:7], v[10:11]
	s_waitcnt vmcnt(2)
	v_fma_f64 v[10:11], v[16:17], v[8:9], v[6:7]
	ds_load_2addr_b64 v[6:9], v1 offset0:63 offset1:64
	s_waitcnt lgkmcnt(0)
	v_fma_f64 v[6:7], v[18:19], v[6:7], v[10:11]
	s_waitcnt vmcnt(1)
	s_delay_alu instid0(VALU_DEP_1) | instskip(SKIP_4) | instid1(VALU_DEP_1)
	v_fma_f64 v[10:11], v[87:88], v[8:9], v[6:7]
	ds_load_2addr_b64 v[6:9], v1 offset0:65 offset1:66
	s_waitcnt lgkmcnt(0)
	v_fma_f64 v[1:2], v[89:90], v[6:7], v[10:11]
	s_waitcnt vmcnt(0)
	v_fma_f64 v[1:2], v[91:92], v[8:9], v[1:2]
	s_delay_alu instid0(VALU_DEP_1)
	v_add_f64 v[1:2], v[4:5], -v[1:2]
	scratch_store_b64 off, v[1:2], off offset:176
	v_cmpx_lt_u32_e32 21, v0
	s_cbranch_execz .LBB96_165
; %bb.164:
	scratch_load_b64 v[1:2], off, off offset:168
	v_mov_b32_e32 v4, 0
	s_delay_alu instid0(VALU_DEP_1)
	v_mov_b32_e32 v5, v4
	scratch_store_b64 off, v[4:5], off offset:168
	s_waitcnt vmcnt(0)
	ds_store_b64 v3, v[1:2]
.LBB96_165:
	s_or_b32 exec_lo, exec_lo, s0
	s_waitcnt lgkmcnt(0)
	s_waitcnt_vscnt null, 0x0
	s_barrier
	buffer_gl0_inv
	s_clause 0x4
	scratch_load_b128 v[4:7], off, off offset:168
	scratch_load_b128 v[8:11], off, off offset:184
	;; [unrolled: 1-line block ×5, first 2 shown]
	v_mov_b32_e32 v1, 0
	scratch_load_b128 v[95:98], off, off offset:248
	s_mov_b32 s0, exec_lo
	ds_load_b128 v[91:94], v1 offset:448
	s_waitcnt vmcnt(5) lgkmcnt(0)
	v_fma_f64 v[6:7], v[6:7], v[91:92], 0
	s_waitcnt vmcnt(4)
	s_delay_alu instid0(VALU_DEP_1) | instskip(SKIP_4) | instid1(VALU_DEP_1)
	v_fma_f64 v[91:92], v[8:9], v[93:94], v[6:7]
	ds_load_b128 v[6:9], v1 offset:464
	s_waitcnt lgkmcnt(0)
	v_fma_f64 v[6:7], v[10:11], v[6:7], v[91:92]
	s_waitcnt vmcnt(3)
	v_fma_f64 v[10:11], v[12:13], v[8:9], v[6:7]
	ds_load_b128 v[6:9], v1 offset:480
	s_waitcnt lgkmcnt(0)
	v_fma_f64 v[6:7], v[14:15], v[6:7], v[10:11]
	s_waitcnt vmcnt(2)
	s_delay_alu instid0(VALU_DEP_1) | instskip(SKIP_4) | instid1(VALU_DEP_1)
	v_fma_f64 v[10:11], v[16:17], v[8:9], v[6:7]
	ds_load_b128 v[6:9], v1 offset:496
	s_waitcnt lgkmcnt(0)
	v_fma_f64 v[6:7], v[18:19], v[6:7], v[10:11]
	s_waitcnt vmcnt(1)
	v_fma_f64 v[10:11], v[87:88], v[8:9], v[6:7]
	ds_load_b128 v[6:9], v1 offset:512
	s_waitcnt lgkmcnt(0)
	v_fma_f64 v[6:7], v[89:90], v[6:7], v[10:11]
	s_waitcnt vmcnt(0)
	s_delay_alu instid0(VALU_DEP_1) | instskip(SKIP_3) | instid1(VALU_DEP_1)
	v_fma_f64 v[6:7], v[95:96], v[8:9], v[6:7]
	ds_load_b64 v[8:9], v1 offset:528
	s_waitcnt lgkmcnt(0)
	v_fma_f64 v[6:7], v[97:98], v[8:9], v[6:7]
	v_add_f64 v[4:5], v[4:5], -v[6:7]
	scratch_store_b64 off, v[4:5], off offset:168
	v_cmpx_lt_u32_e32 20, v0
	s_cbranch_execz .LBB96_167
; %bb.166:
	scratch_load_b64 v[4:5], off, off offset:160
	v_mov_b32_e32 v2, v1
	scratch_store_b64 off, v[1:2], off offset:160
	s_waitcnt vmcnt(0)
	ds_store_b64 v3, v[4:5]
.LBB96_167:
	s_or_b32 exec_lo, exec_lo, s0
	s_waitcnt lgkmcnt(0)
	s_waitcnt_vscnt null, 0x0
	s_barrier
	buffer_gl0_inv
	s_clause 0x4
	scratch_load_b128 v[4:7], off, off offset:160
	scratch_load_b128 v[8:11], off, off offset:176
	;; [unrolled: 1-line block ×5, first 2 shown]
	ds_load_2addr_b64 v[91:94], v1 offset0:55 offset1:56
	ds_load_2addr_b64 v[95:98], v1 offset0:57 offset1:58
	scratch_load_b128 v[99:102], off, off offset:240
	s_mov_b32 s0, exec_lo
	s_waitcnt vmcnt(5) lgkmcnt(1)
	v_fma_f64 v[6:7], v[6:7], v[91:92], 0
	scratch_load_b64 v[91:92], off, off offset:256
	s_waitcnt vmcnt(5)
	v_fma_f64 v[6:7], v[8:9], v[93:94], v[6:7]
	s_waitcnt lgkmcnt(0)
	s_delay_alu instid0(VALU_DEP_1) | instskip(SKIP_1) | instid1(VALU_DEP_1)
	v_fma_f64 v[6:7], v[10:11], v[95:96], v[6:7]
	s_waitcnt vmcnt(4)
	v_fma_f64 v[93:94], v[12:13], v[97:98], v[6:7]
	ds_load_2addr_b64 v[6:9], v1 offset0:59 offset1:60
	ds_load_2addr_b64 v[10:13], v1 offset0:61 offset1:62
	s_waitcnt lgkmcnt(1)
	v_fma_f64 v[6:7], v[14:15], v[6:7], v[93:94]
	s_waitcnt vmcnt(3)
	s_delay_alu instid0(VALU_DEP_1) | instskip(SKIP_1) | instid1(VALU_DEP_1)
	v_fma_f64 v[6:7], v[16:17], v[8:9], v[6:7]
	s_waitcnt lgkmcnt(0)
	v_fma_f64 v[6:7], v[18:19], v[10:11], v[6:7]
	s_waitcnt vmcnt(2)
	s_delay_alu instid0(VALU_DEP_1)
	v_fma_f64 v[14:15], v[87:88], v[12:13], v[6:7]
	ds_load_2addr_b64 v[6:9], v1 offset0:63 offset1:64
	ds_load_2addr_b64 v[10:13], v1 offset0:65 offset1:66
	s_waitcnt lgkmcnt(1)
	v_fma_f64 v[1:2], v[89:90], v[6:7], v[14:15]
	s_waitcnt vmcnt(1)
	s_delay_alu instid0(VALU_DEP_1) | instskip(SKIP_1) | instid1(VALU_DEP_1)
	v_fma_f64 v[1:2], v[99:100], v[8:9], v[1:2]
	s_waitcnt lgkmcnt(0)
	v_fma_f64 v[1:2], v[101:102], v[10:11], v[1:2]
	s_waitcnt vmcnt(0)
	s_delay_alu instid0(VALU_DEP_1) | instskip(NEXT) | instid1(VALU_DEP_1)
	v_fma_f64 v[1:2], v[91:92], v[12:13], v[1:2]
	v_add_f64 v[1:2], v[4:5], -v[1:2]
	scratch_store_b64 off, v[1:2], off offset:160
	v_cmpx_lt_u32_e32 19, v0
	s_cbranch_execz .LBB96_169
; %bb.168:
	scratch_load_b64 v[1:2], off, off offset:152
	v_mov_b32_e32 v4, 0
	s_delay_alu instid0(VALU_DEP_1)
	v_mov_b32_e32 v5, v4
	scratch_store_b64 off, v[4:5], off offset:152
	s_waitcnt vmcnt(0)
	ds_store_b64 v3, v[1:2]
.LBB96_169:
	s_or_b32 exec_lo, exec_lo, s0
	s_waitcnt lgkmcnt(0)
	s_waitcnt_vscnt null, 0x0
	s_barrier
	buffer_gl0_inv
	s_clause 0x4
	scratch_load_b128 v[4:7], off, off offset:152
	scratch_load_b128 v[8:11], off, off offset:168
	;; [unrolled: 1-line block ×5, first 2 shown]
	v_mov_b32_e32 v1, 0
	ds_load_b128 v[91:94], v1 offset:432
	ds_load_b128 v[95:98], v1 offset:448
	scratch_load_b128 v[99:102], off, off offset:232
	s_mov_b32 s0, exec_lo
	s_waitcnt vmcnt(5) lgkmcnt(1)
	v_fma_f64 v[6:7], v[6:7], v[91:92], 0
	s_waitcnt vmcnt(4)
	s_delay_alu instid0(VALU_DEP_1) | instskip(SKIP_1) | instid1(VALU_DEP_1)
	v_fma_f64 v[6:7], v[8:9], v[93:94], v[6:7]
	s_waitcnt lgkmcnt(0)
	v_fma_f64 v[10:11], v[10:11], v[95:96], v[6:7]
	scratch_load_b128 v[6:9], off, off offset:248
	s_waitcnt vmcnt(4)
	v_fma_f64 v[95:96], v[12:13], v[97:98], v[10:11]
	ds_load_b128 v[10:13], v1 offset:464
	ds_load_b128 v[91:94], v1 offset:480
	s_waitcnt lgkmcnt(1)
	v_fma_f64 v[10:11], v[14:15], v[10:11], v[95:96]
	s_waitcnt vmcnt(3)
	s_delay_alu instid0(VALU_DEP_1) | instskip(SKIP_1) | instid1(VALU_DEP_1)
	v_fma_f64 v[10:11], v[16:17], v[12:13], v[10:11]
	s_waitcnt lgkmcnt(0)
	v_fma_f64 v[10:11], v[18:19], v[91:92], v[10:11]
	s_waitcnt vmcnt(2)
	s_delay_alu instid0(VALU_DEP_1)
	v_fma_f64 v[18:19], v[87:88], v[93:94], v[10:11]
	ds_load_b128 v[10:13], v1 offset:496
	ds_load_b128 v[14:17], v1 offset:512
	s_waitcnt lgkmcnt(1)
	v_fma_f64 v[10:11], v[89:90], v[10:11], v[18:19]
	s_waitcnt vmcnt(1)
	s_delay_alu instid0(VALU_DEP_1) | instskip(SKIP_1) | instid1(VALU_DEP_1)
	v_fma_f64 v[10:11], v[99:100], v[12:13], v[10:11]
	s_waitcnt lgkmcnt(0)
	v_fma_f64 v[10:11], v[101:102], v[14:15], v[10:11]
	s_waitcnt vmcnt(0)
	s_delay_alu instid0(VALU_DEP_1) | instskip(SKIP_3) | instid1(VALU_DEP_1)
	v_fma_f64 v[6:7], v[6:7], v[16:17], v[10:11]
	ds_load_b64 v[10:11], v1 offset:528
	s_waitcnt lgkmcnt(0)
	v_fma_f64 v[6:7], v[8:9], v[10:11], v[6:7]
	v_add_f64 v[4:5], v[4:5], -v[6:7]
	scratch_store_b64 off, v[4:5], off offset:152
	v_cmpx_lt_u32_e32 18, v0
	s_cbranch_execz .LBB96_171
; %bb.170:
	scratch_load_b64 v[4:5], off, off offset:144
	v_mov_b32_e32 v2, v1
	scratch_store_b64 off, v[1:2], off offset:144
	s_waitcnt vmcnt(0)
	ds_store_b64 v3, v[4:5]
.LBB96_171:
	s_or_b32 exec_lo, exec_lo, s0
	s_waitcnt lgkmcnt(0)
	s_waitcnt_vscnt null, 0x0
	s_barrier
	buffer_gl0_inv
	s_clause 0x4
	scratch_load_b128 v[4:7], off, off offset:144
	scratch_load_b128 v[8:11], off, off offset:160
	;; [unrolled: 1-line block ×5, first 2 shown]
	ds_load_2addr_b64 v[91:94], v1 offset0:53 offset1:54
	ds_load_2addr_b64 v[95:98], v1 offset0:55 offset1:56
	scratch_load_b128 v[99:102], off, off offset:224
	s_mov_b32 s0, exec_lo
	s_waitcnt vmcnt(5) lgkmcnt(1)
	v_fma_f64 v[6:7], v[6:7], v[91:92], 0
	s_waitcnt vmcnt(4)
	s_delay_alu instid0(VALU_DEP_1) | instskip(SKIP_1) | instid1(VALU_DEP_1)
	v_fma_f64 v[6:7], v[8:9], v[93:94], v[6:7]
	s_waitcnt lgkmcnt(0)
	v_fma_f64 v[10:11], v[10:11], v[95:96], v[6:7]
	scratch_load_b128 v[6:9], off, off offset:240
	s_waitcnt vmcnt(4)
	v_fma_f64 v[95:96], v[12:13], v[97:98], v[10:11]
	ds_load_2addr_b64 v[10:13], v1 offset0:57 offset1:58
	ds_load_2addr_b64 v[91:94], v1 offset0:59 offset1:60
	s_waitcnt lgkmcnt(1)
	v_fma_f64 v[10:11], v[14:15], v[10:11], v[95:96]
	scratch_load_b64 v[95:96], off, off offset:256
	s_waitcnt vmcnt(4)
	v_fma_f64 v[10:11], v[16:17], v[12:13], v[10:11]
	s_waitcnt lgkmcnt(0)
	s_delay_alu instid0(VALU_DEP_1) | instskip(SKIP_1) | instid1(VALU_DEP_1)
	v_fma_f64 v[10:11], v[18:19], v[91:92], v[10:11]
	s_waitcnt vmcnt(3)
	v_fma_f64 v[18:19], v[87:88], v[93:94], v[10:11]
	ds_load_2addr_b64 v[10:13], v1 offset0:61 offset1:62
	ds_load_2addr_b64 v[14:17], v1 offset0:63 offset1:64
	s_waitcnt lgkmcnt(1)
	v_fma_f64 v[10:11], v[89:90], v[10:11], v[18:19]
	s_waitcnt vmcnt(2)
	s_delay_alu instid0(VALU_DEP_1) | instskip(SKIP_1) | instid1(VALU_DEP_1)
	v_fma_f64 v[10:11], v[99:100], v[12:13], v[10:11]
	s_waitcnt lgkmcnt(0)
	v_fma_f64 v[10:11], v[101:102], v[14:15], v[10:11]
	s_waitcnt vmcnt(1)
	s_delay_alu instid0(VALU_DEP_1) | instskip(SKIP_4) | instid1(VALU_DEP_1)
	v_fma_f64 v[6:7], v[6:7], v[16:17], v[10:11]
	ds_load_2addr_b64 v[10:13], v1 offset0:65 offset1:66
	s_waitcnt lgkmcnt(0)
	v_fma_f64 v[1:2], v[8:9], v[10:11], v[6:7]
	s_waitcnt vmcnt(0)
	v_fma_f64 v[1:2], v[95:96], v[12:13], v[1:2]
	s_delay_alu instid0(VALU_DEP_1)
	v_add_f64 v[1:2], v[4:5], -v[1:2]
	scratch_store_b64 off, v[1:2], off offset:144
	v_cmpx_lt_u32_e32 17, v0
	s_cbranch_execz .LBB96_173
; %bb.172:
	scratch_load_b64 v[1:2], off, off offset:136
	v_mov_b32_e32 v4, 0
	s_delay_alu instid0(VALU_DEP_1)
	v_mov_b32_e32 v5, v4
	scratch_store_b64 off, v[4:5], off offset:136
	s_waitcnt vmcnt(0)
	ds_store_b64 v3, v[1:2]
.LBB96_173:
	s_or_b32 exec_lo, exec_lo, s0
	s_waitcnt lgkmcnt(0)
	s_waitcnt_vscnt null, 0x0
	s_barrier
	buffer_gl0_inv
	s_clause 0x4
	scratch_load_b128 v[4:7], off, off offset:136
	scratch_load_b128 v[8:11], off, off offset:152
	;; [unrolled: 1-line block ×5, first 2 shown]
	v_mov_b32_e32 v1, 0
	ds_load_b128 v[91:94], v1 offset:416
	ds_load_b128 v[95:98], v1 offset:432
	scratch_load_b128 v[99:102], off, off offset:216
	s_mov_b32 s0, exec_lo
	s_waitcnt vmcnt(5) lgkmcnt(1)
	v_fma_f64 v[6:7], v[6:7], v[91:92], 0
	s_waitcnt vmcnt(4)
	s_delay_alu instid0(VALU_DEP_1) | instskip(SKIP_1) | instid1(VALU_DEP_1)
	v_fma_f64 v[6:7], v[8:9], v[93:94], v[6:7]
	s_waitcnt lgkmcnt(0)
	v_fma_f64 v[10:11], v[10:11], v[95:96], v[6:7]
	scratch_load_b128 v[6:9], off, off offset:232
	s_waitcnt vmcnt(4)
	v_fma_f64 v[95:96], v[12:13], v[97:98], v[10:11]
	ds_load_b128 v[10:13], v1 offset:448
	ds_load_b128 v[91:94], v1 offset:464
	s_waitcnt lgkmcnt(1)
	v_fma_f64 v[10:11], v[14:15], v[10:11], v[95:96]
	scratch_load_b128 v[95:98], off, off offset:248
	s_waitcnt vmcnt(4)
	v_fma_f64 v[10:11], v[16:17], v[12:13], v[10:11]
	s_waitcnt lgkmcnt(0)
	s_delay_alu instid0(VALU_DEP_1) | instskip(SKIP_1) | instid1(VALU_DEP_1)
	v_fma_f64 v[10:11], v[18:19], v[91:92], v[10:11]
	s_waitcnt vmcnt(3)
	v_fma_f64 v[18:19], v[87:88], v[93:94], v[10:11]
	ds_load_b128 v[10:13], v1 offset:480
	ds_load_b128 v[14:17], v1 offset:496
	s_waitcnt lgkmcnt(1)
	v_fma_f64 v[10:11], v[89:90], v[10:11], v[18:19]
	s_waitcnt vmcnt(2)
	s_delay_alu instid0(VALU_DEP_1) | instskip(SKIP_1) | instid1(VALU_DEP_1)
	v_fma_f64 v[10:11], v[99:100], v[12:13], v[10:11]
	s_waitcnt lgkmcnt(0)
	v_fma_f64 v[10:11], v[101:102], v[14:15], v[10:11]
	s_waitcnt vmcnt(1)
	s_delay_alu instid0(VALU_DEP_1)
	v_fma_f64 v[6:7], v[6:7], v[16:17], v[10:11]
	ds_load_b128 v[10:13], v1 offset:512
	ds_load_b64 v[14:15], v1 offset:528
	s_waitcnt lgkmcnt(1)
	v_fma_f64 v[6:7], v[8:9], v[10:11], v[6:7]
	s_waitcnt vmcnt(0)
	s_delay_alu instid0(VALU_DEP_1) | instskip(SKIP_1) | instid1(VALU_DEP_1)
	v_fma_f64 v[6:7], v[95:96], v[12:13], v[6:7]
	s_waitcnt lgkmcnt(0)
	v_fma_f64 v[6:7], v[97:98], v[14:15], v[6:7]
	s_delay_alu instid0(VALU_DEP_1)
	v_add_f64 v[4:5], v[4:5], -v[6:7]
	scratch_store_b64 off, v[4:5], off offset:136
	v_cmpx_lt_u32_e32 16, v0
	s_cbranch_execz .LBB96_175
; %bb.174:
	scratch_load_b64 v[4:5], off, off offset:128
	v_mov_b32_e32 v2, v1
	scratch_store_b64 off, v[1:2], off offset:128
	s_waitcnt vmcnt(0)
	ds_store_b64 v3, v[4:5]
.LBB96_175:
	s_or_b32 exec_lo, exec_lo, s0
	s_waitcnt lgkmcnt(0)
	s_waitcnt_vscnt null, 0x0
	s_barrier
	buffer_gl0_inv
	s_clause 0x4
	scratch_load_b128 v[4:7], off, off offset:128
	scratch_load_b128 v[8:11], off, off offset:144
	;; [unrolled: 1-line block ×5, first 2 shown]
	ds_load_2addr_b64 v[91:94], v1 offset0:51 offset1:52
	ds_load_2addr_b64 v[95:98], v1 offset0:53 offset1:54
	scratch_load_b128 v[99:102], off, off offset:208
	s_mov_b32 s0, exec_lo
	s_waitcnt vmcnt(5) lgkmcnt(1)
	v_fma_f64 v[6:7], v[6:7], v[91:92], 0
	s_waitcnt vmcnt(4)
	s_delay_alu instid0(VALU_DEP_1) | instskip(SKIP_1) | instid1(VALU_DEP_1)
	v_fma_f64 v[6:7], v[8:9], v[93:94], v[6:7]
	s_waitcnt lgkmcnt(0)
	v_fma_f64 v[10:11], v[10:11], v[95:96], v[6:7]
	scratch_load_b128 v[6:9], off, off offset:224
	s_waitcnt vmcnt(4)
	v_fma_f64 v[95:96], v[12:13], v[97:98], v[10:11]
	ds_load_2addr_b64 v[10:13], v1 offset0:55 offset1:56
	ds_load_2addr_b64 v[91:94], v1 offset0:57 offset1:58
	s_waitcnt lgkmcnt(1)
	v_fma_f64 v[10:11], v[14:15], v[10:11], v[95:96]
	scratch_load_b128 v[95:98], off, off offset:240
	s_waitcnt vmcnt(4)
	v_fma_f64 v[10:11], v[16:17], v[12:13], v[10:11]
	s_waitcnt lgkmcnt(0)
	s_delay_alu instid0(VALU_DEP_1)
	v_fma_f64 v[10:11], v[18:19], v[91:92], v[10:11]
	scratch_load_b64 v[18:19], off, off offset:256
	s_waitcnt vmcnt(4)
	v_fma_f64 v[87:88], v[87:88], v[93:94], v[10:11]
	ds_load_2addr_b64 v[10:13], v1 offset0:59 offset1:60
	ds_load_2addr_b64 v[14:17], v1 offset0:61 offset1:62
	s_waitcnt lgkmcnt(1)
	v_fma_f64 v[10:11], v[89:90], v[10:11], v[87:88]
	s_waitcnt vmcnt(3)
	s_delay_alu instid0(VALU_DEP_1) | instskip(SKIP_1) | instid1(VALU_DEP_1)
	v_fma_f64 v[10:11], v[99:100], v[12:13], v[10:11]
	s_waitcnt lgkmcnt(0)
	v_fma_f64 v[10:11], v[101:102], v[14:15], v[10:11]
	s_waitcnt vmcnt(2)
	s_delay_alu instid0(VALU_DEP_1)
	v_fma_f64 v[6:7], v[6:7], v[16:17], v[10:11]
	ds_load_2addr_b64 v[10:13], v1 offset0:63 offset1:64
	ds_load_2addr_b64 v[14:17], v1 offset0:65 offset1:66
	s_waitcnt lgkmcnt(1)
	v_fma_f64 v[1:2], v[8:9], v[10:11], v[6:7]
	s_waitcnt vmcnt(1)
	s_delay_alu instid0(VALU_DEP_1) | instskip(SKIP_1) | instid1(VALU_DEP_1)
	v_fma_f64 v[1:2], v[95:96], v[12:13], v[1:2]
	s_waitcnt lgkmcnt(0)
	v_fma_f64 v[1:2], v[97:98], v[14:15], v[1:2]
	s_waitcnt vmcnt(0)
	s_delay_alu instid0(VALU_DEP_1) | instskip(NEXT) | instid1(VALU_DEP_1)
	v_fma_f64 v[1:2], v[18:19], v[16:17], v[1:2]
	v_add_f64 v[1:2], v[4:5], -v[1:2]
	scratch_store_b64 off, v[1:2], off offset:128
	v_cmpx_lt_u32_e32 15, v0
	s_cbranch_execz .LBB96_177
; %bb.176:
	scratch_load_b64 v[1:2], off, off offset:120
	v_mov_b32_e32 v4, 0
	s_delay_alu instid0(VALU_DEP_1)
	v_mov_b32_e32 v5, v4
	scratch_store_b64 off, v[4:5], off offset:120
	s_waitcnt vmcnt(0)
	ds_store_b64 v3, v[1:2]
.LBB96_177:
	s_or_b32 exec_lo, exec_lo, s0
	s_waitcnt lgkmcnt(0)
	s_waitcnt_vscnt null, 0x0
	s_barrier
	buffer_gl0_inv
	s_clause 0x4
	scratch_load_b128 v[4:7], off, off offset:120
	scratch_load_b128 v[8:11], off, off offset:136
	;; [unrolled: 1-line block ×5, first 2 shown]
	v_mov_b32_e32 v1, 0
	ds_load_b128 v[91:94], v1 offset:400
	ds_load_b128 v[95:98], v1 offset:416
	scratch_load_b128 v[99:102], off, off offset:200
	s_mov_b32 s0, exec_lo
	s_waitcnt vmcnt(5) lgkmcnt(1)
	v_fma_f64 v[6:7], v[6:7], v[91:92], 0
	s_waitcnt vmcnt(4)
	s_delay_alu instid0(VALU_DEP_1) | instskip(SKIP_1) | instid1(VALU_DEP_1)
	v_fma_f64 v[6:7], v[8:9], v[93:94], v[6:7]
	s_waitcnt lgkmcnt(0)
	v_fma_f64 v[10:11], v[10:11], v[95:96], v[6:7]
	scratch_load_b128 v[6:9], off, off offset:216
	s_waitcnt vmcnt(4)
	v_fma_f64 v[95:96], v[12:13], v[97:98], v[10:11]
	ds_load_b128 v[10:13], v1 offset:432
	ds_load_b128 v[91:94], v1 offset:448
	s_waitcnt lgkmcnt(1)
	v_fma_f64 v[10:11], v[14:15], v[10:11], v[95:96]
	scratch_load_b128 v[95:98], off, off offset:232
	s_waitcnt vmcnt(4)
	v_fma_f64 v[10:11], v[16:17], v[12:13], v[10:11]
	s_waitcnt lgkmcnt(0)
	s_delay_alu instid0(VALU_DEP_1)
	v_fma_f64 v[14:15], v[18:19], v[91:92], v[10:11]
	scratch_load_b128 v[10:13], off, off offset:248
	s_waitcnt vmcnt(4)
	v_fma_f64 v[18:19], v[87:88], v[93:94], v[14:15]
	ds_load_b128 v[14:17], v1 offset:464
	ds_load_b128 v[91:94], v1 offset:480
	s_waitcnt lgkmcnt(1)
	v_fma_f64 v[14:15], v[89:90], v[14:15], v[18:19]
	s_waitcnt vmcnt(3)
	s_delay_alu instid0(VALU_DEP_1) | instskip(SKIP_1) | instid1(VALU_DEP_1)
	v_fma_f64 v[14:15], v[99:100], v[16:17], v[14:15]
	s_waitcnt lgkmcnt(0)
	v_fma_f64 v[14:15], v[101:102], v[91:92], v[14:15]
	s_waitcnt vmcnt(2)
	s_delay_alu instid0(VALU_DEP_1)
	v_fma_f64 v[6:7], v[6:7], v[93:94], v[14:15]
	ds_load_b128 v[14:17], v1 offset:496
	ds_load_b128 v[87:90], v1 offset:512
	s_waitcnt lgkmcnt(1)
	v_fma_f64 v[6:7], v[8:9], v[14:15], v[6:7]
	ds_load_b64 v[8:9], v1 offset:528
	s_waitcnt vmcnt(1)
	v_fma_f64 v[6:7], v[95:96], v[16:17], v[6:7]
	s_waitcnt lgkmcnt(1)
	s_delay_alu instid0(VALU_DEP_1) | instskip(SKIP_1) | instid1(VALU_DEP_1)
	v_fma_f64 v[6:7], v[97:98], v[87:88], v[6:7]
	s_waitcnt vmcnt(0)
	v_fma_f64 v[6:7], v[10:11], v[89:90], v[6:7]
	s_waitcnt lgkmcnt(0)
	s_delay_alu instid0(VALU_DEP_1) | instskip(NEXT) | instid1(VALU_DEP_1)
	v_fma_f64 v[6:7], v[12:13], v[8:9], v[6:7]
	v_add_f64 v[4:5], v[4:5], -v[6:7]
	scratch_store_b64 off, v[4:5], off offset:120
	v_cmpx_lt_u32_e32 14, v0
	s_cbranch_execz .LBB96_179
; %bb.178:
	scratch_load_b64 v[4:5], off, off offset:112
	v_mov_b32_e32 v2, v1
	scratch_store_b64 off, v[1:2], off offset:112
	s_waitcnt vmcnt(0)
	ds_store_b64 v3, v[4:5]
.LBB96_179:
	s_or_b32 exec_lo, exec_lo, s0
	s_waitcnt lgkmcnt(0)
	s_waitcnt_vscnt null, 0x0
	s_barrier
	buffer_gl0_inv
	s_clause 0x4
	scratch_load_b128 v[4:7], off, off offset:112
	scratch_load_b128 v[8:11], off, off offset:128
	scratch_load_b128 v[12:15], off, off offset:144
	scratch_load_b128 v[16:19], off, off offset:160
	scratch_load_b128 v[87:90], off, off offset:176
	ds_load_2addr_b64 v[91:94], v1 offset0:49 offset1:50
	ds_load_2addr_b64 v[95:98], v1 offset0:51 offset1:52
	scratch_load_b128 v[99:102], off, off offset:192
	s_mov_b32 s0, exec_lo
	s_waitcnt vmcnt(5) lgkmcnt(1)
	v_fma_f64 v[6:7], v[6:7], v[91:92], 0
	s_waitcnt vmcnt(4)
	s_delay_alu instid0(VALU_DEP_1) | instskip(SKIP_1) | instid1(VALU_DEP_1)
	v_fma_f64 v[6:7], v[8:9], v[93:94], v[6:7]
	s_waitcnt lgkmcnt(0)
	v_fma_f64 v[10:11], v[10:11], v[95:96], v[6:7]
	scratch_load_b128 v[6:9], off, off offset:208
	s_waitcnt vmcnt(4)
	v_fma_f64 v[95:96], v[12:13], v[97:98], v[10:11]
	ds_load_2addr_b64 v[10:13], v1 offset0:53 offset1:54
	ds_load_2addr_b64 v[91:94], v1 offset0:55 offset1:56
	s_waitcnt lgkmcnt(1)
	v_fma_f64 v[10:11], v[14:15], v[10:11], v[95:96]
	scratch_load_b128 v[95:98], off, off offset:224
	s_waitcnt vmcnt(4)
	v_fma_f64 v[10:11], v[16:17], v[12:13], v[10:11]
	s_waitcnt lgkmcnt(0)
	s_delay_alu instid0(VALU_DEP_1)
	v_fma_f64 v[14:15], v[18:19], v[91:92], v[10:11]
	scratch_load_b128 v[10:13], off, off offset:240
	s_waitcnt vmcnt(4)
	v_fma_f64 v[18:19], v[87:88], v[93:94], v[14:15]
	ds_load_2addr_b64 v[14:17], v1 offset0:57 offset1:58
	ds_load_2addr_b64 v[91:94], v1 offset0:59 offset1:60
	s_waitcnt lgkmcnt(1)
	v_fma_f64 v[14:15], v[89:90], v[14:15], v[18:19]
	scratch_load_b64 v[18:19], off, off offset:256
	s_waitcnt vmcnt(4)
	v_fma_f64 v[14:15], v[99:100], v[16:17], v[14:15]
	s_waitcnt lgkmcnt(0)
	s_delay_alu instid0(VALU_DEP_1) | instskip(SKIP_1) | instid1(VALU_DEP_1)
	v_fma_f64 v[14:15], v[101:102], v[91:92], v[14:15]
	s_waitcnt vmcnt(3)
	v_fma_f64 v[6:7], v[6:7], v[93:94], v[14:15]
	ds_load_2addr_b64 v[14:17], v1 offset0:61 offset1:62
	ds_load_2addr_b64 v[87:90], v1 offset0:63 offset1:64
	s_waitcnt lgkmcnt(1)
	v_fma_f64 v[6:7], v[8:9], v[14:15], v[6:7]
	s_waitcnt vmcnt(2)
	s_delay_alu instid0(VALU_DEP_1) | instskip(SKIP_1) | instid1(VALU_DEP_1)
	v_fma_f64 v[6:7], v[95:96], v[16:17], v[6:7]
	s_waitcnt lgkmcnt(0)
	v_fma_f64 v[6:7], v[97:98], v[87:88], v[6:7]
	s_waitcnt vmcnt(1)
	s_delay_alu instid0(VALU_DEP_1) | instskip(SKIP_4) | instid1(VALU_DEP_1)
	v_fma_f64 v[10:11], v[10:11], v[89:90], v[6:7]
	ds_load_2addr_b64 v[6:9], v1 offset0:65 offset1:66
	s_waitcnt lgkmcnt(0)
	v_fma_f64 v[1:2], v[12:13], v[6:7], v[10:11]
	s_waitcnt vmcnt(0)
	v_fma_f64 v[1:2], v[18:19], v[8:9], v[1:2]
	s_delay_alu instid0(VALU_DEP_1)
	v_add_f64 v[1:2], v[4:5], -v[1:2]
	scratch_store_b64 off, v[1:2], off offset:112
	v_cmpx_lt_u32_e32 13, v0
	s_cbranch_execz .LBB96_181
; %bb.180:
	scratch_load_b64 v[1:2], off, off offset:104
	v_mov_b32_e32 v4, 0
	s_delay_alu instid0(VALU_DEP_1)
	v_mov_b32_e32 v5, v4
	scratch_store_b64 off, v[4:5], off offset:104
	s_waitcnt vmcnt(0)
	ds_store_b64 v3, v[1:2]
.LBB96_181:
	s_or_b32 exec_lo, exec_lo, s0
	s_waitcnt lgkmcnt(0)
	s_waitcnt_vscnt null, 0x0
	s_barrier
	buffer_gl0_inv
	s_clause 0x4
	scratch_load_b128 v[4:7], off, off offset:104
	scratch_load_b128 v[8:11], off, off offset:120
	;; [unrolled: 1-line block ×5, first 2 shown]
	v_mov_b32_e32 v1, 0
	ds_load_b128 v[91:94], v1 offset:384
	ds_load_b128 v[95:98], v1 offset:400
	scratch_load_b128 v[99:102], off, off offset:184
	s_mov_b32 s0, exec_lo
	s_waitcnt vmcnt(5) lgkmcnt(1)
	v_fma_f64 v[6:7], v[6:7], v[91:92], 0
	s_waitcnt vmcnt(4)
	s_delay_alu instid0(VALU_DEP_1) | instskip(SKIP_1) | instid1(VALU_DEP_1)
	v_fma_f64 v[6:7], v[8:9], v[93:94], v[6:7]
	s_waitcnt lgkmcnt(0)
	v_fma_f64 v[10:11], v[10:11], v[95:96], v[6:7]
	scratch_load_b128 v[6:9], off, off offset:200
	s_waitcnt vmcnt(4)
	v_fma_f64 v[95:96], v[12:13], v[97:98], v[10:11]
	ds_load_b128 v[10:13], v1 offset:416
	ds_load_b128 v[91:94], v1 offset:432
	s_waitcnt lgkmcnt(1)
	v_fma_f64 v[10:11], v[14:15], v[10:11], v[95:96]
	scratch_load_b128 v[95:98], off, off offset:216
	s_waitcnt vmcnt(4)
	v_fma_f64 v[10:11], v[16:17], v[12:13], v[10:11]
	s_waitcnt lgkmcnt(0)
	s_delay_alu instid0(VALU_DEP_1)
	v_fma_f64 v[14:15], v[18:19], v[91:92], v[10:11]
	scratch_load_b128 v[10:13], off, off offset:232
	s_waitcnt vmcnt(4)
	v_fma_f64 v[18:19], v[87:88], v[93:94], v[14:15]
	ds_load_b128 v[14:17], v1 offset:448
	ds_load_b128 v[91:94], v1 offset:464
	s_waitcnt lgkmcnt(1)
	v_fma_f64 v[14:15], v[89:90], v[14:15], v[18:19]
	scratch_load_b128 v[87:90], off, off offset:248
	s_waitcnt vmcnt(4)
	v_fma_f64 v[14:15], v[99:100], v[16:17], v[14:15]
	s_waitcnt lgkmcnt(0)
	s_delay_alu instid0(VALU_DEP_1) | instskip(SKIP_1) | instid1(VALU_DEP_1)
	v_fma_f64 v[14:15], v[101:102], v[91:92], v[14:15]
	s_waitcnt vmcnt(3)
	v_fma_f64 v[6:7], v[6:7], v[93:94], v[14:15]
	ds_load_b128 v[14:17], v1 offset:480
	ds_load_b128 v[91:94], v1 offset:496
	s_waitcnt lgkmcnt(1)
	v_fma_f64 v[6:7], v[8:9], v[14:15], v[6:7]
	s_waitcnt vmcnt(2)
	s_delay_alu instid0(VALU_DEP_1) | instskip(SKIP_1) | instid1(VALU_DEP_1)
	v_fma_f64 v[6:7], v[95:96], v[16:17], v[6:7]
	s_waitcnt lgkmcnt(0)
	v_fma_f64 v[6:7], v[97:98], v[91:92], v[6:7]
	s_waitcnt vmcnt(1)
	s_delay_alu instid0(VALU_DEP_1)
	v_fma_f64 v[10:11], v[10:11], v[93:94], v[6:7]
	ds_load_b128 v[6:9], v1 offset:512
	ds_load_b64 v[14:15], v1 offset:528
	s_waitcnt lgkmcnt(1)
	v_fma_f64 v[6:7], v[12:13], v[6:7], v[10:11]
	s_waitcnt vmcnt(0)
	s_delay_alu instid0(VALU_DEP_1) | instskip(SKIP_1) | instid1(VALU_DEP_1)
	v_fma_f64 v[6:7], v[87:88], v[8:9], v[6:7]
	s_waitcnt lgkmcnt(0)
	v_fma_f64 v[6:7], v[89:90], v[14:15], v[6:7]
	s_delay_alu instid0(VALU_DEP_1)
	v_add_f64 v[4:5], v[4:5], -v[6:7]
	scratch_store_b64 off, v[4:5], off offset:104
	v_cmpx_lt_u32_e32 12, v0
	s_cbranch_execz .LBB96_183
; %bb.182:
	scratch_load_b64 v[4:5], off, off offset:96
	v_mov_b32_e32 v2, v1
	scratch_store_b64 off, v[1:2], off offset:96
	s_waitcnt vmcnt(0)
	ds_store_b64 v3, v[4:5]
.LBB96_183:
	s_or_b32 exec_lo, exec_lo, s0
	s_waitcnt lgkmcnt(0)
	s_waitcnt_vscnt null, 0x0
	s_barrier
	buffer_gl0_inv
	s_clause 0x4
	scratch_load_b128 v[4:7], off, off offset:96
	scratch_load_b128 v[8:11], off, off offset:112
	;; [unrolled: 1-line block ×5, first 2 shown]
	ds_load_2addr_b64 v[91:94], v1 offset0:47 offset1:48
	ds_load_2addr_b64 v[95:98], v1 offset0:49 offset1:50
	scratch_load_b128 v[99:102], off, off offset:176
	s_mov_b32 s0, exec_lo
	s_waitcnt vmcnt(5) lgkmcnt(1)
	v_fma_f64 v[6:7], v[6:7], v[91:92], 0
	s_waitcnt vmcnt(4)
	s_delay_alu instid0(VALU_DEP_1) | instskip(SKIP_1) | instid1(VALU_DEP_1)
	v_fma_f64 v[6:7], v[8:9], v[93:94], v[6:7]
	s_waitcnt lgkmcnt(0)
	v_fma_f64 v[10:11], v[10:11], v[95:96], v[6:7]
	scratch_load_b128 v[6:9], off, off offset:192
	s_waitcnt vmcnt(4)
	v_fma_f64 v[95:96], v[12:13], v[97:98], v[10:11]
	ds_load_2addr_b64 v[10:13], v1 offset0:51 offset1:52
	ds_load_2addr_b64 v[91:94], v1 offset0:53 offset1:54
	s_waitcnt lgkmcnt(1)
	v_fma_f64 v[10:11], v[14:15], v[10:11], v[95:96]
	scratch_load_b128 v[95:98], off, off offset:208
	s_waitcnt vmcnt(4)
	v_fma_f64 v[10:11], v[16:17], v[12:13], v[10:11]
	s_waitcnt lgkmcnt(0)
	s_delay_alu instid0(VALU_DEP_1)
	v_fma_f64 v[14:15], v[18:19], v[91:92], v[10:11]
	scratch_load_b128 v[10:13], off, off offset:224
	s_waitcnt vmcnt(4)
	v_fma_f64 v[18:19], v[87:88], v[93:94], v[14:15]
	ds_load_2addr_b64 v[14:17], v1 offset0:55 offset1:56
	ds_load_2addr_b64 v[91:94], v1 offset0:57 offset1:58
	s_waitcnt lgkmcnt(1)
	v_fma_f64 v[14:15], v[89:90], v[14:15], v[18:19]
	s_clause 0x1
	scratch_load_b128 v[87:90], off, off offset:240
	scratch_load_b64 v[18:19], off, off offset:256
	s_waitcnt vmcnt(5)
	v_fma_f64 v[14:15], v[99:100], v[16:17], v[14:15]
	s_waitcnt lgkmcnt(0)
	s_delay_alu instid0(VALU_DEP_1) | instskip(SKIP_1) | instid1(VALU_DEP_1)
	v_fma_f64 v[14:15], v[101:102], v[91:92], v[14:15]
	s_waitcnt vmcnt(4)
	v_fma_f64 v[6:7], v[6:7], v[93:94], v[14:15]
	ds_load_2addr_b64 v[14:17], v1 offset0:59 offset1:60
	ds_load_2addr_b64 v[91:94], v1 offset0:61 offset1:62
	s_waitcnt lgkmcnt(1)
	v_fma_f64 v[6:7], v[8:9], v[14:15], v[6:7]
	s_waitcnt vmcnt(3)
	s_delay_alu instid0(VALU_DEP_1) | instskip(SKIP_1) | instid1(VALU_DEP_1)
	v_fma_f64 v[6:7], v[95:96], v[16:17], v[6:7]
	s_waitcnt lgkmcnt(0)
	v_fma_f64 v[6:7], v[97:98], v[91:92], v[6:7]
	s_waitcnt vmcnt(2)
	s_delay_alu instid0(VALU_DEP_1)
	v_fma_f64 v[10:11], v[10:11], v[93:94], v[6:7]
	ds_load_2addr_b64 v[6:9], v1 offset0:63 offset1:64
	ds_load_2addr_b64 v[14:17], v1 offset0:65 offset1:66
	s_waitcnt lgkmcnt(1)
	v_fma_f64 v[1:2], v[12:13], v[6:7], v[10:11]
	s_waitcnt vmcnt(1)
	s_delay_alu instid0(VALU_DEP_1) | instskip(SKIP_1) | instid1(VALU_DEP_1)
	v_fma_f64 v[1:2], v[87:88], v[8:9], v[1:2]
	s_waitcnt lgkmcnt(0)
	v_fma_f64 v[1:2], v[89:90], v[14:15], v[1:2]
	s_waitcnt vmcnt(0)
	s_delay_alu instid0(VALU_DEP_1) | instskip(NEXT) | instid1(VALU_DEP_1)
	v_fma_f64 v[1:2], v[18:19], v[16:17], v[1:2]
	v_add_f64 v[1:2], v[4:5], -v[1:2]
	scratch_store_b64 off, v[1:2], off offset:96
	v_cmpx_lt_u32_e32 11, v0
	s_cbranch_execz .LBB96_185
; %bb.184:
	scratch_load_b64 v[1:2], off, off offset:88
	v_mov_b32_e32 v4, 0
	s_delay_alu instid0(VALU_DEP_1)
	v_mov_b32_e32 v5, v4
	scratch_store_b64 off, v[4:5], off offset:88
	s_waitcnt vmcnt(0)
	ds_store_b64 v3, v[1:2]
.LBB96_185:
	s_or_b32 exec_lo, exec_lo, s0
	s_waitcnt lgkmcnt(0)
	s_waitcnt_vscnt null, 0x0
	s_barrier
	buffer_gl0_inv
	s_clause 0x4
	scratch_load_b128 v[4:7], off, off offset:88
	scratch_load_b128 v[8:11], off, off offset:104
	;; [unrolled: 1-line block ×5, first 2 shown]
	v_mov_b32_e32 v1, 0
	ds_load_b128 v[91:94], v1 offset:368
	ds_load_b128 v[95:98], v1 offset:384
	scratch_load_b128 v[99:102], off, off offset:168
	s_mov_b32 s0, exec_lo
	s_waitcnt vmcnt(5) lgkmcnt(1)
	v_fma_f64 v[6:7], v[6:7], v[91:92], 0
	s_waitcnt vmcnt(4)
	s_delay_alu instid0(VALU_DEP_1) | instskip(SKIP_1) | instid1(VALU_DEP_1)
	v_fma_f64 v[6:7], v[8:9], v[93:94], v[6:7]
	s_waitcnt lgkmcnt(0)
	v_fma_f64 v[10:11], v[10:11], v[95:96], v[6:7]
	scratch_load_b128 v[6:9], off, off offset:184
	s_waitcnt vmcnt(4)
	v_fma_f64 v[95:96], v[12:13], v[97:98], v[10:11]
	ds_load_b128 v[10:13], v1 offset:400
	ds_load_b128 v[91:94], v1 offset:416
	s_waitcnt lgkmcnt(1)
	v_fma_f64 v[10:11], v[14:15], v[10:11], v[95:96]
	scratch_load_b128 v[95:98], off, off offset:200
	s_waitcnt vmcnt(4)
	v_fma_f64 v[10:11], v[16:17], v[12:13], v[10:11]
	s_waitcnt lgkmcnt(0)
	s_delay_alu instid0(VALU_DEP_1)
	v_fma_f64 v[14:15], v[18:19], v[91:92], v[10:11]
	scratch_load_b128 v[10:13], off, off offset:216
	s_waitcnt vmcnt(4)
	v_fma_f64 v[18:19], v[87:88], v[93:94], v[14:15]
	ds_load_b128 v[14:17], v1 offset:432
	ds_load_b128 v[91:94], v1 offset:448
	s_waitcnt lgkmcnt(1)
	v_fma_f64 v[14:15], v[89:90], v[14:15], v[18:19]
	scratch_load_b128 v[87:90], off, off offset:232
	s_waitcnt vmcnt(4)
	v_fma_f64 v[14:15], v[99:100], v[16:17], v[14:15]
	s_waitcnt lgkmcnt(0)
	s_delay_alu instid0(VALU_DEP_1)
	v_fma_f64 v[18:19], v[101:102], v[91:92], v[14:15]
	scratch_load_b128 v[14:17], off, off offset:248
	s_waitcnt vmcnt(4)
	v_fma_f64 v[6:7], v[6:7], v[93:94], v[18:19]
	ds_load_b128 v[91:94], v1 offset:464
	ds_load_b128 v[99:102], v1 offset:480
	s_waitcnt lgkmcnt(1)
	v_fma_f64 v[6:7], v[8:9], v[91:92], v[6:7]
	s_waitcnt vmcnt(3)
	s_delay_alu instid0(VALU_DEP_1) | instskip(SKIP_1) | instid1(VALU_DEP_1)
	v_fma_f64 v[6:7], v[95:96], v[93:94], v[6:7]
	s_waitcnt lgkmcnt(0)
	v_fma_f64 v[6:7], v[97:98], v[99:100], v[6:7]
	s_waitcnt vmcnt(2)
	s_delay_alu instid0(VALU_DEP_1)
	v_fma_f64 v[10:11], v[10:11], v[101:102], v[6:7]
	ds_load_b128 v[6:9], v1 offset:496
	ds_load_b128 v[91:94], v1 offset:512
	s_waitcnt lgkmcnt(1)
	v_fma_f64 v[6:7], v[12:13], v[6:7], v[10:11]
	s_waitcnt vmcnt(1)
	s_delay_alu instid0(VALU_DEP_1) | instskip(SKIP_4) | instid1(VALU_DEP_1)
	v_fma_f64 v[6:7], v[87:88], v[8:9], v[6:7]
	ds_load_b64 v[8:9], v1 offset:528
	s_waitcnt lgkmcnt(1)
	v_fma_f64 v[6:7], v[89:90], v[91:92], v[6:7]
	s_waitcnt vmcnt(0)
	v_fma_f64 v[6:7], v[14:15], v[93:94], v[6:7]
	s_waitcnt lgkmcnt(0)
	s_delay_alu instid0(VALU_DEP_1) | instskip(NEXT) | instid1(VALU_DEP_1)
	v_fma_f64 v[6:7], v[16:17], v[8:9], v[6:7]
	v_add_f64 v[4:5], v[4:5], -v[6:7]
	scratch_store_b64 off, v[4:5], off offset:88
	v_cmpx_lt_u32_e32 10, v0
	s_cbranch_execz .LBB96_187
; %bb.186:
	scratch_load_b64 v[4:5], off, off offset:80
	v_mov_b32_e32 v2, v1
	scratch_store_b64 off, v[1:2], off offset:80
	s_waitcnt vmcnt(0)
	ds_store_b64 v3, v[4:5]
.LBB96_187:
	s_or_b32 exec_lo, exec_lo, s0
	s_waitcnt lgkmcnt(0)
	s_waitcnt_vscnt null, 0x0
	s_barrier
	buffer_gl0_inv
	s_clause 0x4
	scratch_load_b128 v[4:7], off, off offset:80
	scratch_load_b128 v[8:11], off, off offset:96
	;; [unrolled: 1-line block ×5, first 2 shown]
	ds_load_2addr_b64 v[91:94], v1 offset0:45 offset1:46
	ds_load_2addr_b64 v[95:98], v1 offset0:47 offset1:48
	scratch_load_b128 v[99:102], off, off offset:160
	s_mov_b32 s0, exec_lo
	s_waitcnt vmcnt(5) lgkmcnt(1)
	v_fma_f64 v[6:7], v[6:7], v[91:92], 0
	s_waitcnt vmcnt(4)
	s_delay_alu instid0(VALU_DEP_1) | instskip(SKIP_1) | instid1(VALU_DEP_1)
	v_fma_f64 v[6:7], v[8:9], v[93:94], v[6:7]
	s_waitcnt lgkmcnt(0)
	v_fma_f64 v[10:11], v[10:11], v[95:96], v[6:7]
	scratch_load_b128 v[6:9], off, off offset:176
	s_waitcnt vmcnt(4)
	v_fma_f64 v[95:96], v[12:13], v[97:98], v[10:11]
	ds_load_2addr_b64 v[10:13], v1 offset0:49 offset1:50
	ds_load_2addr_b64 v[91:94], v1 offset0:51 offset1:52
	s_waitcnt lgkmcnt(1)
	v_fma_f64 v[10:11], v[14:15], v[10:11], v[95:96]
	scratch_load_b128 v[95:98], off, off offset:192
	s_waitcnt vmcnt(4)
	v_fma_f64 v[10:11], v[16:17], v[12:13], v[10:11]
	s_waitcnt lgkmcnt(0)
	s_delay_alu instid0(VALU_DEP_1)
	v_fma_f64 v[14:15], v[18:19], v[91:92], v[10:11]
	scratch_load_b128 v[10:13], off, off offset:208
	s_waitcnt vmcnt(4)
	v_fma_f64 v[18:19], v[87:88], v[93:94], v[14:15]
	ds_load_2addr_b64 v[14:17], v1 offset0:53 offset1:54
	ds_load_2addr_b64 v[91:94], v1 offset0:55 offset1:56
	s_waitcnt lgkmcnt(1)
	v_fma_f64 v[14:15], v[89:90], v[14:15], v[18:19]
	scratch_load_b128 v[87:90], off, off offset:224
	s_waitcnt vmcnt(4)
	v_fma_f64 v[14:15], v[99:100], v[16:17], v[14:15]
	s_waitcnt lgkmcnt(0)
	s_delay_alu instid0(VALU_DEP_1)
	v_fma_f64 v[18:19], v[101:102], v[91:92], v[14:15]
	scratch_load_b128 v[14:17], off, off offset:240
	s_waitcnt vmcnt(4)
	v_fma_f64 v[6:7], v[6:7], v[93:94], v[18:19]
	ds_load_2addr_b64 v[91:94], v1 offset0:57 offset1:58
	ds_load_2addr_b64 v[99:102], v1 offset0:59 offset1:60
	scratch_load_b64 v[18:19], off, off offset:256
	s_waitcnt lgkmcnt(1)
	v_fma_f64 v[6:7], v[8:9], v[91:92], v[6:7]
	s_waitcnt vmcnt(4)
	s_delay_alu instid0(VALU_DEP_1) | instskip(SKIP_1) | instid1(VALU_DEP_1)
	v_fma_f64 v[6:7], v[95:96], v[93:94], v[6:7]
	s_waitcnt lgkmcnt(0)
	v_fma_f64 v[6:7], v[97:98], v[99:100], v[6:7]
	s_waitcnt vmcnt(3)
	s_delay_alu instid0(VALU_DEP_1)
	v_fma_f64 v[10:11], v[10:11], v[101:102], v[6:7]
	ds_load_2addr_b64 v[6:9], v1 offset0:61 offset1:62
	ds_load_2addr_b64 v[91:94], v1 offset0:63 offset1:64
	s_waitcnt lgkmcnt(1)
	v_fma_f64 v[6:7], v[12:13], v[6:7], v[10:11]
	s_waitcnt vmcnt(2)
	s_delay_alu instid0(VALU_DEP_1) | instskip(SKIP_1) | instid1(VALU_DEP_1)
	v_fma_f64 v[6:7], v[87:88], v[8:9], v[6:7]
	s_waitcnt lgkmcnt(0)
	v_fma_f64 v[6:7], v[89:90], v[91:92], v[6:7]
	s_waitcnt vmcnt(1)
	s_delay_alu instid0(VALU_DEP_1) | instskip(SKIP_4) | instid1(VALU_DEP_1)
	v_fma_f64 v[10:11], v[14:15], v[93:94], v[6:7]
	ds_load_2addr_b64 v[6:9], v1 offset0:65 offset1:66
	s_waitcnt lgkmcnt(0)
	v_fma_f64 v[1:2], v[16:17], v[6:7], v[10:11]
	s_waitcnt vmcnt(0)
	v_fma_f64 v[1:2], v[18:19], v[8:9], v[1:2]
	s_delay_alu instid0(VALU_DEP_1)
	v_add_f64 v[1:2], v[4:5], -v[1:2]
	scratch_store_b64 off, v[1:2], off offset:80
	v_cmpx_lt_u32_e32 9, v0
	s_cbranch_execz .LBB96_189
; %bb.188:
	scratch_load_b64 v[1:2], off, off offset:72
	v_mov_b32_e32 v4, 0
	s_delay_alu instid0(VALU_DEP_1)
	v_mov_b32_e32 v5, v4
	scratch_store_b64 off, v[4:5], off offset:72
	s_waitcnt vmcnt(0)
	ds_store_b64 v3, v[1:2]
.LBB96_189:
	s_or_b32 exec_lo, exec_lo, s0
	s_waitcnt lgkmcnt(0)
	s_waitcnt_vscnt null, 0x0
	s_barrier
	buffer_gl0_inv
	s_clause 0x4
	scratch_load_b128 v[4:7], off, off offset:72
	scratch_load_b128 v[8:11], off, off offset:88
	;; [unrolled: 1-line block ×5, first 2 shown]
	v_mov_b32_e32 v1, 0
	ds_load_b128 v[91:94], v1 offset:352
	ds_load_b128 v[95:98], v1 offset:368
	scratch_load_b128 v[99:102], off, off offset:152
	s_mov_b32 s0, exec_lo
	s_waitcnt vmcnt(5) lgkmcnt(1)
	v_fma_f64 v[6:7], v[6:7], v[91:92], 0
	s_waitcnt vmcnt(4)
	s_delay_alu instid0(VALU_DEP_1) | instskip(SKIP_1) | instid1(VALU_DEP_1)
	v_fma_f64 v[6:7], v[8:9], v[93:94], v[6:7]
	s_waitcnt lgkmcnt(0)
	v_fma_f64 v[10:11], v[10:11], v[95:96], v[6:7]
	scratch_load_b128 v[6:9], off, off offset:168
	s_waitcnt vmcnt(4)
	v_fma_f64 v[95:96], v[12:13], v[97:98], v[10:11]
	ds_load_b128 v[10:13], v1 offset:384
	ds_load_b128 v[91:94], v1 offset:400
	s_waitcnt lgkmcnt(1)
	v_fma_f64 v[10:11], v[14:15], v[10:11], v[95:96]
	scratch_load_b128 v[95:98], off, off offset:184
	s_waitcnt vmcnt(4)
	v_fma_f64 v[10:11], v[16:17], v[12:13], v[10:11]
	s_waitcnt lgkmcnt(0)
	s_delay_alu instid0(VALU_DEP_1)
	v_fma_f64 v[14:15], v[18:19], v[91:92], v[10:11]
	scratch_load_b128 v[10:13], off, off offset:200
	s_waitcnt vmcnt(4)
	v_fma_f64 v[18:19], v[87:88], v[93:94], v[14:15]
	ds_load_b128 v[14:17], v1 offset:416
	ds_load_b128 v[91:94], v1 offset:432
	s_waitcnt lgkmcnt(1)
	v_fma_f64 v[14:15], v[89:90], v[14:15], v[18:19]
	scratch_load_b128 v[87:90], off, off offset:216
	s_waitcnt vmcnt(4)
	v_fma_f64 v[14:15], v[99:100], v[16:17], v[14:15]
	s_waitcnt lgkmcnt(0)
	s_delay_alu instid0(VALU_DEP_1)
	;; [unrolled: 13-line block ×3, first 2 shown]
	v_fma_f64 v[18:19], v[97:98], v[99:100], v[18:19]
	ds_load_b128 v[91:94], v1 offset:480
	ds_load_b128 v[95:98], v1 offset:496
	s_waitcnt vmcnt(3)
	v_fma_f64 v[10:11], v[10:11], v[101:102], v[18:19]
	s_waitcnt lgkmcnt(1)
	s_delay_alu instid0(VALU_DEP_1) | instskip(SKIP_1) | instid1(VALU_DEP_1)
	v_fma_f64 v[10:11], v[12:13], v[91:92], v[10:11]
	s_waitcnt vmcnt(2)
	v_fma_f64 v[10:11], v[87:88], v[93:94], v[10:11]
	s_waitcnt lgkmcnt(0)
	s_delay_alu instid0(VALU_DEP_1) | instskip(SKIP_1) | instid1(VALU_DEP_1)
	v_fma_f64 v[10:11], v[89:90], v[95:96], v[10:11]
	s_waitcnt vmcnt(1)
	v_fma_f64 v[14:15], v[14:15], v[97:98], v[10:11]
	ds_load_b128 v[10:13], v1 offset:512
	ds_load_b64 v[18:19], v1 offset:528
	s_waitcnt lgkmcnt(1)
	v_fma_f64 v[10:11], v[16:17], v[10:11], v[14:15]
	s_waitcnt vmcnt(0)
	s_delay_alu instid0(VALU_DEP_1) | instskip(SKIP_1) | instid1(VALU_DEP_1)
	v_fma_f64 v[6:7], v[6:7], v[12:13], v[10:11]
	s_waitcnt lgkmcnt(0)
	v_fma_f64 v[6:7], v[8:9], v[18:19], v[6:7]
	s_delay_alu instid0(VALU_DEP_1)
	v_add_f64 v[4:5], v[4:5], -v[6:7]
	scratch_store_b64 off, v[4:5], off offset:72
	v_cmpx_lt_u32_e32 8, v0
	s_cbranch_execz .LBB96_191
; %bb.190:
	scratch_load_b64 v[4:5], off, off offset:64
	v_mov_b32_e32 v2, v1
	scratch_store_b64 off, v[1:2], off offset:64
	s_waitcnt vmcnt(0)
	ds_store_b64 v3, v[4:5]
.LBB96_191:
	s_or_b32 exec_lo, exec_lo, s0
	s_waitcnt lgkmcnt(0)
	s_waitcnt_vscnt null, 0x0
	s_barrier
	buffer_gl0_inv
	s_clause 0x4
	scratch_load_b128 v[4:7], off, off offset:64
	scratch_load_b128 v[8:11], off, off offset:80
	;; [unrolled: 1-line block ×5, first 2 shown]
	ds_load_2addr_b64 v[91:94], v1 offset0:43 offset1:44
	ds_load_2addr_b64 v[95:98], v1 offset0:45 offset1:46
	scratch_load_b128 v[99:102], off, off offset:144
	s_mov_b32 s0, exec_lo
	s_waitcnt vmcnt(5) lgkmcnt(1)
	v_fma_f64 v[6:7], v[6:7], v[91:92], 0
	s_waitcnt vmcnt(4)
	s_delay_alu instid0(VALU_DEP_1) | instskip(SKIP_1) | instid1(VALU_DEP_1)
	v_fma_f64 v[6:7], v[8:9], v[93:94], v[6:7]
	s_waitcnt lgkmcnt(0)
	v_fma_f64 v[10:11], v[10:11], v[95:96], v[6:7]
	scratch_load_b128 v[6:9], off, off offset:160
	s_waitcnt vmcnt(4)
	v_fma_f64 v[95:96], v[12:13], v[97:98], v[10:11]
	ds_load_2addr_b64 v[10:13], v1 offset0:47 offset1:48
	ds_load_2addr_b64 v[91:94], v1 offset0:49 offset1:50
	s_waitcnt lgkmcnt(1)
	v_fma_f64 v[10:11], v[14:15], v[10:11], v[95:96]
	scratch_load_b128 v[95:98], off, off offset:176
	s_waitcnt vmcnt(4)
	v_fma_f64 v[10:11], v[16:17], v[12:13], v[10:11]
	s_waitcnt lgkmcnt(0)
	s_delay_alu instid0(VALU_DEP_1)
	v_fma_f64 v[14:15], v[18:19], v[91:92], v[10:11]
	scratch_load_b128 v[10:13], off, off offset:192
	s_waitcnt vmcnt(4)
	v_fma_f64 v[18:19], v[87:88], v[93:94], v[14:15]
	ds_load_2addr_b64 v[14:17], v1 offset0:51 offset1:52
	ds_load_2addr_b64 v[91:94], v1 offset0:53 offset1:54
	s_waitcnt lgkmcnt(1)
	v_fma_f64 v[14:15], v[89:90], v[14:15], v[18:19]
	scratch_load_b128 v[87:90], off, off offset:208
	s_waitcnt vmcnt(4)
	v_fma_f64 v[14:15], v[99:100], v[16:17], v[14:15]
	s_waitcnt lgkmcnt(0)
	s_delay_alu instid0(VALU_DEP_1)
	;; [unrolled: 13-line block ×3, first 2 shown]
	v_fma_f64 v[18:19], v[97:98], v[99:100], v[18:19]
	scratch_load_b64 v[99:100], off, off offset:256
	ds_load_2addr_b64 v[91:94], v1 offset0:59 offset1:60
	ds_load_2addr_b64 v[95:98], v1 offset0:61 offset1:62
	s_waitcnt vmcnt(4)
	v_fma_f64 v[10:11], v[10:11], v[101:102], v[18:19]
	s_waitcnt lgkmcnt(1)
	s_delay_alu instid0(VALU_DEP_1) | instskip(SKIP_1) | instid1(VALU_DEP_1)
	v_fma_f64 v[10:11], v[12:13], v[91:92], v[10:11]
	s_waitcnt vmcnt(3)
	v_fma_f64 v[10:11], v[87:88], v[93:94], v[10:11]
	s_waitcnt lgkmcnt(0)
	s_delay_alu instid0(VALU_DEP_1) | instskip(SKIP_1) | instid1(VALU_DEP_1)
	v_fma_f64 v[10:11], v[89:90], v[95:96], v[10:11]
	s_waitcnt vmcnt(2)
	v_fma_f64 v[14:15], v[14:15], v[97:98], v[10:11]
	ds_load_2addr_b64 v[10:13], v1 offset0:63 offset1:64
	ds_load_2addr_b64 v[87:90], v1 offset0:65 offset1:66
	s_waitcnt lgkmcnt(1)
	v_fma_f64 v[1:2], v[16:17], v[10:11], v[14:15]
	s_waitcnt vmcnt(1)
	s_delay_alu instid0(VALU_DEP_1) | instskip(SKIP_1) | instid1(VALU_DEP_1)
	v_fma_f64 v[1:2], v[6:7], v[12:13], v[1:2]
	s_waitcnt lgkmcnt(0)
	v_fma_f64 v[1:2], v[8:9], v[87:88], v[1:2]
	s_waitcnt vmcnt(0)
	s_delay_alu instid0(VALU_DEP_1) | instskip(NEXT) | instid1(VALU_DEP_1)
	v_fma_f64 v[1:2], v[99:100], v[89:90], v[1:2]
	v_add_f64 v[1:2], v[4:5], -v[1:2]
	scratch_store_b64 off, v[1:2], off offset:64
	v_cmpx_lt_u32_e32 7, v0
	s_cbranch_execz .LBB96_193
; %bb.192:
	scratch_load_b64 v[1:2], off, off offset:56
	v_mov_b32_e32 v4, 0
	s_delay_alu instid0(VALU_DEP_1)
	v_mov_b32_e32 v5, v4
	scratch_store_b64 off, v[4:5], off offset:56
	s_waitcnt vmcnt(0)
	ds_store_b64 v3, v[1:2]
.LBB96_193:
	s_or_b32 exec_lo, exec_lo, s0
	s_waitcnt lgkmcnt(0)
	s_waitcnt_vscnt null, 0x0
	s_barrier
	buffer_gl0_inv
	s_clause 0x4
	scratch_load_b128 v[4:7], off, off offset:56
	scratch_load_b128 v[8:11], off, off offset:72
	;; [unrolled: 1-line block ×5, first 2 shown]
	v_mov_b32_e32 v1, 0
	ds_load_b128 v[91:94], v1 offset:336
	ds_load_b128 v[95:98], v1 offset:352
	scratch_load_b128 v[99:102], off, off offset:136
	s_mov_b32 s0, exec_lo
	s_waitcnt vmcnt(5) lgkmcnt(1)
	v_fma_f64 v[6:7], v[6:7], v[91:92], 0
	s_waitcnt vmcnt(4)
	s_delay_alu instid0(VALU_DEP_1) | instskip(SKIP_1) | instid1(VALU_DEP_1)
	v_fma_f64 v[6:7], v[8:9], v[93:94], v[6:7]
	s_waitcnt lgkmcnt(0)
	v_fma_f64 v[10:11], v[10:11], v[95:96], v[6:7]
	scratch_load_b128 v[6:9], off, off offset:152
	s_waitcnt vmcnt(4)
	v_fma_f64 v[95:96], v[12:13], v[97:98], v[10:11]
	ds_load_b128 v[10:13], v1 offset:368
	ds_load_b128 v[91:94], v1 offset:384
	s_waitcnt lgkmcnt(1)
	v_fma_f64 v[10:11], v[14:15], v[10:11], v[95:96]
	scratch_load_b128 v[95:98], off, off offset:168
	s_waitcnt vmcnt(4)
	v_fma_f64 v[10:11], v[16:17], v[12:13], v[10:11]
	s_waitcnt lgkmcnt(0)
	s_delay_alu instid0(VALU_DEP_1)
	v_fma_f64 v[14:15], v[18:19], v[91:92], v[10:11]
	scratch_load_b128 v[10:13], off, off offset:184
	s_waitcnt vmcnt(4)
	v_fma_f64 v[18:19], v[87:88], v[93:94], v[14:15]
	ds_load_b128 v[14:17], v1 offset:400
	ds_load_b128 v[91:94], v1 offset:416
	s_waitcnt lgkmcnt(1)
	v_fma_f64 v[14:15], v[89:90], v[14:15], v[18:19]
	scratch_load_b128 v[87:90], off, off offset:200
	s_waitcnt vmcnt(4)
	v_fma_f64 v[14:15], v[99:100], v[16:17], v[14:15]
	s_waitcnt lgkmcnt(0)
	s_delay_alu instid0(VALU_DEP_1)
	v_fma_f64 v[18:19], v[101:102], v[91:92], v[14:15]
	scratch_load_b128 v[14:17], off, off offset:216
	s_waitcnt vmcnt(4)
	v_fma_f64 v[6:7], v[6:7], v[93:94], v[18:19]
	ds_load_b128 v[91:94], v1 offset:432
	ds_load_b128 v[99:102], v1 offset:448
	s_waitcnt lgkmcnt(1)
	v_fma_f64 v[18:19], v[8:9], v[91:92], v[6:7]
	scratch_load_b128 v[6:9], off, off offset:232
	s_waitcnt vmcnt(4)
	v_fma_f64 v[18:19], v[95:96], v[93:94], v[18:19]
	scratch_load_b128 v[91:94], off, off offset:248
	s_waitcnt lgkmcnt(0)
	v_fma_f64 v[18:19], v[97:98], v[99:100], v[18:19]
	s_waitcnt vmcnt(4)
	s_delay_alu instid0(VALU_DEP_1)
	v_fma_f64 v[10:11], v[10:11], v[101:102], v[18:19]
	ds_load_b128 v[95:98], v1 offset:464
	ds_load_b128 v[99:102], v1 offset:480
	s_waitcnt lgkmcnt(1)
	v_fma_f64 v[10:11], v[12:13], v[95:96], v[10:11]
	s_waitcnt vmcnt(3)
	s_delay_alu instid0(VALU_DEP_1) | instskip(SKIP_1) | instid1(VALU_DEP_1)
	v_fma_f64 v[10:11], v[87:88], v[97:98], v[10:11]
	s_waitcnt lgkmcnt(0)
	v_fma_f64 v[10:11], v[89:90], v[99:100], v[10:11]
	s_waitcnt vmcnt(2)
	s_delay_alu instid0(VALU_DEP_1)
	v_fma_f64 v[14:15], v[14:15], v[101:102], v[10:11]
	ds_load_b128 v[10:13], v1 offset:496
	ds_load_b128 v[87:90], v1 offset:512
	s_waitcnt lgkmcnt(1)
	v_fma_f64 v[10:11], v[16:17], v[10:11], v[14:15]
	s_waitcnt vmcnt(1)
	s_delay_alu instid0(VALU_DEP_1) | instskip(SKIP_1) | instid1(VALU_DEP_1)
	v_fma_f64 v[6:7], v[6:7], v[12:13], v[10:11]
	s_waitcnt lgkmcnt(0)
	v_fma_f64 v[6:7], v[8:9], v[87:88], v[6:7]
	ds_load_b64 v[8:9], v1 offset:528
	s_waitcnt vmcnt(0)
	v_fma_f64 v[6:7], v[91:92], v[89:90], v[6:7]
	s_waitcnt lgkmcnt(0)
	s_delay_alu instid0(VALU_DEP_1) | instskip(NEXT) | instid1(VALU_DEP_1)
	v_fma_f64 v[6:7], v[93:94], v[8:9], v[6:7]
	v_add_f64 v[4:5], v[4:5], -v[6:7]
	scratch_store_b64 off, v[4:5], off offset:56
	v_cmpx_lt_u32_e32 6, v0
	s_cbranch_execz .LBB96_195
; %bb.194:
	scratch_load_b64 v[4:5], off, off offset:48
	v_mov_b32_e32 v2, v1
	scratch_store_b64 off, v[1:2], off offset:48
	s_waitcnt vmcnt(0)
	ds_store_b64 v3, v[4:5]
.LBB96_195:
	s_or_b32 exec_lo, exec_lo, s0
	s_waitcnt lgkmcnt(0)
	s_waitcnt_vscnt null, 0x0
	s_barrier
	buffer_gl0_inv
	s_clause 0x4
	scratch_load_b128 v[4:7], off, off offset:48
	scratch_load_b128 v[8:11], off, off offset:64
	;; [unrolled: 1-line block ×5, first 2 shown]
	ds_load_2addr_b64 v[91:94], v1 offset0:41 offset1:42
	ds_load_2addr_b64 v[95:98], v1 offset0:43 offset1:44
	scratch_load_b128 v[99:102], off, off offset:128
	s_mov_b32 s0, exec_lo
	s_waitcnt vmcnt(5) lgkmcnt(1)
	v_fma_f64 v[6:7], v[6:7], v[91:92], 0
	s_waitcnt vmcnt(4)
	s_delay_alu instid0(VALU_DEP_1) | instskip(SKIP_1) | instid1(VALU_DEP_1)
	v_fma_f64 v[6:7], v[8:9], v[93:94], v[6:7]
	s_waitcnt lgkmcnt(0)
	v_fma_f64 v[10:11], v[10:11], v[95:96], v[6:7]
	scratch_load_b128 v[6:9], off, off offset:144
	s_waitcnt vmcnt(4)
	v_fma_f64 v[95:96], v[12:13], v[97:98], v[10:11]
	ds_load_2addr_b64 v[10:13], v1 offset0:45 offset1:46
	ds_load_2addr_b64 v[91:94], v1 offset0:47 offset1:48
	s_waitcnt lgkmcnt(1)
	v_fma_f64 v[10:11], v[14:15], v[10:11], v[95:96]
	scratch_load_b128 v[95:98], off, off offset:160
	s_waitcnt vmcnt(4)
	v_fma_f64 v[10:11], v[16:17], v[12:13], v[10:11]
	s_waitcnt lgkmcnt(0)
	s_delay_alu instid0(VALU_DEP_1)
	v_fma_f64 v[14:15], v[18:19], v[91:92], v[10:11]
	scratch_load_b128 v[10:13], off, off offset:176
	s_waitcnt vmcnt(4)
	v_fma_f64 v[18:19], v[87:88], v[93:94], v[14:15]
	ds_load_2addr_b64 v[14:17], v1 offset0:49 offset1:50
	ds_load_2addr_b64 v[91:94], v1 offset0:51 offset1:52
	s_waitcnt lgkmcnt(1)
	v_fma_f64 v[14:15], v[89:90], v[14:15], v[18:19]
	scratch_load_b128 v[87:90], off, off offset:192
	s_waitcnt vmcnt(4)
	v_fma_f64 v[14:15], v[99:100], v[16:17], v[14:15]
	s_waitcnt lgkmcnt(0)
	s_delay_alu instid0(VALU_DEP_1)
	v_fma_f64 v[18:19], v[101:102], v[91:92], v[14:15]
	scratch_load_b128 v[14:17], off, off offset:208
	s_waitcnt vmcnt(4)
	v_fma_f64 v[6:7], v[6:7], v[93:94], v[18:19]
	ds_load_2addr_b64 v[91:94], v1 offset0:53 offset1:54
	ds_load_2addr_b64 v[99:102], v1 offset0:55 offset1:56
	s_waitcnt lgkmcnt(1)
	v_fma_f64 v[18:19], v[8:9], v[91:92], v[6:7]
	scratch_load_b128 v[6:9], off, off offset:224
	s_waitcnt vmcnt(4)
	v_fma_f64 v[18:19], v[95:96], v[93:94], v[18:19]
	scratch_load_b128 v[91:94], off, off offset:240
	s_waitcnt lgkmcnt(0)
	v_fma_f64 v[18:19], v[97:98], v[99:100], v[18:19]
	s_waitcnt vmcnt(4)
	s_delay_alu instid0(VALU_DEP_1)
	v_fma_f64 v[10:11], v[10:11], v[101:102], v[18:19]
	ds_load_2addr_b64 v[95:98], v1 offset0:57 offset1:58
	ds_load_2addr_b64 v[99:102], v1 offset0:59 offset1:60
	scratch_load_b64 v[18:19], off, off offset:256
	s_waitcnt lgkmcnt(1)
	v_fma_f64 v[10:11], v[12:13], v[95:96], v[10:11]
	s_waitcnt vmcnt(4)
	s_delay_alu instid0(VALU_DEP_1) | instskip(SKIP_1) | instid1(VALU_DEP_1)
	v_fma_f64 v[10:11], v[87:88], v[97:98], v[10:11]
	s_waitcnt lgkmcnt(0)
	v_fma_f64 v[10:11], v[89:90], v[99:100], v[10:11]
	s_waitcnt vmcnt(3)
	s_delay_alu instid0(VALU_DEP_1)
	v_fma_f64 v[14:15], v[14:15], v[101:102], v[10:11]
	ds_load_2addr_b64 v[10:13], v1 offset0:61 offset1:62
	ds_load_2addr_b64 v[87:90], v1 offset0:63 offset1:64
	s_waitcnt lgkmcnt(1)
	v_fma_f64 v[10:11], v[16:17], v[10:11], v[14:15]
	s_waitcnt vmcnt(2)
	s_delay_alu instid0(VALU_DEP_1) | instskip(SKIP_1) | instid1(VALU_DEP_1)
	v_fma_f64 v[6:7], v[6:7], v[12:13], v[10:11]
	s_waitcnt lgkmcnt(0)
	v_fma_f64 v[6:7], v[8:9], v[87:88], v[6:7]
	s_waitcnt vmcnt(1)
	s_delay_alu instid0(VALU_DEP_1) | instskip(SKIP_4) | instid1(VALU_DEP_1)
	v_fma_f64 v[10:11], v[91:92], v[89:90], v[6:7]
	ds_load_2addr_b64 v[6:9], v1 offset0:65 offset1:66
	s_waitcnt lgkmcnt(0)
	v_fma_f64 v[1:2], v[93:94], v[6:7], v[10:11]
	s_waitcnt vmcnt(0)
	v_fma_f64 v[1:2], v[18:19], v[8:9], v[1:2]
	s_delay_alu instid0(VALU_DEP_1)
	v_add_f64 v[1:2], v[4:5], -v[1:2]
	scratch_store_b64 off, v[1:2], off offset:48
	v_cmpx_lt_u32_e32 5, v0
	s_cbranch_execz .LBB96_197
; %bb.196:
	scratch_load_b64 v[1:2], off, off offset:40
	v_mov_b32_e32 v4, 0
	s_delay_alu instid0(VALU_DEP_1)
	v_mov_b32_e32 v5, v4
	scratch_store_b64 off, v[4:5], off offset:40
	s_waitcnt vmcnt(0)
	ds_store_b64 v3, v[1:2]
.LBB96_197:
	s_or_b32 exec_lo, exec_lo, s0
	s_waitcnt lgkmcnt(0)
	s_waitcnt_vscnt null, 0x0
	s_barrier
	buffer_gl0_inv
	s_clause 0x4
	scratch_load_b128 v[4:7], off, off offset:40
	scratch_load_b128 v[8:11], off, off offset:56
	;; [unrolled: 1-line block ×5, first 2 shown]
	v_mov_b32_e32 v1, 0
	ds_load_b128 v[91:94], v1 offset:320
	ds_load_b128 v[95:98], v1 offset:336
	scratch_load_b128 v[99:102], off, off offset:120
	s_mov_b32 s0, exec_lo
	s_waitcnt vmcnt(5) lgkmcnt(1)
	v_fma_f64 v[6:7], v[6:7], v[91:92], 0
	s_waitcnt vmcnt(4)
	s_delay_alu instid0(VALU_DEP_1) | instskip(SKIP_1) | instid1(VALU_DEP_1)
	v_fma_f64 v[6:7], v[8:9], v[93:94], v[6:7]
	s_waitcnt lgkmcnt(0)
	v_fma_f64 v[10:11], v[10:11], v[95:96], v[6:7]
	scratch_load_b128 v[6:9], off, off offset:136
	s_waitcnt vmcnt(4)
	v_fma_f64 v[95:96], v[12:13], v[97:98], v[10:11]
	ds_load_b128 v[10:13], v1 offset:352
	ds_load_b128 v[91:94], v1 offset:368
	s_waitcnt lgkmcnt(1)
	v_fma_f64 v[10:11], v[14:15], v[10:11], v[95:96]
	scratch_load_b128 v[95:98], off, off offset:152
	s_waitcnt vmcnt(4)
	v_fma_f64 v[10:11], v[16:17], v[12:13], v[10:11]
	s_waitcnt lgkmcnt(0)
	s_delay_alu instid0(VALU_DEP_1)
	v_fma_f64 v[14:15], v[18:19], v[91:92], v[10:11]
	scratch_load_b128 v[10:13], off, off offset:168
	s_waitcnt vmcnt(4)
	v_fma_f64 v[18:19], v[87:88], v[93:94], v[14:15]
	ds_load_b128 v[14:17], v1 offset:384
	ds_load_b128 v[91:94], v1 offset:400
	s_waitcnt lgkmcnt(1)
	v_fma_f64 v[14:15], v[89:90], v[14:15], v[18:19]
	scratch_load_b128 v[87:90], off, off offset:184
	s_waitcnt vmcnt(4)
	v_fma_f64 v[14:15], v[99:100], v[16:17], v[14:15]
	s_waitcnt lgkmcnt(0)
	s_delay_alu instid0(VALU_DEP_1)
	v_fma_f64 v[18:19], v[101:102], v[91:92], v[14:15]
	scratch_load_b128 v[14:17], off, off offset:200
	s_waitcnt vmcnt(4)
	v_fma_f64 v[6:7], v[6:7], v[93:94], v[18:19]
	ds_load_b128 v[91:94], v1 offset:416
	ds_load_b128 v[99:102], v1 offset:432
	s_waitcnt lgkmcnt(1)
	v_fma_f64 v[18:19], v[8:9], v[91:92], v[6:7]
	scratch_load_b128 v[6:9], off, off offset:216
	s_waitcnt vmcnt(4)
	v_fma_f64 v[18:19], v[95:96], v[93:94], v[18:19]
	scratch_load_b128 v[91:94], off, off offset:232
	s_waitcnt lgkmcnt(0)
	v_fma_f64 v[18:19], v[97:98], v[99:100], v[18:19]
	s_waitcnt vmcnt(4)
	s_delay_alu instid0(VALU_DEP_1)
	v_fma_f64 v[10:11], v[10:11], v[101:102], v[18:19]
	ds_load_b128 v[95:98], v1 offset:448
	ds_load_b128 v[99:102], v1 offset:464
	s_waitcnt lgkmcnt(1)
	v_fma_f64 v[18:19], v[12:13], v[95:96], v[10:11]
	scratch_load_b128 v[10:13], off, off offset:248
	s_waitcnt vmcnt(4)
	v_fma_f64 v[18:19], v[87:88], v[97:98], v[18:19]
	s_waitcnt lgkmcnt(0)
	s_delay_alu instid0(VALU_DEP_1)
	v_fma_f64 v[18:19], v[89:90], v[99:100], v[18:19]
	ds_load_b128 v[87:90], v1 offset:480
	ds_load_b128 v[95:98], v1 offset:496
	s_waitcnt vmcnt(3)
	v_fma_f64 v[14:15], v[14:15], v[101:102], v[18:19]
	s_waitcnt lgkmcnt(1)
	s_delay_alu instid0(VALU_DEP_1) | instskip(SKIP_1) | instid1(VALU_DEP_1)
	v_fma_f64 v[14:15], v[16:17], v[87:88], v[14:15]
	s_waitcnt vmcnt(2)
	v_fma_f64 v[6:7], v[6:7], v[89:90], v[14:15]
	s_waitcnt lgkmcnt(0)
	s_delay_alu instid0(VALU_DEP_1) | instskip(SKIP_1) | instid1(VALU_DEP_1)
	v_fma_f64 v[6:7], v[8:9], v[95:96], v[6:7]
	s_waitcnt vmcnt(1)
	v_fma_f64 v[14:15], v[91:92], v[97:98], v[6:7]
	ds_load_b128 v[6:9], v1 offset:512
	ds_load_b64 v[16:17], v1 offset:528
	s_waitcnt lgkmcnt(1)
	v_fma_f64 v[6:7], v[93:94], v[6:7], v[14:15]
	s_waitcnt vmcnt(0)
	s_delay_alu instid0(VALU_DEP_1) | instskip(SKIP_1) | instid1(VALU_DEP_1)
	v_fma_f64 v[6:7], v[10:11], v[8:9], v[6:7]
	s_waitcnt lgkmcnt(0)
	v_fma_f64 v[6:7], v[12:13], v[16:17], v[6:7]
	s_delay_alu instid0(VALU_DEP_1)
	v_add_f64 v[4:5], v[4:5], -v[6:7]
	scratch_store_b64 off, v[4:5], off offset:40
	v_cmpx_lt_u32_e32 4, v0
	s_cbranch_execz .LBB96_199
; %bb.198:
	scratch_load_b64 v[4:5], off, off offset:32
	v_mov_b32_e32 v2, v1
	scratch_store_b64 off, v[1:2], off offset:32
	s_waitcnt vmcnt(0)
	ds_store_b64 v3, v[4:5]
.LBB96_199:
	s_or_b32 exec_lo, exec_lo, s0
	s_waitcnt lgkmcnt(0)
	s_waitcnt_vscnt null, 0x0
	s_barrier
	buffer_gl0_inv
	s_clause 0x4
	scratch_load_b128 v[4:7], off, off offset:32
	scratch_load_b128 v[8:11], off, off offset:48
	;; [unrolled: 1-line block ×5, first 2 shown]
	ds_load_2addr_b64 v[91:94], v1 offset0:39 offset1:40
	ds_load_2addr_b64 v[95:98], v1 offset0:41 offset1:42
	scratch_load_b128 v[99:102], off, off offset:112
	s_mov_b32 s0, exec_lo
	s_waitcnt vmcnt(5) lgkmcnt(1)
	v_fma_f64 v[6:7], v[6:7], v[91:92], 0
	s_waitcnt vmcnt(4)
	s_delay_alu instid0(VALU_DEP_1) | instskip(SKIP_1) | instid1(VALU_DEP_1)
	v_fma_f64 v[6:7], v[8:9], v[93:94], v[6:7]
	s_waitcnt lgkmcnt(0)
	v_fma_f64 v[10:11], v[10:11], v[95:96], v[6:7]
	scratch_load_b128 v[6:9], off, off offset:128
	s_waitcnt vmcnt(4)
	v_fma_f64 v[95:96], v[12:13], v[97:98], v[10:11]
	ds_load_2addr_b64 v[10:13], v1 offset0:43 offset1:44
	ds_load_2addr_b64 v[91:94], v1 offset0:45 offset1:46
	s_waitcnt lgkmcnt(1)
	v_fma_f64 v[10:11], v[14:15], v[10:11], v[95:96]
	scratch_load_b128 v[95:98], off, off offset:144
	s_waitcnt vmcnt(4)
	v_fma_f64 v[10:11], v[16:17], v[12:13], v[10:11]
	s_waitcnt lgkmcnt(0)
	s_delay_alu instid0(VALU_DEP_1)
	v_fma_f64 v[14:15], v[18:19], v[91:92], v[10:11]
	scratch_load_b128 v[10:13], off, off offset:160
	s_waitcnt vmcnt(4)
	v_fma_f64 v[18:19], v[87:88], v[93:94], v[14:15]
	ds_load_2addr_b64 v[14:17], v1 offset0:47 offset1:48
	ds_load_2addr_b64 v[91:94], v1 offset0:49 offset1:50
	s_waitcnt lgkmcnt(1)
	v_fma_f64 v[14:15], v[89:90], v[14:15], v[18:19]
	scratch_load_b128 v[87:90], off, off offset:176
	s_waitcnt vmcnt(4)
	v_fma_f64 v[14:15], v[99:100], v[16:17], v[14:15]
	s_waitcnt lgkmcnt(0)
	s_delay_alu instid0(VALU_DEP_1)
	v_fma_f64 v[18:19], v[101:102], v[91:92], v[14:15]
	scratch_load_b128 v[14:17], off, off offset:192
	s_waitcnt vmcnt(4)
	v_fma_f64 v[6:7], v[6:7], v[93:94], v[18:19]
	ds_load_2addr_b64 v[91:94], v1 offset0:51 offset1:52
	ds_load_2addr_b64 v[99:102], v1 offset0:53 offset1:54
	s_waitcnt lgkmcnt(1)
	v_fma_f64 v[18:19], v[8:9], v[91:92], v[6:7]
	scratch_load_b128 v[6:9], off, off offset:208
	s_waitcnt vmcnt(4)
	v_fma_f64 v[18:19], v[95:96], v[93:94], v[18:19]
	scratch_load_b128 v[91:94], off, off offset:224
	s_waitcnt lgkmcnt(0)
	v_fma_f64 v[18:19], v[97:98], v[99:100], v[18:19]
	s_waitcnt vmcnt(4)
	s_delay_alu instid0(VALU_DEP_1)
	v_fma_f64 v[10:11], v[10:11], v[101:102], v[18:19]
	ds_load_2addr_b64 v[95:98], v1 offset0:55 offset1:56
	ds_load_2addr_b64 v[99:102], v1 offset0:57 offset1:58
	s_waitcnt lgkmcnt(1)
	v_fma_f64 v[18:19], v[12:13], v[95:96], v[10:11]
	scratch_load_b128 v[10:13], off, off offset:240
	s_waitcnt vmcnt(4)
	v_fma_f64 v[18:19], v[87:88], v[97:98], v[18:19]
	s_waitcnt lgkmcnt(0)
	s_delay_alu instid0(VALU_DEP_1)
	v_fma_f64 v[18:19], v[89:90], v[99:100], v[18:19]
	scratch_load_b64 v[99:100], off, off offset:256
	ds_load_2addr_b64 v[87:90], v1 offset0:59 offset1:60
	ds_load_2addr_b64 v[95:98], v1 offset0:61 offset1:62
	s_waitcnt vmcnt(4)
	v_fma_f64 v[14:15], v[14:15], v[101:102], v[18:19]
	s_waitcnt lgkmcnt(1)
	s_delay_alu instid0(VALU_DEP_1) | instskip(SKIP_1) | instid1(VALU_DEP_1)
	v_fma_f64 v[14:15], v[16:17], v[87:88], v[14:15]
	s_waitcnt vmcnt(3)
	v_fma_f64 v[6:7], v[6:7], v[89:90], v[14:15]
	s_waitcnt lgkmcnt(0)
	s_delay_alu instid0(VALU_DEP_1) | instskip(SKIP_1) | instid1(VALU_DEP_1)
	v_fma_f64 v[6:7], v[8:9], v[95:96], v[6:7]
	s_waitcnt vmcnt(2)
	v_fma_f64 v[18:19], v[91:92], v[97:98], v[6:7]
	ds_load_2addr_b64 v[6:9], v1 offset0:63 offset1:64
	ds_load_2addr_b64 v[14:17], v1 offset0:65 offset1:66
	s_waitcnt lgkmcnt(1)
	v_fma_f64 v[1:2], v[93:94], v[6:7], v[18:19]
	s_waitcnt vmcnt(1)
	s_delay_alu instid0(VALU_DEP_1) | instskip(SKIP_1) | instid1(VALU_DEP_1)
	v_fma_f64 v[1:2], v[10:11], v[8:9], v[1:2]
	s_waitcnt lgkmcnt(0)
	v_fma_f64 v[1:2], v[12:13], v[14:15], v[1:2]
	s_waitcnt vmcnt(0)
	s_delay_alu instid0(VALU_DEP_1) | instskip(NEXT) | instid1(VALU_DEP_1)
	v_fma_f64 v[1:2], v[99:100], v[16:17], v[1:2]
	v_add_f64 v[1:2], v[4:5], -v[1:2]
	scratch_store_b64 off, v[1:2], off offset:32
	v_cmpx_lt_u32_e32 3, v0
	s_cbranch_execz .LBB96_201
; %bb.200:
	scratch_load_b64 v[1:2], off, off offset:24
	v_mov_b32_e32 v4, 0
	s_delay_alu instid0(VALU_DEP_1)
	v_mov_b32_e32 v5, v4
	scratch_store_b64 off, v[4:5], off offset:24
	s_waitcnt vmcnt(0)
	ds_store_b64 v3, v[1:2]
.LBB96_201:
	s_or_b32 exec_lo, exec_lo, s0
	s_waitcnt lgkmcnt(0)
	s_waitcnt_vscnt null, 0x0
	s_barrier
	buffer_gl0_inv
	s_clause 0x4
	scratch_load_b128 v[4:7], off, off offset:24
	scratch_load_b128 v[8:11], off, off offset:40
	;; [unrolled: 1-line block ×5, first 2 shown]
	v_mov_b32_e32 v1, 0
	ds_load_b128 v[91:94], v1 offset:304
	ds_load_b128 v[95:98], v1 offset:320
	scratch_load_b128 v[99:102], off, off offset:104
	s_mov_b32 s0, exec_lo
	s_waitcnt vmcnt(5) lgkmcnt(1)
	v_fma_f64 v[6:7], v[6:7], v[91:92], 0
	s_waitcnt vmcnt(4)
	s_delay_alu instid0(VALU_DEP_1) | instskip(SKIP_1) | instid1(VALU_DEP_1)
	v_fma_f64 v[6:7], v[8:9], v[93:94], v[6:7]
	s_waitcnt lgkmcnt(0)
	v_fma_f64 v[10:11], v[10:11], v[95:96], v[6:7]
	scratch_load_b128 v[6:9], off, off offset:120
	s_waitcnt vmcnt(4)
	v_fma_f64 v[95:96], v[12:13], v[97:98], v[10:11]
	ds_load_b128 v[10:13], v1 offset:336
	ds_load_b128 v[91:94], v1 offset:352
	s_waitcnt lgkmcnt(1)
	v_fma_f64 v[10:11], v[14:15], v[10:11], v[95:96]
	scratch_load_b128 v[95:98], off, off offset:136
	s_waitcnt vmcnt(4)
	v_fma_f64 v[10:11], v[16:17], v[12:13], v[10:11]
	s_waitcnt lgkmcnt(0)
	s_delay_alu instid0(VALU_DEP_1)
	v_fma_f64 v[14:15], v[18:19], v[91:92], v[10:11]
	scratch_load_b128 v[10:13], off, off offset:152
	s_waitcnt vmcnt(4)
	v_fma_f64 v[18:19], v[87:88], v[93:94], v[14:15]
	ds_load_b128 v[14:17], v1 offset:368
	ds_load_b128 v[91:94], v1 offset:384
	s_waitcnt lgkmcnt(1)
	v_fma_f64 v[14:15], v[89:90], v[14:15], v[18:19]
	scratch_load_b128 v[87:90], off, off offset:168
	s_waitcnt vmcnt(4)
	v_fma_f64 v[14:15], v[99:100], v[16:17], v[14:15]
	s_waitcnt lgkmcnt(0)
	s_delay_alu instid0(VALU_DEP_1)
	v_fma_f64 v[18:19], v[101:102], v[91:92], v[14:15]
	scratch_load_b128 v[14:17], off, off offset:184
	s_waitcnt vmcnt(4)
	v_fma_f64 v[6:7], v[6:7], v[93:94], v[18:19]
	ds_load_b128 v[91:94], v1 offset:400
	ds_load_b128 v[99:102], v1 offset:416
	s_waitcnt lgkmcnt(1)
	v_fma_f64 v[18:19], v[8:9], v[91:92], v[6:7]
	scratch_load_b128 v[6:9], off, off offset:200
	s_waitcnt vmcnt(4)
	v_fma_f64 v[18:19], v[95:96], v[93:94], v[18:19]
	scratch_load_b128 v[91:94], off, off offset:216
	s_waitcnt lgkmcnt(0)
	v_fma_f64 v[18:19], v[97:98], v[99:100], v[18:19]
	s_waitcnt vmcnt(4)
	s_delay_alu instid0(VALU_DEP_1)
	v_fma_f64 v[10:11], v[10:11], v[101:102], v[18:19]
	ds_load_b128 v[95:98], v1 offset:432
	ds_load_b128 v[99:102], v1 offset:448
	s_waitcnt lgkmcnt(1)
	v_fma_f64 v[18:19], v[12:13], v[95:96], v[10:11]
	scratch_load_b128 v[10:13], off, off offset:232
	s_waitcnt vmcnt(4)
	v_fma_f64 v[18:19], v[87:88], v[97:98], v[18:19]
	s_waitcnt lgkmcnt(0)
	s_delay_alu instid0(VALU_DEP_1)
	v_fma_f64 v[18:19], v[89:90], v[99:100], v[18:19]
	scratch_load_b128 v[87:90], off, off offset:248
	s_waitcnt vmcnt(4)
	v_fma_f64 v[14:15], v[14:15], v[101:102], v[18:19]
	ds_load_b128 v[95:98], v1 offset:464
	ds_load_b128 v[99:102], v1 offset:480
	s_waitcnt lgkmcnt(1)
	v_fma_f64 v[14:15], v[16:17], v[95:96], v[14:15]
	s_waitcnt vmcnt(3)
	s_delay_alu instid0(VALU_DEP_1) | instskip(SKIP_1) | instid1(VALU_DEP_1)
	v_fma_f64 v[6:7], v[6:7], v[97:98], v[14:15]
	s_waitcnt lgkmcnt(0)
	v_fma_f64 v[6:7], v[8:9], v[99:100], v[6:7]
	s_waitcnt vmcnt(2)
	s_delay_alu instid0(VALU_DEP_1)
	v_fma_f64 v[18:19], v[91:92], v[101:102], v[6:7]
	ds_load_b128 v[6:9], v1 offset:496
	ds_load_b128 v[14:17], v1 offset:512
	s_waitcnt lgkmcnt(1)
	v_fma_f64 v[6:7], v[93:94], v[6:7], v[18:19]
	s_waitcnt vmcnt(1)
	s_delay_alu instid0(VALU_DEP_1) | instskip(SKIP_4) | instid1(VALU_DEP_1)
	v_fma_f64 v[6:7], v[10:11], v[8:9], v[6:7]
	ds_load_b64 v[8:9], v1 offset:528
	s_waitcnt lgkmcnt(1)
	v_fma_f64 v[6:7], v[12:13], v[14:15], v[6:7]
	s_waitcnt vmcnt(0)
	v_fma_f64 v[6:7], v[87:88], v[16:17], v[6:7]
	s_waitcnt lgkmcnt(0)
	s_delay_alu instid0(VALU_DEP_1) | instskip(NEXT) | instid1(VALU_DEP_1)
	v_fma_f64 v[6:7], v[89:90], v[8:9], v[6:7]
	v_add_f64 v[4:5], v[4:5], -v[6:7]
	scratch_store_b64 off, v[4:5], off offset:24
	v_cmpx_lt_u32_e32 2, v0
	s_cbranch_execz .LBB96_203
; %bb.202:
	scratch_load_b64 v[4:5], off, off offset:16
	v_mov_b32_e32 v2, v1
	scratch_store_b64 off, v[1:2], off offset:16
	s_waitcnt vmcnt(0)
	ds_store_b64 v3, v[4:5]
.LBB96_203:
	s_or_b32 exec_lo, exec_lo, s0
	s_waitcnt lgkmcnt(0)
	s_waitcnt_vscnt null, 0x0
	s_barrier
	buffer_gl0_inv
	s_clause 0x4
	scratch_load_b128 v[4:7], off, off offset:16
	scratch_load_b128 v[8:11], off, off offset:32
	;; [unrolled: 1-line block ×5, first 2 shown]
	ds_load_2addr_b64 v[91:94], v1 offset0:37 offset1:38
	ds_load_2addr_b64 v[95:98], v1 offset0:39 offset1:40
	scratch_load_b128 v[99:102], off, off offset:96
	s_mov_b32 s0, exec_lo
	s_waitcnt vmcnt(5) lgkmcnt(1)
	v_fma_f64 v[6:7], v[6:7], v[91:92], 0
	s_waitcnt vmcnt(4)
	s_delay_alu instid0(VALU_DEP_1) | instskip(SKIP_1) | instid1(VALU_DEP_1)
	v_fma_f64 v[6:7], v[8:9], v[93:94], v[6:7]
	s_waitcnt lgkmcnt(0)
	v_fma_f64 v[10:11], v[10:11], v[95:96], v[6:7]
	scratch_load_b128 v[6:9], off, off offset:112
	s_waitcnt vmcnt(4)
	v_fma_f64 v[95:96], v[12:13], v[97:98], v[10:11]
	ds_load_2addr_b64 v[10:13], v1 offset0:41 offset1:42
	ds_load_2addr_b64 v[91:94], v1 offset0:43 offset1:44
	s_waitcnt lgkmcnt(1)
	v_fma_f64 v[10:11], v[14:15], v[10:11], v[95:96]
	scratch_load_b128 v[95:98], off, off offset:128
	s_waitcnt vmcnt(4)
	v_fma_f64 v[10:11], v[16:17], v[12:13], v[10:11]
	s_waitcnt lgkmcnt(0)
	s_delay_alu instid0(VALU_DEP_1)
	v_fma_f64 v[14:15], v[18:19], v[91:92], v[10:11]
	scratch_load_b128 v[10:13], off, off offset:144
	s_waitcnt vmcnt(4)
	v_fma_f64 v[18:19], v[87:88], v[93:94], v[14:15]
	ds_load_2addr_b64 v[14:17], v1 offset0:45 offset1:46
	ds_load_2addr_b64 v[91:94], v1 offset0:47 offset1:48
	s_waitcnt lgkmcnt(1)
	v_fma_f64 v[14:15], v[89:90], v[14:15], v[18:19]
	scratch_load_b128 v[87:90], off, off offset:160
	s_waitcnt vmcnt(4)
	v_fma_f64 v[14:15], v[99:100], v[16:17], v[14:15]
	s_waitcnt lgkmcnt(0)
	s_delay_alu instid0(VALU_DEP_1)
	v_fma_f64 v[18:19], v[101:102], v[91:92], v[14:15]
	scratch_load_b128 v[14:17], off, off offset:176
	s_waitcnt vmcnt(4)
	v_fma_f64 v[6:7], v[6:7], v[93:94], v[18:19]
	ds_load_2addr_b64 v[91:94], v1 offset0:49 offset1:50
	ds_load_2addr_b64 v[99:102], v1 offset0:51 offset1:52
	s_waitcnt lgkmcnt(1)
	v_fma_f64 v[18:19], v[8:9], v[91:92], v[6:7]
	scratch_load_b128 v[6:9], off, off offset:192
	s_waitcnt vmcnt(4)
	v_fma_f64 v[18:19], v[95:96], v[93:94], v[18:19]
	scratch_load_b128 v[91:94], off, off offset:208
	s_waitcnt lgkmcnt(0)
	v_fma_f64 v[18:19], v[97:98], v[99:100], v[18:19]
	s_waitcnt vmcnt(4)
	s_delay_alu instid0(VALU_DEP_1)
	v_fma_f64 v[10:11], v[10:11], v[101:102], v[18:19]
	ds_load_2addr_b64 v[95:98], v1 offset0:53 offset1:54
	ds_load_2addr_b64 v[99:102], v1 offset0:55 offset1:56
	s_waitcnt lgkmcnt(1)
	v_fma_f64 v[18:19], v[12:13], v[95:96], v[10:11]
	scratch_load_b128 v[10:13], off, off offset:224
	s_waitcnt vmcnt(4)
	v_fma_f64 v[18:19], v[87:88], v[97:98], v[18:19]
	s_waitcnt lgkmcnt(0)
	s_delay_alu instid0(VALU_DEP_1)
	v_fma_f64 v[18:19], v[89:90], v[99:100], v[18:19]
	scratch_load_b128 v[87:90], off, off offset:240
	s_waitcnt vmcnt(4)
	v_fma_f64 v[14:15], v[14:15], v[101:102], v[18:19]
	ds_load_2addr_b64 v[95:98], v1 offset0:57 offset1:58
	ds_load_2addr_b64 v[99:102], v1 offset0:59 offset1:60
	scratch_load_b64 v[18:19], off, off offset:256
	s_waitcnt lgkmcnt(1)
	v_fma_f64 v[14:15], v[16:17], v[95:96], v[14:15]
	s_waitcnt vmcnt(4)
	s_delay_alu instid0(VALU_DEP_1) | instskip(SKIP_1) | instid1(VALU_DEP_1)
	v_fma_f64 v[6:7], v[6:7], v[97:98], v[14:15]
	s_waitcnt lgkmcnt(0)
	v_fma_f64 v[6:7], v[8:9], v[99:100], v[6:7]
	s_waitcnt vmcnt(3)
	s_delay_alu instid0(VALU_DEP_1)
	v_fma_f64 v[91:92], v[91:92], v[101:102], v[6:7]
	ds_load_2addr_b64 v[6:9], v1 offset0:61 offset1:62
	ds_load_2addr_b64 v[14:17], v1 offset0:63 offset1:64
	s_waitcnt lgkmcnt(1)
	v_fma_f64 v[6:7], v[93:94], v[6:7], v[91:92]
	s_waitcnt vmcnt(2)
	s_delay_alu instid0(VALU_DEP_1) | instskip(SKIP_1) | instid1(VALU_DEP_1)
	v_fma_f64 v[6:7], v[10:11], v[8:9], v[6:7]
	s_waitcnt lgkmcnt(0)
	v_fma_f64 v[6:7], v[12:13], v[14:15], v[6:7]
	s_waitcnt vmcnt(1)
	s_delay_alu instid0(VALU_DEP_1) | instskip(SKIP_4) | instid1(VALU_DEP_1)
	v_fma_f64 v[10:11], v[87:88], v[16:17], v[6:7]
	ds_load_2addr_b64 v[6:9], v1 offset0:65 offset1:66
	s_waitcnt lgkmcnt(0)
	v_fma_f64 v[1:2], v[89:90], v[6:7], v[10:11]
	s_waitcnt vmcnt(0)
	v_fma_f64 v[1:2], v[18:19], v[8:9], v[1:2]
	s_delay_alu instid0(VALU_DEP_1)
	v_add_f64 v[1:2], v[4:5], -v[1:2]
	scratch_store_b64 off, v[1:2], off offset:16
	v_cmpx_lt_u32_e32 1, v0
	s_cbranch_execz .LBB96_205
; %bb.204:
	scratch_load_b64 v[1:2], off, off offset:8
	v_mov_b32_e32 v4, 0
	s_delay_alu instid0(VALU_DEP_1)
	v_mov_b32_e32 v5, v4
	scratch_store_b64 off, v[4:5], off offset:8
	s_waitcnt vmcnt(0)
	ds_store_b64 v3, v[1:2]
.LBB96_205:
	s_or_b32 exec_lo, exec_lo, s0
	s_waitcnt lgkmcnt(0)
	s_waitcnt_vscnt null, 0x0
	s_barrier
	buffer_gl0_inv
	s_clause 0x4
	scratch_load_b128 v[5:8], off, off offset:8
	scratch_load_b128 v[9:12], off, off offset:24
	;; [unrolled: 1-line block ×5, first 2 shown]
	v_mov_b32_e32 v4, 0
	ds_load_b128 v[91:94], v4 offset:288
	ds_load_b128 v[95:98], v4 offset:304
	scratch_load_b128 v[99:102], off, off offset:88
	s_mov_b32 s0, exec_lo
	s_waitcnt vmcnt(5) lgkmcnt(1)
	v_fma_f64 v[1:2], v[7:8], v[91:92], 0
	s_waitcnt vmcnt(4)
	s_delay_alu instid0(VALU_DEP_1) | instskip(SKIP_4) | instid1(VALU_DEP_1)
	v_fma_f64 v[1:2], v[9:10], v[93:94], v[1:2]
	scratch_load_b128 v[7:10], off, off offset:104
	s_waitcnt lgkmcnt(0)
	v_fma_f64 v[1:2], v[11:12], v[95:96], v[1:2]
	s_waitcnt vmcnt(4)
	v_fma_f64 v[1:2], v[13:14], v[97:98], v[1:2]
	ds_load_b128 v[11:14], v4 offset:320
	ds_load_b128 v[91:94], v4 offset:336
	scratch_load_b128 v[95:98], off, off offset:120
	s_waitcnt lgkmcnt(1)
	v_fma_f64 v[1:2], v[15:16], v[11:12], v[1:2]
	s_waitcnt vmcnt(4)
	s_delay_alu instid0(VALU_DEP_1) | instskip(SKIP_4) | instid1(VALU_DEP_1)
	v_fma_f64 v[1:2], v[17:18], v[13:14], v[1:2]
	scratch_load_b128 v[11:14], off, off offset:136
	s_waitcnt lgkmcnt(0)
	v_fma_f64 v[1:2], v[19:20], v[91:92], v[1:2]
	s_waitcnt vmcnt(4)
	v_fma_f64 v[1:2], v[87:88], v[93:94], v[1:2]
	ds_load_b128 v[15:18], v4 offset:352
	ds_load_b128 v[91:94], v4 offset:368
	s_waitcnt lgkmcnt(1)
	v_fma_f64 v[1:2], v[89:90], v[15:16], v[1:2]
	scratch_load_b128 v[87:90], off, off offset:152
	s_waitcnt vmcnt(4)
	v_fma_f64 v[1:2], v[99:100], v[17:18], v[1:2]
	scratch_load_b128 v[15:18], off, off offset:168
	s_waitcnt lgkmcnt(0)
	v_fma_f64 v[1:2], v[101:102], v[91:92], v[1:2]
	s_waitcnt vmcnt(4)
	s_delay_alu instid0(VALU_DEP_1)
	v_fma_f64 v[1:2], v[7:8], v[93:94], v[1:2]
	ds_load_b128 v[91:94], v4 offset:384
	ds_load_b128 v[99:102], v4 offset:400
	s_waitcnt lgkmcnt(1)
	v_fma_f64 v[1:2], v[9:10], v[91:92], v[1:2]
	scratch_load_b128 v[7:10], off, off offset:184
	s_waitcnt vmcnt(4)
	v_fma_f64 v[1:2], v[95:96], v[93:94], v[1:2]
	scratch_load_b128 v[91:94], off, off offset:200
	s_waitcnt lgkmcnt(0)
	v_fma_f64 v[1:2], v[97:98], v[99:100], v[1:2]
	s_waitcnt vmcnt(4)
	s_delay_alu instid0(VALU_DEP_1)
	v_fma_f64 v[1:2], v[11:12], v[101:102], v[1:2]
	ds_load_b128 v[95:98], v4 offset:416
	ds_load_b128 v[99:102], v4 offset:432
	s_waitcnt lgkmcnt(1)
	v_fma_f64 v[1:2], v[13:14], v[95:96], v[1:2]
	scratch_load_b128 v[11:14], off, off offset:216
	s_waitcnt vmcnt(4)
	v_fma_f64 v[1:2], v[87:88], v[97:98], v[1:2]
	s_waitcnt lgkmcnt(0)
	s_delay_alu instid0(VALU_DEP_1)
	v_fma_f64 v[1:2], v[89:90], v[99:100], v[1:2]
	scratch_load_b128 v[87:90], off, off offset:232
	s_waitcnt vmcnt(4)
	v_fma_f64 v[1:2], v[15:16], v[101:102], v[1:2]
	ds_load_b128 v[95:98], v4 offset:448
	ds_load_b128 v[99:102], v4 offset:464
	s_waitcnt lgkmcnt(1)
	v_fma_f64 v[1:2], v[17:18], v[95:96], v[1:2]
	scratch_load_b128 v[15:18], off, off offset:248
	s_waitcnt vmcnt(4)
	v_fma_f64 v[1:2], v[7:8], v[97:98], v[1:2]
	s_waitcnt lgkmcnt(0)
	s_delay_alu instid0(VALU_DEP_1)
	v_fma_f64 v[1:2], v[9:10], v[99:100], v[1:2]
	ds_load_b128 v[7:10], v4 offset:480
	ds_load_b128 v[95:98], v4 offset:496
	s_waitcnt vmcnt(3)
	v_fma_f64 v[1:2], v[91:92], v[101:102], v[1:2]
	s_waitcnt lgkmcnt(1)
	s_delay_alu instid0(VALU_DEP_1) | instskip(SKIP_1) | instid1(VALU_DEP_1)
	v_fma_f64 v[1:2], v[93:94], v[7:8], v[1:2]
	s_waitcnt vmcnt(2)
	v_fma_f64 v[1:2], v[11:12], v[9:10], v[1:2]
	ds_load_b128 v[7:10], v4 offset:512
	ds_load_b64 v[11:12], v4 offset:528
	s_waitcnt lgkmcnt(2)
	v_fma_f64 v[1:2], v[13:14], v[95:96], v[1:2]
	s_waitcnt vmcnt(1)
	s_delay_alu instid0(VALU_DEP_1) | instskip(SKIP_1) | instid1(VALU_DEP_1)
	v_fma_f64 v[1:2], v[87:88], v[97:98], v[1:2]
	s_waitcnt lgkmcnt(1)
	v_fma_f64 v[1:2], v[89:90], v[7:8], v[1:2]
	s_waitcnt vmcnt(0)
	s_delay_alu instid0(VALU_DEP_1) | instskip(SKIP_1) | instid1(VALU_DEP_1)
	v_fma_f64 v[1:2], v[15:16], v[9:10], v[1:2]
	s_waitcnt lgkmcnt(0)
	v_fma_f64 v[1:2], v[17:18], v[11:12], v[1:2]
	s_delay_alu instid0(VALU_DEP_1)
	v_add_f64 v[1:2], v[5:6], -v[1:2]
	scratch_store_b64 off, v[1:2], off offset:8
	v_cmpx_ne_u32_e32 0, v0
	s_cbranch_execz .LBB96_207
; %bb.206:
	scratch_load_b64 v[0:1], off, off
	v_mov_b32_e32 v5, v4
	scratch_store_b64 off, v[4:5], off
	s_waitcnt vmcnt(0)
	ds_store_b64 v3, v[0:1]
.LBB96_207:
	s_or_b32 exec_lo, exec_lo, s0
	s_waitcnt lgkmcnt(0)
	s_waitcnt_vscnt null, 0x0
	s_barrier
	buffer_gl0_inv
	s_clause 0x4
	scratch_load_b128 v[5:8], off, off
	scratch_load_b128 v[0:3], off, off offset:16
	scratch_load_b128 v[9:12], off, off offset:32
	;; [unrolled: 1-line block ×4, first 2 shown]
	ds_load_2addr_b64 v[87:90], v4 offset0:35 offset1:36
	ds_load_2addr_b64 v[91:94], v4 offset0:37 offset1:38
	scratch_load_b128 v[95:98], off, off offset:80
	s_and_b32 vcc_lo, exec_lo, s12
	s_waitcnt vmcnt(5) lgkmcnt(1)
	v_fma_f64 v[7:8], v[7:8], v[87:88], 0
	s_waitcnt vmcnt(4)
	s_delay_alu instid0(VALU_DEP_1) | instskip(SKIP_1) | instid1(VALU_DEP_1)
	v_fma_f64 v[0:1], v[0:1], v[89:90], v[7:8]
	s_waitcnt lgkmcnt(0)
	v_fma_f64 v[7:8], v[2:3], v[91:92], v[0:1]
	scratch_load_b128 v[0:3], off, off offset:96
	s_waitcnt vmcnt(4)
	v_fma_f64 v[91:92], v[9:10], v[93:94], v[7:8]
	ds_load_2addr_b64 v[7:10], v4 offset0:39 offset1:40
	ds_load_2addr_b64 v[87:90], v4 offset0:41 offset1:42
	s_waitcnt lgkmcnt(1)
	v_fma_f64 v[7:8], v[11:12], v[7:8], v[91:92]
	scratch_load_b128 v[91:94], off, off offset:112
	s_waitcnt vmcnt(4)
	v_fma_f64 v[7:8], v[13:14], v[9:10], v[7:8]
	s_waitcnt lgkmcnt(0)
	s_delay_alu instid0(VALU_DEP_1)
	v_fma_f64 v[11:12], v[15:16], v[87:88], v[7:8]
	scratch_load_b128 v[7:10], off, off offset:128
	s_waitcnt vmcnt(4)
	v_fma_f64 v[87:88], v[17:18], v[89:90], v[11:12]
	ds_load_2addr_b64 v[11:14], v4 offset0:43 offset1:44
	ds_load_2addr_b64 v[15:18], v4 offset0:45 offset1:46
	s_waitcnt lgkmcnt(1)
	v_fma_f64 v[11:12], v[19:20], v[11:12], v[87:88]
	scratch_load_b128 v[87:90], off, off offset:144
	s_waitcnt vmcnt(4)
	v_fma_f64 v[11:12], v[95:96], v[13:14], v[11:12]
	s_waitcnt lgkmcnt(0)
	s_delay_alu instid0(VALU_DEP_1)
	v_fma_f64 v[15:16], v[97:98], v[15:16], v[11:12]
	scratch_load_b128 v[11:14], off, off offset:160
	s_waitcnt vmcnt(4)
	v_fma_f64 v[0:1], v[0:1], v[17:18], v[15:16]
	ds_load_2addr_b64 v[15:18], v4 offset0:47 offset1:48
	ds_load_2addr_b64 v[95:98], v4 offset0:49 offset1:50
	scratch_load_b128 v[99:102], off, off offset:176
	s_waitcnt lgkmcnt(1)
	v_fma_f64 v[0:1], v[2:3], v[15:16], v[0:1]
	s_waitcnt vmcnt(4)
	s_delay_alu instid0(VALU_DEP_1) | instskip(SKIP_4) | instid1(VALU_DEP_1)
	v_fma_f64 v[0:1], v[91:92], v[17:18], v[0:1]
	scratch_load_b128 v[15:18], off, off offset:192
	s_waitcnt lgkmcnt(0)
	v_fma_f64 v[0:1], v[93:94], v[95:96], v[0:1]
	s_waitcnt vmcnt(4)
	v_fma_f64 v[7:8], v[7:8], v[97:98], v[0:1]
	ds_load_2addr_b64 v[0:3], v4 offset0:51 offset1:52
	ds_load_2addr_b64 v[91:94], v4 offset0:53 offset1:54
	s_waitcnt lgkmcnt(1)
	v_fma_f64 v[0:1], v[9:10], v[0:1], v[7:8]
	scratch_load_b128 v[7:10], off, off offset:208
	s_waitcnt vmcnt(4)
	v_fma_f64 v[0:1], v[87:88], v[2:3], v[0:1]
	s_waitcnt lgkmcnt(0)
	s_delay_alu instid0(VALU_DEP_1)
	v_fma_f64 v[0:1], v[89:90], v[91:92], v[0:1]
	scratch_load_b128 v[87:90], off, off offset:224
	s_waitcnt vmcnt(4)
	v_fma_f64 v[0:1], v[11:12], v[93:94], v[0:1]
	ds_load_2addr_b64 v[91:94], v4 offset0:55 offset1:56
	ds_load_2addr_b64 v[95:98], v4 offset0:57 offset1:58
	scratch_load_b64 v[19:20], off, off offset:256
	s_waitcnt lgkmcnt(1)
	v_fma_f64 v[11:12], v[13:14], v[91:92], v[0:1]
	scratch_load_b128 v[0:3], off, off offset:240
	s_waitcnt vmcnt(5)
	v_fma_f64 v[11:12], v[99:100], v[93:94], v[11:12]
	s_waitcnt lgkmcnt(0)
	s_delay_alu instid0(VALU_DEP_1) | instskip(SKIP_1) | instid1(VALU_DEP_1)
	v_fma_f64 v[11:12], v[101:102], v[95:96], v[11:12]
	s_waitcnt vmcnt(4)
	v_fma_f64 v[15:16], v[15:16], v[97:98], v[11:12]
	ds_load_2addr_b64 v[11:14], v4 offset0:59 offset1:60
	ds_load_2addr_b64 v[91:94], v4 offset0:61 offset1:62
	s_waitcnt lgkmcnt(1)
	v_fma_f64 v[11:12], v[17:18], v[11:12], v[15:16]
	s_waitcnt vmcnt(3)
	s_delay_alu instid0(VALU_DEP_1) | instskip(SKIP_1) | instid1(VALU_DEP_1)
	v_fma_f64 v[7:8], v[7:8], v[13:14], v[11:12]
	s_waitcnt lgkmcnt(0)
	v_fma_f64 v[7:8], v[9:10], v[91:92], v[7:8]
	s_waitcnt vmcnt(2)
	s_delay_alu instid0(VALU_DEP_1)
	v_fma_f64 v[15:16], v[87:88], v[93:94], v[7:8]
	ds_load_2addr_b64 v[7:10], v4 offset0:63 offset1:64
	ds_load_2addr_b64 v[11:14], v4 offset0:65 offset1:66
	s_waitcnt lgkmcnt(1)
	v_fma_f64 v[7:8], v[89:90], v[7:8], v[15:16]
	s_waitcnt vmcnt(0)
	s_delay_alu instid0(VALU_DEP_1) | instskip(SKIP_1) | instid1(VALU_DEP_1)
	v_fma_f64 v[0:1], v[0:1], v[9:10], v[7:8]
	s_waitcnt lgkmcnt(0)
	v_fma_f64 v[0:1], v[2:3], v[11:12], v[0:1]
	s_delay_alu instid0(VALU_DEP_1) | instskip(NEXT) | instid1(VALU_DEP_1)
	v_fma_f64 v[0:1], v[19:20], v[13:14], v[0:1]
	v_add_f64 v[0:1], v[5:6], -v[0:1]
	scratch_store_b64 off, v[0:1], off
	s_cbranch_vccz .LBB96_273
; %bb.208:
	v_dual_mov_b32 v0, s2 :: v_dual_mov_b32 v1, s3
	s_mov_b32 s0, exec_lo
	flat_load_b32 v0, v[0:1] offset:124
	s_waitcnt vmcnt(0) lgkmcnt(0)
	v_cmpx_ne_u32_e32 32, v0
	s_cbranch_execz .LBB96_210
; %bb.209:
	v_lshl_add_u32 v4, v0, 3, 0
	scratch_load_b64 v[0:1], v4, off offset:-8
	s_waitcnt vmcnt(0)
	scratch_store_b64 off, v[0:1], off offset:248
	scratch_store_b64 v4, v[2:3], off offset:-8
.LBB96_210:
	s_or_b32 exec_lo, exec_lo, s0
	v_dual_mov_b32 v0, s2 :: v_dual_mov_b32 v1, s3
	s_mov_b32 s0, exec_lo
	flat_load_b32 v0, v[0:1] offset:120
	s_waitcnt vmcnt(0) lgkmcnt(0)
	v_cmpx_ne_u32_e32 31, v0
	s_cbranch_execz .LBB96_212
; %bb.211:
	v_lshl_add_u32 v4, v0, 3, 0
	scratch_load_b64 v[0:1], v4, off offset:-8
	scratch_load_b64 v[2:3], off, off offset:240
	s_waitcnt vmcnt(1)
	scratch_store_b64 off, v[0:1], off offset:240
	s_waitcnt vmcnt(0)
	scratch_store_b64 v4, v[2:3], off offset:-8
.LBB96_212:
	s_or_b32 exec_lo, exec_lo, s0
	v_dual_mov_b32 v0, s2 :: v_dual_mov_b32 v1, s3
	s_mov_b32 s0, exec_lo
	flat_load_b32 v0, v[0:1] offset:116
	s_waitcnt vmcnt(0) lgkmcnt(0)
	v_cmpx_ne_u32_e32 30, v0
	s_cbranch_execz .LBB96_214
; %bb.213:
	v_lshl_add_u32 v4, v0, 3, 0
	scratch_load_b64 v[0:1], v4, off offset:-8
	scratch_load_b64 v[2:3], off, off offset:232
	s_waitcnt vmcnt(1)
	scratch_store_b64 off, v[0:1], off offset:232
	s_waitcnt vmcnt(0)
	scratch_store_b64 v4, v[2:3], off offset:-8
.LBB96_214:
	;; [unrolled: 16-line block ×30, first 2 shown]
	s_or_b32 exec_lo, exec_lo, s0
	v_dual_mov_b32 v0, s2 :: v_dual_mov_b32 v1, s3
	s_mov_b32 s0, exec_lo
	flat_load_b32 v2, v[0:1]
	scratch_load_b64 v[0:1], off, off
	s_waitcnt vmcnt(1) lgkmcnt(0)
	v_cmpx_ne_u32_e32 1, v2
	s_cbranch_execz .LBB96_272
; %bb.271:
	v_lshl_add_u32 v4, v2, 3, 0
	scratch_load_b64 v[2:3], v4, off offset:-8
	s_waitcnt vmcnt(0)
	scratch_store_b64 off, v[2:3], off
	scratch_store_b64 v4, v[0:1], off offset:-8
	scratch_load_b64 v[0:1], off, off
.LBB96_272:
	s_or_b32 exec_lo, exec_lo, s0
.LBB96_273:
	s_clause 0xa
	scratch_load_b128 v[2:5], off, off offset:8
	scratch_load_b128 v[6:9], off, off offset:24
	;; [unrolled: 1-line block ×11, first 2 shown]
	s_waitcnt vmcnt(11)
	global_store_b64 v[21:22], v[0:1], off
	scratch_load_b128 v[18:21], off, off offset:184
	s_waitcnt vmcnt(11)
	global_store_b64 v[23:24], v[2:3], off
	scratch_load_b128 v[0:3], off, off offset:200
	global_store_b64 v[25:26], v[4:5], off
	scratch_load_b128 v[22:25], off, off offset:216
	s_waitcnt vmcnt(12)
	global_store_b64 v[27:28], v[6:7], off
	scratch_load_b128 v[4:7], off, off offset:232
	global_store_b64 v[29:30], v[8:9], off
	scratch_load_b128 v[26:29], off, off offset:248
	s_waitcnt vmcnt(13)
	s_clause 0x1
	global_store_b64 v[31:32], v[10:11], off
	global_store_b64 v[33:34], v[12:13], off
	s_waitcnt vmcnt(12)
	s_clause 0x1
	global_store_b64 v[35:36], v[14:15], off
	global_store_b64 v[37:38], v[16:17], off
	;; [unrolled: 4-line block ×14, first 2 shown]
	s_endpgm
	.section	.rodata,"a",@progbits
	.p2align	6, 0x0
	.amdhsa_kernel _ZN9rocsolver6v33100L18getri_kernel_smallILi33EdPKPdEEvT1_iilPiilS6_bb
		.amdhsa_group_segment_fixed_size 536
		.amdhsa_private_segment_fixed_size 272
		.amdhsa_kernarg_size 60
		.amdhsa_user_sgpr_count 15
		.amdhsa_user_sgpr_dispatch_ptr 0
		.amdhsa_user_sgpr_queue_ptr 0
		.amdhsa_user_sgpr_kernarg_segment_ptr 1
		.amdhsa_user_sgpr_dispatch_id 0
		.amdhsa_user_sgpr_private_segment_size 0
		.amdhsa_wavefront_size32 1
		.amdhsa_uses_dynamic_stack 0
		.amdhsa_enable_private_segment 1
		.amdhsa_system_sgpr_workgroup_id_x 1
		.amdhsa_system_sgpr_workgroup_id_y 0
		.amdhsa_system_sgpr_workgroup_id_z 0
		.amdhsa_system_sgpr_workgroup_info 0
		.amdhsa_system_vgpr_workitem_id 0
		.amdhsa_next_free_vgpr 116
		.amdhsa_next_free_sgpr 17
		.amdhsa_reserve_vcc 1
		.amdhsa_float_round_mode_32 0
		.amdhsa_float_round_mode_16_64 0
		.amdhsa_float_denorm_mode_32 3
		.amdhsa_float_denorm_mode_16_64 3
		.amdhsa_dx10_clamp 1
		.amdhsa_ieee_mode 1
		.amdhsa_fp16_overflow 0
		.amdhsa_workgroup_processor_mode 1
		.amdhsa_memory_ordered 1
		.amdhsa_forward_progress 0
		.amdhsa_shared_vgpr_count 0
		.amdhsa_exception_fp_ieee_invalid_op 0
		.amdhsa_exception_fp_denorm_src 0
		.amdhsa_exception_fp_ieee_div_zero 0
		.amdhsa_exception_fp_ieee_overflow 0
		.amdhsa_exception_fp_ieee_underflow 0
		.amdhsa_exception_fp_ieee_inexact 0
		.amdhsa_exception_int_div_zero 0
	.end_amdhsa_kernel
	.section	.text._ZN9rocsolver6v33100L18getri_kernel_smallILi33EdPKPdEEvT1_iilPiilS6_bb,"axG",@progbits,_ZN9rocsolver6v33100L18getri_kernel_smallILi33EdPKPdEEvT1_iilPiilS6_bb,comdat
.Lfunc_end96:
	.size	_ZN9rocsolver6v33100L18getri_kernel_smallILi33EdPKPdEEvT1_iilPiilS6_bb, .Lfunc_end96-_ZN9rocsolver6v33100L18getri_kernel_smallILi33EdPKPdEEvT1_iilPiilS6_bb
                                        ; -- End function
	.section	.AMDGPU.csdata,"",@progbits
; Kernel info:
; codeLenInByte = 26008
; NumSgprs: 19
; NumVgprs: 116
; ScratchSize: 272
; MemoryBound: 0
; FloatMode: 240
; IeeeMode: 1
; LDSByteSize: 536 bytes/workgroup (compile time only)
; SGPRBlocks: 2
; VGPRBlocks: 14
; NumSGPRsForWavesPerEU: 19
; NumVGPRsForWavesPerEU: 116
; Occupancy: 12
; WaveLimiterHint : 1
; COMPUTE_PGM_RSRC2:SCRATCH_EN: 1
; COMPUTE_PGM_RSRC2:USER_SGPR: 15
; COMPUTE_PGM_RSRC2:TRAP_HANDLER: 0
; COMPUTE_PGM_RSRC2:TGID_X_EN: 1
; COMPUTE_PGM_RSRC2:TGID_Y_EN: 0
; COMPUTE_PGM_RSRC2:TGID_Z_EN: 0
; COMPUTE_PGM_RSRC2:TIDIG_COMP_CNT: 0
	.section	.text._ZN9rocsolver6v33100L18getri_kernel_smallILi34EdPKPdEEvT1_iilPiilS6_bb,"axG",@progbits,_ZN9rocsolver6v33100L18getri_kernel_smallILi34EdPKPdEEvT1_iilPiilS6_bb,comdat
	.globl	_ZN9rocsolver6v33100L18getri_kernel_smallILi34EdPKPdEEvT1_iilPiilS6_bb ; -- Begin function _ZN9rocsolver6v33100L18getri_kernel_smallILi34EdPKPdEEvT1_iilPiilS6_bb
	.p2align	8
	.type	_ZN9rocsolver6v33100L18getri_kernel_smallILi34EdPKPdEEvT1_iilPiilS6_bb,@function
_ZN9rocsolver6v33100L18getri_kernel_smallILi34EdPKPdEEvT1_iilPiilS6_bb: ; @_ZN9rocsolver6v33100L18getri_kernel_smallILi34EdPKPdEEvT1_iilPiilS6_bb
; %bb.0:
	s_mov_b32 s2, exec_lo
	v_cmpx_gt_u32_e32 34, v0
	s_cbranch_execz .LBB97_146
; %bb.1:
	s_clause 0x1
	s_load_b32 s13, s[0:1], 0x38
	s_load_b64 s[2:3], s[0:1], 0x0
	s_mov_b32 s8, s15
	s_load_b128 s[4:7], s[0:1], 0x28
	s_waitcnt lgkmcnt(0)
	s_bitcmp1_b32 s13, 8
	s_cselect_b32 s12, -1, 0
	s_ashr_i32 s9, s15, 31
	s_delay_alu instid0(SALU_CYCLE_1) | instskip(NEXT) | instid1(SALU_CYCLE_1)
	s_lshl_b64 s[10:11], s[8:9], 3
	s_add_u32 s2, s2, s10
	s_addc_u32 s3, s3, s11
	s_load_b64 s[10:11], s[2:3], 0x0
	s_bfe_u32 s2, s13, 0x10008
	s_delay_alu instid0(SALU_CYCLE_1)
	s_cmp_eq_u32 s2, 0
                                        ; implicit-def: $sgpr2_sgpr3
	s_cbranch_scc1 .LBB97_3
; %bb.2:
	s_clause 0x1
	s_load_b32 s2, s[0:1], 0x20
	s_load_b64 s[14:15], s[0:1], 0x18
	s_mul_i32 s3, s8, s5
	s_mul_hi_u32 s5, s8, s4
	s_mul_i32 s16, s9, s4
	s_add_i32 s3, s5, s3
	s_mul_i32 s4, s8, s4
	s_add_i32 s5, s3, s16
	s_delay_alu instid0(SALU_CYCLE_1)
	s_lshl_b64 s[4:5], s[4:5], 2
	s_waitcnt lgkmcnt(0)
	s_ashr_i32 s3, s2, 31
	s_add_u32 s4, s14, s4
	s_addc_u32 s5, s15, s5
	s_lshl_b64 s[2:3], s[2:3], 2
	s_delay_alu instid0(SALU_CYCLE_1)
	s_add_u32 s2, s4, s2
	s_addc_u32 s3, s5, s3
.LBB97_3:
	s_load_b64 s[4:5], s[0:1], 0x8
	v_lshlrev_b32_e32 v73, 3, v0
	s_waitcnt lgkmcnt(0)
	v_add3_u32 v3, s5, s5, v0
	s_ashr_i32 s1, s4, 31
	s_mov_b32 s0, s4
	s_mov_b32 s14, s5
	s_lshl_b64 s[0:1], s[0:1], 3
	v_add_nc_u32_e32 v5, s5, v3
	s_add_u32 s0, s10, s0
	s_addc_u32 s1, s11, s1
	v_add_co_u32 v13, s4, s0, v73
	s_delay_alu instid0(VALU_DEP_2) | instskip(SKIP_3) | instid1(VALU_DEP_3)
	v_add_nc_u32_e32 v7, s5, v5
	s_ashr_i32 s15, s5, 31
	v_ashrrev_i32_e32 v4, 31, v3
	v_add_co_ci_u32_e64 v14, null, s1, 0, s4
	v_add_nc_u32_e32 v11, s5, v7
	s_lshl_b64 s[10:11], s[14:15], 3
	v_ashrrev_i32_e32 v6, 31, v5
	v_add_co_u32 v15, vcc_lo, v13, s10
	s_delay_alu instid0(VALU_DEP_3) | instskip(SKIP_3) | instid1(VALU_DEP_4)
	v_add_nc_u32_e32 v25, s5, v11
	v_add_co_ci_u32_e32 v16, vcc_lo, s11, v14, vcc_lo
	v_lshlrev_b64 v[9:10], 3, v[3:4]
	v_lshlrev_b64 v[5:6], 3, v[5:6]
	v_add_nc_u32_e32 v27, s5, v25
	v_ashrrev_i32_e32 v8, 31, v7
	s_clause 0x1
	global_load_b64 v[1:2], v73, s[0:1]
	global_load_b64 v[3:4], v[15:16], off
	v_add_co_u32 v17, vcc_lo, s0, v9
	v_ashrrev_i32_e32 v12, 31, v11
	v_add_nc_u32_e32 v29, s5, v27
	v_add_co_ci_u32_e32 v18, vcc_lo, s1, v10, vcc_lo
	v_lshlrev_b64 v[7:8], 3, v[7:8]
	v_add_co_u32 v21, vcc_lo, s0, v5
	v_add_co_ci_u32_e32 v22, vcc_lo, s1, v6, vcc_lo
	v_lshlrev_b64 v[5:6], 3, v[11:12]
	v_ashrrev_i32_e32 v26, 31, v25
	v_add_nc_u32_e32 v33, s5, v29
	v_add_co_u32 v23, vcc_lo, s0, v7
	v_ashrrev_i32_e32 v28, 31, v27
	v_add_co_ci_u32_e32 v24, vcc_lo, s1, v8, vcc_lo
	v_lshlrev_b64 v[25:26], 3, v[25:26]
	v_add_co_u32 v19, vcc_lo, s0, v5
	v_ashrrev_i32_e32 v30, 31, v29
	v_ashrrev_i32_e32 v34, 31, v33
	v_add_co_ci_u32_e32 v20, vcc_lo, s1, v6, vcc_lo
	v_lshlrev_b64 v[27:28], 3, v[27:28]
	s_clause 0x3
	global_load_b64 v[5:6], v[17:18], off
	global_load_b64 v[7:8], v[21:22], off
	;; [unrolled: 1-line block ×4, first 2 shown]
	v_add_co_u32 v25, vcc_lo, s0, v25
	v_lshlrev_b64 v[29:30], 3, v[29:30]
	v_lshlrev_b64 v[31:32], 3, v[33:34]
	v_add_nc_u32_e32 v33, s5, v33
	v_add_co_ci_u32_e32 v26, vcc_lo, s1, v26, vcc_lo
	v_add_co_u32 v27, vcc_lo, s0, v27
	v_add_co_ci_u32_e32 v28, vcc_lo, s1, v28, vcc_lo
	s_delay_alu instid0(VALU_DEP_4)
	v_add_nc_u32_e32 v37, s5, v33
	v_add_co_u32 v29, vcc_lo, s0, v29
	v_ashrrev_i32_e32 v34, 31, v33
	v_add_co_ci_u32_e32 v30, vcc_lo, s1, v30, vcc_lo
	v_add_co_u32 v31, vcc_lo, s0, v31
	v_ashrrev_i32_e32 v38, 31, v37
	v_add_co_ci_u32_e32 v32, vcc_lo, s1, v32, vcc_lo
	v_lshlrev_b64 v[33:34], 3, v[33:34]
	s_clause 0x3
	global_load_b64 v[65:66], v[25:26], off
	global_load_b64 v[67:68], v[27:28], off
	;; [unrolled: 1-line block ×4, first 2 shown]
	v_lshlrev_b64 v[35:36], 3, v[37:38]
	v_add_nc_u32_e32 v37, s5, v37
	s_bitcmp0_b32 s13, 0
	v_add_co_u32 v33, vcc_lo, s0, v33
	v_add_co_ci_u32_e32 v34, vcc_lo, s1, v34, vcc_lo
	s_delay_alu instid0(VALU_DEP_4)
	v_add_co_u32 v35, vcc_lo, s0, v35
	v_add_co_ci_u32_e32 v36, vcc_lo, s1, v36, vcc_lo
	s_clause 0x1
	global_load_b64 v[74:75], v[33:34], off
	global_load_b64 v[76:77], v[35:36], off
	v_add_nc_u32_e32 v39, s5, v37
	v_ashrrev_i32_e32 v38, 31, v37
	s_delay_alu instid0(VALU_DEP_2) | instskip(SKIP_1) | instid1(VALU_DEP_3)
	v_add_nc_u32_e32 v41, s5, v39
	v_ashrrev_i32_e32 v40, 31, v39
	v_lshlrev_b64 v[37:38], 3, v[37:38]
	s_delay_alu instid0(VALU_DEP_3) | instskip(SKIP_1) | instid1(VALU_DEP_4)
	v_add_nc_u32_e32 v43, s5, v41
	v_ashrrev_i32_e32 v42, 31, v41
	v_lshlrev_b64 v[39:40], 3, v[39:40]
	s_delay_alu instid0(VALU_DEP_4) | instskip(NEXT) | instid1(VALU_DEP_4)
	v_add_co_u32 v37, vcc_lo, s0, v37
	v_add_nc_u32_e32 v45, s5, v43
	v_ashrrev_i32_e32 v44, 31, v43
	v_lshlrev_b64 v[41:42], 3, v[41:42]
	v_add_co_ci_u32_e32 v38, vcc_lo, s1, v38, vcc_lo
	s_delay_alu instid0(VALU_DEP_4) | instskip(SKIP_3) | instid1(VALU_DEP_4)
	v_add_nc_u32_e32 v47, s5, v45
	v_ashrrev_i32_e32 v46, 31, v45
	v_add_co_u32 v39, vcc_lo, s0, v39
	v_lshlrev_b64 v[43:44], 3, v[43:44]
	v_add_nc_u32_e32 v49, s5, v47
	v_ashrrev_i32_e32 v48, 31, v47
	v_add_co_ci_u32_e32 v40, vcc_lo, s1, v40, vcc_lo
	v_add_co_u32 v41, vcc_lo, s0, v41
	s_delay_alu instid0(VALU_DEP_4) | instskip(SKIP_3) | instid1(VALU_DEP_4)
	v_add_nc_u32_e32 v51, s5, v49
	v_lshlrev_b64 v[45:46], 3, v[45:46]
	v_ashrrev_i32_e32 v50, 31, v49
	v_add_co_ci_u32_e32 v42, vcc_lo, s1, v42, vcc_lo
	v_add_nc_u32_e32 v53, s5, v51
	v_add_co_u32 v43, vcc_lo, s0, v43
	v_lshlrev_b64 v[47:48], 3, v[47:48]
	v_ashrrev_i32_e32 v52, 31, v51
	s_delay_alu instid0(VALU_DEP_4) | instskip(SKIP_2) | instid1(VALU_DEP_3)
	v_add_nc_u32_e32 v55, s5, v53
	v_add_co_ci_u32_e32 v44, vcc_lo, s1, v44, vcc_lo
	v_add_co_u32 v45, vcc_lo, s0, v45
	v_add_nc_u32_e32 v57, s5, v55
	v_lshlrev_b64 v[49:50], 3, v[49:50]
	v_ashrrev_i32_e32 v54, 31, v53
	v_add_co_ci_u32_e32 v46, vcc_lo, s1, v46, vcc_lo
	s_delay_alu instid0(VALU_DEP_4) | instskip(SKIP_3) | instid1(VALU_DEP_4)
	v_add_nc_u32_e32 v59, s5, v57
	v_add_co_u32 v47, vcc_lo, s0, v47
	v_lshlrev_b64 v[51:52], 3, v[51:52]
	v_add_co_ci_u32_e32 v48, vcc_lo, s1, v48, vcc_lo
	v_add_nc_u32_e32 v61, s5, v59
	v_add_co_u32 v49, vcc_lo, s0, v49
	v_lshlrev_b64 v[53:54], 3, v[53:54]
	v_ashrrev_i32_e32 v56, 31, v55
	s_delay_alu instid0(VALU_DEP_4) | instskip(SKIP_2) | instid1(VALU_DEP_3)
	v_add_nc_u32_e32 v63, s5, v61
	v_add_co_ci_u32_e32 v50, vcc_lo, s1, v50, vcc_lo
	v_add_co_u32 v51, vcc_lo, s0, v51
	v_add_nc_u32_e32 v90, s5, v63
	v_ashrrev_i32_e32 v58, 31, v57
	v_add_co_ci_u32_e32 v52, vcc_lo, s1, v52, vcc_lo
	v_lshlrev_b64 v[91:92], 3, v[55:56]
	s_delay_alu instid0(VALU_DEP_4) | instskip(SKIP_3) | instid1(VALU_DEP_4)
	v_add_nc_u32_e32 v108, s5, v90
	v_add_co_u32 v55, vcc_lo, s0, v53
	v_ashrrev_i32_e32 v60, 31, v59
	v_add_co_ci_u32_e32 v56, vcc_lo, s1, v54, vcc_lo
	v_add_nc_u32_e32 v110, s5, v108
	v_lshlrev_b64 v[100:101], 3, v[57:58]
	s_clause 0x4
	global_load_b64 v[78:79], v[37:38], off
	global_load_b64 v[80:81], v[39:40], off
	;; [unrolled: 1-line block ×5, first 2 shown]
	v_ashrrev_i32_e32 v62, 31, v61
	v_add_nc_u32_e32 v112, s5, v110
	v_ashrrev_i32_e32 v64, 31, v63
	v_ashrrev_i32_e32 v109, 31, v108
	;; [unrolled: 1-line block ×3, first 2 shown]
	s_delay_alu instid0(VALU_DEP_4) | instskip(SKIP_1) | instid1(VALU_DEP_2)
	v_add_nc_u32_e32 v114, s5, v112
	v_ashrrev_i32_e32 v113, 31, v112
	v_add_nc_u32_e32 v116, s5, v114
	v_ashrrev_i32_e32 v115, 31, v114
	s_delay_alu instid0(VALU_DEP_2) | instskip(SKIP_1) | instid1(VALU_DEP_2)
	v_add_nc_u32_e32 v118, s5, v116
	v_ashrrev_i32_e32 v117, 31, v116
	v_add_nc_u32_e32 v88, s5, v118
	v_ashrrev_i32_e32 v119, 31, v118
	s_delay_alu instid0(VALU_DEP_2) | instskip(NEXT) | instid1(VALU_DEP_1)
	v_ashrrev_i32_e32 v89, 31, v88
	v_lshlrev_b64 v[88:89], 3, v[88:89]
	s_delay_alu instid0(VALU_DEP_1) | instskip(NEXT) | instid1(VALU_DEP_2)
	v_add_co_u32 v53, vcc_lo, s0, v88
	v_add_co_ci_u32_e32 v54, vcc_lo, s1, v89, vcc_lo
	v_add_co_u32 v57, vcc_lo, s0, v91
	v_add_co_ci_u32_e32 v58, vcc_lo, s1, v92, vcc_lo
	v_ashrrev_i32_e32 v91, 31, v90
	global_load_b64 v[92:93], v[53:54], off
	v_lshlrev_b64 v[90:91], 3, v[90:91]
	s_waitcnt vmcnt(16)
	scratch_store_b128 off, v[1:4], off
	v_lshlrev_b64 v[1:2], 3, v[59:60]
	v_add_co_u32 v59, vcc_lo, s0, v100
	v_add_co_ci_u32_e32 v60, vcc_lo, s1, v101, vcc_lo
	v_lshlrev_b64 v[3:4], 3, v[61:62]
	s_delay_alu instid0(VALU_DEP_4) | instskip(SKIP_2) | instid1(VALU_DEP_4)
	v_add_co_u32 v61, vcc_lo, s0, v1
	v_add_co_ci_u32_e32 v62, vcc_lo, s1, v2, vcc_lo
	v_lshlrev_b64 v[1:2], 3, v[63:64]
	v_add_co_u32 v63, vcc_lo, s0, v3
	v_add_co_ci_u32_e32 v64, vcc_lo, s1, v4, vcc_lo
	s_clause 0x3
	global_load_b64 v[88:89], v[47:48], off
	global_load_b64 v[94:95], v[49:50], off
	;; [unrolled: 1-line block ×4, first 2 shown]
	v_add_co_u32 v4, vcc_lo, s0, v1
	s_waitcnt vmcnt(18)
	scratch_store_b128 off, v[5:8], off offset:16
	s_waitcnt vmcnt(16)
	scratch_store_b128 off, v[9:12], off offset:32
	v_add_co_ci_u32_e32 v5, vcc_lo, s1, v2, vcc_lo
	v_lshlrev_b64 v[1:2], 3, v[108:109]
	v_add_co_u32 v6, vcc_lo, s0, v90
	v_add_co_ci_u32_e32 v7, vcc_lo, s1, v91, vcc_lo
	v_lshlrev_b64 v[10:11], 3, v[110:111]
	s_delay_alu instid0(VALU_DEP_4) | instskip(SKIP_2) | instid1(VALU_DEP_4)
	v_add_co_u32 v8, vcc_lo, s0, v1
	v_add_co_ci_u32_e32 v9, vcc_lo, s1, v2, vcc_lo
	v_lshlrev_b64 v[1:2], 3, v[112:113]
	v_add_co_u32 v10, vcc_lo, s0, v10
	v_add_co_ci_u32_e32 v11, vcc_lo, s1, v11, vcc_lo
	v_lshlrev_b64 v[90:91], 3, v[114:115]
	s_clause 0x3
	global_load_b64 v[100:101], v[57:58], off
	global_load_b64 v[102:103], v[59:60], off
	;; [unrolled: 1-line block ×4, first 2 shown]
	s_waitcnt vmcnt(18)
	scratch_store_b128 off, v[65:68], off offset:48
	s_waitcnt vmcnt(16)
	scratch_store_b128 off, v[69:72], off offset:64
	v_add_co_u32 v65, vcc_lo, s0, v1
	v_add_co_ci_u32_e32 v66, vcc_lo, s1, v2, vcc_lo
	v_lshlrev_b64 v[1:2], 3, v[116:117]
	v_add_co_u32 v67, vcc_lo, s0, v90
	v_lshlrev_b64 v[71:72], 3, v[118:119]
	v_add_co_ci_u32_e32 v68, vcc_lo, s1, v91, vcc_lo
	s_delay_alu instid0(VALU_DEP_4) | instskip(SKIP_1) | instid1(VALU_DEP_4)
	v_add_co_u32 v69, vcc_lo, s0, v1
	v_add_co_ci_u32_e32 v70, vcc_lo, s1, v2, vcc_lo
	v_add_co_u32 v71, vcc_lo, s0, v71
	v_add_co_ci_u32_e32 v72, vcc_lo, s1, v72, vcc_lo
	s_clause 0x3
	global_load_b64 v[108:109], v[4:5], off
	global_load_b64 v[110:111], v[6:7], off
	;; [unrolled: 1-line block ×4, first 2 shown]
	s_waitcnt vmcnt(18)
	scratch_store_b128 off, v[74:77], off offset:80
	s_clause 0x3
	global_load_b64 v[116:117], v[65:66], off
	global_load_b64 v[74:75], v[67:68], off
	;; [unrolled: 1-line block ×4, first 2 shown]
	s_mov_b32 s1, -1
	s_waitcnt vmcnt(20)
	scratch_store_b128 off, v[78:81], off offset:96
	s_waitcnt vmcnt(18)
	scratch_store_b128 off, v[82:85], off offset:112
	;; [unrolled: 2-line block ×11, first 2 shown]
	s_cbranch_scc1 .LBB97_144
; %bb.4:
	v_cmp_eq_u32_e64 s0, 0, v0
	s_delay_alu instid0(VALU_DEP_1)
	s_and_saveexec_b32 s1, s0
	s_cbranch_execz .LBB97_6
; %bb.5:
	v_mov_b32_e32 v1, 0
	ds_store_b32 v1, v1 offset:544
.LBB97_6:
	s_or_b32 exec_lo, exec_lo, s1
	s_waitcnt lgkmcnt(0)
	s_waitcnt_vscnt null, 0x0
	s_barrier
	buffer_gl0_inv
	scratch_load_b64 v[1:2], v73, off
	s_mov_b32 s4, exec_lo
	s_waitcnt vmcnt(0)
	v_cmpx_eq_f64_e32 0, v[1:2]
	s_cbranch_execz .LBB97_10
; %bb.7:
	v_mov_b32_e32 v1, 0
	s_mov_b32 s5, 0
	ds_load_b32 v2, v1 offset:544
	s_waitcnt lgkmcnt(0)
	v_readfirstlane_b32 s1, v2
	v_add_nc_u32_e32 v2, 1, v0
	s_delay_alu instid0(VALU_DEP_2) | instskip(NEXT) | instid1(VALU_DEP_1)
	s_cmp_eq_u32 s1, 0
	v_cmp_gt_i32_e32 vcc_lo, s1, v2
	s_cselect_b32 s10, -1, 0
	s_delay_alu instid0(SALU_CYCLE_1) | instskip(NEXT) | instid1(SALU_CYCLE_1)
	s_or_b32 s10, s10, vcc_lo
	s_and_b32 exec_lo, exec_lo, s10
	s_cbranch_execz .LBB97_10
; %bb.8:
	v_mov_b32_e32 v3, s1
.LBB97_9:                               ; =>This Inner Loop Header: Depth=1
	ds_cmpstore_rtn_b32 v3, v1, v2, v3 offset:544
	s_waitcnt lgkmcnt(0)
	v_cmp_ne_u32_e32 vcc_lo, 0, v3
	v_cmp_le_i32_e64 s1, v3, v2
	s_delay_alu instid0(VALU_DEP_1) | instskip(NEXT) | instid1(SALU_CYCLE_1)
	s_and_b32 s1, vcc_lo, s1
	s_and_b32 s1, exec_lo, s1
	s_delay_alu instid0(SALU_CYCLE_1) | instskip(NEXT) | instid1(SALU_CYCLE_1)
	s_or_b32 s5, s1, s5
	s_and_not1_b32 exec_lo, exec_lo, s5
	s_cbranch_execnz .LBB97_9
.LBB97_10:
	s_or_b32 exec_lo, exec_lo, s4
	v_mov_b32_e32 v1, 0
	s_barrier
	buffer_gl0_inv
	ds_load_b32 v2, v1 offset:544
	s_and_saveexec_b32 s1, s0
	s_cbranch_execz .LBB97_12
; %bb.11:
	s_lshl_b64 s[4:5], s[8:9], 2
	s_delay_alu instid0(SALU_CYCLE_1)
	s_add_u32 s4, s6, s4
	s_addc_u32 s5, s7, s5
	s_waitcnt lgkmcnt(0)
	global_store_b32 v1, v2, s[4:5]
.LBB97_12:
	s_or_b32 exec_lo, exec_lo, s1
	s_waitcnt lgkmcnt(0)
	v_cmp_ne_u32_e32 vcc_lo, 0, v2
	s_mov_b32 s1, 0
	s_cbranch_vccnz .LBB97_144
; %bb.13:
	v_add_nc_u32_e32 v3, 0, v73
	v_add_nc_u32_e32 v12, 0x110, v73
	scratch_load_b64 v[1:2], v3, off
	s_waitcnt vmcnt(0)
	v_div_scale_f64 v[74:75], null, v[1:2], v[1:2], 1.0
	v_div_scale_f64 v[80:81], vcc_lo, 1.0, v[1:2], 1.0
	s_delay_alu instid0(VALU_DEP_2) | instskip(SKIP_2) | instid1(VALU_DEP_1)
	v_rcp_f64_e32 v[76:77], v[74:75]
	s_waitcnt_depctr 0xfff
	v_fma_f64 v[78:79], -v[74:75], v[76:77], 1.0
	v_fma_f64 v[76:77], v[76:77], v[78:79], v[76:77]
	s_delay_alu instid0(VALU_DEP_1) | instskip(NEXT) | instid1(VALU_DEP_1)
	v_fma_f64 v[78:79], -v[74:75], v[76:77], 1.0
	v_fma_f64 v[76:77], v[76:77], v[78:79], v[76:77]
	s_delay_alu instid0(VALU_DEP_1) | instskip(NEXT) | instid1(VALU_DEP_1)
	v_mul_f64 v[78:79], v[80:81], v[76:77]
	v_fma_f64 v[74:75], -v[74:75], v[78:79], v[80:81]
	s_delay_alu instid0(VALU_DEP_1) | instskip(NEXT) | instid1(VALU_DEP_1)
	v_div_fmas_f64 v[74:75], v[74:75], v[76:77], v[78:79]
	v_div_fixup_f64 v[1:2], v[74:75], v[1:2], 1.0
	scratch_store_b64 v3, v[1:2], off
	scratch_load_b64 v[74:75], off, off offset:8
	v_xor_b32_e32 v2, 0x80000000, v2
	s_waitcnt vmcnt(0)
	ds_store_2addr_b64 v73, v[1:2], v[74:75] offset1:34
	s_waitcnt lgkmcnt(0)
	s_waitcnt_vscnt null, 0x0
	s_barrier
	buffer_gl0_inv
	s_and_saveexec_b32 s1, s0
	s_cbranch_execz .LBB97_15
; %bb.14:
	scratch_load_b64 v[1:2], v3, off
	ds_load_b64 v[74:75], v12
	s_waitcnt vmcnt(0) lgkmcnt(0)
	v_fma_f64 v[1:2], v[1:2], v[74:75], 0
	v_mov_b32_e32 v74, 0
	ds_load_b64 v[74:75], v74 offset:8
	s_waitcnt lgkmcnt(0)
	v_mul_f64 v[1:2], v[1:2], v[74:75]
	scratch_store_b64 off, v[1:2], off offset:8
.LBB97_15:
	s_or_b32 exec_lo, exec_lo, s1
	s_waitcnt_vscnt null, 0x0
	s_barrier
	buffer_gl0_inv
	scratch_load_b64 v[1:2], off, off offset:16
	s_mov_b32 s1, exec_lo
	s_waitcnt vmcnt(0)
	ds_store_b64 v12, v[1:2]
	s_waitcnt lgkmcnt(0)
	s_barrier
	buffer_gl0_inv
	v_cmpx_gt_u32_e32 2, v0
	s_cbranch_execz .LBB97_19
; %bb.16:
	scratch_load_b64 v[1:2], v3, off
	ds_load_b64 v[74:75], v12
	s_waitcnt vmcnt(0) lgkmcnt(0)
	v_fma_f64 v[1:2], v[1:2], v[74:75], 0
	s_and_saveexec_b32 s4, s0
	s_cbranch_execz .LBB97_18
; %bb.17:
	scratch_load_b64 v[74:75], off, off offset:8
	v_mov_b32_e32 v76, 0
	ds_load_b64 v[76:77], v76 offset:280
	s_waitcnt vmcnt(0) lgkmcnt(0)
	v_fma_f64 v[1:2], v[74:75], v[76:77], v[1:2]
.LBB97_18:
	s_or_b32 exec_lo, exec_lo, s4
	v_mov_b32_e32 v74, 0
	ds_load_b64 v[74:75], v74 offset:16
	s_waitcnt lgkmcnt(0)
	v_mul_f64 v[1:2], v[1:2], v[74:75]
	scratch_store_b64 off, v[1:2], off offset:16
.LBB97_19:
	s_or_b32 exec_lo, exec_lo, s1
	s_waitcnt_vscnt null, 0x0
	s_barrier
	buffer_gl0_inv
	scratch_load_b64 v[1:2], off, off offset:24
	v_add_nc_u32_e32 v74, -1, v0
	s_mov_b32 s0, exec_lo
	s_waitcnt vmcnt(0)
	ds_store_b64 v12, v[1:2]
	s_waitcnt lgkmcnt(0)
	s_barrier
	buffer_gl0_inv
	v_cmpx_gt_u32_e32 3, v0
	s_cbranch_execz .LBB97_23
; %bb.20:
	v_dual_mov_b32 v1, 0 :: v_dual_add_nc_u32 v76, 0x110, v73
	v_dual_mov_b32 v2, 0 :: v_dual_add_nc_u32 v75, -1, v0
	v_add_nc_u32_e32 v77, 0, v73
	s_mov_b32 s1, 0
.LBB97_21:                              ; =>This Inner Loop Header: Depth=1
	scratch_load_b64 v[78:79], v77, off
	ds_load_b64 v[80:81], v76
	v_add_nc_u32_e32 v75, 1, v75
	v_add_nc_u32_e32 v76, 8, v76
	v_add_nc_u32_e32 v77, 8, v77
	s_delay_alu instid0(VALU_DEP_3)
	v_cmp_lt_u32_e32 vcc_lo, 1, v75
	s_or_b32 s1, vcc_lo, s1
	s_waitcnt vmcnt(0) lgkmcnt(0)
	v_fma_f64 v[1:2], v[78:79], v[80:81], v[1:2]
	s_and_not1_b32 exec_lo, exec_lo, s1
	s_cbranch_execnz .LBB97_21
; %bb.22:
	s_or_b32 exec_lo, exec_lo, s1
	v_mov_b32_e32 v75, 0
	ds_load_b64 v[75:76], v75 offset:24
	s_waitcnt lgkmcnt(0)
	v_mul_f64 v[1:2], v[1:2], v[75:76]
	scratch_store_b64 off, v[1:2], off offset:24
.LBB97_23:
	s_or_b32 exec_lo, exec_lo, s0
	s_waitcnt_vscnt null, 0x0
	s_barrier
	buffer_gl0_inv
	scratch_load_b64 v[1:2], off, off offset:32
	s_mov_b32 s0, exec_lo
	s_waitcnt vmcnt(0)
	ds_store_b64 v12, v[1:2]
	s_waitcnt lgkmcnt(0)
	s_barrier
	buffer_gl0_inv
	v_cmpx_gt_u32_e32 4, v0
	s_cbranch_execz .LBB97_27
; %bb.24:
	v_dual_mov_b32 v1, 0 :: v_dual_add_nc_u32 v76, 0x110, v73
	v_dual_mov_b32 v2, 0 :: v_dual_add_nc_u32 v75, -1, v0
	v_add_nc_u32_e32 v77, 0, v73
	s_mov_b32 s1, 0
.LBB97_25:                              ; =>This Inner Loop Header: Depth=1
	scratch_load_b64 v[78:79], v77, off
	ds_load_b64 v[80:81], v76
	v_add_nc_u32_e32 v75, 1, v75
	v_add_nc_u32_e32 v76, 8, v76
	v_add_nc_u32_e32 v77, 8, v77
	s_delay_alu instid0(VALU_DEP_3)
	v_cmp_lt_u32_e32 vcc_lo, 2, v75
	s_or_b32 s1, vcc_lo, s1
	s_waitcnt vmcnt(0) lgkmcnt(0)
	v_fma_f64 v[1:2], v[78:79], v[80:81], v[1:2]
	s_and_not1_b32 exec_lo, exec_lo, s1
	s_cbranch_execnz .LBB97_25
; %bb.26:
	s_or_b32 exec_lo, exec_lo, s1
	v_mov_b32_e32 v75, 0
	ds_load_b64 v[75:76], v75 offset:32
	s_waitcnt lgkmcnt(0)
	v_mul_f64 v[1:2], v[1:2], v[75:76]
	scratch_store_b64 off, v[1:2], off offset:32
.LBB97_27:
	s_or_b32 exec_lo, exec_lo, s0
	s_waitcnt_vscnt null, 0x0
	s_barrier
	buffer_gl0_inv
	scratch_load_b64 v[1:2], off, off offset:40
	;; [unrolled: 39-line block ×20, first 2 shown]
	s_mov_b32 s0, exec_lo
	s_waitcnt vmcnt(0)
	ds_store_b64 v12, v[1:2]
	s_waitcnt lgkmcnt(0)
	s_barrier
	buffer_gl0_inv
	v_cmpx_gt_u32_e32 23, v0
	s_cbranch_execz .LBB97_103
; %bb.100:
	v_dual_mov_b32 v1, 0 :: v_dual_add_nc_u32 v76, 0x110, v73
	v_dual_mov_b32 v2, 0 :: v_dual_add_nc_u32 v75, -1, v0
	v_add_nc_u32_e32 v77, 0, v73
	s_mov_b32 s1, 0
.LBB97_101:                             ; =>This Inner Loop Header: Depth=1
	scratch_load_b64 v[78:79], v77, off
	ds_load_b64 v[80:81], v76
	v_add_nc_u32_e32 v75, 1, v75
	v_add_nc_u32_e32 v76, 8, v76
	v_add_nc_u32_e32 v77, 8, v77
	s_delay_alu instid0(VALU_DEP_3)
	v_cmp_lt_u32_e32 vcc_lo, 21, v75
	s_or_b32 s1, vcc_lo, s1
	s_waitcnt vmcnt(0) lgkmcnt(0)
	v_fma_f64 v[1:2], v[78:79], v[80:81], v[1:2]
	s_and_not1_b32 exec_lo, exec_lo, s1
	s_cbranch_execnz .LBB97_101
; %bb.102:
	s_or_b32 exec_lo, exec_lo, s1
	v_mov_b32_e32 v75, 0
	ds_load_b64 v[75:76], v75 offset:184
	s_waitcnt lgkmcnt(0)
	v_mul_f64 v[1:2], v[1:2], v[75:76]
	scratch_store_b64 off, v[1:2], off offset:184
.LBB97_103:
	s_or_b32 exec_lo, exec_lo, s0
	s_waitcnt_vscnt null, 0x0
	s_barrier
	buffer_gl0_inv
	scratch_load_b64 v[1:2], off, off offset:192
	s_mov_b32 s0, exec_lo
	s_waitcnt vmcnt(0)
	ds_store_b64 v12, v[1:2]
	s_waitcnt lgkmcnt(0)
	s_barrier
	buffer_gl0_inv
	v_cmpx_gt_u32_e32 24, v0
	s_cbranch_execz .LBB97_107
; %bb.104:
	v_dual_mov_b32 v1, 0 :: v_dual_add_nc_u32 v76, 0x110, v73
	v_dual_mov_b32 v2, 0 :: v_dual_add_nc_u32 v75, -1, v0
	v_add_nc_u32_e32 v77, 0, v73
	s_mov_b32 s1, 0
.LBB97_105:                             ; =>This Inner Loop Header: Depth=1
	scratch_load_b64 v[78:79], v77, off
	ds_load_b64 v[80:81], v76
	v_add_nc_u32_e32 v75, 1, v75
	v_add_nc_u32_e32 v76, 8, v76
	v_add_nc_u32_e32 v77, 8, v77
	s_delay_alu instid0(VALU_DEP_3)
	v_cmp_lt_u32_e32 vcc_lo, 22, v75
	s_or_b32 s1, vcc_lo, s1
	s_waitcnt vmcnt(0) lgkmcnt(0)
	v_fma_f64 v[1:2], v[78:79], v[80:81], v[1:2]
	s_and_not1_b32 exec_lo, exec_lo, s1
	s_cbranch_execnz .LBB97_105
; %bb.106:
	s_or_b32 exec_lo, exec_lo, s1
	v_mov_b32_e32 v75, 0
	ds_load_b64 v[75:76], v75 offset:192
	s_waitcnt lgkmcnt(0)
	v_mul_f64 v[1:2], v[1:2], v[75:76]
	scratch_store_b64 off, v[1:2], off offset:192
.LBB97_107:
	s_or_b32 exec_lo, exec_lo, s0
	s_waitcnt_vscnt null, 0x0
	s_barrier
	buffer_gl0_inv
	scratch_load_b64 v[1:2], off, off offset:200
	;; [unrolled: 39-line block ×10, first 2 shown]
	s_mov_b32 s0, exec_lo
	s_waitcnt vmcnt(0)
	ds_store_b64 v12, v[1:2]
	s_waitcnt lgkmcnt(0)
	s_barrier
	buffer_gl0_inv
	v_cmpx_ne_u32_e32 33, v0
	s_cbranch_execz .LBB97_143
; %bb.140:
	v_mov_b32_e32 v1, 0
	v_mov_b32_e32 v2, 0
	s_mov_b32 s1, 0
.LBB97_141:                             ; =>This Inner Loop Header: Depth=1
	scratch_load_b64 v[75:76], v3, off
	ds_load_b64 v[77:78], v12
	v_add_nc_u32_e32 v74, 1, v74
	v_add_nc_u32_e32 v12, 8, v12
	;; [unrolled: 1-line block ×3, first 2 shown]
	s_delay_alu instid0(VALU_DEP_3)
	v_cmp_lt_u32_e32 vcc_lo, 31, v74
	s_or_b32 s1, vcc_lo, s1
	s_waitcnt vmcnt(0) lgkmcnt(0)
	v_fma_f64 v[1:2], v[75:76], v[77:78], v[1:2]
	s_and_not1_b32 exec_lo, exec_lo, s1
	s_cbranch_execnz .LBB97_141
; %bb.142:
	s_or_b32 exec_lo, exec_lo, s1
	v_mov_b32_e32 v3, 0
	ds_load_b64 v[73:74], v3 offset:264
	s_waitcnt lgkmcnt(0)
	v_mul_f64 v[1:2], v[1:2], v[73:74]
	scratch_store_b64 off, v[1:2], off offset:264
.LBB97_143:
	s_or_b32 exec_lo, exec_lo, s0
	s_mov_b32 s1, -1
	s_waitcnt_vscnt null, 0x0
	s_barrier
	buffer_gl0_inv
.LBB97_144:
	s_and_b32 vcc_lo, exec_lo, s1
	s_cbranch_vccz .LBB97_146
; %bb.145:
	s_lshl_b64 s[0:1], s[8:9], 2
	v_mov_b32_e32 v1, 0
	s_add_u32 s0, s6, s0
	s_addc_u32 s1, s7, s1
	global_load_b32 v1, v1, s[0:1]
	s_waitcnt vmcnt(0)
	v_cmp_ne_u32_e32 vcc_lo, 0, v1
	s_cbranch_vccz .LBB97_147
.LBB97_146:
	s_endpgm
.LBB97_147:
	v_lshl_add_u32 v3, v0, 3, 0x110
	s_mov_b32 s0, exec_lo
	v_cmpx_eq_u32_e32 33, v0
	s_cbranch_execz .LBB97_149
; %bb.148:
	scratch_load_b64 v[1:2], off, off offset:256
	v_mov_b32_e32 v73, 0
	s_delay_alu instid0(VALU_DEP_1)
	v_mov_b32_e32 v74, v73
	scratch_store_b64 off, v[73:74], off offset:256
	s_waitcnt vmcnt(0)
	ds_store_b64 v3, v[1:2]
.LBB97_149:
	s_or_b32 exec_lo, exec_lo, s0
	s_waitcnt lgkmcnt(0)
	s_waitcnt_vscnt null, 0x0
	s_barrier
	buffer_gl0_inv
	scratch_load_b128 v[73:76], off, off offset:256
	v_mov_b32_e32 v1, 0
	s_mov_b32 s0, exec_lo
	ds_load_b64 v[77:78], v1 offset:536
	s_waitcnt vmcnt(0) lgkmcnt(0)
	v_fma_f64 v[75:76], v[75:76], v[77:78], 0
	s_delay_alu instid0(VALU_DEP_1)
	v_add_f64 v[73:74], v[73:74], -v[75:76]
	scratch_store_b64 off, v[73:74], off offset:256
	v_cmpx_lt_u32_e32 31, v0
	s_cbranch_execz .LBB97_151
; %bb.150:
	scratch_load_b64 v[73:74], off, off offset:248
	v_mov_b32_e32 v2, v1
	scratch_store_b64 off, v[1:2], off offset:248
	s_waitcnt vmcnt(0)
	ds_store_b64 v3, v[73:74]
.LBB97_151:
	s_or_b32 exec_lo, exec_lo, s0
	s_waitcnt lgkmcnt(0)
	s_waitcnt_vscnt null, 0x0
	s_barrier
	buffer_gl0_inv
	s_clause 0x1
	scratch_load_b128 v[73:76], off, off offset:248
	scratch_load_b64 v[81:82], off, off offset:264
	ds_load_b128 v[77:80], v1 offset:528
	s_mov_b32 s0, exec_lo
	s_waitcnt vmcnt(1) lgkmcnt(0)
	v_fma_f64 v[1:2], v[75:76], v[77:78], 0
	s_waitcnt vmcnt(0)
	s_delay_alu instid0(VALU_DEP_1) | instskip(NEXT) | instid1(VALU_DEP_1)
	v_fma_f64 v[1:2], v[81:82], v[79:80], v[1:2]
	v_add_f64 v[1:2], v[73:74], -v[1:2]
	scratch_store_b64 off, v[1:2], off offset:248
	v_cmpx_lt_u32_e32 30, v0
	s_cbranch_execz .LBB97_153
; %bb.152:
	scratch_load_b64 v[1:2], off, off offset:240
	v_mov_b32_e32 v73, 0
	s_delay_alu instid0(VALU_DEP_1)
	v_mov_b32_e32 v74, v73
	scratch_store_b64 off, v[73:74], off offset:240
	s_waitcnt vmcnt(0)
	ds_store_b64 v3, v[1:2]
.LBB97_153:
	s_or_b32 exec_lo, exec_lo, s0
	s_waitcnt lgkmcnt(0)
	s_waitcnt_vscnt null, 0x0
	s_barrier
	buffer_gl0_inv
	s_clause 0x1
	scratch_load_b128 v[73:76], off, off offset:240
	scratch_load_b128 v[77:80], off, off offset:256
	v_mov_b32_e32 v1, 0
	ds_load_2addr_b64 v[81:84], v1 offset0:65 offset1:66
	ds_load_b64 v[85:86], v1 offset:536
	s_mov_b32 s0, exec_lo
	s_waitcnt vmcnt(1) lgkmcnt(1)
	v_fma_f64 v[75:76], v[75:76], v[81:82], 0
	s_waitcnt vmcnt(0)
	s_delay_alu instid0(VALU_DEP_1) | instskip(SKIP_1) | instid1(VALU_DEP_1)
	v_fma_f64 v[75:76], v[77:78], v[83:84], v[75:76]
	s_waitcnt lgkmcnt(0)
	v_fma_f64 v[75:76], v[79:80], v[85:86], v[75:76]
	s_delay_alu instid0(VALU_DEP_1)
	v_add_f64 v[73:74], v[73:74], -v[75:76]
	scratch_store_b64 off, v[73:74], off offset:240
	v_cmpx_lt_u32_e32 29, v0
	s_cbranch_execz .LBB97_155
; %bb.154:
	scratch_load_b64 v[73:74], off, off offset:232
	v_mov_b32_e32 v2, v1
	scratch_store_b64 off, v[1:2], off offset:232
	s_waitcnt vmcnt(0)
	ds_store_b64 v3, v[73:74]
.LBB97_155:
	s_or_b32 exec_lo, exec_lo, s0
	s_waitcnt lgkmcnt(0)
	s_waitcnt_vscnt null, 0x0
	s_barrier
	buffer_gl0_inv
	s_clause 0x2
	scratch_load_b128 v[73:76], off, off offset:232
	scratch_load_b128 v[77:80], off, off offset:248
	scratch_load_b64 v[89:90], off, off offset:264
	ds_load_b128 v[81:84], v1 offset:512
	ds_load_b128 v[85:88], v1 offset:528
	s_mov_b32 s0, exec_lo
	s_waitcnt vmcnt(2) lgkmcnt(1)
	v_fma_f64 v[1:2], v[75:76], v[81:82], 0
	s_waitcnt vmcnt(1)
	s_delay_alu instid0(VALU_DEP_1) | instskip(SKIP_1) | instid1(VALU_DEP_1)
	v_fma_f64 v[1:2], v[77:78], v[83:84], v[1:2]
	s_waitcnt lgkmcnt(0)
	v_fma_f64 v[1:2], v[79:80], v[85:86], v[1:2]
	s_waitcnt vmcnt(0)
	s_delay_alu instid0(VALU_DEP_1) | instskip(NEXT) | instid1(VALU_DEP_1)
	v_fma_f64 v[1:2], v[89:90], v[87:88], v[1:2]
	v_add_f64 v[1:2], v[73:74], -v[1:2]
	scratch_store_b64 off, v[1:2], off offset:232
	v_cmpx_lt_u32_e32 28, v0
	s_cbranch_execz .LBB97_157
; %bb.156:
	scratch_load_b64 v[1:2], off, off offset:224
	v_mov_b32_e32 v73, 0
	s_delay_alu instid0(VALU_DEP_1)
	v_mov_b32_e32 v74, v73
	scratch_store_b64 off, v[73:74], off offset:224
	s_waitcnt vmcnt(0)
	ds_store_b64 v3, v[1:2]
.LBB97_157:
	s_or_b32 exec_lo, exec_lo, s0
	s_waitcnt lgkmcnt(0)
	s_waitcnt_vscnt null, 0x0
	s_barrier
	buffer_gl0_inv
	s_clause 0x2
	scratch_load_b128 v[73:76], off, off offset:224
	scratch_load_b128 v[77:80], off, off offset:240
	scratch_load_b128 v[81:84], off, off offset:256
	v_mov_b32_e32 v1, 0
	ds_load_2addr_b64 v[85:88], v1 offset0:63 offset1:64
	ds_load_2addr_b64 v[89:92], v1 offset0:65 offset1:66
	s_mov_b32 s0, exec_lo
	s_waitcnt vmcnt(2) lgkmcnt(1)
	v_fma_f64 v[75:76], v[75:76], v[85:86], 0
	s_waitcnt vmcnt(1)
	s_delay_alu instid0(VALU_DEP_1) | instskip(SKIP_4) | instid1(VALU_DEP_1)
	v_fma_f64 v[75:76], v[77:78], v[87:88], v[75:76]
	ds_load_b64 v[77:78], v1 offset:536
	s_waitcnt lgkmcnt(1)
	v_fma_f64 v[75:76], v[79:80], v[89:90], v[75:76]
	s_waitcnt vmcnt(0)
	v_fma_f64 v[75:76], v[81:82], v[91:92], v[75:76]
	s_waitcnt lgkmcnt(0)
	s_delay_alu instid0(VALU_DEP_1) | instskip(NEXT) | instid1(VALU_DEP_1)
	v_fma_f64 v[75:76], v[83:84], v[77:78], v[75:76]
	v_add_f64 v[73:74], v[73:74], -v[75:76]
	scratch_store_b64 off, v[73:74], off offset:224
	v_cmpx_lt_u32_e32 27, v0
	s_cbranch_execz .LBB97_159
; %bb.158:
	scratch_load_b64 v[73:74], off, off offset:216
	v_mov_b32_e32 v2, v1
	scratch_store_b64 off, v[1:2], off offset:216
	s_waitcnt vmcnt(0)
	ds_store_b64 v3, v[73:74]
.LBB97_159:
	s_or_b32 exec_lo, exec_lo, s0
	s_waitcnt lgkmcnt(0)
	s_waitcnt_vscnt null, 0x0
	s_barrier
	buffer_gl0_inv
	s_clause 0x3
	scratch_load_b128 v[73:76], off, off offset:216
	scratch_load_b128 v[77:80], off, off offset:232
	;; [unrolled: 1-line block ×3, first 2 shown]
	scratch_load_b64 v[93:94], off, off offset:264
	ds_load_b128 v[85:88], v1 offset:496
	ds_load_b128 v[89:92], v1 offset:512
	s_mov_b32 s0, exec_lo
	s_waitcnt vmcnt(3) lgkmcnt(1)
	v_fma_f64 v[75:76], v[75:76], v[85:86], 0
	s_waitcnt vmcnt(2)
	s_delay_alu instid0(VALU_DEP_1) | instskip(SKIP_1) | instid1(VALU_DEP_1)
	v_fma_f64 v[75:76], v[77:78], v[87:88], v[75:76]
	s_waitcnt lgkmcnt(0)
	v_fma_f64 v[75:76], v[79:80], v[89:90], v[75:76]
	s_waitcnt vmcnt(1)
	s_delay_alu instid0(VALU_DEP_1) | instskip(SKIP_4) | instid1(VALU_DEP_1)
	v_fma_f64 v[79:80], v[81:82], v[91:92], v[75:76]
	ds_load_b128 v[75:78], v1 offset:528
	s_waitcnt lgkmcnt(0)
	v_fma_f64 v[1:2], v[83:84], v[75:76], v[79:80]
	s_waitcnt vmcnt(0)
	v_fma_f64 v[1:2], v[93:94], v[77:78], v[1:2]
	s_delay_alu instid0(VALU_DEP_1)
	v_add_f64 v[1:2], v[73:74], -v[1:2]
	scratch_store_b64 off, v[1:2], off offset:216
	v_cmpx_lt_u32_e32 26, v0
	s_cbranch_execz .LBB97_161
; %bb.160:
	scratch_load_b64 v[1:2], off, off offset:208
	v_mov_b32_e32 v73, 0
	s_delay_alu instid0(VALU_DEP_1)
	v_mov_b32_e32 v74, v73
	scratch_store_b64 off, v[73:74], off offset:208
	s_waitcnt vmcnt(0)
	ds_store_b64 v3, v[1:2]
.LBB97_161:
	s_or_b32 exec_lo, exec_lo, s0
	s_waitcnt lgkmcnt(0)
	s_waitcnt_vscnt null, 0x0
	s_barrier
	buffer_gl0_inv
	s_clause 0x3
	scratch_load_b128 v[73:76], off, off offset:208
	scratch_load_b128 v[77:80], off, off offset:224
	;; [unrolled: 1-line block ×4, first 2 shown]
	v_mov_b32_e32 v1, 0
	s_mov_b32 s0, exec_lo
	ds_load_2addr_b64 v[89:92], v1 offset0:61 offset1:62
	s_waitcnt vmcnt(3) lgkmcnt(0)
	v_fma_f64 v[75:76], v[75:76], v[89:90], 0
	s_waitcnt vmcnt(2)
	s_delay_alu instid0(VALU_DEP_1) | instskip(SKIP_4) | instid1(VALU_DEP_1)
	v_fma_f64 v[89:90], v[77:78], v[91:92], v[75:76]
	ds_load_2addr_b64 v[75:78], v1 offset0:63 offset1:64
	s_waitcnt lgkmcnt(0)
	v_fma_f64 v[75:76], v[79:80], v[75:76], v[89:90]
	s_waitcnt vmcnt(1)
	v_fma_f64 v[79:80], v[81:82], v[77:78], v[75:76]
	ds_load_2addr_b64 v[75:78], v1 offset0:65 offset1:66
	s_waitcnt lgkmcnt(0)
	v_fma_f64 v[75:76], v[83:84], v[75:76], v[79:80]
	s_waitcnt vmcnt(0)
	s_delay_alu instid0(VALU_DEP_1) | instskip(SKIP_3) | instid1(VALU_DEP_1)
	v_fma_f64 v[75:76], v[85:86], v[77:78], v[75:76]
	ds_load_b64 v[77:78], v1 offset:536
	s_waitcnt lgkmcnt(0)
	v_fma_f64 v[75:76], v[87:88], v[77:78], v[75:76]
	v_add_f64 v[73:74], v[73:74], -v[75:76]
	scratch_store_b64 off, v[73:74], off offset:208
	v_cmpx_lt_u32_e32 25, v0
	s_cbranch_execz .LBB97_163
; %bb.162:
	scratch_load_b64 v[73:74], off, off offset:200
	v_mov_b32_e32 v2, v1
	scratch_store_b64 off, v[1:2], off offset:200
	s_waitcnt vmcnt(0)
	ds_store_b64 v3, v[73:74]
.LBB97_163:
	s_or_b32 exec_lo, exec_lo, s0
	s_waitcnt lgkmcnt(0)
	s_waitcnt_vscnt null, 0x0
	s_barrier
	buffer_gl0_inv
	s_clause 0x4
	scratch_load_b128 v[73:76], off, off offset:200
	scratch_load_b128 v[77:80], off, off offset:216
	;; [unrolled: 1-line block ×4, first 2 shown]
	scratch_load_b64 v[93:94], off, off offset:264
	ds_load_b128 v[89:92], v1 offset:480
	s_mov_b32 s0, exec_lo
	s_waitcnt vmcnt(4) lgkmcnt(0)
	v_fma_f64 v[75:76], v[75:76], v[89:90], 0
	s_waitcnt vmcnt(3)
	s_delay_alu instid0(VALU_DEP_1) | instskip(SKIP_4) | instid1(VALU_DEP_1)
	v_fma_f64 v[89:90], v[77:78], v[91:92], v[75:76]
	ds_load_b128 v[75:78], v1 offset:496
	s_waitcnt lgkmcnt(0)
	v_fma_f64 v[75:76], v[79:80], v[75:76], v[89:90]
	s_waitcnt vmcnt(2)
	v_fma_f64 v[79:80], v[81:82], v[77:78], v[75:76]
	ds_load_b128 v[75:78], v1 offset:512
	s_waitcnt lgkmcnt(0)
	v_fma_f64 v[75:76], v[83:84], v[75:76], v[79:80]
	s_waitcnt vmcnt(1)
	s_delay_alu instid0(VALU_DEP_1) | instskip(SKIP_4) | instid1(VALU_DEP_1)
	v_fma_f64 v[79:80], v[85:86], v[77:78], v[75:76]
	ds_load_b128 v[75:78], v1 offset:528
	s_waitcnt lgkmcnt(0)
	v_fma_f64 v[1:2], v[87:88], v[75:76], v[79:80]
	s_waitcnt vmcnt(0)
	v_fma_f64 v[1:2], v[93:94], v[77:78], v[1:2]
	s_delay_alu instid0(VALU_DEP_1)
	v_add_f64 v[1:2], v[73:74], -v[1:2]
	scratch_store_b64 off, v[1:2], off offset:200
	v_cmpx_lt_u32_e32 24, v0
	s_cbranch_execz .LBB97_165
; %bb.164:
	scratch_load_b64 v[1:2], off, off offset:192
	v_mov_b32_e32 v73, 0
	s_delay_alu instid0(VALU_DEP_1)
	v_mov_b32_e32 v74, v73
	scratch_store_b64 off, v[73:74], off offset:192
	s_waitcnt vmcnt(0)
	ds_store_b64 v3, v[1:2]
.LBB97_165:
	s_or_b32 exec_lo, exec_lo, s0
	s_waitcnt lgkmcnt(0)
	s_waitcnt_vscnt null, 0x0
	s_barrier
	buffer_gl0_inv
	s_clause 0x4
	scratch_load_b128 v[73:76], off, off offset:192
	scratch_load_b128 v[77:80], off, off offset:208
	;; [unrolled: 1-line block ×5, first 2 shown]
	v_mov_b32_e32 v1, 0
	s_mov_b32 s0, exec_lo
	ds_load_2addr_b64 v[93:96], v1 offset0:59 offset1:60
	s_waitcnt vmcnt(4) lgkmcnt(0)
	v_fma_f64 v[75:76], v[75:76], v[93:94], 0
	s_waitcnt vmcnt(3)
	s_delay_alu instid0(VALU_DEP_1) | instskip(SKIP_4) | instid1(VALU_DEP_1)
	v_fma_f64 v[93:94], v[77:78], v[95:96], v[75:76]
	ds_load_2addr_b64 v[75:78], v1 offset0:61 offset1:62
	s_waitcnt lgkmcnt(0)
	v_fma_f64 v[75:76], v[79:80], v[75:76], v[93:94]
	s_waitcnt vmcnt(2)
	v_fma_f64 v[79:80], v[81:82], v[77:78], v[75:76]
	ds_load_2addr_b64 v[75:78], v1 offset0:63 offset1:64
	s_waitcnt lgkmcnt(0)
	v_fma_f64 v[75:76], v[83:84], v[75:76], v[79:80]
	s_waitcnt vmcnt(1)
	s_delay_alu instid0(VALU_DEP_1) | instskip(SKIP_4) | instid1(VALU_DEP_1)
	v_fma_f64 v[79:80], v[85:86], v[77:78], v[75:76]
	ds_load_2addr_b64 v[75:78], v1 offset0:65 offset1:66
	s_waitcnt lgkmcnt(0)
	v_fma_f64 v[75:76], v[87:88], v[75:76], v[79:80]
	s_waitcnt vmcnt(0)
	v_fma_f64 v[75:76], v[89:90], v[77:78], v[75:76]
	ds_load_b64 v[77:78], v1 offset:536
	s_waitcnt lgkmcnt(0)
	v_fma_f64 v[75:76], v[91:92], v[77:78], v[75:76]
	s_delay_alu instid0(VALU_DEP_1)
	v_add_f64 v[73:74], v[73:74], -v[75:76]
	scratch_store_b64 off, v[73:74], off offset:192
	v_cmpx_lt_u32_e32 23, v0
	s_cbranch_execz .LBB97_167
; %bb.166:
	scratch_load_b64 v[73:74], off, off offset:184
	v_mov_b32_e32 v2, v1
	scratch_store_b64 off, v[1:2], off offset:184
	s_waitcnt vmcnt(0)
	ds_store_b64 v3, v[73:74]
.LBB97_167:
	s_or_b32 exec_lo, exec_lo, s0
	s_waitcnt lgkmcnt(0)
	s_waitcnt_vscnt null, 0x0
	s_barrier
	buffer_gl0_inv
	s_clause 0x4
	scratch_load_b128 v[73:76], off, off offset:184
	scratch_load_b128 v[77:80], off, off offset:200
	;; [unrolled: 1-line block ×5, first 2 shown]
	ds_load_b128 v[93:96], v1 offset:464
	ds_load_b128 v[97:100], v1 offset:480
	s_mov_b32 s0, exec_lo
	s_waitcnt vmcnt(4) lgkmcnt(1)
	v_fma_f64 v[75:76], v[75:76], v[93:94], 0
	scratch_load_b64 v[93:94], off, off offset:264
	s_waitcnt vmcnt(4)
	v_fma_f64 v[75:76], v[77:78], v[95:96], v[75:76]
	s_waitcnt lgkmcnt(0)
	s_delay_alu instid0(VALU_DEP_1) | instskip(SKIP_1) | instid1(VALU_DEP_1)
	v_fma_f64 v[75:76], v[79:80], v[97:98], v[75:76]
	s_waitcnt vmcnt(3)
	v_fma_f64 v[95:96], v[81:82], v[99:100], v[75:76]
	ds_load_b128 v[75:78], v1 offset:496
	ds_load_b128 v[79:82], v1 offset:512
	s_waitcnt lgkmcnt(1)
	v_fma_f64 v[75:76], v[83:84], v[75:76], v[95:96]
	s_waitcnt vmcnt(2)
	s_delay_alu instid0(VALU_DEP_1) | instskip(SKIP_1) | instid1(VALU_DEP_1)
	v_fma_f64 v[75:76], v[85:86], v[77:78], v[75:76]
	s_waitcnt lgkmcnt(0)
	v_fma_f64 v[75:76], v[87:88], v[79:80], v[75:76]
	s_waitcnt vmcnt(1)
	s_delay_alu instid0(VALU_DEP_1) | instskip(SKIP_4) | instid1(VALU_DEP_1)
	v_fma_f64 v[79:80], v[89:90], v[81:82], v[75:76]
	ds_load_b128 v[75:78], v1 offset:528
	s_waitcnt lgkmcnt(0)
	v_fma_f64 v[1:2], v[91:92], v[75:76], v[79:80]
	s_waitcnt vmcnt(0)
	v_fma_f64 v[1:2], v[93:94], v[77:78], v[1:2]
	s_delay_alu instid0(VALU_DEP_1)
	v_add_f64 v[1:2], v[73:74], -v[1:2]
	scratch_store_b64 off, v[1:2], off offset:184
	v_cmpx_lt_u32_e32 22, v0
	s_cbranch_execz .LBB97_169
; %bb.168:
	scratch_load_b64 v[1:2], off, off offset:176
	v_mov_b32_e32 v73, 0
	s_delay_alu instid0(VALU_DEP_1)
	v_mov_b32_e32 v74, v73
	scratch_store_b64 off, v[73:74], off offset:176
	s_waitcnt vmcnt(0)
	ds_store_b64 v3, v[1:2]
.LBB97_169:
	s_or_b32 exec_lo, exec_lo, s0
	s_waitcnt lgkmcnt(0)
	s_waitcnt_vscnt null, 0x0
	s_barrier
	buffer_gl0_inv
	s_clause 0x4
	scratch_load_b128 v[73:76], off, off offset:176
	scratch_load_b128 v[77:80], off, off offset:192
	;; [unrolled: 1-line block ×5, first 2 shown]
	v_mov_b32_e32 v1, 0
	ds_load_2addr_b64 v[93:96], v1 offset0:57 offset1:58
	ds_load_2addr_b64 v[97:100], v1 offset0:59 offset1:60
	scratch_load_b128 v[101:104], off, off offset:256
	s_mov_b32 s0, exec_lo
	s_waitcnt vmcnt(5) lgkmcnt(1)
	v_fma_f64 v[75:76], v[75:76], v[93:94], 0
	s_waitcnt vmcnt(4)
	s_delay_alu instid0(VALU_DEP_1) | instskip(SKIP_1) | instid1(VALU_DEP_1)
	v_fma_f64 v[75:76], v[77:78], v[95:96], v[75:76]
	s_waitcnt lgkmcnt(0)
	v_fma_f64 v[75:76], v[79:80], v[97:98], v[75:76]
	s_waitcnt vmcnt(3)
	s_delay_alu instid0(VALU_DEP_1)
	v_fma_f64 v[93:94], v[81:82], v[99:100], v[75:76]
	ds_load_2addr_b64 v[75:78], v1 offset0:61 offset1:62
	ds_load_2addr_b64 v[79:82], v1 offset0:63 offset1:64
	s_waitcnt lgkmcnt(1)
	v_fma_f64 v[75:76], v[83:84], v[75:76], v[93:94]
	s_waitcnt vmcnt(2)
	s_delay_alu instid0(VALU_DEP_1) | instskip(SKIP_1) | instid1(VALU_DEP_1)
	v_fma_f64 v[75:76], v[85:86], v[77:78], v[75:76]
	s_waitcnt lgkmcnt(0)
	v_fma_f64 v[75:76], v[87:88], v[79:80], v[75:76]
	s_waitcnt vmcnt(1)
	s_delay_alu instid0(VALU_DEP_1)
	v_fma_f64 v[79:80], v[89:90], v[81:82], v[75:76]
	ds_load_2addr_b64 v[75:78], v1 offset0:65 offset1:66
	ds_load_b64 v[81:82], v1 offset:536
	s_waitcnt lgkmcnt(1)
	v_fma_f64 v[75:76], v[91:92], v[75:76], v[79:80]
	s_waitcnt vmcnt(0)
	s_delay_alu instid0(VALU_DEP_1) | instskip(SKIP_1) | instid1(VALU_DEP_1)
	v_fma_f64 v[75:76], v[101:102], v[77:78], v[75:76]
	s_waitcnt lgkmcnt(0)
	v_fma_f64 v[75:76], v[103:104], v[81:82], v[75:76]
	s_delay_alu instid0(VALU_DEP_1)
	v_add_f64 v[73:74], v[73:74], -v[75:76]
	scratch_store_b64 off, v[73:74], off offset:176
	v_cmpx_lt_u32_e32 21, v0
	s_cbranch_execz .LBB97_171
; %bb.170:
	scratch_load_b64 v[73:74], off, off offset:168
	v_mov_b32_e32 v2, v1
	scratch_store_b64 off, v[1:2], off offset:168
	s_waitcnt vmcnt(0)
	ds_store_b64 v3, v[73:74]
.LBB97_171:
	s_or_b32 exec_lo, exec_lo, s0
	s_waitcnt lgkmcnt(0)
	s_waitcnt_vscnt null, 0x0
	s_barrier
	buffer_gl0_inv
	s_clause 0x4
	scratch_load_b128 v[73:76], off, off offset:168
	scratch_load_b128 v[77:80], off, off offset:184
	;; [unrolled: 1-line block ×5, first 2 shown]
	ds_load_b128 v[93:96], v1 offset:448
	ds_load_b128 v[97:100], v1 offset:464
	scratch_load_b128 v[101:104], off, off offset:248
	s_mov_b32 s0, exec_lo
	s_waitcnt vmcnt(5) lgkmcnt(1)
	v_fma_f64 v[75:76], v[75:76], v[93:94], 0
	scratch_load_b64 v[93:94], off, off offset:264
	s_waitcnt vmcnt(5)
	v_fma_f64 v[75:76], v[77:78], v[95:96], v[75:76]
	s_waitcnt lgkmcnt(0)
	s_delay_alu instid0(VALU_DEP_1) | instskip(SKIP_1) | instid1(VALU_DEP_1)
	v_fma_f64 v[75:76], v[79:80], v[97:98], v[75:76]
	s_waitcnt vmcnt(4)
	v_fma_f64 v[95:96], v[81:82], v[99:100], v[75:76]
	ds_load_b128 v[75:78], v1 offset:480
	ds_load_b128 v[79:82], v1 offset:496
	s_waitcnt lgkmcnt(1)
	v_fma_f64 v[75:76], v[83:84], v[75:76], v[95:96]
	s_waitcnt vmcnt(3)
	s_delay_alu instid0(VALU_DEP_1) | instskip(SKIP_1) | instid1(VALU_DEP_1)
	v_fma_f64 v[75:76], v[85:86], v[77:78], v[75:76]
	s_waitcnt lgkmcnt(0)
	v_fma_f64 v[75:76], v[87:88], v[79:80], v[75:76]
	s_waitcnt vmcnt(2)
	s_delay_alu instid0(VALU_DEP_1)
	v_fma_f64 v[83:84], v[89:90], v[81:82], v[75:76]
	ds_load_b128 v[75:78], v1 offset:512
	ds_load_b128 v[79:82], v1 offset:528
	s_waitcnt lgkmcnt(1)
	v_fma_f64 v[1:2], v[91:92], v[75:76], v[83:84]
	s_waitcnt vmcnt(1)
	s_delay_alu instid0(VALU_DEP_1) | instskip(SKIP_1) | instid1(VALU_DEP_1)
	v_fma_f64 v[1:2], v[101:102], v[77:78], v[1:2]
	s_waitcnt lgkmcnt(0)
	v_fma_f64 v[1:2], v[103:104], v[79:80], v[1:2]
	s_waitcnt vmcnt(0)
	s_delay_alu instid0(VALU_DEP_1) | instskip(NEXT) | instid1(VALU_DEP_1)
	v_fma_f64 v[1:2], v[93:94], v[81:82], v[1:2]
	v_add_f64 v[1:2], v[73:74], -v[1:2]
	scratch_store_b64 off, v[1:2], off offset:168
	v_cmpx_lt_u32_e32 20, v0
	s_cbranch_execz .LBB97_173
; %bb.172:
	scratch_load_b64 v[1:2], off, off offset:160
	v_mov_b32_e32 v73, 0
	s_delay_alu instid0(VALU_DEP_1)
	v_mov_b32_e32 v74, v73
	scratch_store_b64 off, v[73:74], off offset:160
	s_waitcnt vmcnt(0)
	ds_store_b64 v3, v[1:2]
.LBB97_173:
	s_or_b32 exec_lo, exec_lo, s0
	s_waitcnt lgkmcnt(0)
	s_waitcnt_vscnt null, 0x0
	s_barrier
	buffer_gl0_inv
	s_clause 0x4
	scratch_load_b128 v[73:76], off, off offset:160
	scratch_load_b128 v[77:80], off, off offset:176
	;; [unrolled: 1-line block ×5, first 2 shown]
	v_mov_b32_e32 v1, 0
	ds_load_2addr_b64 v[93:96], v1 offset0:55 offset1:56
	ds_load_2addr_b64 v[97:100], v1 offset0:57 offset1:58
	scratch_load_b128 v[101:104], off, off offset:240
	s_mov_b32 s0, exec_lo
	s_waitcnt vmcnt(5) lgkmcnt(1)
	v_fma_f64 v[75:76], v[75:76], v[93:94], 0
	s_waitcnt vmcnt(4)
	s_delay_alu instid0(VALU_DEP_1) | instskip(SKIP_1) | instid1(VALU_DEP_1)
	v_fma_f64 v[75:76], v[77:78], v[95:96], v[75:76]
	s_waitcnt lgkmcnt(0)
	v_fma_f64 v[79:80], v[79:80], v[97:98], v[75:76]
	scratch_load_b128 v[75:78], off, off offset:256
	s_waitcnt vmcnt(4)
	v_fma_f64 v[97:98], v[81:82], v[99:100], v[79:80]
	ds_load_2addr_b64 v[79:82], v1 offset0:59 offset1:60
	ds_load_2addr_b64 v[93:96], v1 offset0:61 offset1:62
	s_waitcnt lgkmcnt(1)
	v_fma_f64 v[79:80], v[83:84], v[79:80], v[97:98]
	s_waitcnt vmcnt(3)
	s_delay_alu instid0(VALU_DEP_1) | instskip(SKIP_1) | instid1(VALU_DEP_1)
	v_fma_f64 v[79:80], v[85:86], v[81:82], v[79:80]
	s_waitcnt lgkmcnt(0)
	v_fma_f64 v[79:80], v[87:88], v[93:94], v[79:80]
	s_waitcnt vmcnt(2)
	s_delay_alu instid0(VALU_DEP_1)
	v_fma_f64 v[87:88], v[89:90], v[95:96], v[79:80]
	ds_load_2addr_b64 v[79:82], v1 offset0:63 offset1:64
	ds_load_2addr_b64 v[83:86], v1 offset0:65 offset1:66
	s_waitcnt lgkmcnt(1)
	v_fma_f64 v[79:80], v[91:92], v[79:80], v[87:88]
	s_waitcnt vmcnt(1)
	s_delay_alu instid0(VALU_DEP_1) | instskip(SKIP_1) | instid1(VALU_DEP_1)
	v_fma_f64 v[79:80], v[101:102], v[81:82], v[79:80]
	s_waitcnt lgkmcnt(0)
	v_fma_f64 v[79:80], v[103:104], v[83:84], v[79:80]
	s_waitcnt vmcnt(0)
	s_delay_alu instid0(VALU_DEP_1) | instskip(SKIP_3) | instid1(VALU_DEP_1)
	v_fma_f64 v[75:76], v[75:76], v[85:86], v[79:80]
	ds_load_b64 v[79:80], v1 offset:536
	s_waitcnt lgkmcnt(0)
	v_fma_f64 v[75:76], v[77:78], v[79:80], v[75:76]
	v_add_f64 v[73:74], v[73:74], -v[75:76]
	scratch_store_b64 off, v[73:74], off offset:160
	v_cmpx_lt_u32_e32 19, v0
	s_cbranch_execz .LBB97_175
; %bb.174:
	scratch_load_b64 v[73:74], off, off offset:152
	v_mov_b32_e32 v2, v1
	scratch_store_b64 off, v[1:2], off offset:152
	s_waitcnt vmcnt(0)
	ds_store_b64 v3, v[73:74]
.LBB97_175:
	s_or_b32 exec_lo, exec_lo, s0
	s_waitcnt lgkmcnt(0)
	s_waitcnt_vscnt null, 0x0
	s_barrier
	buffer_gl0_inv
	s_clause 0x4
	scratch_load_b128 v[73:76], off, off offset:152
	scratch_load_b128 v[77:80], off, off offset:168
	;; [unrolled: 1-line block ×5, first 2 shown]
	ds_load_b128 v[93:96], v1 offset:432
	ds_load_b128 v[97:100], v1 offset:448
	scratch_load_b128 v[101:104], off, off offset:232
	s_mov_b32 s0, exec_lo
	s_waitcnt vmcnt(5) lgkmcnt(1)
	v_fma_f64 v[75:76], v[75:76], v[93:94], 0
	s_waitcnt vmcnt(4)
	s_delay_alu instid0(VALU_DEP_1) | instskip(SKIP_1) | instid1(VALU_DEP_1)
	v_fma_f64 v[75:76], v[77:78], v[95:96], v[75:76]
	s_waitcnt lgkmcnt(0)
	v_fma_f64 v[79:80], v[79:80], v[97:98], v[75:76]
	scratch_load_b128 v[75:78], off, off offset:248
	s_waitcnt vmcnt(4)
	v_fma_f64 v[97:98], v[81:82], v[99:100], v[79:80]
	ds_load_b128 v[79:82], v1 offset:464
	ds_load_b128 v[93:96], v1 offset:480
	s_waitcnt lgkmcnt(1)
	v_fma_f64 v[79:80], v[83:84], v[79:80], v[97:98]
	scratch_load_b64 v[97:98], off, off offset:264
	s_waitcnt vmcnt(4)
	v_fma_f64 v[79:80], v[85:86], v[81:82], v[79:80]
	s_waitcnt lgkmcnt(0)
	s_delay_alu instid0(VALU_DEP_1) | instskip(SKIP_1) | instid1(VALU_DEP_1)
	v_fma_f64 v[79:80], v[87:88], v[93:94], v[79:80]
	s_waitcnt vmcnt(3)
	v_fma_f64 v[87:88], v[89:90], v[95:96], v[79:80]
	ds_load_b128 v[79:82], v1 offset:496
	ds_load_b128 v[83:86], v1 offset:512
	s_waitcnt lgkmcnt(1)
	v_fma_f64 v[79:80], v[91:92], v[79:80], v[87:88]
	s_waitcnt vmcnt(2)
	s_delay_alu instid0(VALU_DEP_1) | instskip(SKIP_1) | instid1(VALU_DEP_1)
	v_fma_f64 v[79:80], v[101:102], v[81:82], v[79:80]
	s_waitcnt lgkmcnt(0)
	v_fma_f64 v[79:80], v[103:104], v[83:84], v[79:80]
	s_waitcnt vmcnt(1)
	s_delay_alu instid0(VALU_DEP_1) | instskip(SKIP_4) | instid1(VALU_DEP_1)
	v_fma_f64 v[75:76], v[75:76], v[85:86], v[79:80]
	ds_load_b128 v[79:82], v1 offset:528
	s_waitcnt lgkmcnt(0)
	v_fma_f64 v[1:2], v[77:78], v[79:80], v[75:76]
	s_waitcnt vmcnt(0)
	v_fma_f64 v[1:2], v[97:98], v[81:82], v[1:2]
	s_delay_alu instid0(VALU_DEP_1)
	v_add_f64 v[1:2], v[73:74], -v[1:2]
	scratch_store_b64 off, v[1:2], off offset:152
	v_cmpx_lt_u32_e32 18, v0
	s_cbranch_execz .LBB97_177
; %bb.176:
	scratch_load_b64 v[1:2], off, off offset:144
	v_mov_b32_e32 v73, 0
	s_delay_alu instid0(VALU_DEP_1)
	v_mov_b32_e32 v74, v73
	scratch_store_b64 off, v[73:74], off offset:144
	s_waitcnt vmcnt(0)
	ds_store_b64 v3, v[1:2]
.LBB97_177:
	s_or_b32 exec_lo, exec_lo, s0
	s_waitcnt lgkmcnt(0)
	s_waitcnt_vscnt null, 0x0
	s_barrier
	buffer_gl0_inv
	s_clause 0x4
	scratch_load_b128 v[73:76], off, off offset:144
	scratch_load_b128 v[77:80], off, off offset:160
	;; [unrolled: 1-line block ×5, first 2 shown]
	v_mov_b32_e32 v1, 0
	ds_load_2addr_b64 v[93:96], v1 offset0:53 offset1:54
	ds_load_2addr_b64 v[97:100], v1 offset0:55 offset1:56
	scratch_load_b128 v[101:104], off, off offset:224
	s_mov_b32 s0, exec_lo
	s_waitcnt vmcnt(5) lgkmcnt(1)
	v_fma_f64 v[75:76], v[75:76], v[93:94], 0
	s_waitcnt vmcnt(4)
	s_delay_alu instid0(VALU_DEP_1) | instskip(SKIP_1) | instid1(VALU_DEP_1)
	v_fma_f64 v[75:76], v[77:78], v[95:96], v[75:76]
	s_waitcnt lgkmcnt(0)
	v_fma_f64 v[79:80], v[79:80], v[97:98], v[75:76]
	scratch_load_b128 v[75:78], off, off offset:240
	s_waitcnt vmcnt(4)
	v_fma_f64 v[97:98], v[81:82], v[99:100], v[79:80]
	ds_load_2addr_b64 v[79:82], v1 offset0:57 offset1:58
	ds_load_2addr_b64 v[93:96], v1 offset0:59 offset1:60
	s_waitcnt lgkmcnt(1)
	v_fma_f64 v[79:80], v[83:84], v[79:80], v[97:98]
	scratch_load_b128 v[97:100], off, off offset:256
	s_waitcnt vmcnt(4)
	v_fma_f64 v[79:80], v[85:86], v[81:82], v[79:80]
	s_waitcnt lgkmcnt(0)
	s_delay_alu instid0(VALU_DEP_1) | instskip(SKIP_1) | instid1(VALU_DEP_1)
	v_fma_f64 v[79:80], v[87:88], v[93:94], v[79:80]
	s_waitcnt vmcnt(3)
	v_fma_f64 v[87:88], v[89:90], v[95:96], v[79:80]
	ds_load_2addr_b64 v[79:82], v1 offset0:61 offset1:62
	ds_load_2addr_b64 v[83:86], v1 offset0:63 offset1:64
	s_waitcnt lgkmcnt(1)
	v_fma_f64 v[79:80], v[91:92], v[79:80], v[87:88]
	s_waitcnt vmcnt(2)
	s_delay_alu instid0(VALU_DEP_1) | instskip(SKIP_1) | instid1(VALU_DEP_1)
	v_fma_f64 v[79:80], v[101:102], v[81:82], v[79:80]
	s_waitcnt lgkmcnt(0)
	v_fma_f64 v[79:80], v[103:104], v[83:84], v[79:80]
	s_waitcnt vmcnt(1)
	s_delay_alu instid0(VALU_DEP_1)
	v_fma_f64 v[75:76], v[75:76], v[85:86], v[79:80]
	ds_load_2addr_b64 v[79:82], v1 offset0:65 offset1:66
	ds_load_b64 v[83:84], v1 offset:536
	s_waitcnt lgkmcnt(1)
	v_fma_f64 v[75:76], v[77:78], v[79:80], v[75:76]
	s_waitcnt vmcnt(0)
	s_delay_alu instid0(VALU_DEP_1) | instskip(SKIP_1) | instid1(VALU_DEP_1)
	v_fma_f64 v[75:76], v[97:98], v[81:82], v[75:76]
	s_waitcnt lgkmcnt(0)
	v_fma_f64 v[75:76], v[99:100], v[83:84], v[75:76]
	s_delay_alu instid0(VALU_DEP_1)
	v_add_f64 v[73:74], v[73:74], -v[75:76]
	scratch_store_b64 off, v[73:74], off offset:144
	v_cmpx_lt_u32_e32 17, v0
	s_cbranch_execz .LBB97_179
; %bb.178:
	scratch_load_b64 v[73:74], off, off offset:136
	v_mov_b32_e32 v2, v1
	scratch_store_b64 off, v[1:2], off offset:136
	s_waitcnt vmcnt(0)
	ds_store_b64 v3, v[73:74]
.LBB97_179:
	s_or_b32 exec_lo, exec_lo, s0
	s_waitcnt lgkmcnt(0)
	s_waitcnt_vscnt null, 0x0
	s_barrier
	buffer_gl0_inv
	s_clause 0x4
	scratch_load_b128 v[73:76], off, off offset:136
	scratch_load_b128 v[77:80], off, off offset:152
	;; [unrolled: 1-line block ×5, first 2 shown]
	ds_load_b128 v[93:96], v1 offset:416
	ds_load_b128 v[97:100], v1 offset:432
	scratch_load_b128 v[101:104], off, off offset:216
	s_mov_b32 s0, exec_lo
	s_waitcnt vmcnt(5) lgkmcnt(1)
	v_fma_f64 v[75:76], v[75:76], v[93:94], 0
	s_waitcnt vmcnt(4)
	s_delay_alu instid0(VALU_DEP_1) | instskip(SKIP_1) | instid1(VALU_DEP_1)
	v_fma_f64 v[75:76], v[77:78], v[95:96], v[75:76]
	s_waitcnt lgkmcnt(0)
	v_fma_f64 v[79:80], v[79:80], v[97:98], v[75:76]
	scratch_load_b128 v[75:78], off, off offset:232
	s_waitcnt vmcnt(4)
	v_fma_f64 v[97:98], v[81:82], v[99:100], v[79:80]
	ds_load_b128 v[79:82], v1 offset:448
	ds_load_b128 v[93:96], v1 offset:464
	s_waitcnt lgkmcnt(1)
	v_fma_f64 v[79:80], v[83:84], v[79:80], v[97:98]
	scratch_load_b128 v[97:100], off, off offset:248
	s_waitcnt vmcnt(4)
	v_fma_f64 v[79:80], v[85:86], v[81:82], v[79:80]
	s_waitcnt lgkmcnt(0)
	s_delay_alu instid0(VALU_DEP_1)
	v_fma_f64 v[79:80], v[87:88], v[93:94], v[79:80]
	scratch_load_b64 v[87:88], off, off offset:264
	s_waitcnt vmcnt(4)
	v_fma_f64 v[89:90], v[89:90], v[95:96], v[79:80]
	ds_load_b128 v[79:82], v1 offset:480
	ds_load_b128 v[83:86], v1 offset:496
	s_waitcnt lgkmcnt(1)
	v_fma_f64 v[79:80], v[91:92], v[79:80], v[89:90]
	s_waitcnt vmcnt(3)
	s_delay_alu instid0(VALU_DEP_1) | instskip(SKIP_1) | instid1(VALU_DEP_1)
	v_fma_f64 v[79:80], v[101:102], v[81:82], v[79:80]
	s_waitcnt lgkmcnt(0)
	v_fma_f64 v[79:80], v[103:104], v[83:84], v[79:80]
	s_waitcnt vmcnt(2)
	s_delay_alu instid0(VALU_DEP_1)
	v_fma_f64 v[75:76], v[75:76], v[85:86], v[79:80]
	ds_load_b128 v[79:82], v1 offset:512
	ds_load_b128 v[83:86], v1 offset:528
	s_waitcnt lgkmcnt(1)
	v_fma_f64 v[1:2], v[77:78], v[79:80], v[75:76]
	s_waitcnt vmcnt(1)
	s_delay_alu instid0(VALU_DEP_1) | instskip(SKIP_1) | instid1(VALU_DEP_1)
	v_fma_f64 v[1:2], v[97:98], v[81:82], v[1:2]
	s_waitcnt lgkmcnt(0)
	v_fma_f64 v[1:2], v[99:100], v[83:84], v[1:2]
	s_waitcnt vmcnt(0)
	s_delay_alu instid0(VALU_DEP_1) | instskip(NEXT) | instid1(VALU_DEP_1)
	v_fma_f64 v[1:2], v[87:88], v[85:86], v[1:2]
	v_add_f64 v[1:2], v[73:74], -v[1:2]
	scratch_store_b64 off, v[1:2], off offset:136
	v_cmpx_lt_u32_e32 16, v0
	s_cbranch_execz .LBB97_181
; %bb.180:
	scratch_load_b64 v[1:2], off, off offset:128
	v_mov_b32_e32 v73, 0
	s_delay_alu instid0(VALU_DEP_1)
	v_mov_b32_e32 v74, v73
	scratch_store_b64 off, v[73:74], off offset:128
	s_waitcnt vmcnt(0)
	ds_store_b64 v3, v[1:2]
.LBB97_181:
	s_or_b32 exec_lo, exec_lo, s0
	s_waitcnt lgkmcnt(0)
	s_waitcnt_vscnt null, 0x0
	s_barrier
	buffer_gl0_inv
	s_clause 0x4
	scratch_load_b128 v[73:76], off, off offset:128
	scratch_load_b128 v[77:80], off, off offset:144
	;; [unrolled: 1-line block ×5, first 2 shown]
	v_mov_b32_e32 v1, 0
	ds_load_2addr_b64 v[93:96], v1 offset0:51 offset1:52
	ds_load_2addr_b64 v[97:100], v1 offset0:53 offset1:54
	scratch_load_b128 v[101:104], off, off offset:208
	s_mov_b32 s0, exec_lo
	s_waitcnt vmcnt(5) lgkmcnt(1)
	v_fma_f64 v[75:76], v[75:76], v[93:94], 0
	s_waitcnt vmcnt(4)
	s_delay_alu instid0(VALU_DEP_1) | instskip(SKIP_1) | instid1(VALU_DEP_1)
	v_fma_f64 v[75:76], v[77:78], v[95:96], v[75:76]
	s_waitcnt lgkmcnt(0)
	v_fma_f64 v[79:80], v[79:80], v[97:98], v[75:76]
	scratch_load_b128 v[75:78], off, off offset:224
	s_waitcnt vmcnt(4)
	v_fma_f64 v[97:98], v[81:82], v[99:100], v[79:80]
	ds_load_2addr_b64 v[79:82], v1 offset0:55 offset1:56
	ds_load_2addr_b64 v[93:96], v1 offset0:57 offset1:58
	s_waitcnt lgkmcnt(1)
	v_fma_f64 v[79:80], v[83:84], v[79:80], v[97:98]
	scratch_load_b128 v[97:100], off, off offset:240
	s_waitcnt vmcnt(4)
	v_fma_f64 v[79:80], v[85:86], v[81:82], v[79:80]
	s_waitcnt lgkmcnt(0)
	s_delay_alu instid0(VALU_DEP_1)
	v_fma_f64 v[83:84], v[87:88], v[93:94], v[79:80]
	scratch_load_b128 v[79:82], off, off offset:256
	s_waitcnt vmcnt(4)
	v_fma_f64 v[93:94], v[89:90], v[95:96], v[83:84]
	ds_load_2addr_b64 v[83:86], v1 offset0:59 offset1:60
	ds_load_2addr_b64 v[87:90], v1 offset0:61 offset1:62
	s_waitcnt lgkmcnt(1)
	v_fma_f64 v[83:84], v[91:92], v[83:84], v[93:94]
	s_waitcnt vmcnt(3)
	s_delay_alu instid0(VALU_DEP_1) | instskip(SKIP_1) | instid1(VALU_DEP_1)
	v_fma_f64 v[83:84], v[101:102], v[85:86], v[83:84]
	s_waitcnt lgkmcnt(0)
	v_fma_f64 v[83:84], v[103:104], v[87:88], v[83:84]
	s_waitcnt vmcnt(2)
	s_delay_alu instid0(VALU_DEP_1)
	v_fma_f64 v[75:76], v[75:76], v[89:90], v[83:84]
	ds_load_2addr_b64 v[83:86], v1 offset0:63 offset1:64
	ds_load_2addr_b64 v[87:90], v1 offset0:65 offset1:66
	s_waitcnt lgkmcnt(1)
	v_fma_f64 v[75:76], v[77:78], v[83:84], v[75:76]
	ds_load_b64 v[77:78], v1 offset:536
	s_waitcnt vmcnt(1)
	v_fma_f64 v[75:76], v[97:98], v[85:86], v[75:76]
	s_waitcnt lgkmcnt(1)
	s_delay_alu instid0(VALU_DEP_1) | instskip(SKIP_1) | instid1(VALU_DEP_1)
	v_fma_f64 v[75:76], v[99:100], v[87:88], v[75:76]
	s_waitcnt vmcnt(0)
	v_fma_f64 v[75:76], v[79:80], v[89:90], v[75:76]
	s_waitcnt lgkmcnt(0)
	s_delay_alu instid0(VALU_DEP_1) | instskip(NEXT) | instid1(VALU_DEP_1)
	v_fma_f64 v[75:76], v[81:82], v[77:78], v[75:76]
	v_add_f64 v[73:74], v[73:74], -v[75:76]
	scratch_store_b64 off, v[73:74], off offset:128
	v_cmpx_lt_u32_e32 15, v0
	s_cbranch_execz .LBB97_183
; %bb.182:
	scratch_load_b64 v[73:74], off, off offset:120
	v_mov_b32_e32 v2, v1
	scratch_store_b64 off, v[1:2], off offset:120
	s_waitcnt vmcnt(0)
	ds_store_b64 v3, v[73:74]
.LBB97_183:
	s_or_b32 exec_lo, exec_lo, s0
	s_waitcnt lgkmcnt(0)
	s_waitcnt_vscnt null, 0x0
	s_barrier
	buffer_gl0_inv
	s_clause 0x4
	scratch_load_b128 v[73:76], off, off offset:120
	scratch_load_b128 v[77:80], off, off offset:136
	;; [unrolled: 1-line block ×5, first 2 shown]
	ds_load_b128 v[93:96], v1 offset:400
	ds_load_b128 v[97:100], v1 offset:416
	scratch_load_b128 v[101:104], off, off offset:200
	s_mov_b32 s0, exec_lo
	s_waitcnt vmcnt(5) lgkmcnt(1)
	v_fma_f64 v[75:76], v[75:76], v[93:94], 0
	s_waitcnt vmcnt(4)
	s_delay_alu instid0(VALU_DEP_1) | instskip(SKIP_1) | instid1(VALU_DEP_1)
	v_fma_f64 v[75:76], v[77:78], v[95:96], v[75:76]
	s_waitcnt lgkmcnt(0)
	v_fma_f64 v[79:80], v[79:80], v[97:98], v[75:76]
	scratch_load_b128 v[75:78], off, off offset:216
	s_waitcnt vmcnt(4)
	v_fma_f64 v[97:98], v[81:82], v[99:100], v[79:80]
	ds_load_b128 v[79:82], v1 offset:432
	ds_load_b128 v[93:96], v1 offset:448
	s_waitcnt lgkmcnt(1)
	v_fma_f64 v[79:80], v[83:84], v[79:80], v[97:98]
	scratch_load_b128 v[97:100], off, off offset:232
	s_waitcnt vmcnt(4)
	v_fma_f64 v[79:80], v[85:86], v[81:82], v[79:80]
	s_waitcnt lgkmcnt(0)
	s_delay_alu instid0(VALU_DEP_1)
	v_fma_f64 v[83:84], v[87:88], v[93:94], v[79:80]
	scratch_load_b128 v[79:82], off, off offset:248
	s_waitcnt vmcnt(4)
	v_fma_f64 v[93:94], v[89:90], v[95:96], v[83:84]
	ds_load_b128 v[83:86], v1 offset:464
	ds_load_b128 v[87:90], v1 offset:480
	s_waitcnt lgkmcnt(1)
	v_fma_f64 v[83:84], v[91:92], v[83:84], v[93:94]
	scratch_load_b64 v[91:92], off, off offset:264
	s_waitcnt vmcnt(4)
	v_fma_f64 v[83:84], v[101:102], v[85:86], v[83:84]
	s_waitcnt lgkmcnt(0)
	s_delay_alu instid0(VALU_DEP_1) | instskip(SKIP_1) | instid1(VALU_DEP_1)
	v_fma_f64 v[83:84], v[103:104], v[87:88], v[83:84]
	s_waitcnt vmcnt(3)
	v_fma_f64 v[75:76], v[75:76], v[89:90], v[83:84]
	ds_load_b128 v[83:86], v1 offset:496
	ds_load_b128 v[87:90], v1 offset:512
	s_waitcnt lgkmcnt(1)
	v_fma_f64 v[75:76], v[77:78], v[83:84], v[75:76]
	s_waitcnt vmcnt(2)
	s_delay_alu instid0(VALU_DEP_1) | instskip(SKIP_1) | instid1(VALU_DEP_1)
	v_fma_f64 v[75:76], v[97:98], v[85:86], v[75:76]
	s_waitcnt lgkmcnt(0)
	v_fma_f64 v[75:76], v[99:100], v[87:88], v[75:76]
	s_waitcnt vmcnt(1)
	s_delay_alu instid0(VALU_DEP_1) | instskip(SKIP_4) | instid1(VALU_DEP_1)
	v_fma_f64 v[79:80], v[79:80], v[89:90], v[75:76]
	ds_load_b128 v[75:78], v1 offset:528
	s_waitcnt lgkmcnt(0)
	v_fma_f64 v[1:2], v[81:82], v[75:76], v[79:80]
	s_waitcnt vmcnt(0)
	v_fma_f64 v[1:2], v[91:92], v[77:78], v[1:2]
	s_delay_alu instid0(VALU_DEP_1)
	v_add_f64 v[1:2], v[73:74], -v[1:2]
	scratch_store_b64 off, v[1:2], off offset:120
	v_cmpx_lt_u32_e32 14, v0
	s_cbranch_execz .LBB97_185
; %bb.184:
	scratch_load_b64 v[1:2], off, off offset:112
	v_mov_b32_e32 v73, 0
	s_delay_alu instid0(VALU_DEP_1)
	v_mov_b32_e32 v74, v73
	scratch_store_b64 off, v[73:74], off offset:112
	s_waitcnt vmcnt(0)
	ds_store_b64 v3, v[1:2]
.LBB97_185:
	s_or_b32 exec_lo, exec_lo, s0
	s_waitcnt lgkmcnt(0)
	s_waitcnt_vscnt null, 0x0
	s_barrier
	buffer_gl0_inv
	s_clause 0x4
	scratch_load_b128 v[73:76], off, off offset:112
	scratch_load_b128 v[77:80], off, off offset:128
	;; [unrolled: 1-line block ×5, first 2 shown]
	v_mov_b32_e32 v1, 0
	ds_load_2addr_b64 v[93:96], v1 offset0:49 offset1:50
	ds_load_2addr_b64 v[97:100], v1 offset0:51 offset1:52
	scratch_load_b128 v[101:104], off, off offset:192
	s_mov_b32 s0, exec_lo
	s_waitcnt vmcnt(5) lgkmcnt(1)
	v_fma_f64 v[75:76], v[75:76], v[93:94], 0
	s_waitcnt vmcnt(4)
	s_delay_alu instid0(VALU_DEP_1) | instskip(SKIP_1) | instid1(VALU_DEP_1)
	v_fma_f64 v[75:76], v[77:78], v[95:96], v[75:76]
	s_waitcnt lgkmcnt(0)
	v_fma_f64 v[79:80], v[79:80], v[97:98], v[75:76]
	scratch_load_b128 v[75:78], off, off offset:208
	s_waitcnt vmcnt(4)
	v_fma_f64 v[97:98], v[81:82], v[99:100], v[79:80]
	ds_load_2addr_b64 v[79:82], v1 offset0:53 offset1:54
	ds_load_2addr_b64 v[93:96], v1 offset0:55 offset1:56
	s_waitcnt lgkmcnt(1)
	v_fma_f64 v[79:80], v[83:84], v[79:80], v[97:98]
	scratch_load_b128 v[97:100], off, off offset:224
	s_waitcnt vmcnt(4)
	v_fma_f64 v[79:80], v[85:86], v[81:82], v[79:80]
	s_waitcnt lgkmcnt(0)
	s_delay_alu instid0(VALU_DEP_1)
	v_fma_f64 v[83:84], v[87:88], v[93:94], v[79:80]
	scratch_load_b128 v[79:82], off, off offset:240
	s_waitcnt vmcnt(4)
	v_fma_f64 v[93:94], v[89:90], v[95:96], v[83:84]
	ds_load_2addr_b64 v[83:86], v1 offset0:57 offset1:58
	ds_load_2addr_b64 v[87:90], v1 offset0:59 offset1:60
	s_waitcnt lgkmcnt(1)
	v_fma_f64 v[83:84], v[91:92], v[83:84], v[93:94]
	scratch_load_b128 v[91:94], off, off offset:256
	s_waitcnt vmcnt(4)
	v_fma_f64 v[83:84], v[101:102], v[85:86], v[83:84]
	s_waitcnt lgkmcnt(0)
	s_delay_alu instid0(VALU_DEP_1) | instskip(SKIP_1) | instid1(VALU_DEP_1)
	v_fma_f64 v[83:84], v[103:104], v[87:88], v[83:84]
	s_waitcnt vmcnt(3)
	v_fma_f64 v[75:76], v[75:76], v[89:90], v[83:84]
	ds_load_2addr_b64 v[83:86], v1 offset0:61 offset1:62
	ds_load_2addr_b64 v[87:90], v1 offset0:63 offset1:64
	s_waitcnt lgkmcnt(1)
	v_fma_f64 v[75:76], v[77:78], v[83:84], v[75:76]
	s_waitcnt vmcnt(2)
	s_delay_alu instid0(VALU_DEP_1) | instskip(SKIP_1) | instid1(VALU_DEP_1)
	v_fma_f64 v[75:76], v[97:98], v[85:86], v[75:76]
	s_waitcnt lgkmcnt(0)
	v_fma_f64 v[75:76], v[99:100], v[87:88], v[75:76]
	s_waitcnt vmcnt(1)
	s_delay_alu instid0(VALU_DEP_1)
	v_fma_f64 v[79:80], v[79:80], v[89:90], v[75:76]
	ds_load_2addr_b64 v[75:78], v1 offset0:65 offset1:66
	ds_load_b64 v[83:84], v1 offset:536
	s_waitcnt lgkmcnt(1)
	v_fma_f64 v[75:76], v[81:82], v[75:76], v[79:80]
	s_waitcnt vmcnt(0)
	s_delay_alu instid0(VALU_DEP_1) | instskip(SKIP_1) | instid1(VALU_DEP_1)
	v_fma_f64 v[75:76], v[91:92], v[77:78], v[75:76]
	s_waitcnt lgkmcnt(0)
	v_fma_f64 v[75:76], v[93:94], v[83:84], v[75:76]
	s_delay_alu instid0(VALU_DEP_1)
	v_add_f64 v[73:74], v[73:74], -v[75:76]
	scratch_store_b64 off, v[73:74], off offset:112
	v_cmpx_lt_u32_e32 13, v0
	s_cbranch_execz .LBB97_187
; %bb.186:
	scratch_load_b64 v[73:74], off, off offset:104
	v_mov_b32_e32 v2, v1
	scratch_store_b64 off, v[1:2], off offset:104
	s_waitcnt vmcnt(0)
	ds_store_b64 v3, v[73:74]
.LBB97_187:
	s_or_b32 exec_lo, exec_lo, s0
	s_waitcnt lgkmcnt(0)
	s_waitcnt_vscnt null, 0x0
	s_barrier
	buffer_gl0_inv
	s_clause 0x4
	scratch_load_b128 v[73:76], off, off offset:104
	scratch_load_b128 v[77:80], off, off offset:120
	scratch_load_b128 v[81:84], off, off offset:136
	scratch_load_b128 v[85:88], off, off offset:152
	scratch_load_b128 v[89:92], off, off offset:168
	ds_load_b128 v[93:96], v1 offset:384
	ds_load_b128 v[97:100], v1 offset:400
	scratch_load_b128 v[101:104], off, off offset:184
	s_mov_b32 s0, exec_lo
	s_waitcnt vmcnt(5) lgkmcnt(1)
	v_fma_f64 v[75:76], v[75:76], v[93:94], 0
	s_waitcnt vmcnt(4)
	s_delay_alu instid0(VALU_DEP_1) | instskip(SKIP_1) | instid1(VALU_DEP_1)
	v_fma_f64 v[75:76], v[77:78], v[95:96], v[75:76]
	s_waitcnt lgkmcnt(0)
	v_fma_f64 v[79:80], v[79:80], v[97:98], v[75:76]
	scratch_load_b128 v[75:78], off, off offset:200
	s_waitcnt vmcnt(4)
	v_fma_f64 v[97:98], v[81:82], v[99:100], v[79:80]
	ds_load_b128 v[79:82], v1 offset:416
	ds_load_b128 v[93:96], v1 offset:432
	s_waitcnt lgkmcnt(1)
	v_fma_f64 v[79:80], v[83:84], v[79:80], v[97:98]
	scratch_load_b128 v[97:100], off, off offset:216
	s_waitcnt vmcnt(4)
	v_fma_f64 v[79:80], v[85:86], v[81:82], v[79:80]
	s_waitcnt lgkmcnt(0)
	s_delay_alu instid0(VALU_DEP_1)
	v_fma_f64 v[83:84], v[87:88], v[93:94], v[79:80]
	scratch_load_b128 v[79:82], off, off offset:232
	s_waitcnt vmcnt(4)
	v_fma_f64 v[93:94], v[89:90], v[95:96], v[83:84]
	ds_load_b128 v[83:86], v1 offset:448
	ds_load_b128 v[87:90], v1 offset:464
	scratch_load_b64 v[95:96], off, off offset:264
	s_waitcnt lgkmcnt(1)
	v_fma_f64 v[83:84], v[91:92], v[83:84], v[93:94]
	scratch_load_b128 v[91:94], off, off offset:248
	s_waitcnt vmcnt(5)
	v_fma_f64 v[83:84], v[101:102], v[85:86], v[83:84]
	s_waitcnt lgkmcnt(0)
	s_delay_alu instid0(VALU_DEP_1) | instskip(SKIP_1) | instid1(VALU_DEP_1)
	v_fma_f64 v[83:84], v[103:104], v[87:88], v[83:84]
	s_waitcnt vmcnt(4)
	v_fma_f64 v[75:76], v[75:76], v[89:90], v[83:84]
	ds_load_b128 v[83:86], v1 offset:480
	ds_load_b128 v[87:90], v1 offset:496
	s_waitcnt lgkmcnt(1)
	v_fma_f64 v[75:76], v[77:78], v[83:84], v[75:76]
	s_waitcnt vmcnt(3)
	s_delay_alu instid0(VALU_DEP_1) | instskip(SKIP_1) | instid1(VALU_DEP_1)
	v_fma_f64 v[75:76], v[97:98], v[85:86], v[75:76]
	s_waitcnt lgkmcnt(0)
	v_fma_f64 v[75:76], v[99:100], v[87:88], v[75:76]
	s_waitcnt vmcnt(2)
	s_delay_alu instid0(VALU_DEP_1)
	v_fma_f64 v[79:80], v[79:80], v[89:90], v[75:76]
	ds_load_b128 v[75:78], v1 offset:512
	ds_load_b128 v[83:86], v1 offset:528
	s_waitcnt lgkmcnt(1)
	v_fma_f64 v[1:2], v[81:82], v[75:76], v[79:80]
	s_waitcnt vmcnt(0)
	s_delay_alu instid0(VALU_DEP_1) | instskip(SKIP_1) | instid1(VALU_DEP_1)
	v_fma_f64 v[1:2], v[91:92], v[77:78], v[1:2]
	s_waitcnt lgkmcnt(0)
	v_fma_f64 v[1:2], v[93:94], v[83:84], v[1:2]
	s_delay_alu instid0(VALU_DEP_1) | instskip(NEXT) | instid1(VALU_DEP_1)
	v_fma_f64 v[1:2], v[95:96], v[85:86], v[1:2]
	v_add_f64 v[1:2], v[73:74], -v[1:2]
	scratch_store_b64 off, v[1:2], off offset:104
	v_cmpx_lt_u32_e32 12, v0
	s_cbranch_execz .LBB97_189
; %bb.188:
	scratch_load_b64 v[1:2], off, off offset:96
	v_mov_b32_e32 v73, 0
	s_delay_alu instid0(VALU_DEP_1)
	v_mov_b32_e32 v74, v73
	scratch_store_b64 off, v[73:74], off offset:96
	s_waitcnt vmcnt(0)
	ds_store_b64 v3, v[1:2]
.LBB97_189:
	s_or_b32 exec_lo, exec_lo, s0
	s_waitcnt lgkmcnt(0)
	s_waitcnt_vscnt null, 0x0
	s_barrier
	buffer_gl0_inv
	s_clause 0x4
	scratch_load_b128 v[73:76], off, off offset:96
	scratch_load_b128 v[77:80], off, off offset:112
	;; [unrolled: 1-line block ×5, first 2 shown]
	v_mov_b32_e32 v1, 0
	ds_load_2addr_b64 v[93:96], v1 offset0:47 offset1:48
	ds_load_2addr_b64 v[97:100], v1 offset0:49 offset1:50
	scratch_load_b128 v[101:104], off, off offset:176
	s_mov_b32 s0, exec_lo
	s_waitcnt vmcnt(5) lgkmcnt(1)
	v_fma_f64 v[75:76], v[75:76], v[93:94], 0
	s_waitcnt vmcnt(4)
	s_delay_alu instid0(VALU_DEP_1) | instskip(SKIP_1) | instid1(VALU_DEP_1)
	v_fma_f64 v[75:76], v[77:78], v[95:96], v[75:76]
	s_waitcnt lgkmcnt(0)
	v_fma_f64 v[79:80], v[79:80], v[97:98], v[75:76]
	scratch_load_b128 v[75:78], off, off offset:192
	s_waitcnt vmcnt(4)
	v_fma_f64 v[97:98], v[81:82], v[99:100], v[79:80]
	ds_load_2addr_b64 v[79:82], v1 offset0:51 offset1:52
	ds_load_2addr_b64 v[93:96], v1 offset0:53 offset1:54
	s_waitcnt lgkmcnt(1)
	v_fma_f64 v[79:80], v[83:84], v[79:80], v[97:98]
	scratch_load_b128 v[97:100], off, off offset:208
	s_waitcnt vmcnt(4)
	v_fma_f64 v[79:80], v[85:86], v[81:82], v[79:80]
	s_waitcnt lgkmcnt(0)
	s_delay_alu instid0(VALU_DEP_1)
	v_fma_f64 v[83:84], v[87:88], v[93:94], v[79:80]
	scratch_load_b128 v[79:82], off, off offset:224
	s_waitcnt vmcnt(4)
	v_fma_f64 v[93:94], v[89:90], v[95:96], v[83:84]
	ds_load_2addr_b64 v[83:86], v1 offset0:55 offset1:56
	ds_load_2addr_b64 v[87:90], v1 offset0:57 offset1:58
	s_waitcnt lgkmcnt(1)
	v_fma_f64 v[83:84], v[91:92], v[83:84], v[93:94]
	scratch_load_b128 v[91:94], off, off offset:240
	s_waitcnt vmcnt(4)
	v_fma_f64 v[83:84], v[101:102], v[85:86], v[83:84]
	s_waitcnt lgkmcnt(0)
	s_delay_alu instid0(VALU_DEP_1)
	v_fma_f64 v[87:88], v[103:104], v[87:88], v[83:84]
	scratch_load_b128 v[83:86], off, off offset:256
	s_waitcnt vmcnt(4)
	v_fma_f64 v[75:76], v[75:76], v[89:90], v[87:88]
	ds_load_2addr_b64 v[87:90], v1 offset0:59 offset1:60
	ds_load_2addr_b64 v[101:104], v1 offset0:61 offset1:62
	s_waitcnt lgkmcnt(1)
	v_fma_f64 v[75:76], v[77:78], v[87:88], v[75:76]
	s_waitcnt vmcnt(3)
	s_delay_alu instid0(VALU_DEP_1) | instskip(SKIP_1) | instid1(VALU_DEP_1)
	v_fma_f64 v[75:76], v[97:98], v[89:90], v[75:76]
	s_waitcnt lgkmcnt(0)
	v_fma_f64 v[75:76], v[99:100], v[101:102], v[75:76]
	s_waitcnt vmcnt(2)
	s_delay_alu instid0(VALU_DEP_1)
	v_fma_f64 v[79:80], v[79:80], v[103:104], v[75:76]
	ds_load_2addr_b64 v[75:78], v1 offset0:63 offset1:64
	ds_load_2addr_b64 v[87:90], v1 offset0:65 offset1:66
	s_waitcnt lgkmcnt(1)
	v_fma_f64 v[75:76], v[81:82], v[75:76], v[79:80]
	s_waitcnt vmcnt(1)
	s_delay_alu instid0(VALU_DEP_1) | instskip(SKIP_4) | instid1(VALU_DEP_1)
	v_fma_f64 v[75:76], v[91:92], v[77:78], v[75:76]
	ds_load_b64 v[77:78], v1 offset:536
	s_waitcnt lgkmcnt(1)
	v_fma_f64 v[75:76], v[93:94], v[87:88], v[75:76]
	s_waitcnt vmcnt(0)
	v_fma_f64 v[75:76], v[83:84], v[89:90], v[75:76]
	s_waitcnt lgkmcnt(0)
	s_delay_alu instid0(VALU_DEP_1) | instskip(NEXT) | instid1(VALU_DEP_1)
	v_fma_f64 v[75:76], v[85:86], v[77:78], v[75:76]
	v_add_f64 v[73:74], v[73:74], -v[75:76]
	scratch_store_b64 off, v[73:74], off offset:96
	v_cmpx_lt_u32_e32 11, v0
	s_cbranch_execz .LBB97_191
; %bb.190:
	scratch_load_b64 v[73:74], off, off offset:88
	v_mov_b32_e32 v2, v1
	scratch_store_b64 off, v[1:2], off offset:88
	s_waitcnt vmcnt(0)
	ds_store_b64 v3, v[73:74]
.LBB97_191:
	s_or_b32 exec_lo, exec_lo, s0
	s_waitcnt lgkmcnt(0)
	s_waitcnt_vscnt null, 0x0
	s_barrier
	buffer_gl0_inv
	s_clause 0x4
	scratch_load_b128 v[73:76], off, off offset:88
	scratch_load_b128 v[77:80], off, off offset:104
	;; [unrolled: 1-line block ×5, first 2 shown]
	ds_load_b128 v[93:96], v1 offset:368
	ds_load_b128 v[97:100], v1 offset:384
	scratch_load_b128 v[101:104], off, off offset:168
	s_mov_b32 s0, exec_lo
	s_waitcnt vmcnt(5) lgkmcnt(1)
	v_fma_f64 v[75:76], v[75:76], v[93:94], 0
	s_waitcnt vmcnt(4)
	s_delay_alu instid0(VALU_DEP_1) | instskip(SKIP_1) | instid1(VALU_DEP_1)
	v_fma_f64 v[75:76], v[77:78], v[95:96], v[75:76]
	s_waitcnt lgkmcnt(0)
	v_fma_f64 v[79:80], v[79:80], v[97:98], v[75:76]
	scratch_load_b128 v[75:78], off, off offset:184
	s_waitcnt vmcnt(4)
	v_fma_f64 v[97:98], v[81:82], v[99:100], v[79:80]
	ds_load_b128 v[79:82], v1 offset:400
	ds_load_b128 v[93:96], v1 offset:416
	s_waitcnt lgkmcnt(1)
	v_fma_f64 v[79:80], v[83:84], v[79:80], v[97:98]
	scratch_load_b128 v[97:100], off, off offset:200
	s_waitcnt vmcnt(4)
	v_fma_f64 v[79:80], v[85:86], v[81:82], v[79:80]
	s_waitcnt lgkmcnt(0)
	s_delay_alu instid0(VALU_DEP_1)
	v_fma_f64 v[83:84], v[87:88], v[93:94], v[79:80]
	scratch_load_b128 v[79:82], off, off offset:216
	s_waitcnt vmcnt(4)
	v_fma_f64 v[93:94], v[89:90], v[95:96], v[83:84]
	ds_load_b128 v[83:86], v1 offset:432
	ds_load_b128 v[87:90], v1 offset:448
	s_waitcnt lgkmcnt(1)
	v_fma_f64 v[83:84], v[91:92], v[83:84], v[93:94]
	scratch_load_b128 v[91:94], off, off offset:232
	s_waitcnt vmcnt(4)
	v_fma_f64 v[83:84], v[101:102], v[85:86], v[83:84]
	s_waitcnt lgkmcnt(0)
	s_delay_alu instid0(VALU_DEP_1)
	v_fma_f64 v[87:88], v[103:104], v[87:88], v[83:84]
	scratch_load_b128 v[83:86], off, off offset:248
	s_waitcnt vmcnt(4)
	v_fma_f64 v[75:76], v[75:76], v[89:90], v[87:88]
	ds_load_b128 v[87:90], v1 offset:464
	ds_load_b128 v[101:104], v1 offset:480
	scratch_load_b64 v[95:96], off, off offset:264
	s_waitcnt lgkmcnt(1)
	v_fma_f64 v[75:76], v[77:78], v[87:88], v[75:76]
	s_waitcnt vmcnt(4)
	s_delay_alu instid0(VALU_DEP_1) | instskip(SKIP_1) | instid1(VALU_DEP_1)
	v_fma_f64 v[75:76], v[97:98], v[89:90], v[75:76]
	s_waitcnt lgkmcnt(0)
	v_fma_f64 v[75:76], v[99:100], v[101:102], v[75:76]
	s_waitcnt vmcnt(3)
	s_delay_alu instid0(VALU_DEP_1)
	v_fma_f64 v[79:80], v[79:80], v[103:104], v[75:76]
	ds_load_b128 v[75:78], v1 offset:496
	ds_load_b128 v[87:90], v1 offset:512
	s_waitcnt lgkmcnt(1)
	v_fma_f64 v[75:76], v[81:82], v[75:76], v[79:80]
	s_waitcnt vmcnt(2)
	s_delay_alu instid0(VALU_DEP_1) | instskip(SKIP_1) | instid1(VALU_DEP_1)
	v_fma_f64 v[75:76], v[91:92], v[77:78], v[75:76]
	s_waitcnt lgkmcnt(0)
	v_fma_f64 v[75:76], v[93:94], v[87:88], v[75:76]
	s_waitcnt vmcnt(1)
	s_delay_alu instid0(VALU_DEP_1) | instskip(SKIP_4) | instid1(VALU_DEP_1)
	v_fma_f64 v[79:80], v[83:84], v[89:90], v[75:76]
	ds_load_b128 v[75:78], v1 offset:528
	s_waitcnt lgkmcnt(0)
	v_fma_f64 v[1:2], v[85:86], v[75:76], v[79:80]
	s_waitcnt vmcnt(0)
	v_fma_f64 v[1:2], v[95:96], v[77:78], v[1:2]
	s_delay_alu instid0(VALU_DEP_1)
	v_add_f64 v[1:2], v[73:74], -v[1:2]
	scratch_store_b64 off, v[1:2], off offset:88
	v_cmpx_lt_u32_e32 10, v0
	s_cbranch_execz .LBB97_193
; %bb.192:
	scratch_load_b64 v[1:2], off, off offset:80
	v_mov_b32_e32 v73, 0
	s_delay_alu instid0(VALU_DEP_1)
	v_mov_b32_e32 v74, v73
	scratch_store_b64 off, v[73:74], off offset:80
	s_waitcnt vmcnt(0)
	ds_store_b64 v3, v[1:2]
.LBB97_193:
	s_or_b32 exec_lo, exec_lo, s0
	s_waitcnt lgkmcnt(0)
	s_waitcnt_vscnt null, 0x0
	s_barrier
	buffer_gl0_inv
	s_clause 0x4
	scratch_load_b128 v[73:76], off, off offset:80
	scratch_load_b128 v[77:80], off, off offset:96
	;; [unrolled: 1-line block ×5, first 2 shown]
	v_mov_b32_e32 v1, 0
	ds_load_2addr_b64 v[93:96], v1 offset0:45 offset1:46
	ds_load_2addr_b64 v[97:100], v1 offset0:47 offset1:48
	scratch_load_b128 v[101:104], off, off offset:160
	s_mov_b32 s0, exec_lo
	s_waitcnt vmcnt(5) lgkmcnt(1)
	v_fma_f64 v[75:76], v[75:76], v[93:94], 0
	s_waitcnt vmcnt(4)
	s_delay_alu instid0(VALU_DEP_1) | instskip(SKIP_1) | instid1(VALU_DEP_1)
	v_fma_f64 v[75:76], v[77:78], v[95:96], v[75:76]
	s_waitcnt lgkmcnt(0)
	v_fma_f64 v[79:80], v[79:80], v[97:98], v[75:76]
	scratch_load_b128 v[75:78], off, off offset:176
	s_waitcnt vmcnt(4)
	v_fma_f64 v[97:98], v[81:82], v[99:100], v[79:80]
	ds_load_2addr_b64 v[79:82], v1 offset0:49 offset1:50
	ds_load_2addr_b64 v[93:96], v1 offset0:51 offset1:52
	s_waitcnt lgkmcnt(1)
	v_fma_f64 v[79:80], v[83:84], v[79:80], v[97:98]
	scratch_load_b128 v[97:100], off, off offset:192
	s_waitcnt vmcnt(4)
	v_fma_f64 v[79:80], v[85:86], v[81:82], v[79:80]
	s_waitcnt lgkmcnt(0)
	s_delay_alu instid0(VALU_DEP_1)
	v_fma_f64 v[83:84], v[87:88], v[93:94], v[79:80]
	scratch_load_b128 v[79:82], off, off offset:208
	s_waitcnt vmcnt(4)
	v_fma_f64 v[93:94], v[89:90], v[95:96], v[83:84]
	ds_load_2addr_b64 v[83:86], v1 offset0:53 offset1:54
	ds_load_2addr_b64 v[87:90], v1 offset0:55 offset1:56
	s_waitcnt lgkmcnt(1)
	v_fma_f64 v[83:84], v[91:92], v[83:84], v[93:94]
	scratch_load_b128 v[91:94], off, off offset:224
	s_waitcnt vmcnt(4)
	v_fma_f64 v[83:84], v[101:102], v[85:86], v[83:84]
	s_waitcnt lgkmcnt(0)
	s_delay_alu instid0(VALU_DEP_1)
	v_fma_f64 v[87:88], v[103:104], v[87:88], v[83:84]
	scratch_load_b128 v[83:86], off, off offset:240
	s_waitcnt vmcnt(4)
	v_fma_f64 v[75:76], v[75:76], v[89:90], v[87:88]
	ds_load_2addr_b64 v[87:90], v1 offset0:57 offset1:58
	ds_load_2addr_b64 v[101:104], v1 offset0:59 offset1:60
	s_waitcnt lgkmcnt(1)
	v_fma_f64 v[87:88], v[77:78], v[87:88], v[75:76]
	scratch_load_b128 v[75:78], off, off offset:256
	s_waitcnt vmcnt(4)
	v_fma_f64 v[87:88], v[97:98], v[89:90], v[87:88]
	s_waitcnt lgkmcnt(0)
	s_delay_alu instid0(VALU_DEP_1) | instskip(SKIP_1) | instid1(VALU_DEP_1)
	v_fma_f64 v[87:88], v[99:100], v[101:102], v[87:88]
	s_waitcnt vmcnt(3)
	v_fma_f64 v[79:80], v[79:80], v[103:104], v[87:88]
	ds_load_2addr_b64 v[87:90], v1 offset0:61 offset1:62
	ds_load_2addr_b64 v[95:98], v1 offset0:63 offset1:64
	s_waitcnt lgkmcnt(1)
	v_fma_f64 v[79:80], v[81:82], v[87:88], v[79:80]
	s_waitcnt vmcnt(2)
	s_delay_alu instid0(VALU_DEP_1) | instskip(SKIP_1) | instid1(VALU_DEP_1)
	v_fma_f64 v[79:80], v[91:92], v[89:90], v[79:80]
	s_waitcnt lgkmcnt(0)
	v_fma_f64 v[79:80], v[93:94], v[95:96], v[79:80]
	s_waitcnt vmcnt(1)
	s_delay_alu instid0(VALU_DEP_1)
	v_fma_f64 v[83:84], v[83:84], v[97:98], v[79:80]
	ds_load_2addr_b64 v[79:82], v1 offset0:65 offset1:66
	ds_load_b64 v[87:88], v1 offset:536
	s_waitcnt lgkmcnt(1)
	v_fma_f64 v[79:80], v[85:86], v[79:80], v[83:84]
	s_waitcnt vmcnt(0)
	s_delay_alu instid0(VALU_DEP_1) | instskip(SKIP_1) | instid1(VALU_DEP_1)
	v_fma_f64 v[75:76], v[75:76], v[81:82], v[79:80]
	s_waitcnt lgkmcnt(0)
	v_fma_f64 v[75:76], v[77:78], v[87:88], v[75:76]
	s_delay_alu instid0(VALU_DEP_1)
	v_add_f64 v[73:74], v[73:74], -v[75:76]
	scratch_store_b64 off, v[73:74], off offset:80
	v_cmpx_lt_u32_e32 9, v0
	s_cbranch_execz .LBB97_195
; %bb.194:
	scratch_load_b64 v[73:74], off, off offset:72
	v_mov_b32_e32 v2, v1
	scratch_store_b64 off, v[1:2], off offset:72
	s_waitcnt vmcnt(0)
	ds_store_b64 v3, v[73:74]
.LBB97_195:
	s_or_b32 exec_lo, exec_lo, s0
	s_waitcnt lgkmcnt(0)
	s_waitcnt_vscnt null, 0x0
	s_barrier
	buffer_gl0_inv
	s_clause 0x4
	scratch_load_b128 v[73:76], off, off offset:72
	scratch_load_b128 v[77:80], off, off offset:88
	;; [unrolled: 1-line block ×5, first 2 shown]
	ds_load_b128 v[93:96], v1 offset:352
	ds_load_b128 v[97:100], v1 offset:368
	scratch_load_b128 v[101:104], off, off offset:152
	s_mov_b32 s0, exec_lo
	s_waitcnt vmcnt(5) lgkmcnt(1)
	v_fma_f64 v[75:76], v[75:76], v[93:94], 0
	s_waitcnt vmcnt(4)
	s_delay_alu instid0(VALU_DEP_1) | instskip(SKIP_1) | instid1(VALU_DEP_1)
	v_fma_f64 v[75:76], v[77:78], v[95:96], v[75:76]
	s_waitcnt lgkmcnt(0)
	v_fma_f64 v[79:80], v[79:80], v[97:98], v[75:76]
	scratch_load_b128 v[75:78], off, off offset:168
	s_waitcnt vmcnt(4)
	v_fma_f64 v[97:98], v[81:82], v[99:100], v[79:80]
	ds_load_b128 v[79:82], v1 offset:384
	ds_load_b128 v[93:96], v1 offset:400
	s_waitcnt lgkmcnt(1)
	v_fma_f64 v[79:80], v[83:84], v[79:80], v[97:98]
	scratch_load_b128 v[97:100], off, off offset:184
	s_waitcnt vmcnt(4)
	v_fma_f64 v[79:80], v[85:86], v[81:82], v[79:80]
	s_waitcnt lgkmcnt(0)
	s_delay_alu instid0(VALU_DEP_1)
	v_fma_f64 v[83:84], v[87:88], v[93:94], v[79:80]
	scratch_load_b128 v[79:82], off, off offset:200
	s_waitcnt vmcnt(4)
	v_fma_f64 v[93:94], v[89:90], v[95:96], v[83:84]
	ds_load_b128 v[83:86], v1 offset:416
	ds_load_b128 v[87:90], v1 offset:432
	s_waitcnt lgkmcnt(1)
	v_fma_f64 v[83:84], v[91:92], v[83:84], v[93:94]
	scratch_load_b128 v[91:94], off, off offset:216
	s_waitcnt vmcnt(4)
	v_fma_f64 v[83:84], v[101:102], v[85:86], v[83:84]
	s_waitcnt lgkmcnt(0)
	s_delay_alu instid0(VALU_DEP_1)
	;; [unrolled: 13-line block ×3, first 2 shown]
	v_fma_f64 v[87:88], v[99:100], v[101:102], v[87:88]
	scratch_load_b64 v[99:100], off, off offset:264
	s_waitcnt vmcnt(4)
	v_fma_f64 v[79:80], v[79:80], v[103:104], v[87:88]
	ds_load_b128 v[87:90], v1 offset:480
	ds_load_b128 v[95:98], v1 offset:496
	s_waitcnt lgkmcnt(1)
	v_fma_f64 v[79:80], v[81:82], v[87:88], v[79:80]
	s_waitcnt vmcnt(3)
	s_delay_alu instid0(VALU_DEP_1) | instskip(SKIP_1) | instid1(VALU_DEP_1)
	v_fma_f64 v[79:80], v[91:92], v[89:90], v[79:80]
	s_waitcnt lgkmcnt(0)
	v_fma_f64 v[79:80], v[93:94], v[95:96], v[79:80]
	s_waitcnt vmcnt(2)
	s_delay_alu instid0(VALU_DEP_1)
	v_fma_f64 v[83:84], v[83:84], v[97:98], v[79:80]
	ds_load_b128 v[79:82], v1 offset:512
	ds_load_b128 v[87:90], v1 offset:528
	s_waitcnt lgkmcnt(1)
	v_fma_f64 v[1:2], v[85:86], v[79:80], v[83:84]
	s_waitcnt vmcnt(1)
	s_delay_alu instid0(VALU_DEP_1) | instskip(SKIP_1) | instid1(VALU_DEP_1)
	v_fma_f64 v[1:2], v[75:76], v[81:82], v[1:2]
	s_waitcnt lgkmcnt(0)
	v_fma_f64 v[1:2], v[77:78], v[87:88], v[1:2]
	s_waitcnt vmcnt(0)
	s_delay_alu instid0(VALU_DEP_1) | instskip(NEXT) | instid1(VALU_DEP_1)
	v_fma_f64 v[1:2], v[99:100], v[89:90], v[1:2]
	v_add_f64 v[1:2], v[73:74], -v[1:2]
	scratch_store_b64 off, v[1:2], off offset:72
	v_cmpx_lt_u32_e32 8, v0
	s_cbranch_execz .LBB97_197
; %bb.196:
	scratch_load_b64 v[1:2], off, off offset:64
	v_mov_b32_e32 v73, 0
	s_delay_alu instid0(VALU_DEP_1)
	v_mov_b32_e32 v74, v73
	scratch_store_b64 off, v[73:74], off offset:64
	s_waitcnt vmcnt(0)
	ds_store_b64 v3, v[1:2]
.LBB97_197:
	s_or_b32 exec_lo, exec_lo, s0
	s_waitcnt lgkmcnt(0)
	s_waitcnt_vscnt null, 0x0
	s_barrier
	buffer_gl0_inv
	s_clause 0x4
	scratch_load_b128 v[73:76], off, off offset:64
	scratch_load_b128 v[77:80], off, off offset:80
	;; [unrolled: 1-line block ×5, first 2 shown]
	v_mov_b32_e32 v1, 0
	ds_load_2addr_b64 v[93:96], v1 offset0:43 offset1:44
	ds_load_2addr_b64 v[97:100], v1 offset0:45 offset1:46
	scratch_load_b128 v[101:104], off, off offset:144
	s_mov_b32 s0, exec_lo
	s_waitcnt vmcnt(5) lgkmcnt(1)
	v_fma_f64 v[75:76], v[75:76], v[93:94], 0
	s_waitcnt vmcnt(4)
	s_delay_alu instid0(VALU_DEP_1) | instskip(SKIP_1) | instid1(VALU_DEP_1)
	v_fma_f64 v[75:76], v[77:78], v[95:96], v[75:76]
	s_waitcnt lgkmcnt(0)
	v_fma_f64 v[79:80], v[79:80], v[97:98], v[75:76]
	scratch_load_b128 v[75:78], off, off offset:160
	s_waitcnt vmcnt(4)
	v_fma_f64 v[97:98], v[81:82], v[99:100], v[79:80]
	ds_load_2addr_b64 v[79:82], v1 offset0:47 offset1:48
	ds_load_2addr_b64 v[93:96], v1 offset0:49 offset1:50
	s_waitcnt lgkmcnt(1)
	v_fma_f64 v[79:80], v[83:84], v[79:80], v[97:98]
	scratch_load_b128 v[97:100], off, off offset:176
	s_waitcnt vmcnt(4)
	v_fma_f64 v[79:80], v[85:86], v[81:82], v[79:80]
	s_waitcnt lgkmcnt(0)
	s_delay_alu instid0(VALU_DEP_1)
	v_fma_f64 v[83:84], v[87:88], v[93:94], v[79:80]
	scratch_load_b128 v[79:82], off, off offset:192
	s_waitcnt vmcnt(4)
	v_fma_f64 v[93:94], v[89:90], v[95:96], v[83:84]
	ds_load_2addr_b64 v[83:86], v1 offset0:51 offset1:52
	ds_load_2addr_b64 v[87:90], v1 offset0:53 offset1:54
	s_waitcnt lgkmcnt(1)
	v_fma_f64 v[83:84], v[91:92], v[83:84], v[93:94]
	scratch_load_b128 v[91:94], off, off offset:208
	s_waitcnt vmcnt(4)
	v_fma_f64 v[83:84], v[101:102], v[85:86], v[83:84]
	s_waitcnt lgkmcnt(0)
	s_delay_alu instid0(VALU_DEP_1)
	;; [unrolled: 13-line block ×3, first 2 shown]
	v_fma_f64 v[95:96], v[99:100], v[101:102], v[87:88]
	scratch_load_b128 v[87:90], off, off offset:256
	s_waitcnt vmcnt(4)
	v_fma_f64 v[79:80], v[79:80], v[103:104], v[95:96]
	ds_load_2addr_b64 v[95:98], v1 offset0:59 offset1:60
	ds_load_2addr_b64 v[99:102], v1 offset0:61 offset1:62
	s_waitcnt lgkmcnt(1)
	v_fma_f64 v[79:80], v[81:82], v[95:96], v[79:80]
	s_waitcnt vmcnt(3)
	s_delay_alu instid0(VALU_DEP_1) | instskip(SKIP_1) | instid1(VALU_DEP_1)
	v_fma_f64 v[79:80], v[91:92], v[97:98], v[79:80]
	s_waitcnt lgkmcnt(0)
	v_fma_f64 v[79:80], v[93:94], v[99:100], v[79:80]
	s_waitcnt vmcnt(2)
	s_delay_alu instid0(VALU_DEP_1)
	v_fma_f64 v[83:84], v[83:84], v[101:102], v[79:80]
	ds_load_2addr_b64 v[79:82], v1 offset0:63 offset1:64
	ds_load_2addr_b64 v[91:94], v1 offset0:65 offset1:66
	s_waitcnt lgkmcnt(1)
	v_fma_f64 v[79:80], v[85:86], v[79:80], v[83:84]
	s_waitcnt vmcnt(1)
	s_delay_alu instid0(VALU_DEP_1) | instskip(SKIP_1) | instid1(VALU_DEP_1)
	v_fma_f64 v[75:76], v[75:76], v[81:82], v[79:80]
	s_waitcnt lgkmcnt(0)
	v_fma_f64 v[75:76], v[77:78], v[91:92], v[75:76]
	ds_load_b64 v[77:78], v1 offset:536
	s_waitcnt vmcnt(0)
	v_fma_f64 v[75:76], v[87:88], v[93:94], v[75:76]
	s_waitcnt lgkmcnt(0)
	s_delay_alu instid0(VALU_DEP_1) | instskip(NEXT) | instid1(VALU_DEP_1)
	v_fma_f64 v[75:76], v[89:90], v[77:78], v[75:76]
	v_add_f64 v[73:74], v[73:74], -v[75:76]
	scratch_store_b64 off, v[73:74], off offset:64
	v_cmpx_lt_u32_e32 7, v0
	s_cbranch_execz .LBB97_199
; %bb.198:
	scratch_load_b64 v[73:74], off, off offset:56
	v_mov_b32_e32 v2, v1
	scratch_store_b64 off, v[1:2], off offset:56
	s_waitcnt vmcnt(0)
	ds_store_b64 v3, v[73:74]
.LBB97_199:
	s_or_b32 exec_lo, exec_lo, s0
	s_waitcnt lgkmcnt(0)
	s_waitcnt_vscnt null, 0x0
	s_barrier
	buffer_gl0_inv
	s_clause 0x4
	scratch_load_b128 v[73:76], off, off offset:56
	scratch_load_b128 v[77:80], off, off offset:72
	;; [unrolled: 1-line block ×5, first 2 shown]
	ds_load_b128 v[93:96], v1 offset:336
	ds_load_b128 v[97:100], v1 offset:352
	scratch_load_b128 v[101:104], off, off offset:136
	s_mov_b32 s0, exec_lo
	s_waitcnt vmcnt(5) lgkmcnt(1)
	v_fma_f64 v[75:76], v[75:76], v[93:94], 0
	s_waitcnt vmcnt(4)
	s_delay_alu instid0(VALU_DEP_1) | instskip(SKIP_1) | instid1(VALU_DEP_1)
	v_fma_f64 v[75:76], v[77:78], v[95:96], v[75:76]
	s_waitcnt lgkmcnt(0)
	v_fma_f64 v[79:80], v[79:80], v[97:98], v[75:76]
	scratch_load_b128 v[75:78], off, off offset:152
	s_waitcnt vmcnt(4)
	v_fma_f64 v[97:98], v[81:82], v[99:100], v[79:80]
	ds_load_b128 v[79:82], v1 offset:368
	ds_load_b128 v[93:96], v1 offset:384
	s_waitcnt lgkmcnt(1)
	v_fma_f64 v[79:80], v[83:84], v[79:80], v[97:98]
	scratch_load_b128 v[97:100], off, off offset:168
	s_waitcnt vmcnt(4)
	v_fma_f64 v[79:80], v[85:86], v[81:82], v[79:80]
	s_waitcnt lgkmcnt(0)
	s_delay_alu instid0(VALU_DEP_1)
	v_fma_f64 v[83:84], v[87:88], v[93:94], v[79:80]
	scratch_load_b128 v[79:82], off, off offset:184
	s_waitcnt vmcnt(4)
	v_fma_f64 v[93:94], v[89:90], v[95:96], v[83:84]
	ds_load_b128 v[83:86], v1 offset:400
	ds_load_b128 v[87:90], v1 offset:416
	s_waitcnt lgkmcnt(1)
	v_fma_f64 v[83:84], v[91:92], v[83:84], v[93:94]
	scratch_load_b128 v[91:94], off, off offset:200
	s_waitcnt vmcnt(4)
	v_fma_f64 v[83:84], v[101:102], v[85:86], v[83:84]
	s_waitcnt lgkmcnt(0)
	s_delay_alu instid0(VALU_DEP_1)
	;; [unrolled: 13-line block ×3, first 2 shown]
	v_fma_f64 v[95:96], v[99:100], v[101:102], v[87:88]
	scratch_load_b128 v[87:90], off, off offset:248
	s_waitcnt vmcnt(4)
	v_fma_f64 v[79:80], v[79:80], v[103:104], v[95:96]
	ds_load_b128 v[95:98], v1 offset:464
	ds_load_b128 v[99:102], v1 offset:480
	s_waitcnt lgkmcnt(1)
	v_fma_f64 v[79:80], v[81:82], v[95:96], v[79:80]
	scratch_load_b64 v[95:96], off, off offset:264
	s_waitcnt vmcnt(4)
	v_fma_f64 v[79:80], v[91:92], v[97:98], v[79:80]
	s_waitcnt lgkmcnt(0)
	s_delay_alu instid0(VALU_DEP_1) | instskip(SKIP_1) | instid1(VALU_DEP_1)
	v_fma_f64 v[79:80], v[93:94], v[99:100], v[79:80]
	s_waitcnt vmcnt(3)
	v_fma_f64 v[83:84], v[83:84], v[101:102], v[79:80]
	ds_load_b128 v[79:82], v1 offset:496
	ds_load_b128 v[91:94], v1 offset:512
	s_waitcnt lgkmcnt(1)
	v_fma_f64 v[79:80], v[85:86], v[79:80], v[83:84]
	s_waitcnt vmcnt(2)
	s_delay_alu instid0(VALU_DEP_1) | instskip(SKIP_1) | instid1(VALU_DEP_1)
	v_fma_f64 v[75:76], v[75:76], v[81:82], v[79:80]
	s_waitcnt lgkmcnt(0)
	v_fma_f64 v[75:76], v[77:78], v[91:92], v[75:76]
	s_waitcnt vmcnt(1)
	s_delay_alu instid0(VALU_DEP_1) | instskip(SKIP_4) | instid1(VALU_DEP_1)
	v_fma_f64 v[79:80], v[87:88], v[93:94], v[75:76]
	ds_load_b128 v[75:78], v1 offset:528
	s_waitcnt lgkmcnt(0)
	v_fma_f64 v[1:2], v[89:90], v[75:76], v[79:80]
	s_waitcnt vmcnt(0)
	v_fma_f64 v[1:2], v[95:96], v[77:78], v[1:2]
	s_delay_alu instid0(VALU_DEP_1)
	v_add_f64 v[1:2], v[73:74], -v[1:2]
	scratch_store_b64 off, v[1:2], off offset:56
	v_cmpx_lt_u32_e32 6, v0
	s_cbranch_execz .LBB97_201
; %bb.200:
	scratch_load_b64 v[1:2], off, off offset:48
	v_mov_b32_e32 v73, 0
	s_delay_alu instid0(VALU_DEP_1)
	v_mov_b32_e32 v74, v73
	scratch_store_b64 off, v[73:74], off offset:48
	s_waitcnt vmcnt(0)
	ds_store_b64 v3, v[1:2]
.LBB97_201:
	s_or_b32 exec_lo, exec_lo, s0
	s_waitcnt lgkmcnt(0)
	s_waitcnt_vscnt null, 0x0
	s_barrier
	buffer_gl0_inv
	s_clause 0x4
	scratch_load_b128 v[73:76], off, off offset:48
	scratch_load_b128 v[77:80], off, off offset:64
	;; [unrolled: 1-line block ×5, first 2 shown]
	v_mov_b32_e32 v1, 0
	ds_load_2addr_b64 v[93:96], v1 offset0:41 offset1:42
	ds_load_2addr_b64 v[97:100], v1 offset0:43 offset1:44
	scratch_load_b128 v[101:104], off, off offset:128
	s_mov_b32 s0, exec_lo
	s_waitcnt vmcnt(5) lgkmcnt(1)
	v_fma_f64 v[75:76], v[75:76], v[93:94], 0
	s_waitcnt vmcnt(4)
	s_delay_alu instid0(VALU_DEP_1) | instskip(SKIP_1) | instid1(VALU_DEP_1)
	v_fma_f64 v[75:76], v[77:78], v[95:96], v[75:76]
	s_waitcnt lgkmcnt(0)
	v_fma_f64 v[79:80], v[79:80], v[97:98], v[75:76]
	scratch_load_b128 v[75:78], off, off offset:144
	s_waitcnt vmcnt(4)
	v_fma_f64 v[97:98], v[81:82], v[99:100], v[79:80]
	ds_load_2addr_b64 v[79:82], v1 offset0:45 offset1:46
	ds_load_2addr_b64 v[93:96], v1 offset0:47 offset1:48
	s_waitcnt lgkmcnt(1)
	v_fma_f64 v[79:80], v[83:84], v[79:80], v[97:98]
	scratch_load_b128 v[97:100], off, off offset:160
	s_waitcnt vmcnt(4)
	v_fma_f64 v[79:80], v[85:86], v[81:82], v[79:80]
	s_waitcnt lgkmcnt(0)
	s_delay_alu instid0(VALU_DEP_1)
	v_fma_f64 v[83:84], v[87:88], v[93:94], v[79:80]
	scratch_load_b128 v[79:82], off, off offset:176
	s_waitcnt vmcnt(4)
	v_fma_f64 v[93:94], v[89:90], v[95:96], v[83:84]
	ds_load_2addr_b64 v[83:86], v1 offset0:49 offset1:50
	ds_load_2addr_b64 v[87:90], v1 offset0:51 offset1:52
	s_waitcnt lgkmcnt(1)
	v_fma_f64 v[83:84], v[91:92], v[83:84], v[93:94]
	scratch_load_b128 v[91:94], off, off offset:192
	s_waitcnt vmcnt(4)
	v_fma_f64 v[83:84], v[101:102], v[85:86], v[83:84]
	s_waitcnt lgkmcnt(0)
	s_delay_alu instid0(VALU_DEP_1)
	;; [unrolled: 13-line block ×3, first 2 shown]
	v_fma_f64 v[95:96], v[99:100], v[101:102], v[87:88]
	scratch_load_b128 v[87:90], off, off offset:240
	s_waitcnt vmcnt(4)
	v_fma_f64 v[79:80], v[79:80], v[103:104], v[95:96]
	ds_load_2addr_b64 v[95:98], v1 offset0:57 offset1:58
	ds_load_2addr_b64 v[99:102], v1 offset0:59 offset1:60
	s_waitcnt lgkmcnt(1)
	v_fma_f64 v[95:96], v[81:82], v[95:96], v[79:80]
	scratch_load_b128 v[79:82], off, off offset:256
	s_waitcnt vmcnt(4)
	v_fma_f64 v[91:92], v[91:92], v[97:98], v[95:96]
	s_waitcnt lgkmcnt(0)
	s_delay_alu instid0(VALU_DEP_1) | instskip(SKIP_1) | instid1(VALU_DEP_1)
	v_fma_f64 v[91:92], v[93:94], v[99:100], v[91:92]
	s_waitcnt vmcnt(3)
	v_fma_f64 v[83:84], v[83:84], v[101:102], v[91:92]
	ds_load_2addr_b64 v[91:94], v1 offset0:61 offset1:62
	ds_load_2addr_b64 v[95:98], v1 offset0:63 offset1:64
	s_waitcnt lgkmcnt(1)
	v_fma_f64 v[83:84], v[85:86], v[91:92], v[83:84]
	s_waitcnt vmcnt(2)
	s_delay_alu instid0(VALU_DEP_1) | instskip(SKIP_1) | instid1(VALU_DEP_1)
	v_fma_f64 v[75:76], v[75:76], v[93:94], v[83:84]
	s_waitcnt lgkmcnt(0)
	v_fma_f64 v[75:76], v[77:78], v[95:96], v[75:76]
	s_waitcnt vmcnt(1)
	s_delay_alu instid0(VALU_DEP_1)
	v_fma_f64 v[83:84], v[87:88], v[97:98], v[75:76]
	ds_load_2addr_b64 v[75:78], v1 offset0:65 offset1:66
	ds_load_b64 v[85:86], v1 offset:536
	s_waitcnt lgkmcnt(1)
	v_fma_f64 v[75:76], v[89:90], v[75:76], v[83:84]
	s_waitcnt vmcnt(0)
	s_delay_alu instid0(VALU_DEP_1) | instskip(SKIP_1) | instid1(VALU_DEP_1)
	v_fma_f64 v[75:76], v[79:80], v[77:78], v[75:76]
	s_waitcnt lgkmcnt(0)
	v_fma_f64 v[75:76], v[81:82], v[85:86], v[75:76]
	s_delay_alu instid0(VALU_DEP_1)
	v_add_f64 v[73:74], v[73:74], -v[75:76]
	scratch_store_b64 off, v[73:74], off offset:48
	v_cmpx_lt_u32_e32 5, v0
	s_cbranch_execz .LBB97_203
; %bb.202:
	scratch_load_b64 v[73:74], off, off offset:40
	v_mov_b32_e32 v2, v1
	scratch_store_b64 off, v[1:2], off offset:40
	s_waitcnt vmcnt(0)
	ds_store_b64 v3, v[73:74]
.LBB97_203:
	s_or_b32 exec_lo, exec_lo, s0
	s_waitcnt lgkmcnt(0)
	s_waitcnt_vscnt null, 0x0
	s_barrier
	buffer_gl0_inv
	s_clause 0x4
	scratch_load_b128 v[73:76], off, off offset:40
	scratch_load_b128 v[77:80], off, off offset:56
	;; [unrolled: 1-line block ×5, first 2 shown]
	ds_load_b128 v[93:96], v1 offset:320
	ds_load_b128 v[97:100], v1 offset:336
	scratch_load_b128 v[101:104], off, off offset:120
	s_mov_b32 s0, exec_lo
	s_waitcnt vmcnt(5) lgkmcnt(1)
	v_fma_f64 v[75:76], v[75:76], v[93:94], 0
	s_waitcnt vmcnt(4)
	s_delay_alu instid0(VALU_DEP_1) | instskip(SKIP_1) | instid1(VALU_DEP_1)
	v_fma_f64 v[75:76], v[77:78], v[95:96], v[75:76]
	s_waitcnt lgkmcnt(0)
	v_fma_f64 v[79:80], v[79:80], v[97:98], v[75:76]
	scratch_load_b128 v[75:78], off, off offset:136
	s_waitcnt vmcnt(4)
	v_fma_f64 v[97:98], v[81:82], v[99:100], v[79:80]
	ds_load_b128 v[79:82], v1 offset:352
	ds_load_b128 v[93:96], v1 offset:368
	s_waitcnt lgkmcnt(1)
	v_fma_f64 v[79:80], v[83:84], v[79:80], v[97:98]
	scratch_load_b128 v[97:100], off, off offset:152
	s_waitcnt vmcnt(4)
	v_fma_f64 v[79:80], v[85:86], v[81:82], v[79:80]
	s_waitcnt lgkmcnt(0)
	s_delay_alu instid0(VALU_DEP_1)
	v_fma_f64 v[83:84], v[87:88], v[93:94], v[79:80]
	scratch_load_b128 v[79:82], off, off offset:168
	s_waitcnt vmcnt(4)
	v_fma_f64 v[93:94], v[89:90], v[95:96], v[83:84]
	ds_load_b128 v[83:86], v1 offset:384
	ds_load_b128 v[87:90], v1 offset:400
	s_waitcnt lgkmcnt(1)
	v_fma_f64 v[83:84], v[91:92], v[83:84], v[93:94]
	scratch_load_b128 v[91:94], off, off offset:184
	s_waitcnt vmcnt(4)
	v_fma_f64 v[83:84], v[101:102], v[85:86], v[83:84]
	s_waitcnt lgkmcnt(0)
	s_delay_alu instid0(VALU_DEP_1)
	;; [unrolled: 13-line block ×4, first 2 shown]
	v_fma_f64 v[91:92], v[93:94], v[99:100], v[91:92]
	scratch_load_b64 v[99:100], off, off offset:264
	s_waitcnt vmcnt(4)
	v_fma_f64 v[83:84], v[83:84], v[101:102], v[91:92]
	ds_load_b128 v[91:94], v1 offset:480
	ds_load_b128 v[95:98], v1 offset:496
	s_waitcnt lgkmcnt(1)
	v_fma_f64 v[83:84], v[85:86], v[91:92], v[83:84]
	s_waitcnt vmcnt(3)
	s_delay_alu instid0(VALU_DEP_1) | instskip(SKIP_1) | instid1(VALU_DEP_1)
	v_fma_f64 v[75:76], v[75:76], v[93:94], v[83:84]
	s_waitcnt lgkmcnt(0)
	v_fma_f64 v[75:76], v[77:78], v[95:96], v[75:76]
	s_waitcnt vmcnt(2)
	s_delay_alu instid0(VALU_DEP_1)
	v_fma_f64 v[87:88], v[87:88], v[97:98], v[75:76]
	ds_load_b128 v[75:78], v1 offset:512
	ds_load_b128 v[83:86], v1 offset:528
	s_waitcnt lgkmcnt(1)
	v_fma_f64 v[1:2], v[89:90], v[75:76], v[87:88]
	s_waitcnt vmcnt(1)
	s_delay_alu instid0(VALU_DEP_1) | instskip(SKIP_1) | instid1(VALU_DEP_1)
	v_fma_f64 v[1:2], v[79:80], v[77:78], v[1:2]
	s_waitcnt lgkmcnt(0)
	v_fma_f64 v[1:2], v[81:82], v[83:84], v[1:2]
	s_waitcnt vmcnt(0)
	s_delay_alu instid0(VALU_DEP_1) | instskip(NEXT) | instid1(VALU_DEP_1)
	v_fma_f64 v[1:2], v[99:100], v[85:86], v[1:2]
	v_add_f64 v[1:2], v[73:74], -v[1:2]
	scratch_store_b64 off, v[1:2], off offset:40
	v_cmpx_lt_u32_e32 4, v0
	s_cbranch_execz .LBB97_205
; %bb.204:
	scratch_load_b64 v[1:2], off, off offset:32
	v_mov_b32_e32 v73, 0
	s_delay_alu instid0(VALU_DEP_1)
	v_mov_b32_e32 v74, v73
	scratch_store_b64 off, v[73:74], off offset:32
	s_waitcnt vmcnt(0)
	ds_store_b64 v3, v[1:2]
.LBB97_205:
	s_or_b32 exec_lo, exec_lo, s0
	s_waitcnt lgkmcnt(0)
	s_waitcnt_vscnt null, 0x0
	s_barrier
	buffer_gl0_inv
	s_clause 0x4
	scratch_load_b128 v[73:76], off, off offset:32
	scratch_load_b128 v[77:80], off, off offset:48
	;; [unrolled: 1-line block ×5, first 2 shown]
	v_mov_b32_e32 v1, 0
	ds_load_2addr_b64 v[93:96], v1 offset0:39 offset1:40
	ds_load_2addr_b64 v[97:100], v1 offset0:41 offset1:42
	scratch_load_b128 v[101:104], off, off offset:112
	s_mov_b32 s0, exec_lo
	s_waitcnt vmcnt(5) lgkmcnt(1)
	v_fma_f64 v[75:76], v[75:76], v[93:94], 0
	s_waitcnt vmcnt(4)
	s_delay_alu instid0(VALU_DEP_1) | instskip(SKIP_1) | instid1(VALU_DEP_1)
	v_fma_f64 v[75:76], v[77:78], v[95:96], v[75:76]
	s_waitcnt lgkmcnt(0)
	v_fma_f64 v[79:80], v[79:80], v[97:98], v[75:76]
	scratch_load_b128 v[75:78], off, off offset:128
	s_waitcnt vmcnt(4)
	v_fma_f64 v[97:98], v[81:82], v[99:100], v[79:80]
	ds_load_2addr_b64 v[79:82], v1 offset0:43 offset1:44
	ds_load_2addr_b64 v[93:96], v1 offset0:45 offset1:46
	s_waitcnt lgkmcnt(1)
	v_fma_f64 v[79:80], v[83:84], v[79:80], v[97:98]
	scratch_load_b128 v[97:100], off, off offset:144
	s_waitcnt vmcnt(4)
	v_fma_f64 v[79:80], v[85:86], v[81:82], v[79:80]
	s_waitcnt lgkmcnt(0)
	s_delay_alu instid0(VALU_DEP_1)
	v_fma_f64 v[83:84], v[87:88], v[93:94], v[79:80]
	scratch_load_b128 v[79:82], off, off offset:160
	s_waitcnt vmcnt(4)
	v_fma_f64 v[93:94], v[89:90], v[95:96], v[83:84]
	ds_load_2addr_b64 v[83:86], v1 offset0:47 offset1:48
	ds_load_2addr_b64 v[87:90], v1 offset0:49 offset1:50
	s_waitcnt lgkmcnt(1)
	v_fma_f64 v[83:84], v[91:92], v[83:84], v[93:94]
	scratch_load_b128 v[91:94], off, off offset:176
	s_waitcnt vmcnt(4)
	v_fma_f64 v[83:84], v[101:102], v[85:86], v[83:84]
	s_waitcnt lgkmcnt(0)
	s_delay_alu instid0(VALU_DEP_1)
	;; [unrolled: 13-line block ×4, first 2 shown]
	v_fma_f64 v[95:96], v[93:94], v[99:100], v[91:92]
	scratch_load_b128 v[91:94], off, off offset:256
	s_waitcnt vmcnt(4)
	v_fma_f64 v[83:84], v[83:84], v[101:102], v[95:96]
	ds_load_2addr_b64 v[95:98], v1 offset0:59 offset1:60
	ds_load_2addr_b64 v[99:102], v1 offset0:61 offset1:62
	s_waitcnt lgkmcnt(1)
	v_fma_f64 v[83:84], v[85:86], v[95:96], v[83:84]
	s_waitcnt vmcnt(3)
	s_delay_alu instid0(VALU_DEP_1) | instskip(SKIP_1) | instid1(VALU_DEP_1)
	v_fma_f64 v[75:76], v[75:76], v[97:98], v[83:84]
	s_waitcnt lgkmcnt(0)
	v_fma_f64 v[75:76], v[77:78], v[99:100], v[75:76]
	s_waitcnt vmcnt(2)
	s_delay_alu instid0(VALU_DEP_1)
	v_fma_f64 v[87:88], v[87:88], v[101:102], v[75:76]
	ds_load_2addr_b64 v[75:78], v1 offset0:63 offset1:64
	ds_load_2addr_b64 v[83:86], v1 offset0:65 offset1:66
	s_waitcnt lgkmcnt(1)
	v_fma_f64 v[75:76], v[89:90], v[75:76], v[87:88]
	s_waitcnt vmcnt(1)
	s_delay_alu instid0(VALU_DEP_1) | instskip(SKIP_4) | instid1(VALU_DEP_1)
	v_fma_f64 v[75:76], v[79:80], v[77:78], v[75:76]
	ds_load_b64 v[77:78], v1 offset:536
	s_waitcnt lgkmcnt(1)
	v_fma_f64 v[75:76], v[81:82], v[83:84], v[75:76]
	s_waitcnt vmcnt(0)
	v_fma_f64 v[75:76], v[91:92], v[85:86], v[75:76]
	s_waitcnt lgkmcnt(0)
	s_delay_alu instid0(VALU_DEP_1) | instskip(NEXT) | instid1(VALU_DEP_1)
	v_fma_f64 v[75:76], v[93:94], v[77:78], v[75:76]
	v_add_f64 v[73:74], v[73:74], -v[75:76]
	scratch_store_b64 off, v[73:74], off offset:32
	v_cmpx_lt_u32_e32 3, v0
	s_cbranch_execz .LBB97_207
; %bb.206:
	scratch_load_b64 v[73:74], off, off offset:24
	v_mov_b32_e32 v2, v1
	scratch_store_b64 off, v[1:2], off offset:24
	s_waitcnt vmcnt(0)
	ds_store_b64 v3, v[73:74]
.LBB97_207:
	s_or_b32 exec_lo, exec_lo, s0
	s_waitcnt lgkmcnt(0)
	s_waitcnt_vscnt null, 0x0
	s_barrier
	buffer_gl0_inv
	s_clause 0x4
	scratch_load_b128 v[73:76], off, off offset:24
	scratch_load_b128 v[77:80], off, off offset:40
	scratch_load_b128 v[81:84], off, off offset:56
	scratch_load_b128 v[85:88], off, off offset:72
	scratch_load_b128 v[89:92], off, off offset:88
	ds_load_b128 v[93:96], v1 offset:304
	ds_load_b128 v[97:100], v1 offset:320
	scratch_load_b128 v[101:104], off, off offset:104
	s_mov_b32 s0, exec_lo
	s_waitcnt vmcnt(5) lgkmcnt(1)
	v_fma_f64 v[75:76], v[75:76], v[93:94], 0
	s_waitcnt vmcnt(4)
	s_delay_alu instid0(VALU_DEP_1) | instskip(SKIP_1) | instid1(VALU_DEP_1)
	v_fma_f64 v[75:76], v[77:78], v[95:96], v[75:76]
	s_waitcnt lgkmcnt(0)
	v_fma_f64 v[79:80], v[79:80], v[97:98], v[75:76]
	scratch_load_b128 v[75:78], off, off offset:120
	s_waitcnt vmcnt(4)
	v_fma_f64 v[97:98], v[81:82], v[99:100], v[79:80]
	ds_load_b128 v[79:82], v1 offset:336
	ds_load_b128 v[93:96], v1 offset:352
	s_waitcnt lgkmcnt(1)
	v_fma_f64 v[79:80], v[83:84], v[79:80], v[97:98]
	scratch_load_b128 v[97:100], off, off offset:136
	s_waitcnt vmcnt(4)
	v_fma_f64 v[79:80], v[85:86], v[81:82], v[79:80]
	s_waitcnt lgkmcnt(0)
	s_delay_alu instid0(VALU_DEP_1)
	v_fma_f64 v[83:84], v[87:88], v[93:94], v[79:80]
	scratch_load_b128 v[79:82], off, off offset:152
	s_waitcnt vmcnt(4)
	v_fma_f64 v[93:94], v[89:90], v[95:96], v[83:84]
	ds_load_b128 v[83:86], v1 offset:368
	ds_load_b128 v[87:90], v1 offset:384
	s_waitcnt lgkmcnt(1)
	v_fma_f64 v[83:84], v[91:92], v[83:84], v[93:94]
	scratch_load_b128 v[91:94], off, off offset:168
	s_waitcnt vmcnt(4)
	v_fma_f64 v[83:84], v[101:102], v[85:86], v[83:84]
	s_waitcnt lgkmcnt(0)
	s_delay_alu instid0(VALU_DEP_1)
	;; [unrolled: 13-line block ×4, first 2 shown]
	v_fma_f64 v[95:96], v[93:94], v[99:100], v[91:92]
	scratch_load_b128 v[91:94], off, off offset:248
	s_waitcnt vmcnt(4)
	v_fma_f64 v[83:84], v[83:84], v[101:102], v[95:96]
	ds_load_b128 v[95:98], v1 offset:464
	ds_load_b128 v[99:102], v1 offset:480
	s_waitcnt lgkmcnt(1)
	v_fma_f64 v[83:84], v[85:86], v[95:96], v[83:84]
	scratch_load_b64 v[95:96], off, off offset:264
	s_waitcnt vmcnt(4)
	v_fma_f64 v[75:76], v[75:76], v[97:98], v[83:84]
	s_waitcnt lgkmcnt(0)
	s_delay_alu instid0(VALU_DEP_1) | instskip(SKIP_1) | instid1(VALU_DEP_1)
	v_fma_f64 v[75:76], v[77:78], v[99:100], v[75:76]
	s_waitcnt vmcnt(3)
	v_fma_f64 v[87:88], v[87:88], v[101:102], v[75:76]
	ds_load_b128 v[75:78], v1 offset:496
	ds_load_b128 v[83:86], v1 offset:512
	s_waitcnt lgkmcnt(1)
	v_fma_f64 v[75:76], v[89:90], v[75:76], v[87:88]
	s_waitcnt vmcnt(2)
	s_delay_alu instid0(VALU_DEP_1) | instskip(SKIP_1) | instid1(VALU_DEP_1)
	v_fma_f64 v[75:76], v[79:80], v[77:78], v[75:76]
	s_waitcnt lgkmcnt(0)
	v_fma_f64 v[75:76], v[81:82], v[83:84], v[75:76]
	s_waitcnt vmcnt(1)
	s_delay_alu instid0(VALU_DEP_1) | instskip(SKIP_4) | instid1(VALU_DEP_1)
	v_fma_f64 v[79:80], v[91:92], v[85:86], v[75:76]
	ds_load_b128 v[75:78], v1 offset:528
	s_waitcnt lgkmcnt(0)
	v_fma_f64 v[1:2], v[93:94], v[75:76], v[79:80]
	s_waitcnt vmcnt(0)
	v_fma_f64 v[1:2], v[95:96], v[77:78], v[1:2]
	s_delay_alu instid0(VALU_DEP_1)
	v_add_f64 v[1:2], v[73:74], -v[1:2]
	scratch_store_b64 off, v[1:2], off offset:24
	v_cmpx_lt_u32_e32 2, v0
	s_cbranch_execz .LBB97_209
; %bb.208:
	scratch_load_b64 v[1:2], off, off offset:16
	v_mov_b32_e32 v73, 0
	s_delay_alu instid0(VALU_DEP_1)
	v_mov_b32_e32 v74, v73
	scratch_store_b64 off, v[73:74], off offset:16
	s_waitcnt vmcnt(0)
	ds_store_b64 v3, v[1:2]
.LBB97_209:
	s_or_b32 exec_lo, exec_lo, s0
	s_waitcnt lgkmcnt(0)
	s_waitcnt_vscnt null, 0x0
	s_barrier
	buffer_gl0_inv
	s_clause 0x4
	scratch_load_b128 v[73:76], off, off offset:16
	scratch_load_b128 v[77:80], off, off offset:32
	scratch_load_b128 v[81:84], off, off offset:48
	scratch_load_b128 v[85:88], off, off offset:64
	scratch_load_b128 v[89:92], off, off offset:80
	v_mov_b32_e32 v1, 0
	ds_load_2addr_b64 v[93:96], v1 offset0:37 offset1:38
	ds_load_2addr_b64 v[97:100], v1 offset0:39 offset1:40
	scratch_load_b128 v[101:104], off, off offset:96
	s_mov_b32 s0, exec_lo
	s_waitcnt vmcnt(5) lgkmcnt(1)
	v_fma_f64 v[75:76], v[75:76], v[93:94], 0
	s_waitcnt vmcnt(4)
	s_delay_alu instid0(VALU_DEP_1) | instskip(SKIP_1) | instid1(VALU_DEP_1)
	v_fma_f64 v[75:76], v[77:78], v[95:96], v[75:76]
	s_waitcnt lgkmcnt(0)
	v_fma_f64 v[79:80], v[79:80], v[97:98], v[75:76]
	scratch_load_b128 v[75:78], off, off offset:112
	s_waitcnt vmcnt(4)
	v_fma_f64 v[97:98], v[81:82], v[99:100], v[79:80]
	ds_load_2addr_b64 v[79:82], v1 offset0:41 offset1:42
	ds_load_2addr_b64 v[93:96], v1 offset0:43 offset1:44
	s_waitcnt lgkmcnt(1)
	v_fma_f64 v[79:80], v[83:84], v[79:80], v[97:98]
	scratch_load_b128 v[97:100], off, off offset:128
	s_waitcnt vmcnt(4)
	v_fma_f64 v[79:80], v[85:86], v[81:82], v[79:80]
	s_waitcnt lgkmcnt(0)
	s_delay_alu instid0(VALU_DEP_1)
	v_fma_f64 v[83:84], v[87:88], v[93:94], v[79:80]
	scratch_load_b128 v[79:82], off, off offset:144
	s_waitcnt vmcnt(4)
	v_fma_f64 v[93:94], v[89:90], v[95:96], v[83:84]
	ds_load_2addr_b64 v[83:86], v1 offset0:45 offset1:46
	ds_load_2addr_b64 v[87:90], v1 offset0:47 offset1:48
	s_waitcnt lgkmcnt(1)
	v_fma_f64 v[83:84], v[91:92], v[83:84], v[93:94]
	scratch_load_b128 v[91:94], off, off offset:160
	s_waitcnt vmcnt(4)
	v_fma_f64 v[83:84], v[101:102], v[85:86], v[83:84]
	s_waitcnt lgkmcnt(0)
	s_delay_alu instid0(VALU_DEP_1)
	;; [unrolled: 13-line block ×4, first 2 shown]
	v_fma_f64 v[95:96], v[93:94], v[99:100], v[91:92]
	scratch_load_b128 v[91:94], off, off offset:240
	s_waitcnt vmcnt(4)
	v_fma_f64 v[83:84], v[83:84], v[101:102], v[95:96]
	ds_load_2addr_b64 v[95:98], v1 offset0:57 offset1:58
	ds_load_2addr_b64 v[99:102], v1 offset0:59 offset1:60
	s_waitcnt lgkmcnt(1)
	v_fma_f64 v[95:96], v[85:86], v[95:96], v[83:84]
	scratch_load_b128 v[83:86], off, off offset:256
	s_waitcnt vmcnt(4)
	v_fma_f64 v[75:76], v[75:76], v[97:98], v[95:96]
	s_waitcnt lgkmcnt(0)
	s_delay_alu instid0(VALU_DEP_1) | instskip(SKIP_1) | instid1(VALU_DEP_1)
	v_fma_f64 v[75:76], v[77:78], v[99:100], v[75:76]
	s_waitcnt vmcnt(3)
	v_fma_f64 v[87:88], v[87:88], v[101:102], v[75:76]
	ds_load_2addr_b64 v[75:78], v1 offset0:61 offset1:62
	ds_load_2addr_b64 v[95:98], v1 offset0:63 offset1:64
	s_waitcnt lgkmcnt(1)
	v_fma_f64 v[75:76], v[89:90], v[75:76], v[87:88]
	s_waitcnt vmcnt(2)
	s_delay_alu instid0(VALU_DEP_1) | instskip(SKIP_1) | instid1(VALU_DEP_1)
	v_fma_f64 v[75:76], v[79:80], v[77:78], v[75:76]
	s_waitcnt lgkmcnt(0)
	v_fma_f64 v[75:76], v[81:82], v[95:96], v[75:76]
	s_waitcnt vmcnt(1)
	s_delay_alu instid0(VALU_DEP_1)
	v_fma_f64 v[79:80], v[91:92], v[97:98], v[75:76]
	ds_load_2addr_b64 v[75:78], v1 offset0:65 offset1:66
	ds_load_b64 v[81:82], v1 offset:536
	s_waitcnt lgkmcnt(1)
	v_fma_f64 v[75:76], v[93:94], v[75:76], v[79:80]
	s_waitcnt vmcnt(0)
	s_delay_alu instid0(VALU_DEP_1) | instskip(SKIP_1) | instid1(VALU_DEP_1)
	v_fma_f64 v[75:76], v[83:84], v[77:78], v[75:76]
	s_waitcnt lgkmcnt(0)
	v_fma_f64 v[75:76], v[85:86], v[81:82], v[75:76]
	s_delay_alu instid0(VALU_DEP_1)
	v_add_f64 v[73:74], v[73:74], -v[75:76]
	scratch_store_b64 off, v[73:74], off offset:16
	v_cmpx_lt_u32_e32 1, v0
	s_cbranch_execz .LBB97_211
; %bb.210:
	scratch_load_b64 v[73:74], off, off offset:8
	v_mov_b32_e32 v2, v1
	scratch_store_b64 off, v[1:2], off offset:8
	s_waitcnt vmcnt(0)
	ds_store_b64 v3, v[73:74]
.LBB97_211:
	s_or_b32 exec_lo, exec_lo, s0
	s_waitcnt lgkmcnt(0)
	s_waitcnt_vscnt null, 0x0
	s_barrier
	buffer_gl0_inv
	s_clause 0x4
	scratch_load_b128 v[73:76], off, off offset:8
	scratch_load_b128 v[77:80], off, off offset:24
	;; [unrolled: 1-line block ×5, first 2 shown]
	ds_load_b128 v[93:96], v1 offset:288
	ds_load_b128 v[97:100], v1 offset:304
	scratch_load_b128 v[101:104], off, off offset:88
	s_mov_b32 s0, exec_lo
	s_waitcnt vmcnt(5) lgkmcnt(1)
	v_fma_f64 v[75:76], v[75:76], v[93:94], 0
	s_waitcnt vmcnt(4)
	s_delay_alu instid0(VALU_DEP_1) | instskip(SKIP_1) | instid1(VALU_DEP_1)
	v_fma_f64 v[75:76], v[77:78], v[95:96], v[75:76]
	s_waitcnt lgkmcnt(0)
	v_fma_f64 v[79:80], v[79:80], v[97:98], v[75:76]
	scratch_load_b128 v[75:78], off, off offset:104
	s_waitcnt vmcnt(4)
	v_fma_f64 v[97:98], v[81:82], v[99:100], v[79:80]
	ds_load_b128 v[79:82], v1 offset:320
	ds_load_b128 v[93:96], v1 offset:336
	s_waitcnt lgkmcnt(1)
	v_fma_f64 v[79:80], v[83:84], v[79:80], v[97:98]
	scratch_load_b128 v[97:100], off, off offset:120
	s_waitcnt vmcnt(4)
	v_fma_f64 v[79:80], v[85:86], v[81:82], v[79:80]
	s_waitcnt lgkmcnt(0)
	s_delay_alu instid0(VALU_DEP_1)
	v_fma_f64 v[83:84], v[87:88], v[93:94], v[79:80]
	scratch_load_b128 v[79:82], off, off offset:136
	s_waitcnt vmcnt(4)
	v_fma_f64 v[93:94], v[89:90], v[95:96], v[83:84]
	ds_load_b128 v[83:86], v1 offset:352
	ds_load_b128 v[87:90], v1 offset:368
	s_waitcnt lgkmcnt(1)
	v_fma_f64 v[83:84], v[91:92], v[83:84], v[93:94]
	scratch_load_b128 v[91:94], off, off offset:152
	s_waitcnt vmcnt(4)
	v_fma_f64 v[83:84], v[101:102], v[85:86], v[83:84]
	s_waitcnt lgkmcnt(0)
	s_delay_alu instid0(VALU_DEP_1)
	;; [unrolled: 13-line block ×5, first 2 shown]
	v_fma_f64 v[75:76], v[77:78], v[99:100], v[75:76]
	scratch_load_b64 v[99:100], off, off offset:264
	s_waitcnt vmcnt(4)
	v_fma_f64 v[87:88], v[87:88], v[101:102], v[75:76]
	ds_load_b128 v[75:78], v1 offset:480
	ds_load_b128 v[95:98], v1 offset:496
	s_waitcnt lgkmcnt(1)
	v_fma_f64 v[75:76], v[89:90], v[75:76], v[87:88]
	s_waitcnt vmcnt(3)
	s_delay_alu instid0(VALU_DEP_1) | instskip(SKIP_1) | instid1(VALU_DEP_1)
	v_fma_f64 v[75:76], v[79:80], v[77:78], v[75:76]
	s_waitcnt lgkmcnt(0)
	v_fma_f64 v[75:76], v[81:82], v[95:96], v[75:76]
	s_waitcnt vmcnt(2)
	s_delay_alu instid0(VALU_DEP_1)
	v_fma_f64 v[87:88], v[91:92], v[97:98], v[75:76]
	ds_load_b128 v[75:78], v1 offset:512
	ds_load_b128 v[79:82], v1 offset:528
	s_waitcnt lgkmcnt(1)
	v_fma_f64 v[1:2], v[93:94], v[75:76], v[87:88]
	s_waitcnt vmcnt(1)
	s_delay_alu instid0(VALU_DEP_1) | instskip(SKIP_1) | instid1(VALU_DEP_1)
	v_fma_f64 v[1:2], v[83:84], v[77:78], v[1:2]
	s_waitcnt lgkmcnt(0)
	v_fma_f64 v[1:2], v[85:86], v[79:80], v[1:2]
	s_waitcnt vmcnt(0)
	s_delay_alu instid0(VALU_DEP_1) | instskip(NEXT) | instid1(VALU_DEP_1)
	v_fma_f64 v[1:2], v[99:100], v[81:82], v[1:2]
	v_add_f64 v[1:2], v[73:74], -v[1:2]
	scratch_store_b64 off, v[1:2], off offset:8
	v_cmpx_ne_u32_e32 0, v0
	s_cbranch_execz .LBB97_213
; %bb.212:
	scratch_load_b64 v[0:1], off, off
	v_mov_b32_e32 v73, 0
	s_delay_alu instid0(VALU_DEP_1)
	v_mov_b32_e32 v74, v73
	scratch_store_b64 off, v[73:74], off
	s_waitcnt vmcnt(0)
	ds_store_b64 v3, v[0:1]
.LBB97_213:
	s_or_b32 exec_lo, exec_lo, s0
	s_waitcnt lgkmcnt(0)
	s_waitcnt_vscnt null, 0x0
	s_barrier
	buffer_gl0_inv
	s_clause 0x4
	scratch_load_b128 v[73:76], off, off
	scratch_load_b128 v[0:3], off, off offset:16
	scratch_load_b128 v[77:80], off, off offset:32
	;; [unrolled: 1-line block ×4, first 2 shown]
	v_mov_b32_e32 v12, 0
	ds_load_2addr_b64 v[89:92], v12 offset0:35 offset1:36
	ds_load_2addr_b64 v[93:96], v12 offset0:37 offset1:38
	scratch_load_b128 v[97:100], off, off offset:80
	s_and_b32 vcc_lo, exec_lo, s12
	s_waitcnt vmcnt(5) lgkmcnt(1)
	v_fma_f64 v[75:76], v[75:76], v[89:90], 0
	s_waitcnt vmcnt(4)
	s_delay_alu instid0(VALU_DEP_1) | instskip(SKIP_1) | instid1(VALU_DEP_1)
	v_fma_f64 v[0:1], v[0:1], v[91:92], v[75:76]
	s_waitcnt lgkmcnt(0)
	v_fma_f64 v[75:76], v[2:3], v[93:94], v[0:1]
	scratch_load_b128 v[0:3], off, off offset:96
	s_waitcnt vmcnt(4)
	v_fma_f64 v[93:94], v[77:78], v[95:96], v[75:76]
	ds_load_2addr_b64 v[75:78], v12 offset0:39 offset1:40
	ds_load_2addr_b64 v[89:92], v12 offset0:41 offset1:42
	s_waitcnt lgkmcnt(1)
	v_fma_f64 v[75:76], v[79:80], v[75:76], v[93:94]
	scratch_load_b128 v[93:96], off, off offset:112
	s_waitcnt vmcnt(4)
	v_fma_f64 v[75:76], v[81:82], v[77:78], v[75:76]
	s_waitcnt lgkmcnt(0)
	s_delay_alu instid0(VALU_DEP_1)
	v_fma_f64 v[79:80], v[83:84], v[89:90], v[75:76]
	scratch_load_b128 v[75:78], off, off offset:128
	s_waitcnt vmcnt(4)
	v_fma_f64 v[89:90], v[85:86], v[91:92], v[79:80]
	ds_load_2addr_b64 v[79:82], v12 offset0:43 offset1:44
	ds_load_2addr_b64 v[83:86], v12 offset0:45 offset1:46
	s_waitcnt lgkmcnt(1)
	v_fma_f64 v[79:80], v[87:88], v[79:80], v[89:90]
	scratch_load_b128 v[87:90], off, off offset:144
	s_waitcnt vmcnt(4)
	v_fma_f64 v[79:80], v[97:98], v[81:82], v[79:80]
	s_waitcnt lgkmcnt(0)
	s_delay_alu instid0(VALU_DEP_1)
	;; [unrolled: 13-line block ×5, first 2 shown]
	v_fma_f64 v[91:92], v[2:3], v[95:96], v[0:1]
	scratch_load_b128 v[0:3], off, off offset:256
	s_waitcnt vmcnt(4)
	v_fma_f64 v[83:84], v[83:84], v[97:98], v[91:92]
	ds_load_2addr_b64 v[91:94], v12 offset0:59 offset1:60
	ds_load_2addr_b64 v[95:98], v12 offset0:61 offset1:62
	s_waitcnt lgkmcnt(1)
	v_fma_f64 v[83:84], v[85:86], v[91:92], v[83:84]
	s_waitcnt vmcnt(3)
	s_delay_alu instid0(VALU_DEP_1) | instskip(SKIP_1) | instid1(VALU_DEP_1)
	v_fma_f64 v[75:76], v[75:76], v[93:94], v[83:84]
	s_waitcnt lgkmcnt(0)
	v_fma_f64 v[75:76], v[77:78], v[95:96], v[75:76]
	s_waitcnt vmcnt(2)
	s_delay_alu instid0(VALU_DEP_1)
	v_fma_f64 v[87:88], v[87:88], v[97:98], v[75:76]
	ds_load_2addr_b64 v[75:78], v12 offset0:63 offset1:64
	ds_load_2addr_b64 v[83:86], v12 offset0:65 offset1:66
	s_waitcnt lgkmcnt(1)
	v_fma_f64 v[75:76], v[89:90], v[75:76], v[87:88]
	s_waitcnt vmcnt(1)
	s_delay_alu instid0(VALU_DEP_1) | instskip(SKIP_4) | instid1(VALU_DEP_1)
	v_fma_f64 v[75:76], v[79:80], v[77:78], v[75:76]
	ds_load_b64 v[77:78], v12 offset:536
	s_waitcnt lgkmcnt(1)
	v_fma_f64 v[75:76], v[81:82], v[83:84], v[75:76]
	s_waitcnt vmcnt(0)
	v_fma_f64 v[75:76], v[0:1], v[85:86], v[75:76]
	s_waitcnt lgkmcnt(0)
	s_delay_alu instid0(VALU_DEP_1) | instskip(NEXT) | instid1(VALU_DEP_1)
	v_fma_f64 v[2:3], v[2:3], v[77:78], v[75:76]
	v_add_f64 v[2:3], v[73:74], -v[2:3]
	scratch_store_b64 off, v[2:3], off
	s_cbranch_vccz .LBB97_281
; %bb.214:
	v_dual_mov_b32 v2, s2 :: v_dual_mov_b32 v3, s3
	s_mov_b32 s0, exec_lo
	flat_load_b32 v2, v[2:3] offset:128
	s_waitcnt vmcnt(0) lgkmcnt(0)
	v_cmpx_ne_u32_e32 33, v2
	s_cbranch_execz .LBB97_216
; %bb.215:
	v_lshl_add_u32 v12, v2, 3, 0
	scratch_load_b64 v[2:3], v12, off offset:-8
	s_waitcnt vmcnt(0)
	scratch_store_b64 off, v[2:3], off offset:256
	scratch_store_b64 v12, v[0:1], off offset:-8
.LBB97_216:
	s_or_b32 exec_lo, exec_lo, s0
	v_dual_mov_b32 v0, s2 :: v_dual_mov_b32 v1, s3
	s_mov_b32 s0, exec_lo
	flat_load_b32 v0, v[0:1] offset:124
	s_waitcnt vmcnt(0) lgkmcnt(0)
	v_cmpx_ne_u32_e32 32, v0
	s_cbranch_execz .LBB97_218
; %bb.217:
	v_lshl_add_u32 v12, v0, 3, 0
	scratch_load_b64 v[0:1], v12, off offset:-8
	scratch_load_b64 v[2:3], off, off offset:248
	s_waitcnt vmcnt(1)
	scratch_store_b64 off, v[0:1], off offset:248
	s_waitcnt vmcnt(0)
	scratch_store_b64 v12, v[2:3], off offset:-8
.LBB97_218:
	s_or_b32 exec_lo, exec_lo, s0
	v_dual_mov_b32 v0, s2 :: v_dual_mov_b32 v1, s3
	s_mov_b32 s0, exec_lo
	flat_load_b32 v0, v[0:1] offset:120
	s_waitcnt vmcnt(0) lgkmcnt(0)
	v_cmpx_ne_u32_e32 31, v0
	s_cbranch_execz .LBB97_220
; %bb.219:
	v_lshl_add_u32 v12, v0, 3, 0
	scratch_load_b64 v[0:1], v12, off offset:-8
	scratch_load_b64 v[2:3], off, off offset:240
	s_waitcnt vmcnt(1)
	scratch_store_b64 off, v[0:1], off offset:240
	s_waitcnt vmcnt(0)
	scratch_store_b64 v12, v[2:3], off offset:-8
.LBB97_220:
	;; [unrolled: 16-line block ×31, first 2 shown]
	s_or_b32 exec_lo, exec_lo, s0
	v_dual_mov_b32 v0, s2 :: v_dual_mov_b32 v1, s3
	s_mov_b32 s0, exec_lo
	flat_load_b32 v0, v[0:1]
	scratch_load_b64 v[2:3], off, off
	s_waitcnt vmcnt(1) lgkmcnt(0)
	v_cmpx_ne_u32_e32 1, v0
	s_cbranch_execz .LBB97_280
; %bb.279:
	v_lshl_add_u32 v12, v0, 3, 0
	scratch_load_b64 v[0:1], v12, off offset:-8
	s_waitcnt vmcnt(0)
	scratch_store_b64 off, v[0:1], off
	scratch_store_b64 v12, v[2:3], off offset:-8
	scratch_load_b64 v[2:3], off, off
.LBB97_280:
	s_or_b32 exec_lo, exec_lo, s0
.LBB97_281:
	s_clause 0xa
	scratch_load_b128 v[73:76], off, off offset:8
	scratch_load_b128 v[77:80], off, off offset:24
	;; [unrolled: 1-line block ×11, first 2 shown]
	s_waitcnt vmcnt(11)
	global_store_b64 v[13:14], v[2:3], off
	s_clause 0x1
	scratch_load_b128 v[0:3], off, off offset:184
	scratch_load_b128 v[117:120], off, off offset:232
	s_waitcnt vmcnt(12)
	global_store_b64 v[15:16], v[73:74], off
	scratch_load_b128 v[12:15], off, off offset:200
	global_store_b64 v[17:18], v[75:76], off
	s_waitcnt vmcnt(12)
	s_clause 0x1
	global_store_b64 v[21:22], v[77:78], off
	global_store_b64 v[23:24], v[79:80], off
	s_clause 0x2
	scratch_load_b128 v[73:76], off, off offset:216
	scratch_load_b128 v[21:24], off, off offset:248
	scratch_load_b64 v[16:17], off, off offset:264
	s_waitcnt vmcnt(14)
	s_clause 0x1
	global_store_b64 v[19:20], v[81:82], off
	global_store_b64 v[25:26], v[83:84], off
	s_waitcnt vmcnt(13)
	s_clause 0x1
	global_store_b64 v[27:28], v[85:86], off
	global_store_b64 v[29:30], v[87:88], off
	;; [unrolled: 4-line block ×12, first 2 shown]
	global_store_b64 v[65:66], v[117:118], off
	global_store_b64 v[67:68], v[119:120], off
	s_waitcnt vmcnt(1)
	s_clause 0x1
	global_store_b64 v[69:70], v[21:22], off
	global_store_b64 v[71:72], v[23:24], off
	s_waitcnt vmcnt(0)
	global_store_b64 v[53:54], v[16:17], off
	s_endpgm
	.section	.rodata,"a",@progbits
	.p2align	6, 0x0
	.amdhsa_kernel _ZN9rocsolver6v33100L18getri_kernel_smallILi34EdPKPdEEvT1_iilPiilS6_bb
		.amdhsa_group_segment_fixed_size 552
		.amdhsa_private_segment_fixed_size 288
		.amdhsa_kernarg_size 60
		.amdhsa_user_sgpr_count 15
		.amdhsa_user_sgpr_dispatch_ptr 0
		.amdhsa_user_sgpr_queue_ptr 0
		.amdhsa_user_sgpr_kernarg_segment_ptr 1
		.amdhsa_user_sgpr_dispatch_id 0
		.amdhsa_user_sgpr_private_segment_size 0
		.amdhsa_wavefront_size32 1
		.amdhsa_uses_dynamic_stack 0
		.amdhsa_enable_private_segment 1
		.amdhsa_system_sgpr_workgroup_id_x 1
		.amdhsa_system_sgpr_workgroup_id_y 0
		.amdhsa_system_sgpr_workgroup_id_z 0
		.amdhsa_system_sgpr_workgroup_info 0
		.amdhsa_system_vgpr_workitem_id 0
		.amdhsa_next_free_vgpr 121
		.amdhsa_next_free_sgpr 17
		.amdhsa_reserve_vcc 1
		.amdhsa_float_round_mode_32 0
		.amdhsa_float_round_mode_16_64 0
		.amdhsa_float_denorm_mode_32 3
		.amdhsa_float_denorm_mode_16_64 3
		.amdhsa_dx10_clamp 1
		.amdhsa_ieee_mode 1
		.amdhsa_fp16_overflow 0
		.amdhsa_workgroup_processor_mode 1
		.amdhsa_memory_ordered 1
		.amdhsa_forward_progress 0
		.amdhsa_shared_vgpr_count 0
		.amdhsa_exception_fp_ieee_invalid_op 0
		.amdhsa_exception_fp_denorm_src 0
		.amdhsa_exception_fp_ieee_div_zero 0
		.amdhsa_exception_fp_ieee_overflow 0
		.amdhsa_exception_fp_ieee_underflow 0
		.amdhsa_exception_fp_ieee_inexact 0
		.amdhsa_exception_int_div_zero 0
	.end_amdhsa_kernel
	.section	.text._ZN9rocsolver6v33100L18getri_kernel_smallILi34EdPKPdEEvT1_iilPiilS6_bb,"axG",@progbits,_ZN9rocsolver6v33100L18getri_kernel_smallILi34EdPKPdEEvT1_iilPiilS6_bb,comdat
.Lfunc_end97:
	.size	_ZN9rocsolver6v33100L18getri_kernel_smallILi34EdPKPdEEvT1_iilPiilS6_bb, .Lfunc_end97-_ZN9rocsolver6v33100L18getri_kernel_smallILi34EdPKPdEEvT1_iilPiilS6_bb
                                        ; -- End function
	.section	.AMDGPU.csdata,"",@progbits
; Kernel info:
; codeLenInByte = 27180
; NumSgprs: 19
; NumVgprs: 121
; ScratchSize: 288
; MemoryBound: 0
; FloatMode: 240
; IeeeMode: 1
; LDSByteSize: 552 bytes/workgroup (compile time only)
; SGPRBlocks: 2
; VGPRBlocks: 15
; NumSGPRsForWavesPerEU: 19
; NumVGPRsForWavesPerEU: 121
; Occupancy: 10
; WaveLimiterHint : 1
; COMPUTE_PGM_RSRC2:SCRATCH_EN: 1
; COMPUTE_PGM_RSRC2:USER_SGPR: 15
; COMPUTE_PGM_RSRC2:TRAP_HANDLER: 0
; COMPUTE_PGM_RSRC2:TGID_X_EN: 1
; COMPUTE_PGM_RSRC2:TGID_Y_EN: 0
; COMPUTE_PGM_RSRC2:TGID_Z_EN: 0
; COMPUTE_PGM_RSRC2:TIDIG_COMP_CNT: 0
	.section	.text._ZN9rocsolver6v33100L18getri_kernel_smallILi35EdPKPdEEvT1_iilPiilS6_bb,"axG",@progbits,_ZN9rocsolver6v33100L18getri_kernel_smallILi35EdPKPdEEvT1_iilPiilS6_bb,comdat
	.globl	_ZN9rocsolver6v33100L18getri_kernel_smallILi35EdPKPdEEvT1_iilPiilS6_bb ; -- Begin function _ZN9rocsolver6v33100L18getri_kernel_smallILi35EdPKPdEEvT1_iilPiilS6_bb
	.p2align	8
	.type	_ZN9rocsolver6v33100L18getri_kernel_smallILi35EdPKPdEEvT1_iilPiilS6_bb,@function
_ZN9rocsolver6v33100L18getri_kernel_smallILi35EdPKPdEEvT1_iilPiilS6_bb: ; @_ZN9rocsolver6v33100L18getri_kernel_smallILi35EdPKPdEEvT1_iilPiilS6_bb
; %bb.0:
	s_mov_b32 s2, exec_lo
	v_cmpx_gt_u32_e32 35, v0
	s_cbranch_execz .LBB98_150
; %bb.1:
	s_mov_b32 s8, s15
	s_clause 0x2
	s_load_b32 s15, s[0:1], 0x38
	s_load_b64 s[2:3], s[0:1], 0x0
	s_load_b128 s[4:7], s[0:1], 0x28
	s_waitcnt lgkmcnt(0)
	s_bitcmp1_b32 s15, 8
	s_cselect_b32 s14, -1, 0
	s_ashr_i32 s9, s8, 31
	s_delay_alu instid0(SALU_CYCLE_1) | instskip(NEXT) | instid1(SALU_CYCLE_1)
	s_lshl_b64 s[10:11], s[8:9], 3
	s_add_u32 s2, s2, s10
	s_addc_u32 s3, s3, s11
	s_load_b64 s[12:13], s[2:3], 0x0
	s_bfe_u32 s2, s15, 0x10008
	s_delay_alu instid0(SALU_CYCLE_1)
	s_cmp_eq_u32 s2, 0
                                        ; implicit-def: $sgpr2_sgpr3
	s_cbranch_scc1 .LBB98_3
; %bb.2:
	s_clause 0x1
	s_load_b32 s2, s[0:1], 0x20
	s_load_b64 s[10:11], s[0:1], 0x18
	s_mul_i32 s3, s8, s5
	s_mul_hi_u32 s5, s8, s4
	s_mul_i32 s16, s9, s4
	s_add_i32 s3, s5, s3
	s_mul_i32 s4, s8, s4
	s_add_i32 s5, s3, s16
	s_delay_alu instid0(SALU_CYCLE_1)
	s_lshl_b64 s[4:5], s[4:5], 2
	s_waitcnt lgkmcnt(0)
	s_ashr_i32 s3, s2, 31
	s_add_u32 s4, s10, s4
	s_addc_u32 s5, s11, s5
	s_lshl_b64 s[2:3], s[2:3], 2
	s_delay_alu instid0(SALU_CYCLE_1)
	s_add_u32 s2, s4, s2
	s_addc_u32 s3, s5, s3
.LBB98_3:
	s_load_b64 s[4:5], s[0:1], 0x8
	v_lshlrev_b32_e32 v3, 3, v0
	s_waitcnt lgkmcnt(0)
	v_add3_u32 v1, s5, s5, v0
	s_ashr_i32 s1, s4, 31
	s_mov_b32 s0, s4
	s_mov_b32 s10, s5
	s_lshl_b64 s[0:1], s[0:1], 3
	v_add_nc_u32_e32 v8, s5, v1
	v_ashrrev_i32_e32 v2, 31, v1
	s_add_u32 s0, s12, s0
	s_addc_u32 s1, s13, s1
	v_add_co_u32 v6, s4, s0, v3
	v_add_nc_u32_e32 v12, s5, v8
	s_ashr_i32 s11, s5, 31
	v_add_co_ci_u32_e64 v7, null, s1, 0, s4
	v_lshlrev_b64 v[1:2], 3, v[1:2]
	s_lshl_b64 s[10:11], s[10:11], 3
	v_add_nc_u32_e32 v14, s5, v12
	v_add_co_u32 v4, vcc_lo, v6, s10
	v_add_co_ci_u32_e32 v5, vcc_lo, s11, v7, vcc_lo
	v_ashrrev_i32_e32 v9, 31, v8
	v_add_co_u32 v10, vcc_lo, s0, v1
	v_add_nc_u32_e32 v1, s5, v14
	v_ashrrev_i32_e32 v13, 31, v12
	s_delay_alu instid0(VALU_DEP_4)
	v_lshlrev_b64 v[8:9], 3, v[8:9]
	v_ashrrev_i32_e32 v15, 31, v14
	s_clause 0x1
	global_load_b64 v[50:51], v3, s[0:1]
	global_load_b64 v[52:53], v[4:5], off
	v_add_nc_u32_e32 v16, s5, v1
	v_lshlrev_b64 v[12:13], 3, v[12:13]
	v_add_co_ci_u32_e32 v11, vcc_lo, s1, v2, vcc_lo
	v_ashrrev_i32_e32 v2, 31, v1
	s_delay_alu instid0(VALU_DEP_4)
	v_add_nc_u32_e32 v20, s5, v16
	v_add_co_u32 v8, vcc_lo, s0, v8
	v_lshlrev_b64 v[14:15], 3, v[14:15]
	v_add_co_ci_u32_e32 v9, vcc_lo, s1, v9, vcc_lo
	v_add_co_u32 v12, vcc_lo, s0, v12
	v_lshlrev_b64 v[1:2], 3, v[1:2]
	v_add_nc_u32_e32 v22, s5, v20
	v_add_co_ci_u32_e32 v13, vcc_lo, s1, v13, vcc_lo
	v_add_co_u32 v14, vcc_lo, s0, v14
	v_ashrrev_i32_e32 v17, 31, v16
	v_add_co_ci_u32_e32 v15, vcc_lo, s1, v15, vcc_lo
	v_add_co_u32 v18, vcc_lo, s0, v1
	v_add_nc_u32_e32 v1, s5, v22
	v_ashrrev_i32_e32 v21, 31, v20
	v_lshlrev_b64 v[16:17], 3, v[16:17]
	v_ashrrev_i32_e32 v23, 31, v22
	s_clause 0x2
	global_load_b64 v[58:59], v[10:11], off
	global_load_b64 v[60:61], v[8:9], off
	;; [unrolled: 1-line block ×3, first 2 shown]
	v_add_nc_u32_e32 v24, s5, v1
	global_load_b64 v[64:65], v[14:15], off
	v_lshlrev_b64 v[20:21], 3, v[20:21]
	v_add_co_ci_u32_e32 v19, vcc_lo, s1, v2, vcc_lo
	v_add_co_u32 v16, vcc_lo, s0, v16
	v_lshlrev_b64 v[22:23], 3, v[22:23]
	v_ashrrev_i32_e32 v2, 31, v1
	v_add_nc_u32_e32 v26, s5, v24
	v_add_co_ci_u32_e32 v17, vcc_lo, s1, v17, vcc_lo
	v_add_co_u32 v20, vcc_lo, s0, v20
	v_add_co_ci_u32_e32 v21, vcc_lo, s1, v21, vcc_lo
	v_ashrrev_i32_e32 v25, 31, v24
	v_lshlrev_b64 v[1:2], 3, v[1:2]
	v_add_co_u32 v22, vcc_lo, s0, v22
	v_add_nc_u32_e32 v32, s5, v26
	v_add_co_ci_u32_e32 v23, vcc_lo, s1, v23, vcc_lo
	v_ashrrev_i32_e32 v27, 31, v26
	s_clause 0x3
	global_load_b64 v[66:67], v[18:19], off
	global_load_b64 v[68:69], v[16:17], off
	;; [unrolled: 1-line block ×4, first 2 shown]
	v_lshlrev_b64 v[28:29], 3, v[24:25]
	v_add_co_u32 v24, vcc_lo, s0, v1
	v_ashrrev_i32_e32 v33, 31, v32
	v_add_co_ci_u32_e32 v25, vcc_lo, s1, v2, vcc_lo
	v_lshlrev_b64 v[1:2], 3, v[26:27]
	v_add_co_u32 v26, vcc_lo, s0, v28
	s_delay_alu instid0(VALU_DEP_4) | instskip(SKIP_1) | instid1(VALU_DEP_4)
	v_lshlrev_b64 v[30:31], 3, v[32:33]
	v_add_co_ci_u32_e32 v27, vcc_lo, s1, v29, vcc_lo
	v_add_co_u32 v28, vcc_lo, s0, v1
	v_add_co_ci_u32_e32 v29, vcc_lo, s1, v2, vcc_lo
	s_delay_alu instid0(VALU_DEP_4)
	v_add_co_u32 v30, vcc_lo, s0, v30
	v_add_co_ci_u32_e32 v31, vcc_lo, s1, v31, vcc_lo
	s_clause 0x3
	global_load_b64 v[74:75], v[24:25], off
	global_load_b64 v[76:77], v[26:27], off
	;; [unrolled: 1-line block ×4, first 2 shown]
	v_add_nc_u32_e32 v1, s5, v32
	s_bitcmp0_b32 s15, 0
	s_delay_alu instid0(VALU_DEP_1) | instskip(SKIP_1) | instid1(VALU_DEP_2)
	v_add_nc_u32_e32 v32, s5, v1
	v_ashrrev_i32_e32 v2, 31, v1
	v_add_nc_u32_e32 v34, s5, v32
	v_ashrrev_i32_e32 v33, 31, v32
	s_delay_alu instid0(VALU_DEP_3) | instskip(NEXT) | instid1(VALU_DEP_3)
	v_lshlrev_b64 v[1:2], 3, v[1:2]
	v_add_nc_u32_e32 v36, s5, v34
	v_ashrrev_i32_e32 v35, 31, v34
	s_delay_alu instid0(VALU_DEP_4) | instskip(NEXT) | instid1(VALU_DEP_4)
	v_lshlrev_b64 v[41:42], 3, v[32:33]
	v_add_co_u32 v32, vcc_lo, s0, v1
	s_delay_alu instid0(VALU_DEP_4) | instskip(SKIP_3) | instid1(VALU_DEP_4)
	v_add_nc_u32_e32 v38, s5, v36
	v_add_co_ci_u32_e32 v33, vcc_lo, s1, v2, vcc_lo
	v_lshlrev_b64 v[1:2], 3, v[34:35]
	v_ashrrev_i32_e32 v37, 31, v36
	v_add_nc_u32_e32 v40, s5, v38
	v_add_co_u32 v34, vcc_lo, s0, v41
	v_ashrrev_i32_e32 v39, 31, v38
	v_add_co_ci_u32_e32 v35, vcc_lo, s1, v42, vcc_lo
	s_delay_alu instid0(VALU_DEP_4) | instskip(SKIP_3) | instid1(VALU_DEP_4)
	v_add_nc_u32_e32 v44, s5, v40
	v_lshlrev_b64 v[42:43], 3, v[36:37]
	v_add_co_u32 v36, vcc_lo, s0, v1
	v_ashrrev_i32_e32 v41, 31, v40
	v_add_nc_u32_e32 v46, s5, v44
	v_add_co_ci_u32_e32 v37, vcc_lo, s1, v2, vcc_lo
	v_lshlrev_b64 v[1:2], 3, v[38:39]
	v_add_co_u32 v38, vcc_lo, s0, v42
	s_delay_alu instid0(VALU_DEP_4) | instskip(SKIP_3) | instid1(VALU_DEP_4)
	v_add_nc_u32_e32 v48, s5, v46
	v_lshlrev_b64 v[40:41], 3, v[40:41]
	v_ashrrev_i32_e32 v45, 31, v44
	v_add_co_ci_u32_e32 v39, vcc_lo, s1, v43, vcc_lo
	v_add_nc_u32_e32 v54, s5, v48
	v_add_co_u32 v42, vcc_lo, s0, v1
	v_add_co_ci_u32_e32 v43, vcc_lo, s1, v2, vcc_lo
	s_delay_alu instid0(VALU_DEP_3) | instskip(SKIP_3) | instid1(VALU_DEP_4)
	v_add_nc_u32_e32 v56, s5, v54
	v_lshlrev_b64 v[1:2], 3, v[44:45]
	v_ashrrev_i32_e32 v47, 31, v46
	v_add_co_u32 v44, vcc_lo, s0, v40
	v_add_nc_u32_e32 v96, s5, v56
	v_add_co_ci_u32_e32 v45, vcc_lo, s1, v41, vcc_lo
	v_ashrrev_i32_e32 v49, 31, v48
	v_lshlrev_b64 v[90:91], 3, v[46:47]
	s_delay_alu instid0(VALU_DEP_4) | instskip(SKIP_2) | instid1(VALU_DEP_3)
	v_add_nc_u32_e32 v98, s5, v96
	v_add_co_u32 v46, vcc_lo, s0, v1
	v_add_co_ci_u32_e32 v47, vcc_lo, s1, v2, vcc_lo
	v_add_nc_u32_e32 v104, s5, v98
	v_ashrrev_i32_e32 v55, 31, v54
	v_lshlrev_b64 v[1:2], 3, v[48:49]
	v_ashrrev_i32_e32 v57, 31, v56
	s_clause 0x2
	global_load_b64 v[82:83], v[32:33], off
	global_load_b64 v[84:85], v[34:35], off
	;; [unrolled: 1-line block ×3, first 2 shown]
	v_add_nc_u32_e32 v106, s5, v104
	v_ashrrev_i32_e32 v97, 31, v96
	v_ashrrev_i32_e32 v99, 31, v98
	;; [unrolled: 1-line block ×3, first 2 shown]
	s_delay_alu instid0(VALU_DEP_4) | instskip(SKIP_1) | instid1(VALU_DEP_2)
	v_add_nc_u32_e32 v108, s5, v106
	v_ashrrev_i32_e32 v107, 31, v106
	v_add_nc_u32_e32 v110, s5, v108
	v_ashrrev_i32_e32 v109, 31, v108
	s_delay_alu instid0(VALU_DEP_2) | instskip(SKIP_1) | instid1(VALU_DEP_2)
	v_add_nc_u32_e32 v112, s5, v110
	v_ashrrev_i32_e32 v111, 31, v110
	v_add_nc_u32_e32 v114, s5, v112
	v_ashrrev_i32_e32 v113, 31, v112
	s_delay_alu instid0(VALU_DEP_2) | instskip(SKIP_1) | instid1(VALU_DEP_2)
	v_add_nc_u32_e32 v116, s5, v114
	v_ashrrev_i32_e32 v115, 31, v114
	v_add_nc_u32_e32 v88, s5, v116
	v_ashrrev_i32_e32 v117, 31, v116
	s_delay_alu instid0(VALU_DEP_2) | instskip(NEXT) | instid1(VALU_DEP_1)
	v_ashrrev_i32_e32 v89, 31, v88
	v_lshlrev_b64 v[40:41], 3, v[88:89]
	s_delay_alu instid0(VALU_DEP_1) | instskip(NEXT) | instid1(VALU_DEP_2)
	v_add_co_u32 v40, vcc_lo, s0, v40
	v_add_co_ci_u32_e32 v41, vcc_lo, s1, v41, vcc_lo
	v_add_co_u32 v48, vcc_lo, s0, v90
	v_add_co_ci_u32_e32 v49, vcc_lo, s1, v91, vcc_lo
	global_load_b64 v[118:119], v[40:41], off
	s_waitcnt vmcnt(16)
	scratch_store_b128 off, v[50:53], off
	v_lshlrev_b64 v[52:53], 3, v[54:55]
	v_add_co_u32 v50, vcc_lo, s0, v1
	v_add_co_ci_u32_e32 v51, vcc_lo, s1, v2, vcc_lo
	v_lshlrev_b64 v[1:2], 3, v[56:57]
	s_delay_alu instid0(VALU_DEP_4) | instskip(SKIP_2) | instid1(VALU_DEP_4)
	v_add_co_u32 v52, vcc_lo, s0, v52
	v_add_co_ci_u32_e32 v53, vcc_lo, s1, v53, vcc_lo
	v_lshlrev_b64 v[56:57], 3, v[96:97]
	v_add_co_u32 v54, vcc_lo, s0, v1
	v_add_co_ci_u32_e32 v55, vcc_lo, s1, v2, vcc_lo
	v_lshlrev_b64 v[1:2], 3, v[98:99]
	s_delay_alu instid0(VALU_DEP_4)
	v_add_co_u32 v56, vcc_lo, s0, v56
	s_clause 0x3
	global_load_b64 v[88:89], v[38:39], off
	global_load_b64 v[90:91], v[42:43], off
	;; [unrolled: 1-line block ×4, first 2 shown]
	v_add_co_ci_u32_e32 v57, vcc_lo, s1, v57, vcc_lo
	s_waitcnt vmcnt(18)
	scratch_store_b128 off, v[58:61], off offset:16
	s_waitcnt vmcnt(16)
	scratch_store_b128 off, v[62:65], off offset:32
	v_lshlrev_b64 v[60:61], 3, v[104:105]
	v_add_co_u32 v58, vcc_lo, s0, v1
	v_add_co_ci_u32_e32 v59, vcc_lo, s1, v2, vcc_lo
	v_lshlrev_b64 v[1:2], 3, v[106:107]
	s_delay_alu instid0(VALU_DEP_4) | instskip(SKIP_2) | instid1(VALU_DEP_4)
	v_add_co_u32 v60, vcc_lo, s0, v60
	v_add_co_ci_u32_e32 v61, vcc_lo, s1, v61, vcc_lo
	v_lshlrev_b64 v[64:65], 3, v[108:109]
	v_add_co_u32 v62, vcc_lo, s0, v1
	v_add_co_ci_u32_e32 v63, vcc_lo, s1, v2, vcc_lo
	v_lshlrev_b64 v[1:2], 3, v[110:111]
	s_clause 0x3
	global_load_b64 v[96:97], v[48:49], off
	global_load_b64 v[98:99], v[50:51], off
	;; [unrolled: 1-line block ×4, first 2 shown]
	s_waitcnt vmcnt(18)
	scratch_store_b128 off, v[66:69], off offset:48
	s_waitcnt vmcnt(16)
	scratch_store_b128 off, v[70:73], off offset:64
	v_add_co_u32 v64, vcc_lo, s0, v64
	v_lshlrev_b64 v[66:67], 3, v[112:113]
	v_add_co_ci_u32_e32 v65, vcc_lo, s1, v65, vcc_lo
	v_add_co_u32 v68, vcc_lo, s0, v1
	v_add_co_ci_u32_e32 v69, vcc_lo, s1, v2, vcc_lo
	v_lshlrev_b64 v[1:2], 3, v[114:115]
	v_add_co_u32 v70, vcc_lo, s0, v66
	v_add_co_ci_u32_e32 v71, vcc_lo, s1, v67, vcc_lo
	v_lshlrev_b64 v[66:67], 3, v[116:117]
	s_delay_alu instid0(VALU_DEP_4)
	v_add_co_u32 v72, vcc_lo, s0, v1
	v_add_co_ci_u32_e32 v73, vcc_lo, s1, v2, vcc_lo
	s_clause 0x3
	global_load_b64 v[104:105], v[56:57], off
	global_load_b64 v[106:107], v[58:59], off
	;; [unrolled: 1-line block ×4, first 2 shown]
	v_add_co_u32 v66, vcc_lo, s0, v66
	v_add_co_ci_u32_e32 v67, vcc_lo, s1, v67, vcc_lo
	s_waitcnt vmcnt(18)
	scratch_store_b128 off, v[74:77], off offset:80
	s_waitcnt vmcnt(16)
	scratch_store_b128 off, v[78:81], off offset:96
	s_clause 0x4
	global_load_b64 v[112:113], v[64:65], off
	global_load_b64 v[74:75], v[68:69], off
	;; [unrolled: 1-line block ×5, first 2 shown]
	s_mov_b32 s1, -1
	s_waitcnt vmcnt(19)
	scratch_store_b128 off, v[82:85], off offset:112
	s_waitcnt vmcnt(16)
	scratch_store_b128 off, v[86:89], off offset:128
	;; [unrolled: 2-line block ×9, first 2 shown]
	s_waitcnt vmcnt(0)
	s_clause 0x1
	scratch_store_b128 off, v[78:81], off offset:256
	scratch_store_b64 off, v[118:119], off offset:272
	s_cbranch_scc1 .LBB98_148
; %bb.4:
	v_cmp_eq_u32_e64 s0, 0, v0
	s_delay_alu instid0(VALU_DEP_1)
	s_and_saveexec_b32 s1, s0
	s_cbranch_execz .LBB98_6
; %bb.5:
	v_mov_b32_e32 v1, 0
	ds_store_b32 v1, v1 offset:280
.LBB98_6:
	s_or_b32 exec_lo, exec_lo, s1
	s_waitcnt lgkmcnt(0)
	s_waitcnt_vscnt null, 0x0
	s_barrier
	buffer_gl0_inv
	scratch_load_b64 v[1:2], v3, off
	s_mov_b32 s4, exec_lo
	s_waitcnt vmcnt(0)
	v_cmpx_eq_f64_e32 0, v[1:2]
	s_cbranch_execz .LBB98_10
; %bb.7:
	v_mov_b32_e32 v1, 0
	s_mov_b32 s5, 0
	ds_load_b32 v2, v1 offset:280
	s_waitcnt lgkmcnt(0)
	v_readfirstlane_b32 s1, v2
	v_add_nc_u32_e32 v2, 1, v0
	s_delay_alu instid0(VALU_DEP_2) | instskip(NEXT) | instid1(VALU_DEP_1)
	s_cmp_eq_u32 s1, 0
	v_cmp_gt_i32_e32 vcc_lo, s1, v2
	s_cselect_b32 s10, -1, 0
	s_delay_alu instid0(SALU_CYCLE_1) | instskip(NEXT) | instid1(SALU_CYCLE_1)
	s_or_b32 s10, s10, vcc_lo
	s_and_b32 exec_lo, exec_lo, s10
	s_cbranch_execz .LBB98_10
; %bb.8:
	v_mov_b32_e32 v74, s1
.LBB98_9:                               ; =>This Inner Loop Header: Depth=1
	ds_cmpstore_rtn_b32 v74, v1, v2, v74 offset:280
	s_waitcnt lgkmcnt(0)
	v_cmp_ne_u32_e32 vcc_lo, 0, v74
	v_cmp_le_i32_e64 s1, v74, v2
	s_delay_alu instid0(VALU_DEP_1) | instskip(NEXT) | instid1(SALU_CYCLE_1)
	s_and_b32 s1, vcc_lo, s1
	s_and_b32 s1, exec_lo, s1
	s_delay_alu instid0(SALU_CYCLE_1) | instskip(NEXT) | instid1(SALU_CYCLE_1)
	s_or_b32 s5, s1, s5
	s_and_not1_b32 exec_lo, exec_lo, s5
	s_cbranch_execnz .LBB98_9
.LBB98_10:
	s_or_b32 exec_lo, exec_lo, s4
	v_mov_b32_e32 v1, 0
	s_barrier
	buffer_gl0_inv
	ds_load_b32 v2, v1 offset:280
	s_and_saveexec_b32 s1, s0
	s_cbranch_execz .LBB98_12
; %bb.11:
	s_lshl_b64 s[4:5], s[8:9], 2
	s_delay_alu instid0(SALU_CYCLE_1)
	s_add_u32 s4, s6, s4
	s_addc_u32 s5, s7, s5
	s_waitcnt lgkmcnt(0)
	global_store_b32 v1, v2, s[4:5]
.LBB98_12:
	s_or_b32 exec_lo, exec_lo, s1
	s_waitcnt lgkmcnt(0)
	v_cmp_ne_u32_e32 vcc_lo, 0, v2
	s_mov_b32 s1, 0
	s_cbranch_vccnz .LBB98_148
; %bb.13:
	v_add_nc_u32_e32 v74, 0, v3
	scratch_load_b64 v[1:2], v74, off
	s_waitcnt vmcnt(0)
	v_div_scale_f64 v[75:76], null, v[1:2], v[1:2], 1.0
	v_div_scale_f64 v[81:82], vcc_lo, 1.0, v[1:2], 1.0
	s_delay_alu instid0(VALU_DEP_2) | instskip(SKIP_2) | instid1(VALU_DEP_1)
	v_rcp_f64_e32 v[77:78], v[75:76]
	s_waitcnt_depctr 0xfff
	v_fma_f64 v[79:80], -v[75:76], v[77:78], 1.0
	v_fma_f64 v[77:78], v[77:78], v[79:80], v[77:78]
	s_delay_alu instid0(VALU_DEP_1) | instskip(NEXT) | instid1(VALU_DEP_1)
	v_fma_f64 v[79:80], -v[75:76], v[77:78], 1.0
	v_fma_f64 v[77:78], v[77:78], v[79:80], v[77:78]
	s_delay_alu instid0(VALU_DEP_1) | instskip(NEXT) | instid1(VALU_DEP_1)
	v_mul_f64 v[79:80], v[81:82], v[77:78]
	v_fma_f64 v[75:76], -v[75:76], v[79:80], v[81:82]
	s_delay_alu instid0(VALU_DEP_1) | instskip(NEXT) | instid1(VALU_DEP_1)
	v_div_fmas_f64 v[75:76], v[75:76], v[77:78], v[79:80]
	v_div_fixup_f64 v[1:2], v[75:76], v[1:2], 1.0
	v_add_nc_u32_e32 v75, 0x120, v3
	scratch_store_b64 v74, v[1:2], off
	scratch_load_b64 v[76:77], off, off offset:8
	v_xor_b32_e32 v2, 0x80000000, v2
	s_waitcnt vmcnt(0)
	ds_store_2addr_b64 v3, v[1:2], v[76:77] offset1:36
	s_waitcnt lgkmcnt(0)
	s_waitcnt_vscnt null, 0x0
	s_barrier
	buffer_gl0_inv
	s_and_saveexec_b32 s1, s0
	s_cbranch_execz .LBB98_15
; %bb.14:
	scratch_load_b64 v[1:2], v74, off
	ds_load_b64 v[76:77], v75
	s_waitcnt vmcnt(0) lgkmcnt(0)
	v_fma_f64 v[1:2], v[1:2], v[76:77], 0
	v_mov_b32_e32 v76, 0
	ds_load_b64 v[76:77], v76 offset:8
	s_waitcnt lgkmcnt(0)
	v_mul_f64 v[1:2], v[1:2], v[76:77]
	scratch_store_b64 off, v[1:2], off offset:8
.LBB98_15:
	s_or_b32 exec_lo, exec_lo, s1
	s_waitcnt_vscnt null, 0x0
	s_barrier
	buffer_gl0_inv
	scratch_load_b64 v[1:2], off, off offset:16
	s_mov_b32 s1, exec_lo
	s_waitcnt vmcnt(0)
	ds_store_b64 v75, v[1:2]
	s_waitcnt lgkmcnt(0)
	s_barrier
	buffer_gl0_inv
	v_cmpx_gt_u32_e32 2, v0
	s_cbranch_execz .LBB98_19
; %bb.16:
	scratch_load_b64 v[1:2], v74, off
	ds_load_b64 v[76:77], v75
	s_waitcnt vmcnt(0) lgkmcnt(0)
	v_fma_f64 v[1:2], v[1:2], v[76:77], 0
	s_and_saveexec_b32 s4, s0
	s_cbranch_execz .LBB98_18
; %bb.17:
	scratch_load_b64 v[76:77], off, off offset:8
	v_mov_b32_e32 v78, 0
	ds_load_b64 v[78:79], v78 offset:296
	s_waitcnt vmcnt(0) lgkmcnt(0)
	v_fma_f64 v[1:2], v[76:77], v[78:79], v[1:2]
.LBB98_18:
	s_or_b32 exec_lo, exec_lo, s4
	v_mov_b32_e32 v76, 0
	ds_load_b64 v[76:77], v76 offset:16
	s_waitcnt lgkmcnt(0)
	v_mul_f64 v[1:2], v[1:2], v[76:77]
	scratch_store_b64 off, v[1:2], off offset:16
.LBB98_19:
	s_or_b32 exec_lo, exec_lo, s1
	s_waitcnt_vscnt null, 0x0
	s_barrier
	buffer_gl0_inv
	scratch_load_b64 v[1:2], off, off offset:24
	v_add_nc_u32_e32 v76, -1, v0
	s_mov_b32 s0, exec_lo
	s_waitcnt vmcnt(0)
	ds_store_b64 v75, v[1:2]
	s_waitcnt lgkmcnt(0)
	s_barrier
	buffer_gl0_inv
	v_cmpx_gt_u32_e32 3, v0
	s_cbranch_execz .LBB98_23
; %bb.20:
	v_dual_mov_b32 v1, 0 :: v_dual_add_nc_u32 v78, 0x120, v3
	v_dual_mov_b32 v2, 0 :: v_dual_add_nc_u32 v77, -1, v0
	v_add_nc_u32_e32 v79, 0, v3
	s_mov_b32 s1, 0
.LBB98_21:                              ; =>This Inner Loop Header: Depth=1
	scratch_load_b64 v[80:81], v79, off
	ds_load_b64 v[82:83], v78
	v_add_nc_u32_e32 v77, 1, v77
	v_add_nc_u32_e32 v78, 8, v78
	v_add_nc_u32_e32 v79, 8, v79
	s_delay_alu instid0(VALU_DEP_3)
	v_cmp_lt_u32_e32 vcc_lo, 1, v77
	s_or_b32 s1, vcc_lo, s1
	s_waitcnt vmcnt(0) lgkmcnt(0)
	v_fma_f64 v[1:2], v[80:81], v[82:83], v[1:2]
	s_and_not1_b32 exec_lo, exec_lo, s1
	s_cbranch_execnz .LBB98_21
; %bb.22:
	s_or_b32 exec_lo, exec_lo, s1
	v_mov_b32_e32 v77, 0
	ds_load_b64 v[77:78], v77 offset:24
	s_waitcnt lgkmcnt(0)
	v_mul_f64 v[1:2], v[1:2], v[77:78]
	scratch_store_b64 off, v[1:2], off offset:24
.LBB98_23:
	s_or_b32 exec_lo, exec_lo, s0
	s_waitcnt_vscnt null, 0x0
	s_barrier
	buffer_gl0_inv
	scratch_load_b64 v[1:2], off, off offset:32
	s_mov_b32 s0, exec_lo
	s_waitcnt vmcnt(0)
	ds_store_b64 v75, v[1:2]
	s_waitcnt lgkmcnt(0)
	s_barrier
	buffer_gl0_inv
	v_cmpx_gt_u32_e32 4, v0
	s_cbranch_execz .LBB98_27
; %bb.24:
	v_dual_mov_b32 v1, 0 :: v_dual_add_nc_u32 v78, 0x120, v3
	v_dual_mov_b32 v2, 0 :: v_dual_add_nc_u32 v77, -1, v0
	v_add_nc_u32_e32 v79, 0, v3
	s_mov_b32 s1, 0
.LBB98_25:                              ; =>This Inner Loop Header: Depth=1
	scratch_load_b64 v[80:81], v79, off
	ds_load_b64 v[82:83], v78
	v_add_nc_u32_e32 v77, 1, v77
	v_add_nc_u32_e32 v78, 8, v78
	v_add_nc_u32_e32 v79, 8, v79
	s_delay_alu instid0(VALU_DEP_3)
	v_cmp_lt_u32_e32 vcc_lo, 2, v77
	s_or_b32 s1, vcc_lo, s1
	s_waitcnt vmcnt(0) lgkmcnt(0)
	v_fma_f64 v[1:2], v[80:81], v[82:83], v[1:2]
	s_and_not1_b32 exec_lo, exec_lo, s1
	s_cbranch_execnz .LBB98_25
; %bb.26:
	s_or_b32 exec_lo, exec_lo, s1
	v_mov_b32_e32 v77, 0
	ds_load_b64 v[77:78], v77 offset:32
	s_waitcnt lgkmcnt(0)
	v_mul_f64 v[1:2], v[1:2], v[77:78]
	scratch_store_b64 off, v[1:2], off offset:32
.LBB98_27:
	s_or_b32 exec_lo, exec_lo, s0
	s_waitcnt_vscnt null, 0x0
	s_barrier
	buffer_gl0_inv
	scratch_load_b64 v[1:2], off, off offset:40
	;; [unrolled: 39-line block ×20, first 2 shown]
	s_mov_b32 s0, exec_lo
	s_waitcnt vmcnt(0)
	ds_store_b64 v75, v[1:2]
	s_waitcnt lgkmcnt(0)
	s_barrier
	buffer_gl0_inv
	v_cmpx_gt_u32_e32 23, v0
	s_cbranch_execz .LBB98_103
; %bb.100:
	v_dual_mov_b32 v1, 0 :: v_dual_add_nc_u32 v78, 0x120, v3
	v_dual_mov_b32 v2, 0 :: v_dual_add_nc_u32 v77, -1, v0
	v_add_nc_u32_e32 v79, 0, v3
	s_mov_b32 s1, 0
.LBB98_101:                             ; =>This Inner Loop Header: Depth=1
	scratch_load_b64 v[80:81], v79, off
	ds_load_b64 v[82:83], v78
	v_add_nc_u32_e32 v77, 1, v77
	v_add_nc_u32_e32 v78, 8, v78
	v_add_nc_u32_e32 v79, 8, v79
	s_delay_alu instid0(VALU_DEP_3)
	v_cmp_lt_u32_e32 vcc_lo, 21, v77
	s_or_b32 s1, vcc_lo, s1
	s_waitcnt vmcnt(0) lgkmcnt(0)
	v_fma_f64 v[1:2], v[80:81], v[82:83], v[1:2]
	s_and_not1_b32 exec_lo, exec_lo, s1
	s_cbranch_execnz .LBB98_101
; %bb.102:
	s_or_b32 exec_lo, exec_lo, s1
	v_mov_b32_e32 v77, 0
	ds_load_b64 v[77:78], v77 offset:184
	s_waitcnt lgkmcnt(0)
	v_mul_f64 v[1:2], v[1:2], v[77:78]
	scratch_store_b64 off, v[1:2], off offset:184
.LBB98_103:
	s_or_b32 exec_lo, exec_lo, s0
	s_waitcnt_vscnt null, 0x0
	s_barrier
	buffer_gl0_inv
	scratch_load_b64 v[1:2], off, off offset:192
	s_mov_b32 s0, exec_lo
	s_waitcnt vmcnt(0)
	ds_store_b64 v75, v[1:2]
	s_waitcnt lgkmcnt(0)
	s_barrier
	buffer_gl0_inv
	v_cmpx_gt_u32_e32 24, v0
	s_cbranch_execz .LBB98_107
; %bb.104:
	v_dual_mov_b32 v1, 0 :: v_dual_add_nc_u32 v78, 0x120, v3
	v_dual_mov_b32 v2, 0 :: v_dual_add_nc_u32 v77, -1, v0
	v_add_nc_u32_e32 v79, 0, v3
	s_mov_b32 s1, 0
.LBB98_105:                             ; =>This Inner Loop Header: Depth=1
	scratch_load_b64 v[80:81], v79, off
	ds_load_b64 v[82:83], v78
	v_add_nc_u32_e32 v77, 1, v77
	v_add_nc_u32_e32 v78, 8, v78
	v_add_nc_u32_e32 v79, 8, v79
	s_delay_alu instid0(VALU_DEP_3)
	v_cmp_lt_u32_e32 vcc_lo, 22, v77
	s_or_b32 s1, vcc_lo, s1
	s_waitcnt vmcnt(0) lgkmcnt(0)
	v_fma_f64 v[1:2], v[80:81], v[82:83], v[1:2]
	s_and_not1_b32 exec_lo, exec_lo, s1
	s_cbranch_execnz .LBB98_105
; %bb.106:
	s_or_b32 exec_lo, exec_lo, s1
	v_mov_b32_e32 v77, 0
	ds_load_b64 v[77:78], v77 offset:192
	s_waitcnt lgkmcnt(0)
	v_mul_f64 v[1:2], v[1:2], v[77:78]
	scratch_store_b64 off, v[1:2], off offset:192
.LBB98_107:
	s_or_b32 exec_lo, exec_lo, s0
	s_waitcnt_vscnt null, 0x0
	s_barrier
	buffer_gl0_inv
	scratch_load_b64 v[1:2], off, off offset:200
	;; [unrolled: 39-line block ×11, first 2 shown]
	s_mov_b32 s0, exec_lo
	s_waitcnt vmcnt(0)
	ds_store_b64 v75, v[1:2]
	s_waitcnt lgkmcnt(0)
	s_barrier
	buffer_gl0_inv
	v_cmpx_ne_u32_e32 34, v0
	s_cbranch_execz .LBB98_147
; %bb.144:
	v_mov_b32_e32 v1, 0
	v_mov_b32_e32 v2, 0
	s_mov_b32 s1, 0
.LBB98_145:                             ; =>This Inner Loop Header: Depth=1
	scratch_load_b64 v[77:78], v74, off
	ds_load_b64 v[79:80], v75
	v_add_nc_u32_e32 v76, 1, v76
	v_add_nc_u32_e32 v75, 8, v75
	;; [unrolled: 1-line block ×3, first 2 shown]
	s_delay_alu instid0(VALU_DEP_3)
	v_cmp_lt_u32_e32 vcc_lo, 32, v76
	s_or_b32 s1, vcc_lo, s1
	s_waitcnt vmcnt(0) lgkmcnt(0)
	v_fma_f64 v[1:2], v[77:78], v[79:80], v[1:2]
	s_and_not1_b32 exec_lo, exec_lo, s1
	s_cbranch_execnz .LBB98_145
; %bb.146:
	s_or_b32 exec_lo, exec_lo, s1
	v_mov_b32_e32 v3, 0
	ds_load_b64 v[74:75], v3 offset:272
	s_waitcnt lgkmcnt(0)
	v_mul_f64 v[1:2], v[1:2], v[74:75]
	scratch_store_b64 off, v[1:2], off offset:272
.LBB98_147:
	s_or_b32 exec_lo, exec_lo, s0
	s_mov_b32 s1, -1
	s_waitcnt_vscnt null, 0x0
	s_barrier
	buffer_gl0_inv
.LBB98_148:
	s_and_b32 vcc_lo, exec_lo, s1
	s_cbranch_vccz .LBB98_150
; %bb.149:
	s_lshl_b64 s[0:1], s[8:9], 2
	v_mov_b32_e32 v1, 0
	s_add_u32 s0, s6, s0
	s_addc_u32 s1, s7, s1
	global_load_b32 v1, v1, s[0:1]
	s_waitcnt vmcnt(0)
	v_cmp_ne_u32_e32 vcc_lo, 0, v1
	s_cbranch_vccz .LBB98_151
.LBB98_150:
	s_endpgm
.LBB98_151:
	v_lshl_add_u32 v3, v0, 3, 0x120
	s_mov_b32 s0, exec_lo
	v_cmpx_eq_u32_e32 34, v0
	s_cbranch_execz .LBB98_153
; %bb.152:
	scratch_load_b64 v[1:2], off, off offset:264
	v_mov_b32_e32 v74, 0
	s_delay_alu instid0(VALU_DEP_1)
	v_mov_b32_e32 v75, v74
	scratch_store_b64 off, v[74:75], off offset:264
	s_waitcnt vmcnt(0)
	ds_store_b64 v3, v[1:2]
.LBB98_153:
	s_or_b32 exec_lo, exec_lo, s0
	s_waitcnt lgkmcnt(0)
	s_waitcnt_vscnt null, 0x0
	s_barrier
	buffer_gl0_inv
	scratch_load_b128 v[74:77], off, off offset:264
	v_mov_b32_e32 v1, 0
	s_mov_b32 s0, exec_lo
	ds_load_b64 v[78:79], v1 offset:560
	s_waitcnt vmcnt(0) lgkmcnt(0)
	v_fma_f64 v[76:77], v[76:77], v[78:79], 0
	s_delay_alu instid0(VALU_DEP_1)
	v_add_f64 v[74:75], v[74:75], -v[76:77]
	scratch_store_b64 off, v[74:75], off offset:264
	v_cmpx_lt_u32_e32 32, v0
	s_cbranch_execz .LBB98_155
; %bb.154:
	scratch_load_b64 v[74:75], off, off offset:256
	v_mov_b32_e32 v2, v1
	scratch_store_b64 off, v[1:2], off offset:256
	s_waitcnt vmcnt(0)
	ds_store_b64 v3, v[74:75]
.LBB98_155:
	s_or_b32 exec_lo, exec_lo, s0
	s_waitcnt lgkmcnt(0)
	s_waitcnt_vscnt null, 0x0
	s_barrier
	buffer_gl0_inv
	s_clause 0x1
	scratch_load_b128 v[74:77], off, off offset:256
	scratch_load_b64 v[82:83], off, off offset:272
	ds_load_2addr_b64 v[78:81], v1 offset0:69 offset1:70
	s_mov_b32 s0, exec_lo
	s_waitcnt vmcnt(1) lgkmcnt(0)
	v_fma_f64 v[1:2], v[76:77], v[78:79], 0
	s_waitcnt vmcnt(0)
	s_delay_alu instid0(VALU_DEP_1) | instskip(NEXT) | instid1(VALU_DEP_1)
	v_fma_f64 v[1:2], v[82:83], v[80:81], v[1:2]
	v_add_f64 v[1:2], v[74:75], -v[1:2]
	scratch_store_b64 off, v[1:2], off offset:256
	v_cmpx_lt_u32_e32 31, v0
	s_cbranch_execz .LBB98_157
; %bb.156:
	scratch_load_b64 v[1:2], off, off offset:248
	v_mov_b32_e32 v74, 0
	s_delay_alu instid0(VALU_DEP_1)
	v_mov_b32_e32 v75, v74
	scratch_store_b64 off, v[74:75], off offset:248
	s_waitcnt vmcnt(0)
	ds_store_b64 v3, v[1:2]
.LBB98_157:
	s_or_b32 exec_lo, exec_lo, s0
	s_waitcnt lgkmcnt(0)
	s_waitcnt_vscnt null, 0x0
	s_barrier
	buffer_gl0_inv
	s_clause 0x1
	scratch_load_b128 v[74:77], off, off offset:248
	scratch_load_b128 v[78:81], off, off offset:264
	v_mov_b32_e32 v1, 0
	ds_load_b128 v[82:85], v1 offset:544
	ds_load_b64 v[86:87], v1 offset:560
	s_mov_b32 s0, exec_lo
	s_waitcnt vmcnt(1) lgkmcnt(1)
	v_fma_f64 v[76:77], v[76:77], v[82:83], 0
	s_waitcnt vmcnt(0)
	s_delay_alu instid0(VALU_DEP_1) | instskip(SKIP_1) | instid1(VALU_DEP_1)
	v_fma_f64 v[76:77], v[78:79], v[84:85], v[76:77]
	s_waitcnt lgkmcnt(0)
	v_fma_f64 v[76:77], v[80:81], v[86:87], v[76:77]
	s_delay_alu instid0(VALU_DEP_1)
	v_add_f64 v[74:75], v[74:75], -v[76:77]
	scratch_store_b64 off, v[74:75], off offset:248
	v_cmpx_lt_u32_e32 30, v0
	s_cbranch_execz .LBB98_159
; %bb.158:
	scratch_load_b64 v[74:75], off, off offset:240
	v_mov_b32_e32 v2, v1
	scratch_store_b64 off, v[1:2], off offset:240
	s_waitcnt vmcnt(0)
	ds_store_b64 v3, v[74:75]
.LBB98_159:
	s_or_b32 exec_lo, exec_lo, s0
	s_waitcnt lgkmcnt(0)
	s_waitcnt_vscnt null, 0x0
	s_barrier
	buffer_gl0_inv
	s_clause 0x2
	scratch_load_b128 v[74:77], off, off offset:240
	scratch_load_b128 v[78:81], off, off offset:256
	scratch_load_b64 v[90:91], off, off offset:272
	ds_load_2addr_b64 v[82:85], v1 offset0:67 offset1:68
	ds_load_2addr_b64 v[86:89], v1 offset0:69 offset1:70
	s_mov_b32 s0, exec_lo
	s_waitcnt vmcnt(2) lgkmcnt(1)
	v_fma_f64 v[1:2], v[76:77], v[82:83], 0
	s_waitcnt vmcnt(1)
	s_delay_alu instid0(VALU_DEP_1) | instskip(SKIP_1) | instid1(VALU_DEP_1)
	v_fma_f64 v[1:2], v[78:79], v[84:85], v[1:2]
	s_waitcnt lgkmcnt(0)
	v_fma_f64 v[1:2], v[80:81], v[86:87], v[1:2]
	s_waitcnt vmcnt(0)
	s_delay_alu instid0(VALU_DEP_1) | instskip(NEXT) | instid1(VALU_DEP_1)
	v_fma_f64 v[1:2], v[90:91], v[88:89], v[1:2]
	v_add_f64 v[1:2], v[74:75], -v[1:2]
	scratch_store_b64 off, v[1:2], off offset:240
	v_cmpx_lt_u32_e32 29, v0
	s_cbranch_execz .LBB98_161
; %bb.160:
	scratch_load_b64 v[1:2], off, off offset:232
	v_mov_b32_e32 v74, 0
	s_delay_alu instid0(VALU_DEP_1)
	v_mov_b32_e32 v75, v74
	scratch_store_b64 off, v[74:75], off offset:232
	s_waitcnt vmcnt(0)
	ds_store_b64 v3, v[1:2]
.LBB98_161:
	s_or_b32 exec_lo, exec_lo, s0
	s_waitcnt lgkmcnt(0)
	s_waitcnt_vscnt null, 0x0
	s_barrier
	buffer_gl0_inv
	s_clause 0x2
	scratch_load_b128 v[74:77], off, off offset:232
	scratch_load_b128 v[78:81], off, off offset:248
	;; [unrolled: 1-line block ×3, first 2 shown]
	v_mov_b32_e32 v1, 0
	ds_load_b128 v[86:89], v1 offset:528
	ds_load_b128 v[90:93], v1 offset:544
	s_mov_b32 s0, exec_lo
	s_waitcnt vmcnt(2) lgkmcnt(1)
	v_fma_f64 v[76:77], v[76:77], v[86:87], 0
	s_waitcnt vmcnt(1)
	s_delay_alu instid0(VALU_DEP_1) | instskip(SKIP_4) | instid1(VALU_DEP_1)
	v_fma_f64 v[76:77], v[78:79], v[88:89], v[76:77]
	ds_load_b64 v[78:79], v1 offset:560
	s_waitcnt lgkmcnt(1)
	v_fma_f64 v[76:77], v[80:81], v[90:91], v[76:77]
	s_waitcnt vmcnt(0)
	v_fma_f64 v[76:77], v[82:83], v[92:93], v[76:77]
	s_waitcnt lgkmcnt(0)
	s_delay_alu instid0(VALU_DEP_1) | instskip(NEXT) | instid1(VALU_DEP_1)
	v_fma_f64 v[76:77], v[84:85], v[78:79], v[76:77]
	v_add_f64 v[74:75], v[74:75], -v[76:77]
	scratch_store_b64 off, v[74:75], off offset:232
	v_cmpx_lt_u32_e32 28, v0
	s_cbranch_execz .LBB98_163
; %bb.162:
	scratch_load_b64 v[74:75], off, off offset:224
	v_mov_b32_e32 v2, v1
	scratch_store_b64 off, v[1:2], off offset:224
	s_waitcnt vmcnt(0)
	ds_store_b64 v3, v[74:75]
.LBB98_163:
	s_or_b32 exec_lo, exec_lo, s0
	s_waitcnt lgkmcnt(0)
	s_waitcnt_vscnt null, 0x0
	s_barrier
	buffer_gl0_inv
	s_clause 0x3
	scratch_load_b128 v[74:77], off, off offset:224
	scratch_load_b128 v[78:81], off, off offset:240
	;; [unrolled: 1-line block ×3, first 2 shown]
	scratch_load_b64 v[90:91], off, off offset:272
	ds_load_2addr_b64 v[86:89], v1 offset0:65 offset1:66
	s_mov_b32 s0, exec_lo
	s_waitcnt vmcnt(3) lgkmcnt(0)
	v_fma_f64 v[76:77], v[76:77], v[86:87], 0
	s_waitcnt vmcnt(2)
	s_delay_alu instid0(VALU_DEP_1) | instskip(SKIP_4) | instid1(VALU_DEP_1)
	v_fma_f64 v[86:87], v[78:79], v[88:89], v[76:77]
	ds_load_2addr_b64 v[76:79], v1 offset0:67 offset1:68
	s_waitcnt lgkmcnt(0)
	v_fma_f64 v[76:77], v[80:81], v[76:77], v[86:87]
	s_waitcnt vmcnt(1)
	v_fma_f64 v[80:81], v[82:83], v[78:79], v[76:77]
	ds_load_2addr_b64 v[76:79], v1 offset0:69 offset1:70
	s_waitcnt lgkmcnt(0)
	v_fma_f64 v[1:2], v[84:85], v[76:77], v[80:81]
	s_waitcnt vmcnt(0)
	s_delay_alu instid0(VALU_DEP_1) | instskip(NEXT) | instid1(VALU_DEP_1)
	v_fma_f64 v[1:2], v[90:91], v[78:79], v[1:2]
	v_add_f64 v[1:2], v[74:75], -v[1:2]
	scratch_store_b64 off, v[1:2], off offset:224
	v_cmpx_lt_u32_e32 27, v0
	s_cbranch_execz .LBB98_165
; %bb.164:
	scratch_load_b64 v[1:2], off, off offset:216
	v_mov_b32_e32 v74, 0
	s_delay_alu instid0(VALU_DEP_1)
	v_mov_b32_e32 v75, v74
	scratch_store_b64 off, v[74:75], off offset:216
	s_waitcnt vmcnt(0)
	ds_store_b64 v3, v[1:2]
.LBB98_165:
	s_or_b32 exec_lo, exec_lo, s0
	s_waitcnt lgkmcnt(0)
	s_waitcnt_vscnt null, 0x0
	s_barrier
	buffer_gl0_inv
	s_clause 0x3
	scratch_load_b128 v[74:77], off, off offset:216
	scratch_load_b128 v[78:81], off, off offset:232
	;; [unrolled: 1-line block ×4, first 2 shown]
	v_mov_b32_e32 v1, 0
	s_mov_b32 s0, exec_lo
	ds_load_b128 v[90:93], v1 offset:512
	s_waitcnt vmcnt(3) lgkmcnt(0)
	v_fma_f64 v[76:77], v[76:77], v[90:91], 0
	s_waitcnt vmcnt(2)
	s_delay_alu instid0(VALU_DEP_1) | instskip(SKIP_4) | instid1(VALU_DEP_1)
	v_fma_f64 v[90:91], v[78:79], v[92:93], v[76:77]
	ds_load_b128 v[76:79], v1 offset:528
	s_waitcnt lgkmcnt(0)
	v_fma_f64 v[76:77], v[80:81], v[76:77], v[90:91]
	s_waitcnt vmcnt(1)
	v_fma_f64 v[80:81], v[82:83], v[78:79], v[76:77]
	ds_load_b128 v[76:79], v1 offset:544
	s_waitcnt lgkmcnt(0)
	v_fma_f64 v[76:77], v[84:85], v[76:77], v[80:81]
	s_waitcnt vmcnt(0)
	s_delay_alu instid0(VALU_DEP_1) | instskip(SKIP_3) | instid1(VALU_DEP_1)
	v_fma_f64 v[76:77], v[86:87], v[78:79], v[76:77]
	ds_load_b64 v[78:79], v1 offset:560
	s_waitcnt lgkmcnt(0)
	v_fma_f64 v[76:77], v[88:89], v[78:79], v[76:77]
	v_add_f64 v[74:75], v[74:75], -v[76:77]
	scratch_store_b64 off, v[74:75], off offset:216
	v_cmpx_lt_u32_e32 26, v0
	s_cbranch_execz .LBB98_167
; %bb.166:
	scratch_load_b64 v[74:75], off, off offset:208
	v_mov_b32_e32 v2, v1
	scratch_store_b64 off, v[1:2], off offset:208
	s_waitcnt vmcnt(0)
	ds_store_b64 v3, v[74:75]
.LBB98_167:
	s_or_b32 exec_lo, exec_lo, s0
	s_waitcnt lgkmcnt(0)
	s_waitcnt_vscnt null, 0x0
	s_barrier
	buffer_gl0_inv
	s_clause 0x4
	scratch_load_b128 v[74:77], off, off offset:208
	scratch_load_b128 v[78:81], off, off offset:224
	;; [unrolled: 1-line block ×4, first 2 shown]
	scratch_load_b64 v[94:95], off, off offset:272
	ds_load_2addr_b64 v[90:93], v1 offset0:63 offset1:64
	s_mov_b32 s0, exec_lo
	s_waitcnt vmcnt(4) lgkmcnt(0)
	v_fma_f64 v[76:77], v[76:77], v[90:91], 0
	s_waitcnt vmcnt(3)
	s_delay_alu instid0(VALU_DEP_1) | instskip(SKIP_4) | instid1(VALU_DEP_1)
	v_fma_f64 v[90:91], v[78:79], v[92:93], v[76:77]
	ds_load_2addr_b64 v[76:79], v1 offset0:65 offset1:66
	s_waitcnt lgkmcnt(0)
	v_fma_f64 v[76:77], v[80:81], v[76:77], v[90:91]
	s_waitcnt vmcnt(2)
	v_fma_f64 v[80:81], v[82:83], v[78:79], v[76:77]
	ds_load_2addr_b64 v[76:79], v1 offset0:67 offset1:68
	s_waitcnt lgkmcnt(0)
	v_fma_f64 v[76:77], v[84:85], v[76:77], v[80:81]
	s_waitcnt vmcnt(1)
	s_delay_alu instid0(VALU_DEP_1) | instskip(SKIP_4) | instid1(VALU_DEP_1)
	v_fma_f64 v[80:81], v[86:87], v[78:79], v[76:77]
	ds_load_2addr_b64 v[76:79], v1 offset0:69 offset1:70
	s_waitcnt lgkmcnt(0)
	v_fma_f64 v[1:2], v[88:89], v[76:77], v[80:81]
	s_waitcnt vmcnt(0)
	v_fma_f64 v[1:2], v[94:95], v[78:79], v[1:2]
	s_delay_alu instid0(VALU_DEP_1)
	v_add_f64 v[1:2], v[74:75], -v[1:2]
	scratch_store_b64 off, v[1:2], off offset:208
	v_cmpx_lt_u32_e32 25, v0
	s_cbranch_execz .LBB98_169
; %bb.168:
	scratch_load_b64 v[1:2], off, off offset:200
	v_mov_b32_e32 v74, 0
	s_delay_alu instid0(VALU_DEP_1)
	v_mov_b32_e32 v75, v74
	scratch_store_b64 off, v[74:75], off offset:200
	s_waitcnt vmcnt(0)
	ds_store_b64 v3, v[1:2]
.LBB98_169:
	s_or_b32 exec_lo, exec_lo, s0
	s_waitcnt lgkmcnt(0)
	s_waitcnt_vscnt null, 0x0
	s_barrier
	buffer_gl0_inv
	s_clause 0x4
	scratch_load_b128 v[74:77], off, off offset:200
	scratch_load_b128 v[78:81], off, off offset:216
	;; [unrolled: 1-line block ×5, first 2 shown]
	v_mov_b32_e32 v1, 0
	ds_load_b128 v[94:97], v1 offset:496
	ds_load_b128 v[98:101], v1 offset:512
	s_mov_b32 s0, exec_lo
	s_waitcnt vmcnt(4) lgkmcnt(1)
	v_fma_f64 v[76:77], v[76:77], v[94:95], 0
	s_waitcnt vmcnt(3)
	s_delay_alu instid0(VALU_DEP_1) | instskip(SKIP_1) | instid1(VALU_DEP_1)
	v_fma_f64 v[76:77], v[78:79], v[96:97], v[76:77]
	s_waitcnt lgkmcnt(0)
	v_fma_f64 v[76:77], v[80:81], v[98:99], v[76:77]
	s_waitcnt vmcnt(2)
	s_delay_alu instid0(VALU_DEP_1)
	v_fma_f64 v[94:95], v[82:83], v[100:101], v[76:77]
	ds_load_b128 v[76:79], v1 offset:528
	ds_load_b128 v[80:83], v1 offset:544
	s_waitcnt lgkmcnt(1)
	v_fma_f64 v[76:77], v[84:85], v[76:77], v[94:95]
	s_waitcnt vmcnt(1)
	s_delay_alu instid0(VALU_DEP_1) | instskip(SKIP_4) | instid1(VALU_DEP_1)
	v_fma_f64 v[76:77], v[86:87], v[78:79], v[76:77]
	ds_load_b64 v[78:79], v1 offset:560
	s_waitcnt lgkmcnt(1)
	v_fma_f64 v[76:77], v[88:89], v[80:81], v[76:77]
	s_waitcnt vmcnt(0)
	v_fma_f64 v[76:77], v[90:91], v[82:83], v[76:77]
	s_waitcnt lgkmcnt(0)
	s_delay_alu instid0(VALU_DEP_1) | instskip(NEXT) | instid1(VALU_DEP_1)
	v_fma_f64 v[76:77], v[92:93], v[78:79], v[76:77]
	v_add_f64 v[74:75], v[74:75], -v[76:77]
	scratch_store_b64 off, v[74:75], off offset:200
	v_cmpx_lt_u32_e32 24, v0
	s_cbranch_execz .LBB98_171
; %bb.170:
	scratch_load_b64 v[74:75], off, off offset:192
	v_mov_b32_e32 v2, v1
	scratch_store_b64 off, v[1:2], off offset:192
	s_waitcnt vmcnt(0)
	ds_store_b64 v3, v[74:75]
.LBB98_171:
	s_or_b32 exec_lo, exec_lo, s0
	s_waitcnt lgkmcnt(0)
	s_waitcnt_vscnt null, 0x0
	s_barrier
	buffer_gl0_inv
	s_clause 0x4
	scratch_load_b128 v[74:77], off, off offset:192
	scratch_load_b128 v[78:81], off, off offset:208
	scratch_load_b128 v[82:85], off, off offset:224
	scratch_load_b128 v[86:89], off, off offset:240
	scratch_load_b128 v[90:93], off, off offset:256
	ds_load_2addr_b64 v[94:97], v1 offset0:61 offset1:62
	ds_load_2addr_b64 v[98:101], v1 offset0:63 offset1:64
	s_mov_b32 s0, exec_lo
	s_waitcnt vmcnt(4) lgkmcnt(1)
	v_fma_f64 v[76:77], v[76:77], v[94:95], 0
	scratch_load_b64 v[94:95], off, off offset:272
	s_waitcnt vmcnt(4)
	v_fma_f64 v[76:77], v[78:79], v[96:97], v[76:77]
	s_waitcnt lgkmcnt(0)
	s_delay_alu instid0(VALU_DEP_1) | instskip(SKIP_1) | instid1(VALU_DEP_1)
	v_fma_f64 v[76:77], v[80:81], v[98:99], v[76:77]
	s_waitcnt vmcnt(3)
	v_fma_f64 v[96:97], v[82:83], v[100:101], v[76:77]
	ds_load_2addr_b64 v[76:79], v1 offset0:65 offset1:66
	ds_load_2addr_b64 v[80:83], v1 offset0:67 offset1:68
	s_waitcnt lgkmcnt(1)
	v_fma_f64 v[76:77], v[84:85], v[76:77], v[96:97]
	s_waitcnt vmcnt(2)
	s_delay_alu instid0(VALU_DEP_1) | instskip(SKIP_1) | instid1(VALU_DEP_1)
	v_fma_f64 v[76:77], v[86:87], v[78:79], v[76:77]
	s_waitcnt lgkmcnt(0)
	v_fma_f64 v[76:77], v[88:89], v[80:81], v[76:77]
	s_waitcnt vmcnt(1)
	s_delay_alu instid0(VALU_DEP_1) | instskip(SKIP_4) | instid1(VALU_DEP_1)
	v_fma_f64 v[80:81], v[90:91], v[82:83], v[76:77]
	ds_load_2addr_b64 v[76:79], v1 offset0:69 offset1:70
	s_waitcnt lgkmcnt(0)
	v_fma_f64 v[1:2], v[92:93], v[76:77], v[80:81]
	s_waitcnt vmcnt(0)
	v_fma_f64 v[1:2], v[94:95], v[78:79], v[1:2]
	s_delay_alu instid0(VALU_DEP_1)
	v_add_f64 v[1:2], v[74:75], -v[1:2]
	scratch_store_b64 off, v[1:2], off offset:192
	v_cmpx_lt_u32_e32 23, v0
	s_cbranch_execz .LBB98_173
; %bb.172:
	scratch_load_b64 v[1:2], off, off offset:184
	v_mov_b32_e32 v74, 0
	s_delay_alu instid0(VALU_DEP_1)
	v_mov_b32_e32 v75, v74
	scratch_store_b64 off, v[74:75], off offset:184
	s_waitcnt vmcnt(0)
	ds_store_b64 v3, v[1:2]
.LBB98_173:
	s_or_b32 exec_lo, exec_lo, s0
	s_waitcnt lgkmcnt(0)
	s_waitcnt_vscnt null, 0x0
	s_barrier
	buffer_gl0_inv
	s_clause 0x4
	scratch_load_b128 v[74:77], off, off offset:184
	scratch_load_b128 v[78:81], off, off offset:200
	;; [unrolled: 1-line block ×5, first 2 shown]
	v_mov_b32_e32 v1, 0
	ds_load_b128 v[94:97], v1 offset:480
	ds_load_b128 v[98:101], v1 offset:496
	scratch_load_b128 v[102:105], off, off offset:264
	s_mov_b32 s0, exec_lo
	s_waitcnt vmcnt(5) lgkmcnt(1)
	v_fma_f64 v[76:77], v[76:77], v[94:95], 0
	s_waitcnt vmcnt(4)
	s_delay_alu instid0(VALU_DEP_1) | instskip(SKIP_1) | instid1(VALU_DEP_1)
	v_fma_f64 v[76:77], v[78:79], v[96:97], v[76:77]
	s_waitcnt lgkmcnt(0)
	v_fma_f64 v[76:77], v[80:81], v[98:99], v[76:77]
	s_waitcnt vmcnt(3)
	s_delay_alu instid0(VALU_DEP_1)
	v_fma_f64 v[94:95], v[82:83], v[100:101], v[76:77]
	ds_load_b128 v[76:79], v1 offset:512
	ds_load_b128 v[80:83], v1 offset:528
	s_waitcnt lgkmcnt(1)
	v_fma_f64 v[76:77], v[84:85], v[76:77], v[94:95]
	s_waitcnt vmcnt(2)
	s_delay_alu instid0(VALU_DEP_1) | instskip(SKIP_1) | instid1(VALU_DEP_1)
	v_fma_f64 v[76:77], v[86:87], v[78:79], v[76:77]
	s_waitcnt lgkmcnt(0)
	v_fma_f64 v[76:77], v[88:89], v[80:81], v[76:77]
	s_waitcnt vmcnt(1)
	s_delay_alu instid0(VALU_DEP_1)
	v_fma_f64 v[80:81], v[90:91], v[82:83], v[76:77]
	ds_load_b128 v[76:79], v1 offset:544
	ds_load_b64 v[82:83], v1 offset:560
	s_waitcnt lgkmcnt(1)
	v_fma_f64 v[76:77], v[92:93], v[76:77], v[80:81]
	s_waitcnt vmcnt(0)
	s_delay_alu instid0(VALU_DEP_1) | instskip(SKIP_1) | instid1(VALU_DEP_1)
	v_fma_f64 v[76:77], v[102:103], v[78:79], v[76:77]
	s_waitcnt lgkmcnt(0)
	v_fma_f64 v[76:77], v[104:105], v[82:83], v[76:77]
	s_delay_alu instid0(VALU_DEP_1)
	v_add_f64 v[74:75], v[74:75], -v[76:77]
	scratch_store_b64 off, v[74:75], off offset:184
	v_cmpx_lt_u32_e32 22, v0
	s_cbranch_execz .LBB98_175
; %bb.174:
	scratch_load_b64 v[74:75], off, off offset:176
	v_mov_b32_e32 v2, v1
	scratch_store_b64 off, v[1:2], off offset:176
	s_waitcnt vmcnt(0)
	ds_store_b64 v3, v[74:75]
.LBB98_175:
	s_or_b32 exec_lo, exec_lo, s0
	s_waitcnt lgkmcnt(0)
	s_waitcnt_vscnt null, 0x0
	s_barrier
	buffer_gl0_inv
	s_clause 0x4
	scratch_load_b128 v[74:77], off, off offset:176
	scratch_load_b128 v[78:81], off, off offset:192
	;; [unrolled: 1-line block ×5, first 2 shown]
	ds_load_2addr_b64 v[94:97], v1 offset0:59 offset1:60
	ds_load_2addr_b64 v[98:101], v1 offset0:61 offset1:62
	scratch_load_b128 v[102:105], off, off offset:256
	s_mov_b32 s0, exec_lo
	s_waitcnt vmcnt(5) lgkmcnt(1)
	v_fma_f64 v[76:77], v[76:77], v[94:95], 0
	scratch_load_b64 v[94:95], off, off offset:272
	s_waitcnt vmcnt(5)
	v_fma_f64 v[76:77], v[78:79], v[96:97], v[76:77]
	s_waitcnt lgkmcnt(0)
	s_delay_alu instid0(VALU_DEP_1) | instskip(SKIP_1) | instid1(VALU_DEP_1)
	v_fma_f64 v[76:77], v[80:81], v[98:99], v[76:77]
	s_waitcnt vmcnt(4)
	v_fma_f64 v[96:97], v[82:83], v[100:101], v[76:77]
	ds_load_2addr_b64 v[76:79], v1 offset0:63 offset1:64
	ds_load_2addr_b64 v[80:83], v1 offset0:65 offset1:66
	s_waitcnt lgkmcnt(1)
	v_fma_f64 v[76:77], v[84:85], v[76:77], v[96:97]
	s_waitcnt vmcnt(3)
	s_delay_alu instid0(VALU_DEP_1) | instskip(SKIP_1) | instid1(VALU_DEP_1)
	v_fma_f64 v[76:77], v[86:87], v[78:79], v[76:77]
	s_waitcnt lgkmcnt(0)
	v_fma_f64 v[76:77], v[88:89], v[80:81], v[76:77]
	s_waitcnt vmcnt(2)
	s_delay_alu instid0(VALU_DEP_1)
	v_fma_f64 v[84:85], v[90:91], v[82:83], v[76:77]
	ds_load_2addr_b64 v[76:79], v1 offset0:67 offset1:68
	ds_load_2addr_b64 v[80:83], v1 offset0:69 offset1:70
	s_waitcnt lgkmcnt(1)
	v_fma_f64 v[1:2], v[92:93], v[76:77], v[84:85]
	s_waitcnt vmcnt(1)
	s_delay_alu instid0(VALU_DEP_1) | instskip(SKIP_1) | instid1(VALU_DEP_1)
	v_fma_f64 v[1:2], v[102:103], v[78:79], v[1:2]
	s_waitcnt lgkmcnt(0)
	v_fma_f64 v[1:2], v[104:105], v[80:81], v[1:2]
	s_waitcnt vmcnt(0)
	s_delay_alu instid0(VALU_DEP_1) | instskip(NEXT) | instid1(VALU_DEP_1)
	v_fma_f64 v[1:2], v[94:95], v[82:83], v[1:2]
	v_add_f64 v[1:2], v[74:75], -v[1:2]
	scratch_store_b64 off, v[1:2], off offset:176
	v_cmpx_lt_u32_e32 21, v0
	s_cbranch_execz .LBB98_177
; %bb.176:
	scratch_load_b64 v[1:2], off, off offset:168
	v_mov_b32_e32 v74, 0
	s_delay_alu instid0(VALU_DEP_1)
	v_mov_b32_e32 v75, v74
	scratch_store_b64 off, v[74:75], off offset:168
	s_waitcnt vmcnt(0)
	ds_store_b64 v3, v[1:2]
.LBB98_177:
	s_or_b32 exec_lo, exec_lo, s0
	s_waitcnt lgkmcnt(0)
	s_waitcnt_vscnt null, 0x0
	s_barrier
	buffer_gl0_inv
	s_clause 0x4
	scratch_load_b128 v[74:77], off, off offset:168
	scratch_load_b128 v[78:81], off, off offset:184
	;; [unrolled: 1-line block ×5, first 2 shown]
	v_mov_b32_e32 v1, 0
	ds_load_b128 v[94:97], v1 offset:464
	ds_load_b128 v[98:101], v1 offset:480
	scratch_load_b128 v[102:105], off, off offset:248
	s_mov_b32 s0, exec_lo
	s_waitcnt vmcnt(5) lgkmcnt(1)
	v_fma_f64 v[76:77], v[76:77], v[94:95], 0
	s_waitcnt vmcnt(4)
	s_delay_alu instid0(VALU_DEP_1) | instskip(SKIP_1) | instid1(VALU_DEP_1)
	v_fma_f64 v[76:77], v[78:79], v[96:97], v[76:77]
	s_waitcnt lgkmcnt(0)
	v_fma_f64 v[80:81], v[80:81], v[98:99], v[76:77]
	scratch_load_b128 v[76:79], off, off offset:264
	s_waitcnt vmcnt(4)
	v_fma_f64 v[98:99], v[82:83], v[100:101], v[80:81]
	ds_load_b128 v[80:83], v1 offset:496
	ds_load_b128 v[94:97], v1 offset:512
	s_waitcnt lgkmcnt(1)
	v_fma_f64 v[80:81], v[84:85], v[80:81], v[98:99]
	s_waitcnt vmcnt(3)
	s_delay_alu instid0(VALU_DEP_1) | instskip(SKIP_1) | instid1(VALU_DEP_1)
	v_fma_f64 v[80:81], v[86:87], v[82:83], v[80:81]
	s_waitcnt lgkmcnt(0)
	v_fma_f64 v[80:81], v[88:89], v[94:95], v[80:81]
	s_waitcnt vmcnt(2)
	s_delay_alu instid0(VALU_DEP_1)
	v_fma_f64 v[88:89], v[90:91], v[96:97], v[80:81]
	ds_load_b128 v[80:83], v1 offset:528
	ds_load_b128 v[84:87], v1 offset:544
	s_waitcnt lgkmcnt(1)
	v_fma_f64 v[80:81], v[92:93], v[80:81], v[88:89]
	s_waitcnt vmcnt(1)
	s_delay_alu instid0(VALU_DEP_1) | instskip(SKIP_1) | instid1(VALU_DEP_1)
	v_fma_f64 v[80:81], v[102:103], v[82:83], v[80:81]
	s_waitcnt lgkmcnt(0)
	v_fma_f64 v[80:81], v[104:105], v[84:85], v[80:81]
	s_waitcnt vmcnt(0)
	s_delay_alu instid0(VALU_DEP_1) | instskip(SKIP_3) | instid1(VALU_DEP_1)
	v_fma_f64 v[76:77], v[76:77], v[86:87], v[80:81]
	ds_load_b64 v[80:81], v1 offset:560
	s_waitcnt lgkmcnt(0)
	v_fma_f64 v[76:77], v[78:79], v[80:81], v[76:77]
	v_add_f64 v[74:75], v[74:75], -v[76:77]
	scratch_store_b64 off, v[74:75], off offset:168
	v_cmpx_lt_u32_e32 20, v0
	s_cbranch_execz .LBB98_179
; %bb.178:
	scratch_load_b64 v[74:75], off, off offset:160
	v_mov_b32_e32 v2, v1
	scratch_store_b64 off, v[1:2], off offset:160
	s_waitcnt vmcnt(0)
	ds_store_b64 v3, v[74:75]
.LBB98_179:
	s_or_b32 exec_lo, exec_lo, s0
	s_waitcnt lgkmcnt(0)
	s_waitcnt_vscnt null, 0x0
	s_barrier
	buffer_gl0_inv
	s_clause 0x4
	scratch_load_b128 v[74:77], off, off offset:160
	scratch_load_b128 v[78:81], off, off offset:176
	;; [unrolled: 1-line block ×5, first 2 shown]
	ds_load_2addr_b64 v[94:97], v1 offset0:57 offset1:58
	ds_load_2addr_b64 v[98:101], v1 offset0:59 offset1:60
	scratch_load_b128 v[102:105], off, off offset:240
	s_mov_b32 s0, exec_lo
	s_waitcnt vmcnt(5) lgkmcnt(1)
	v_fma_f64 v[76:77], v[76:77], v[94:95], 0
	s_waitcnt vmcnt(4)
	s_delay_alu instid0(VALU_DEP_1) | instskip(SKIP_1) | instid1(VALU_DEP_1)
	v_fma_f64 v[76:77], v[78:79], v[96:97], v[76:77]
	s_waitcnt lgkmcnt(0)
	v_fma_f64 v[80:81], v[80:81], v[98:99], v[76:77]
	scratch_load_b128 v[76:79], off, off offset:256
	s_waitcnt vmcnt(4)
	v_fma_f64 v[98:99], v[82:83], v[100:101], v[80:81]
	ds_load_2addr_b64 v[80:83], v1 offset0:61 offset1:62
	ds_load_2addr_b64 v[94:97], v1 offset0:63 offset1:64
	s_waitcnt lgkmcnt(1)
	v_fma_f64 v[80:81], v[84:85], v[80:81], v[98:99]
	scratch_load_b64 v[98:99], off, off offset:272
	s_waitcnt vmcnt(4)
	v_fma_f64 v[80:81], v[86:87], v[82:83], v[80:81]
	s_waitcnt lgkmcnt(0)
	s_delay_alu instid0(VALU_DEP_1) | instskip(SKIP_1) | instid1(VALU_DEP_1)
	v_fma_f64 v[80:81], v[88:89], v[94:95], v[80:81]
	s_waitcnt vmcnt(3)
	v_fma_f64 v[88:89], v[90:91], v[96:97], v[80:81]
	ds_load_2addr_b64 v[80:83], v1 offset0:65 offset1:66
	ds_load_2addr_b64 v[84:87], v1 offset0:67 offset1:68
	s_waitcnt lgkmcnt(1)
	v_fma_f64 v[80:81], v[92:93], v[80:81], v[88:89]
	s_waitcnt vmcnt(2)
	s_delay_alu instid0(VALU_DEP_1) | instskip(SKIP_1) | instid1(VALU_DEP_1)
	v_fma_f64 v[80:81], v[102:103], v[82:83], v[80:81]
	s_waitcnt lgkmcnt(0)
	v_fma_f64 v[80:81], v[104:105], v[84:85], v[80:81]
	s_waitcnt vmcnt(1)
	s_delay_alu instid0(VALU_DEP_1) | instskip(SKIP_4) | instid1(VALU_DEP_1)
	v_fma_f64 v[76:77], v[76:77], v[86:87], v[80:81]
	ds_load_2addr_b64 v[80:83], v1 offset0:69 offset1:70
	s_waitcnt lgkmcnt(0)
	v_fma_f64 v[1:2], v[78:79], v[80:81], v[76:77]
	s_waitcnt vmcnt(0)
	v_fma_f64 v[1:2], v[98:99], v[82:83], v[1:2]
	s_delay_alu instid0(VALU_DEP_1)
	v_add_f64 v[1:2], v[74:75], -v[1:2]
	scratch_store_b64 off, v[1:2], off offset:160
	v_cmpx_lt_u32_e32 19, v0
	s_cbranch_execz .LBB98_181
; %bb.180:
	scratch_load_b64 v[1:2], off, off offset:152
	v_mov_b32_e32 v74, 0
	s_delay_alu instid0(VALU_DEP_1)
	v_mov_b32_e32 v75, v74
	scratch_store_b64 off, v[74:75], off offset:152
	s_waitcnt vmcnt(0)
	ds_store_b64 v3, v[1:2]
.LBB98_181:
	s_or_b32 exec_lo, exec_lo, s0
	s_waitcnt lgkmcnt(0)
	s_waitcnt_vscnt null, 0x0
	s_barrier
	buffer_gl0_inv
	s_clause 0x4
	scratch_load_b128 v[74:77], off, off offset:152
	scratch_load_b128 v[78:81], off, off offset:168
	;; [unrolled: 1-line block ×5, first 2 shown]
	v_mov_b32_e32 v1, 0
	ds_load_b128 v[94:97], v1 offset:448
	ds_load_b128 v[98:101], v1 offset:464
	scratch_load_b128 v[102:105], off, off offset:232
	s_mov_b32 s0, exec_lo
	s_waitcnt vmcnt(5) lgkmcnt(1)
	v_fma_f64 v[76:77], v[76:77], v[94:95], 0
	s_waitcnt vmcnt(4)
	s_delay_alu instid0(VALU_DEP_1) | instskip(SKIP_1) | instid1(VALU_DEP_1)
	v_fma_f64 v[76:77], v[78:79], v[96:97], v[76:77]
	s_waitcnt lgkmcnt(0)
	v_fma_f64 v[80:81], v[80:81], v[98:99], v[76:77]
	scratch_load_b128 v[76:79], off, off offset:248
	s_waitcnt vmcnt(4)
	v_fma_f64 v[98:99], v[82:83], v[100:101], v[80:81]
	ds_load_b128 v[80:83], v1 offset:480
	ds_load_b128 v[94:97], v1 offset:496
	s_waitcnt lgkmcnt(1)
	v_fma_f64 v[80:81], v[84:85], v[80:81], v[98:99]
	scratch_load_b128 v[98:101], off, off offset:264
	s_waitcnt vmcnt(4)
	v_fma_f64 v[80:81], v[86:87], v[82:83], v[80:81]
	s_waitcnt lgkmcnt(0)
	s_delay_alu instid0(VALU_DEP_1) | instskip(SKIP_1) | instid1(VALU_DEP_1)
	v_fma_f64 v[80:81], v[88:89], v[94:95], v[80:81]
	s_waitcnt vmcnt(3)
	v_fma_f64 v[88:89], v[90:91], v[96:97], v[80:81]
	ds_load_b128 v[80:83], v1 offset:512
	ds_load_b128 v[84:87], v1 offset:528
	s_waitcnt lgkmcnt(1)
	v_fma_f64 v[80:81], v[92:93], v[80:81], v[88:89]
	s_waitcnt vmcnt(2)
	s_delay_alu instid0(VALU_DEP_1) | instskip(SKIP_1) | instid1(VALU_DEP_1)
	v_fma_f64 v[80:81], v[102:103], v[82:83], v[80:81]
	s_waitcnt lgkmcnt(0)
	v_fma_f64 v[80:81], v[104:105], v[84:85], v[80:81]
	s_waitcnt vmcnt(1)
	s_delay_alu instid0(VALU_DEP_1)
	v_fma_f64 v[76:77], v[76:77], v[86:87], v[80:81]
	ds_load_b128 v[80:83], v1 offset:544
	ds_load_b64 v[84:85], v1 offset:560
	s_waitcnt lgkmcnt(1)
	v_fma_f64 v[76:77], v[78:79], v[80:81], v[76:77]
	s_waitcnt vmcnt(0)
	s_delay_alu instid0(VALU_DEP_1) | instskip(SKIP_1) | instid1(VALU_DEP_1)
	v_fma_f64 v[76:77], v[98:99], v[82:83], v[76:77]
	s_waitcnt lgkmcnt(0)
	v_fma_f64 v[76:77], v[100:101], v[84:85], v[76:77]
	s_delay_alu instid0(VALU_DEP_1)
	v_add_f64 v[74:75], v[74:75], -v[76:77]
	scratch_store_b64 off, v[74:75], off offset:152
	v_cmpx_lt_u32_e32 18, v0
	s_cbranch_execz .LBB98_183
; %bb.182:
	scratch_load_b64 v[74:75], off, off offset:144
	v_mov_b32_e32 v2, v1
	scratch_store_b64 off, v[1:2], off offset:144
	s_waitcnt vmcnt(0)
	ds_store_b64 v3, v[74:75]
.LBB98_183:
	s_or_b32 exec_lo, exec_lo, s0
	s_waitcnt lgkmcnt(0)
	s_waitcnt_vscnt null, 0x0
	s_barrier
	buffer_gl0_inv
	s_clause 0x4
	scratch_load_b128 v[74:77], off, off offset:144
	scratch_load_b128 v[78:81], off, off offset:160
	scratch_load_b128 v[82:85], off, off offset:176
	scratch_load_b128 v[86:89], off, off offset:192
	scratch_load_b128 v[90:93], off, off offset:208
	ds_load_2addr_b64 v[94:97], v1 offset0:55 offset1:56
	ds_load_2addr_b64 v[98:101], v1 offset0:57 offset1:58
	scratch_load_b128 v[102:105], off, off offset:224
	s_mov_b32 s0, exec_lo
	s_waitcnt vmcnt(5) lgkmcnt(1)
	v_fma_f64 v[76:77], v[76:77], v[94:95], 0
	s_waitcnt vmcnt(4)
	s_delay_alu instid0(VALU_DEP_1) | instskip(SKIP_1) | instid1(VALU_DEP_1)
	v_fma_f64 v[76:77], v[78:79], v[96:97], v[76:77]
	s_waitcnt lgkmcnt(0)
	v_fma_f64 v[80:81], v[80:81], v[98:99], v[76:77]
	scratch_load_b128 v[76:79], off, off offset:240
	s_waitcnt vmcnt(4)
	v_fma_f64 v[98:99], v[82:83], v[100:101], v[80:81]
	ds_load_2addr_b64 v[80:83], v1 offset0:59 offset1:60
	ds_load_2addr_b64 v[94:97], v1 offset0:61 offset1:62
	s_waitcnt lgkmcnt(1)
	v_fma_f64 v[80:81], v[84:85], v[80:81], v[98:99]
	scratch_load_b128 v[98:101], off, off offset:256
	s_waitcnt vmcnt(4)
	v_fma_f64 v[80:81], v[86:87], v[82:83], v[80:81]
	s_waitcnt lgkmcnt(0)
	s_delay_alu instid0(VALU_DEP_1)
	v_fma_f64 v[80:81], v[88:89], v[94:95], v[80:81]
	scratch_load_b64 v[88:89], off, off offset:272
	s_waitcnt vmcnt(4)
	v_fma_f64 v[90:91], v[90:91], v[96:97], v[80:81]
	ds_load_2addr_b64 v[80:83], v1 offset0:63 offset1:64
	ds_load_2addr_b64 v[84:87], v1 offset0:65 offset1:66
	s_waitcnt lgkmcnt(1)
	v_fma_f64 v[80:81], v[92:93], v[80:81], v[90:91]
	s_waitcnt vmcnt(3)
	s_delay_alu instid0(VALU_DEP_1) | instskip(SKIP_1) | instid1(VALU_DEP_1)
	v_fma_f64 v[80:81], v[102:103], v[82:83], v[80:81]
	s_waitcnt lgkmcnt(0)
	v_fma_f64 v[80:81], v[104:105], v[84:85], v[80:81]
	s_waitcnt vmcnt(2)
	s_delay_alu instid0(VALU_DEP_1)
	v_fma_f64 v[76:77], v[76:77], v[86:87], v[80:81]
	ds_load_2addr_b64 v[80:83], v1 offset0:67 offset1:68
	ds_load_2addr_b64 v[84:87], v1 offset0:69 offset1:70
	s_waitcnt lgkmcnt(1)
	v_fma_f64 v[1:2], v[78:79], v[80:81], v[76:77]
	s_waitcnt vmcnt(1)
	s_delay_alu instid0(VALU_DEP_1) | instskip(SKIP_1) | instid1(VALU_DEP_1)
	v_fma_f64 v[1:2], v[98:99], v[82:83], v[1:2]
	s_waitcnt lgkmcnt(0)
	v_fma_f64 v[1:2], v[100:101], v[84:85], v[1:2]
	s_waitcnt vmcnt(0)
	s_delay_alu instid0(VALU_DEP_1) | instskip(NEXT) | instid1(VALU_DEP_1)
	v_fma_f64 v[1:2], v[88:89], v[86:87], v[1:2]
	v_add_f64 v[1:2], v[74:75], -v[1:2]
	scratch_store_b64 off, v[1:2], off offset:144
	v_cmpx_lt_u32_e32 17, v0
	s_cbranch_execz .LBB98_185
; %bb.184:
	scratch_load_b64 v[1:2], off, off offset:136
	v_mov_b32_e32 v74, 0
	s_delay_alu instid0(VALU_DEP_1)
	v_mov_b32_e32 v75, v74
	scratch_store_b64 off, v[74:75], off offset:136
	s_waitcnt vmcnt(0)
	ds_store_b64 v3, v[1:2]
.LBB98_185:
	s_or_b32 exec_lo, exec_lo, s0
	s_waitcnt lgkmcnt(0)
	s_waitcnt_vscnt null, 0x0
	s_barrier
	buffer_gl0_inv
	s_clause 0x4
	scratch_load_b128 v[74:77], off, off offset:136
	scratch_load_b128 v[78:81], off, off offset:152
	;; [unrolled: 1-line block ×5, first 2 shown]
	v_mov_b32_e32 v1, 0
	ds_load_b128 v[94:97], v1 offset:432
	ds_load_b128 v[98:101], v1 offset:448
	scratch_load_b128 v[102:105], off, off offset:216
	s_mov_b32 s0, exec_lo
	s_waitcnt vmcnt(5) lgkmcnt(1)
	v_fma_f64 v[76:77], v[76:77], v[94:95], 0
	s_waitcnt vmcnt(4)
	s_delay_alu instid0(VALU_DEP_1) | instskip(SKIP_1) | instid1(VALU_DEP_1)
	v_fma_f64 v[76:77], v[78:79], v[96:97], v[76:77]
	s_waitcnt lgkmcnt(0)
	v_fma_f64 v[80:81], v[80:81], v[98:99], v[76:77]
	scratch_load_b128 v[76:79], off, off offset:232
	s_waitcnt vmcnt(4)
	v_fma_f64 v[98:99], v[82:83], v[100:101], v[80:81]
	ds_load_b128 v[80:83], v1 offset:464
	ds_load_b128 v[94:97], v1 offset:480
	s_waitcnt lgkmcnt(1)
	v_fma_f64 v[80:81], v[84:85], v[80:81], v[98:99]
	scratch_load_b128 v[98:101], off, off offset:248
	s_waitcnt vmcnt(4)
	v_fma_f64 v[80:81], v[86:87], v[82:83], v[80:81]
	s_waitcnt lgkmcnt(0)
	s_delay_alu instid0(VALU_DEP_1)
	v_fma_f64 v[84:85], v[88:89], v[94:95], v[80:81]
	scratch_load_b128 v[80:83], off, off offset:264
	s_waitcnt vmcnt(4)
	v_fma_f64 v[94:95], v[90:91], v[96:97], v[84:85]
	ds_load_b128 v[84:87], v1 offset:496
	ds_load_b128 v[88:91], v1 offset:512
	s_waitcnt lgkmcnt(1)
	v_fma_f64 v[84:85], v[92:93], v[84:85], v[94:95]
	s_waitcnt vmcnt(3)
	s_delay_alu instid0(VALU_DEP_1) | instskip(SKIP_1) | instid1(VALU_DEP_1)
	v_fma_f64 v[84:85], v[102:103], v[86:87], v[84:85]
	s_waitcnt lgkmcnt(0)
	v_fma_f64 v[84:85], v[104:105], v[88:89], v[84:85]
	s_waitcnt vmcnt(2)
	s_delay_alu instid0(VALU_DEP_1)
	v_fma_f64 v[76:77], v[76:77], v[90:91], v[84:85]
	ds_load_b128 v[84:87], v1 offset:528
	ds_load_b128 v[88:91], v1 offset:544
	s_waitcnt lgkmcnt(1)
	v_fma_f64 v[76:77], v[78:79], v[84:85], v[76:77]
	ds_load_b64 v[78:79], v1 offset:560
	s_waitcnt vmcnt(1)
	v_fma_f64 v[76:77], v[98:99], v[86:87], v[76:77]
	s_waitcnt lgkmcnt(1)
	s_delay_alu instid0(VALU_DEP_1) | instskip(SKIP_1) | instid1(VALU_DEP_1)
	v_fma_f64 v[76:77], v[100:101], v[88:89], v[76:77]
	s_waitcnt vmcnt(0)
	v_fma_f64 v[76:77], v[80:81], v[90:91], v[76:77]
	s_waitcnt lgkmcnt(0)
	s_delay_alu instid0(VALU_DEP_1) | instskip(NEXT) | instid1(VALU_DEP_1)
	v_fma_f64 v[76:77], v[82:83], v[78:79], v[76:77]
	v_add_f64 v[74:75], v[74:75], -v[76:77]
	scratch_store_b64 off, v[74:75], off offset:136
	v_cmpx_lt_u32_e32 16, v0
	s_cbranch_execz .LBB98_187
; %bb.186:
	scratch_load_b64 v[74:75], off, off offset:128
	v_mov_b32_e32 v2, v1
	scratch_store_b64 off, v[1:2], off offset:128
	s_waitcnt vmcnt(0)
	ds_store_b64 v3, v[74:75]
.LBB98_187:
	s_or_b32 exec_lo, exec_lo, s0
	s_waitcnt lgkmcnt(0)
	s_waitcnt_vscnt null, 0x0
	s_barrier
	buffer_gl0_inv
	s_clause 0x4
	scratch_load_b128 v[74:77], off, off offset:128
	scratch_load_b128 v[78:81], off, off offset:144
	;; [unrolled: 1-line block ×5, first 2 shown]
	ds_load_2addr_b64 v[94:97], v1 offset0:53 offset1:54
	ds_load_2addr_b64 v[98:101], v1 offset0:55 offset1:56
	scratch_load_b128 v[102:105], off, off offset:208
	s_mov_b32 s0, exec_lo
	s_waitcnt vmcnt(5) lgkmcnt(1)
	v_fma_f64 v[76:77], v[76:77], v[94:95], 0
	s_waitcnt vmcnt(4)
	s_delay_alu instid0(VALU_DEP_1) | instskip(SKIP_1) | instid1(VALU_DEP_1)
	v_fma_f64 v[76:77], v[78:79], v[96:97], v[76:77]
	s_waitcnt lgkmcnt(0)
	v_fma_f64 v[80:81], v[80:81], v[98:99], v[76:77]
	scratch_load_b128 v[76:79], off, off offset:224
	s_waitcnt vmcnt(4)
	v_fma_f64 v[98:99], v[82:83], v[100:101], v[80:81]
	ds_load_2addr_b64 v[80:83], v1 offset0:57 offset1:58
	ds_load_2addr_b64 v[94:97], v1 offset0:59 offset1:60
	s_waitcnt lgkmcnt(1)
	v_fma_f64 v[80:81], v[84:85], v[80:81], v[98:99]
	scratch_load_b128 v[98:101], off, off offset:240
	s_waitcnt vmcnt(4)
	v_fma_f64 v[80:81], v[86:87], v[82:83], v[80:81]
	s_waitcnt lgkmcnt(0)
	s_delay_alu instid0(VALU_DEP_1)
	v_fma_f64 v[84:85], v[88:89], v[94:95], v[80:81]
	scratch_load_b128 v[80:83], off, off offset:256
	s_waitcnt vmcnt(4)
	v_fma_f64 v[94:95], v[90:91], v[96:97], v[84:85]
	ds_load_2addr_b64 v[84:87], v1 offset0:61 offset1:62
	ds_load_2addr_b64 v[88:91], v1 offset0:63 offset1:64
	s_waitcnt lgkmcnt(1)
	v_fma_f64 v[84:85], v[92:93], v[84:85], v[94:95]
	scratch_load_b64 v[92:93], off, off offset:272
	s_waitcnt vmcnt(4)
	v_fma_f64 v[84:85], v[102:103], v[86:87], v[84:85]
	s_waitcnt lgkmcnt(0)
	s_delay_alu instid0(VALU_DEP_1) | instskip(SKIP_1) | instid1(VALU_DEP_1)
	v_fma_f64 v[84:85], v[104:105], v[88:89], v[84:85]
	s_waitcnt vmcnt(3)
	v_fma_f64 v[76:77], v[76:77], v[90:91], v[84:85]
	ds_load_2addr_b64 v[84:87], v1 offset0:65 offset1:66
	ds_load_2addr_b64 v[88:91], v1 offset0:67 offset1:68
	s_waitcnt lgkmcnt(1)
	v_fma_f64 v[76:77], v[78:79], v[84:85], v[76:77]
	s_waitcnt vmcnt(2)
	s_delay_alu instid0(VALU_DEP_1) | instskip(SKIP_1) | instid1(VALU_DEP_1)
	v_fma_f64 v[76:77], v[98:99], v[86:87], v[76:77]
	s_waitcnt lgkmcnt(0)
	v_fma_f64 v[76:77], v[100:101], v[88:89], v[76:77]
	s_waitcnt vmcnt(1)
	s_delay_alu instid0(VALU_DEP_1) | instskip(SKIP_4) | instid1(VALU_DEP_1)
	v_fma_f64 v[80:81], v[80:81], v[90:91], v[76:77]
	ds_load_2addr_b64 v[76:79], v1 offset0:69 offset1:70
	s_waitcnt lgkmcnt(0)
	v_fma_f64 v[1:2], v[82:83], v[76:77], v[80:81]
	s_waitcnt vmcnt(0)
	v_fma_f64 v[1:2], v[92:93], v[78:79], v[1:2]
	s_delay_alu instid0(VALU_DEP_1)
	v_add_f64 v[1:2], v[74:75], -v[1:2]
	scratch_store_b64 off, v[1:2], off offset:128
	v_cmpx_lt_u32_e32 15, v0
	s_cbranch_execz .LBB98_189
; %bb.188:
	scratch_load_b64 v[1:2], off, off offset:120
	v_mov_b32_e32 v74, 0
	s_delay_alu instid0(VALU_DEP_1)
	v_mov_b32_e32 v75, v74
	scratch_store_b64 off, v[74:75], off offset:120
	s_waitcnt vmcnt(0)
	ds_store_b64 v3, v[1:2]
.LBB98_189:
	s_or_b32 exec_lo, exec_lo, s0
	s_waitcnt lgkmcnt(0)
	s_waitcnt_vscnt null, 0x0
	s_barrier
	buffer_gl0_inv
	s_clause 0x4
	scratch_load_b128 v[74:77], off, off offset:120
	scratch_load_b128 v[78:81], off, off offset:136
	;; [unrolled: 1-line block ×5, first 2 shown]
	v_mov_b32_e32 v1, 0
	ds_load_b128 v[94:97], v1 offset:416
	ds_load_b128 v[98:101], v1 offset:432
	scratch_load_b128 v[102:105], off, off offset:200
	s_mov_b32 s0, exec_lo
	s_waitcnt vmcnt(5) lgkmcnt(1)
	v_fma_f64 v[76:77], v[76:77], v[94:95], 0
	s_waitcnt vmcnt(4)
	s_delay_alu instid0(VALU_DEP_1) | instskip(SKIP_1) | instid1(VALU_DEP_1)
	v_fma_f64 v[76:77], v[78:79], v[96:97], v[76:77]
	s_waitcnt lgkmcnt(0)
	v_fma_f64 v[80:81], v[80:81], v[98:99], v[76:77]
	scratch_load_b128 v[76:79], off, off offset:216
	s_waitcnt vmcnt(4)
	v_fma_f64 v[98:99], v[82:83], v[100:101], v[80:81]
	ds_load_b128 v[80:83], v1 offset:448
	ds_load_b128 v[94:97], v1 offset:464
	s_waitcnt lgkmcnt(1)
	v_fma_f64 v[80:81], v[84:85], v[80:81], v[98:99]
	scratch_load_b128 v[98:101], off, off offset:232
	s_waitcnt vmcnt(4)
	v_fma_f64 v[80:81], v[86:87], v[82:83], v[80:81]
	s_waitcnt lgkmcnt(0)
	s_delay_alu instid0(VALU_DEP_1)
	v_fma_f64 v[84:85], v[88:89], v[94:95], v[80:81]
	scratch_load_b128 v[80:83], off, off offset:248
	s_waitcnt vmcnt(4)
	v_fma_f64 v[94:95], v[90:91], v[96:97], v[84:85]
	ds_load_b128 v[84:87], v1 offset:480
	ds_load_b128 v[88:91], v1 offset:496
	s_waitcnt lgkmcnt(1)
	v_fma_f64 v[84:85], v[92:93], v[84:85], v[94:95]
	scratch_load_b128 v[92:95], off, off offset:264
	s_waitcnt vmcnt(4)
	v_fma_f64 v[84:85], v[102:103], v[86:87], v[84:85]
	s_waitcnt lgkmcnt(0)
	s_delay_alu instid0(VALU_DEP_1) | instskip(SKIP_1) | instid1(VALU_DEP_1)
	v_fma_f64 v[84:85], v[104:105], v[88:89], v[84:85]
	s_waitcnt vmcnt(3)
	v_fma_f64 v[76:77], v[76:77], v[90:91], v[84:85]
	ds_load_b128 v[84:87], v1 offset:512
	ds_load_b128 v[88:91], v1 offset:528
	s_waitcnt lgkmcnt(1)
	v_fma_f64 v[76:77], v[78:79], v[84:85], v[76:77]
	s_waitcnt vmcnt(2)
	s_delay_alu instid0(VALU_DEP_1) | instskip(SKIP_1) | instid1(VALU_DEP_1)
	v_fma_f64 v[76:77], v[98:99], v[86:87], v[76:77]
	s_waitcnt lgkmcnt(0)
	v_fma_f64 v[76:77], v[100:101], v[88:89], v[76:77]
	s_waitcnt vmcnt(1)
	s_delay_alu instid0(VALU_DEP_1)
	v_fma_f64 v[80:81], v[80:81], v[90:91], v[76:77]
	ds_load_b128 v[76:79], v1 offset:544
	ds_load_b64 v[84:85], v1 offset:560
	s_waitcnt lgkmcnt(1)
	v_fma_f64 v[76:77], v[82:83], v[76:77], v[80:81]
	s_waitcnt vmcnt(0)
	s_delay_alu instid0(VALU_DEP_1) | instskip(SKIP_1) | instid1(VALU_DEP_1)
	v_fma_f64 v[76:77], v[92:93], v[78:79], v[76:77]
	s_waitcnt lgkmcnt(0)
	v_fma_f64 v[76:77], v[94:95], v[84:85], v[76:77]
	s_delay_alu instid0(VALU_DEP_1)
	v_add_f64 v[74:75], v[74:75], -v[76:77]
	scratch_store_b64 off, v[74:75], off offset:120
	v_cmpx_lt_u32_e32 14, v0
	s_cbranch_execz .LBB98_191
; %bb.190:
	scratch_load_b64 v[74:75], off, off offset:112
	v_mov_b32_e32 v2, v1
	scratch_store_b64 off, v[1:2], off offset:112
	s_waitcnt vmcnt(0)
	ds_store_b64 v3, v[74:75]
.LBB98_191:
	s_or_b32 exec_lo, exec_lo, s0
	s_waitcnt lgkmcnt(0)
	s_waitcnt_vscnt null, 0x0
	s_barrier
	buffer_gl0_inv
	s_clause 0x4
	scratch_load_b128 v[74:77], off, off offset:112
	scratch_load_b128 v[78:81], off, off offset:128
	;; [unrolled: 1-line block ×5, first 2 shown]
	ds_load_2addr_b64 v[94:97], v1 offset0:51 offset1:52
	ds_load_2addr_b64 v[98:101], v1 offset0:53 offset1:54
	scratch_load_b128 v[102:105], off, off offset:192
	s_mov_b32 s0, exec_lo
	s_waitcnt vmcnt(5) lgkmcnt(1)
	v_fma_f64 v[76:77], v[76:77], v[94:95], 0
	s_waitcnt vmcnt(4)
	s_delay_alu instid0(VALU_DEP_1) | instskip(SKIP_1) | instid1(VALU_DEP_1)
	v_fma_f64 v[76:77], v[78:79], v[96:97], v[76:77]
	s_waitcnt lgkmcnt(0)
	v_fma_f64 v[80:81], v[80:81], v[98:99], v[76:77]
	scratch_load_b128 v[76:79], off, off offset:208
	s_waitcnt vmcnt(4)
	v_fma_f64 v[98:99], v[82:83], v[100:101], v[80:81]
	ds_load_2addr_b64 v[80:83], v1 offset0:55 offset1:56
	ds_load_2addr_b64 v[94:97], v1 offset0:57 offset1:58
	s_waitcnt lgkmcnt(1)
	v_fma_f64 v[80:81], v[84:85], v[80:81], v[98:99]
	scratch_load_b128 v[98:101], off, off offset:224
	s_waitcnt vmcnt(4)
	v_fma_f64 v[80:81], v[86:87], v[82:83], v[80:81]
	s_waitcnt lgkmcnt(0)
	s_delay_alu instid0(VALU_DEP_1)
	v_fma_f64 v[84:85], v[88:89], v[94:95], v[80:81]
	scratch_load_b128 v[80:83], off, off offset:240
	s_waitcnt vmcnt(4)
	v_fma_f64 v[94:95], v[90:91], v[96:97], v[84:85]
	ds_load_2addr_b64 v[84:87], v1 offset0:59 offset1:60
	ds_load_2addr_b64 v[88:91], v1 offset0:61 offset1:62
	scratch_load_b64 v[96:97], off, off offset:272
	s_waitcnt lgkmcnt(1)
	v_fma_f64 v[84:85], v[92:93], v[84:85], v[94:95]
	scratch_load_b128 v[92:95], off, off offset:256
	s_waitcnt vmcnt(5)
	v_fma_f64 v[84:85], v[102:103], v[86:87], v[84:85]
	s_waitcnt lgkmcnt(0)
	s_delay_alu instid0(VALU_DEP_1) | instskip(SKIP_1) | instid1(VALU_DEP_1)
	v_fma_f64 v[84:85], v[104:105], v[88:89], v[84:85]
	s_waitcnt vmcnt(4)
	v_fma_f64 v[76:77], v[76:77], v[90:91], v[84:85]
	ds_load_2addr_b64 v[84:87], v1 offset0:63 offset1:64
	ds_load_2addr_b64 v[88:91], v1 offset0:65 offset1:66
	s_waitcnt lgkmcnt(1)
	v_fma_f64 v[76:77], v[78:79], v[84:85], v[76:77]
	s_waitcnt vmcnt(3)
	s_delay_alu instid0(VALU_DEP_1) | instskip(SKIP_1) | instid1(VALU_DEP_1)
	v_fma_f64 v[76:77], v[98:99], v[86:87], v[76:77]
	s_waitcnt lgkmcnt(0)
	v_fma_f64 v[76:77], v[100:101], v[88:89], v[76:77]
	s_waitcnt vmcnt(2)
	s_delay_alu instid0(VALU_DEP_1)
	v_fma_f64 v[80:81], v[80:81], v[90:91], v[76:77]
	ds_load_2addr_b64 v[76:79], v1 offset0:67 offset1:68
	ds_load_2addr_b64 v[84:87], v1 offset0:69 offset1:70
	s_waitcnt lgkmcnt(1)
	v_fma_f64 v[1:2], v[82:83], v[76:77], v[80:81]
	s_waitcnt vmcnt(0)
	s_delay_alu instid0(VALU_DEP_1) | instskip(SKIP_1) | instid1(VALU_DEP_1)
	v_fma_f64 v[1:2], v[92:93], v[78:79], v[1:2]
	s_waitcnt lgkmcnt(0)
	v_fma_f64 v[1:2], v[94:95], v[84:85], v[1:2]
	s_delay_alu instid0(VALU_DEP_1) | instskip(NEXT) | instid1(VALU_DEP_1)
	v_fma_f64 v[1:2], v[96:97], v[86:87], v[1:2]
	v_add_f64 v[1:2], v[74:75], -v[1:2]
	scratch_store_b64 off, v[1:2], off offset:112
	v_cmpx_lt_u32_e32 13, v0
	s_cbranch_execz .LBB98_193
; %bb.192:
	scratch_load_b64 v[1:2], off, off offset:104
	v_mov_b32_e32 v74, 0
	s_delay_alu instid0(VALU_DEP_1)
	v_mov_b32_e32 v75, v74
	scratch_store_b64 off, v[74:75], off offset:104
	s_waitcnt vmcnt(0)
	ds_store_b64 v3, v[1:2]
.LBB98_193:
	s_or_b32 exec_lo, exec_lo, s0
	s_waitcnt lgkmcnt(0)
	s_waitcnt_vscnt null, 0x0
	s_barrier
	buffer_gl0_inv
	s_clause 0x4
	scratch_load_b128 v[74:77], off, off offset:104
	scratch_load_b128 v[78:81], off, off offset:120
	;; [unrolled: 1-line block ×5, first 2 shown]
	v_mov_b32_e32 v1, 0
	ds_load_b128 v[94:97], v1 offset:400
	ds_load_b128 v[98:101], v1 offset:416
	scratch_load_b128 v[102:105], off, off offset:184
	s_mov_b32 s0, exec_lo
	s_waitcnt vmcnt(5) lgkmcnt(1)
	v_fma_f64 v[76:77], v[76:77], v[94:95], 0
	s_waitcnt vmcnt(4)
	s_delay_alu instid0(VALU_DEP_1) | instskip(SKIP_1) | instid1(VALU_DEP_1)
	v_fma_f64 v[76:77], v[78:79], v[96:97], v[76:77]
	s_waitcnt lgkmcnt(0)
	v_fma_f64 v[80:81], v[80:81], v[98:99], v[76:77]
	scratch_load_b128 v[76:79], off, off offset:200
	s_waitcnt vmcnt(4)
	v_fma_f64 v[98:99], v[82:83], v[100:101], v[80:81]
	ds_load_b128 v[80:83], v1 offset:432
	ds_load_b128 v[94:97], v1 offset:448
	s_waitcnt lgkmcnt(1)
	v_fma_f64 v[80:81], v[84:85], v[80:81], v[98:99]
	scratch_load_b128 v[98:101], off, off offset:216
	s_waitcnt vmcnt(4)
	v_fma_f64 v[80:81], v[86:87], v[82:83], v[80:81]
	s_waitcnt lgkmcnt(0)
	s_delay_alu instid0(VALU_DEP_1)
	v_fma_f64 v[84:85], v[88:89], v[94:95], v[80:81]
	scratch_load_b128 v[80:83], off, off offset:232
	s_waitcnt vmcnt(4)
	v_fma_f64 v[94:95], v[90:91], v[96:97], v[84:85]
	ds_load_b128 v[84:87], v1 offset:464
	ds_load_b128 v[88:91], v1 offset:480
	s_waitcnt lgkmcnt(1)
	v_fma_f64 v[84:85], v[92:93], v[84:85], v[94:95]
	scratch_load_b128 v[92:95], off, off offset:248
	s_waitcnt vmcnt(4)
	v_fma_f64 v[84:85], v[102:103], v[86:87], v[84:85]
	s_waitcnt lgkmcnt(0)
	s_delay_alu instid0(VALU_DEP_1)
	v_fma_f64 v[88:89], v[104:105], v[88:89], v[84:85]
	scratch_load_b128 v[84:87], off, off offset:264
	s_waitcnt vmcnt(4)
	v_fma_f64 v[76:77], v[76:77], v[90:91], v[88:89]
	ds_load_b128 v[88:91], v1 offset:496
	ds_load_b128 v[102:105], v1 offset:512
	s_waitcnt lgkmcnt(1)
	v_fma_f64 v[76:77], v[78:79], v[88:89], v[76:77]
	s_waitcnt vmcnt(3)
	s_delay_alu instid0(VALU_DEP_1) | instskip(SKIP_1) | instid1(VALU_DEP_1)
	v_fma_f64 v[76:77], v[98:99], v[90:91], v[76:77]
	s_waitcnt lgkmcnt(0)
	v_fma_f64 v[76:77], v[100:101], v[102:103], v[76:77]
	s_waitcnt vmcnt(2)
	s_delay_alu instid0(VALU_DEP_1)
	v_fma_f64 v[80:81], v[80:81], v[104:105], v[76:77]
	ds_load_b128 v[76:79], v1 offset:528
	ds_load_b128 v[88:91], v1 offset:544
	s_waitcnt lgkmcnt(1)
	v_fma_f64 v[76:77], v[82:83], v[76:77], v[80:81]
	s_waitcnt vmcnt(1)
	s_delay_alu instid0(VALU_DEP_1) | instskip(SKIP_4) | instid1(VALU_DEP_1)
	v_fma_f64 v[76:77], v[92:93], v[78:79], v[76:77]
	ds_load_b64 v[78:79], v1 offset:560
	s_waitcnt lgkmcnt(1)
	v_fma_f64 v[76:77], v[94:95], v[88:89], v[76:77]
	s_waitcnt vmcnt(0)
	v_fma_f64 v[76:77], v[84:85], v[90:91], v[76:77]
	s_waitcnt lgkmcnt(0)
	s_delay_alu instid0(VALU_DEP_1) | instskip(NEXT) | instid1(VALU_DEP_1)
	v_fma_f64 v[76:77], v[86:87], v[78:79], v[76:77]
	v_add_f64 v[74:75], v[74:75], -v[76:77]
	scratch_store_b64 off, v[74:75], off offset:104
	v_cmpx_lt_u32_e32 12, v0
	s_cbranch_execz .LBB98_195
; %bb.194:
	scratch_load_b64 v[74:75], off, off offset:96
	v_mov_b32_e32 v2, v1
	scratch_store_b64 off, v[1:2], off offset:96
	s_waitcnt vmcnt(0)
	ds_store_b64 v3, v[74:75]
.LBB98_195:
	s_or_b32 exec_lo, exec_lo, s0
	s_waitcnt lgkmcnt(0)
	s_waitcnt_vscnt null, 0x0
	s_barrier
	buffer_gl0_inv
	s_clause 0x4
	scratch_load_b128 v[74:77], off, off offset:96
	scratch_load_b128 v[78:81], off, off offset:112
	;; [unrolled: 1-line block ×5, first 2 shown]
	ds_load_2addr_b64 v[94:97], v1 offset0:49 offset1:50
	ds_load_2addr_b64 v[98:101], v1 offset0:51 offset1:52
	scratch_load_b128 v[102:105], off, off offset:176
	s_mov_b32 s0, exec_lo
	s_waitcnt vmcnt(5) lgkmcnt(1)
	v_fma_f64 v[76:77], v[76:77], v[94:95], 0
	s_waitcnt vmcnt(4)
	s_delay_alu instid0(VALU_DEP_1) | instskip(SKIP_1) | instid1(VALU_DEP_1)
	v_fma_f64 v[76:77], v[78:79], v[96:97], v[76:77]
	s_waitcnt lgkmcnt(0)
	v_fma_f64 v[80:81], v[80:81], v[98:99], v[76:77]
	scratch_load_b128 v[76:79], off, off offset:192
	s_waitcnt vmcnt(4)
	v_fma_f64 v[98:99], v[82:83], v[100:101], v[80:81]
	ds_load_2addr_b64 v[80:83], v1 offset0:53 offset1:54
	ds_load_2addr_b64 v[94:97], v1 offset0:55 offset1:56
	s_waitcnt lgkmcnt(1)
	v_fma_f64 v[80:81], v[84:85], v[80:81], v[98:99]
	scratch_load_b128 v[98:101], off, off offset:208
	s_waitcnt vmcnt(4)
	v_fma_f64 v[80:81], v[86:87], v[82:83], v[80:81]
	s_waitcnt lgkmcnt(0)
	s_delay_alu instid0(VALU_DEP_1)
	v_fma_f64 v[84:85], v[88:89], v[94:95], v[80:81]
	scratch_load_b128 v[80:83], off, off offset:224
	s_waitcnt vmcnt(4)
	v_fma_f64 v[94:95], v[90:91], v[96:97], v[84:85]
	ds_load_2addr_b64 v[84:87], v1 offset0:57 offset1:58
	ds_load_2addr_b64 v[88:91], v1 offset0:59 offset1:60
	s_waitcnt lgkmcnt(1)
	v_fma_f64 v[84:85], v[92:93], v[84:85], v[94:95]
	scratch_load_b128 v[92:95], off, off offset:240
	s_waitcnt vmcnt(4)
	v_fma_f64 v[84:85], v[102:103], v[86:87], v[84:85]
	s_waitcnt lgkmcnt(0)
	s_delay_alu instid0(VALU_DEP_1)
	v_fma_f64 v[88:89], v[104:105], v[88:89], v[84:85]
	scratch_load_b128 v[84:87], off, off offset:256
	s_waitcnt vmcnt(4)
	v_fma_f64 v[76:77], v[76:77], v[90:91], v[88:89]
	ds_load_2addr_b64 v[88:91], v1 offset0:61 offset1:62
	ds_load_2addr_b64 v[102:105], v1 offset0:63 offset1:64
	scratch_load_b64 v[96:97], off, off offset:272
	s_waitcnt lgkmcnt(1)
	v_fma_f64 v[76:77], v[78:79], v[88:89], v[76:77]
	s_waitcnt vmcnt(4)
	s_delay_alu instid0(VALU_DEP_1) | instskip(SKIP_1) | instid1(VALU_DEP_1)
	v_fma_f64 v[76:77], v[98:99], v[90:91], v[76:77]
	s_waitcnt lgkmcnt(0)
	v_fma_f64 v[76:77], v[100:101], v[102:103], v[76:77]
	s_waitcnt vmcnt(3)
	s_delay_alu instid0(VALU_DEP_1)
	v_fma_f64 v[80:81], v[80:81], v[104:105], v[76:77]
	ds_load_2addr_b64 v[76:79], v1 offset0:65 offset1:66
	ds_load_2addr_b64 v[88:91], v1 offset0:67 offset1:68
	s_waitcnt lgkmcnt(1)
	v_fma_f64 v[76:77], v[82:83], v[76:77], v[80:81]
	s_waitcnt vmcnt(2)
	s_delay_alu instid0(VALU_DEP_1) | instskip(SKIP_1) | instid1(VALU_DEP_1)
	v_fma_f64 v[76:77], v[92:93], v[78:79], v[76:77]
	s_waitcnt lgkmcnt(0)
	v_fma_f64 v[76:77], v[94:95], v[88:89], v[76:77]
	s_waitcnt vmcnt(1)
	s_delay_alu instid0(VALU_DEP_1) | instskip(SKIP_4) | instid1(VALU_DEP_1)
	v_fma_f64 v[80:81], v[84:85], v[90:91], v[76:77]
	ds_load_2addr_b64 v[76:79], v1 offset0:69 offset1:70
	s_waitcnt lgkmcnt(0)
	v_fma_f64 v[1:2], v[86:87], v[76:77], v[80:81]
	s_waitcnt vmcnt(0)
	v_fma_f64 v[1:2], v[96:97], v[78:79], v[1:2]
	s_delay_alu instid0(VALU_DEP_1)
	v_add_f64 v[1:2], v[74:75], -v[1:2]
	scratch_store_b64 off, v[1:2], off offset:96
	v_cmpx_lt_u32_e32 11, v0
	s_cbranch_execz .LBB98_197
; %bb.196:
	scratch_load_b64 v[1:2], off, off offset:88
	v_mov_b32_e32 v74, 0
	s_delay_alu instid0(VALU_DEP_1)
	v_mov_b32_e32 v75, v74
	scratch_store_b64 off, v[74:75], off offset:88
	s_waitcnt vmcnt(0)
	ds_store_b64 v3, v[1:2]
.LBB98_197:
	s_or_b32 exec_lo, exec_lo, s0
	s_waitcnt lgkmcnt(0)
	s_waitcnt_vscnt null, 0x0
	s_barrier
	buffer_gl0_inv
	s_clause 0x4
	scratch_load_b128 v[74:77], off, off offset:88
	scratch_load_b128 v[78:81], off, off offset:104
	;; [unrolled: 1-line block ×5, first 2 shown]
	v_mov_b32_e32 v1, 0
	ds_load_b128 v[94:97], v1 offset:384
	ds_load_b128 v[98:101], v1 offset:400
	scratch_load_b128 v[102:105], off, off offset:168
	s_mov_b32 s0, exec_lo
	s_waitcnt vmcnt(5) lgkmcnt(1)
	v_fma_f64 v[76:77], v[76:77], v[94:95], 0
	s_waitcnt vmcnt(4)
	s_delay_alu instid0(VALU_DEP_1) | instskip(SKIP_1) | instid1(VALU_DEP_1)
	v_fma_f64 v[76:77], v[78:79], v[96:97], v[76:77]
	s_waitcnt lgkmcnt(0)
	v_fma_f64 v[80:81], v[80:81], v[98:99], v[76:77]
	scratch_load_b128 v[76:79], off, off offset:184
	s_waitcnt vmcnt(4)
	v_fma_f64 v[98:99], v[82:83], v[100:101], v[80:81]
	ds_load_b128 v[80:83], v1 offset:416
	ds_load_b128 v[94:97], v1 offset:432
	s_waitcnt lgkmcnt(1)
	v_fma_f64 v[80:81], v[84:85], v[80:81], v[98:99]
	scratch_load_b128 v[98:101], off, off offset:200
	s_waitcnt vmcnt(4)
	v_fma_f64 v[80:81], v[86:87], v[82:83], v[80:81]
	s_waitcnt lgkmcnt(0)
	s_delay_alu instid0(VALU_DEP_1)
	v_fma_f64 v[84:85], v[88:89], v[94:95], v[80:81]
	scratch_load_b128 v[80:83], off, off offset:216
	s_waitcnt vmcnt(4)
	v_fma_f64 v[94:95], v[90:91], v[96:97], v[84:85]
	ds_load_b128 v[84:87], v1 offset:448
	ds_load_b128 v[88:91], v1 offset:464
	s_waitcnt lgkmcnt(1)
	v_fma_f64 v[84:85], v[92:93], v[84:85], v[94:95]
	scratch_load_b128 v[92:95], off, off offset:232
	s_waitcnt vmcnt(4)
	v_fma_f64 v[84:85], v[102:103], v[86:87], v[84:85]
	s_waitcnt lgkmcnt(0)
	s_delay_alu instid0(VALU_DEP_1)
	v_fma_f64 v[88:89], v[104:105], v[88:89], v[84:85]
	scratch_load_b128 v[84:87], off, off offset:248
	s_waitcnt vmcnt(4)
	v_fma_f64 v[76:77], v[76:77], v[90:91], v[88:89]
	ds_load_b128 v[88:91], v1 offset:480
	ds_load_b128 v[102:105], v1 offset:496
	s_waitcnt lgkmcnt(1)
	v_fma_f64 v[88:89], v[78:79], v[88:89], v[76:77]
	scratch_load_b128 v[76:79], off, off offset:264
	s_waitcnt vmcnt(4)
	v_fma_f64 v[88:89], v[98:99], v[90:91], v[88:89]
	s_waitcnt lgkmcnt(0)
	s_delay_alu instid0(VALU_DEP_1) | instskip(SKIP_1) | instid1(VALU_DEP_1)
	v_fma_f64 v[88:89], v[100:101], v[102:103], v[88:89]
	s_waitcnt vmcnt(3)
	v_fma_f64 v[80:81], v[80:81], v[104:105], v[88:89]
	ds_load_b128 v[88:91], v1 offset:512
	ds_load_b128 v[96:99], v1 offset:528
	s_waitcnt lgkmcnt(1)
	v_fma_f64 v[80:81], v[82:83], v[88:89], v[80:81]
	s_waitcnt vmcnt(2)
	s_delay_alu instid0(VALU_DEP_1) | instskip(SKIP_1) | instid1(VALU_DEP_1)
	v_fma_f64 v[80:81], v[92:93], v[90:91], v[80:81]
	s_waitcnt lgkmcnt(0)
	v_fma_f64 v[80:81], v[94:95], v[96:97], v[80:81]
	s_waitcnt vmcnt(1)
	s_delay_alu instid0(VALU_DEP_1)
	v_fma_f64 v[84:85], v[84:85], v[98:99], v[80:81]
	ds_load_b128 v[80:83], v1 offset:544
	ds_load_b64 v[88:89], v1 offset:560
	s_waitcnt lgkmcnt(1)
	v_fma_f64 v[80:81], v[86:87], v[80:81], v[84:85]
	s_waitcnt vmcnt(0)
	s_delay_alu instid0(VALU_DEP_1) | instskip(SKIP_1) | instid1(VALU_DEP_1)
	v_fma_f64 v[76:77], v[76:77], v[82:83], v[80:81]
	s_waitcnt lgkmcnt(0)
	v_fma_f64 v[76:77], v[78:79], v[88:89], v[76:77]
	s_delay_alu instid0(VALU_DEP_1)
	v_add_f64 v[74:75], v[74:75], -v[76:77]
	scratch_store_b64 off, v[74:75], off offset:88
	v_cmpx_lt_u32_e32 10, v0
	s_cbranch_execz .LBB98_199
; %bb.198:
	scratch_load_b64 v[74:75], off, off offset:80
	v_mov_b32_e32 v2, v1
	scratch_store_b64 off, v[1:2], off offset:80
	s_waitcnt vmcnt(0)
	ds_store_b64 v3, v[74:75]
.LBB98_199:
	s_or_b32 exec_lo, exec_lo, s0
	s_waitcnt lgkmcnt(0)
	s_waitcnt_vscnt null, 0x0
	s_barrier
	buffer_gl0_inv
	s_clause 0x4
	scratch_load_b128 v[74:77], off, off offset:80
	scratch_load_b128 v[78:81], off, off offset:96
	scratch_load_b128 v[82:85], off, off offset:112
	scratch_load_b128 v[86:89], off, off offset:128
	scratch_load_b128 v[90:93], off, off offset:144
	ds_load_2addr_b64 v[94:97], v1 offset0:47 offset1:48
	ds_load_2addr_b64 v[98:101], v1 offset0:49 offset1:50
	scratch_load_b128 v[102:105], off, off offset:160
	s_mov_b32 s0, exec_lo
	s_waitcnt vmcnt(5) lgkmcnt(1)
	v_fma_f64 v[76:77], v[76:77], v[94:95], 0
	s_waitcnt vmcnt(4)
	s_delay_alu instid0(VALU_DEP_1) | instskip(SKIP_1) | instid1(VALU_DEP_1)
	v_fma_f64 v[76:77], v[78:79], v[96:97], v[76:77]
	s_waitcnt lgkmcnt(0)
	v_fma_f64 v[80:81], v[80:81], v[98:99], v[76:77]
	scratch_load_b128 v[76:79], off, off offset:176
	s_waitcnt vmcnt(4)
	v_fma_f64 v[98:99], v[82:83], v[100:101], v[80:81]
	ds_load_2addr_b64 v[80:83], v1 offset0:51 offset1:52
	ds_load_2addr_b64 v[94:97], v1 offset0:53 offset1:54
	s_waitcnt lgkmcnt(1)
	v_fma_f64 v[80:81], v[84:85], v[80:81], v[98:99]
	scratch_load_b128 v[98:101], off, off offset:192
	s_waitcnt vmcnt(4)
	v_fma_f64 v[80:81], v[86:87], v[82:83], v[80:81]
	s_waitcnt lgkmcnt(0)
	s_delay_alu instid0(VALU_DEP_1)
	v_fma_f64 v[84:85], v[88:89], v[94:95], v[80:81]
	scratch_load_b128 v[80:83], off, off offset:208
	s_waitcnt vmcnt(4)
	v_fma_f64 v[94:95], v[90:91], v[96:97], v[84:85]
	ds_load_2addr_b64 v[84:87], v1 offset0:55 offset1:56
	ds_load_2addr_b64 v[88:91], v1 offset0:57 offset1:58
	s_waitcnt lgkmcnt(1)
	v_fma_f64 v[84:85], v[92:93], v[84:85], v[94:95]
	scratch_load_b128 v[92:95], off, off offset:224
	s_waitcnt vmcnt(4)
	v_fma_f64 v[84:85], v[102:103], v[86:87], v[84:85]
	s_waitcnt lgkmcnt(0)
	s_delay_alu instid0(VALU_DEP_1)
	;; [unrolled: 13-line block ×3, first 2 shown]
	v_fma_f64 v[88:89], v[100:101], v[102:103], v[88:89]
	scratch_load_b64 v[100:101], off, off offset:272
	s_waitcnt vmcnt(4)
	v_fma_f64 v[80:81], v[80:81], v[104:105], v[88:89]
	ds_load_2addr_b64 v[88:91], v1 offset0:63 offset1:64
	ds_load_2addr_b64 v[96:99], v1 offset0:65 offset1:66
	s_waitcnt lgkmcnt(1)
	v_fma_f64 v[80:81], v[82:83], v[88:89], v[80:81]
	s_waitcnt vmcnt(3)
	s_delay_alu instid0(VALU_DEP_1) | instskip(SKIP_1) | instid1(VALU_DEP_1)
	v_fma_f64 v[80:81], v[92:93], v[90:91], v[80:81]
	s_waitcnt lgkmcnt(0)
	v_fma_f64 v[80:81], v[94:95], v[96:97], v[80:81]
	s_waitcnt vmcnt(2)
	s_delay_alu instid0(VALU_DEP_1)
	v_fma_f64 v[84:85], v[84:85], v[98:99], v[80:81]
	ds_load_2addr_b64 v[80:83], v1 offset0:67 offset1:68
	ds_load_2addr_b64 v[88:91], v1 offset0:69 offset1:70
	s_waitcnt lgkmcnt(1)
	v_fma_f64 v[1:2], v[86:87], v[80:81], v[84:85]
	s_waitcnt vmcnt(1)
	s_delay_alu instid0(VALU_DEP_1) | instskip(SKIP_1) | instid1(VALU_DEP_1)
	v_fma_f64 v[1:2], v[76:77], v[82:83], v[1:2]
	s_waitcnt lgkmcnt(0)
	v_fma_f64 v[1:2], v[78:79], v[88:89], v[1:2]
	s_waitcnt vmcnt(0)
	s_delay_alu instid0(VALU_DEP_1) | instskip(NEXT) | instid1(VALU_DEP_1)
	v_fma_f64 v[1:2], v[100:101], v[90:91], v[1:2]
	v_add_f64 v[1:2], v[74:75], -v[1:2]
	scratch_store_b64 off, v[1:2], off offset:80
	v_cmpx_lt_u32_e32 9, v0
	s_cbranch_execz .LBB98_201
; %bb.200:
	scratch_load_b64 v[1:2], off, off offset:72
	v_mov_b32_e32 v74, 0
	s_delay_alu instid0(VALU_DEP_1)
	v_mov_b32_e32 v75, v74
	scratch_store_b64 off, v[74:75], off offset:72
	s_waitcnt vmcnt(0)
	ds_store_b64 v3, v[1:2]
.LBB98_201:
	s_or_b32 exec_lo, exec_lo, s0
	s_waitcnt lgkmcnt(0)
	s_waitcnt_vscnt null, 0x0
	s_barrier
	buffer_gl0_inv
	s_clause 0x4
	scratch_load_b128 v[74:77], off, off offset:72
	scratch_load_b128 v[78:81], off, off offset:88
	;; [unrolled: 1-line block ×5, first 2 shown]
	v_mov_b32_e32 v1, 0
	ds_load_b128 v[94:97], v1 offset:368
	ds_load_b128 v[98:101], v1 offset:384
	scratch_load_b128 v[102:105], off, off offset:152
	s_mov_b32 s0, exec_lo
	s_waitcnt vmcnt(5) lgkmcnt(1)
	v_fma_f64 v[76:77], v[76:77], v[94:95], 0
	s_waitcnt vmcnt(4)
	s_delay_alu instid0(VALU_DEP_1) | instskip(SKIP_1) | instid1(VALU_DEP_1)
	v_fma_f64 v[76:77], v[78:79], v[96:97], v[76:77]
	s_waitcnt lgkmcnt(0)
	v_fma_f64 v[80:81], v[80:81], v[98:99], v[76:77]
	scratch_load_b128 v[76:79], off, off offset:168
	s_waitcnt vmcnt(4)
	v_fma_f64 v[98:99], v[82:83], v[100:101], v[80:81]
	ds_load_b128 v[80:83], v1 offset:400
	ds_load_b128 v[94:97], v1 offset:416
	s_waitcnt lgkmcnt(1)
	v_fma_f64 v[80:81], v[84:85], v[80:81], v[98:99]
	scratch_load_b128 v[98:101], off, off offset:184
	s_waitcnt vmcnt(4)
	v_fma_f64 v[80:81], v[86:87], v[82:83], v[80:81]
	s_waitcnt lgkmcnt(0)
	s_delay_alu instid0(VALU_DEP_1)
	v_fma_f64 v[84:85], v[88:89], v[94:95], v[80:81]
	scratch_load_b128 v[80:83], off, off offset:200
	s_waitcnt vmcnt(4)
	v_fma_f64 v[94:95], v[90:91], v[96:97], v[84:85]
	ds_load_b128 v[84:87], v1 offset:432
	ds_load_b128 v[88:91], v1 offset:448
	s_waitcnt lgkmcnt(1)
	v_fma_f64 v[84:85], v[92:93], v[84:85], v[94:95]
	scratch_load_b128 v[92:95], off, off offset:216
	s_waitcnt vmcnt(4)
	v_fma_f64 v[84:85], v[102:103], v[86:87], v[84:85]
	s_waitcnt lgkmcnt(0)
	s_delay_alu instid0(VALU_DEP_1)
	;; [unrolled: 13-line block ×3, first 2 shown]
	v_fma_f64 v[96:97], v[100:101], v[102:103], v[88:89]
	scratch_load_b128 v[88:91], off, off offset:264
	s_waitcnt vmcnt(4)
	v_fma_f64 v[80:81], v[80:81], v[104:105], v[96:97]
	ds_load_b128 v[96:99], v1 offset:496
	ds_load_b128 v[100:103], v1 offset:512
	s_waitcnt lgkmcnt(1)
	v_fma_f64 v[80:81], v[82:83], v[96:97], v[80:81]
	s_waitcnt vmcnt(3)
	s_delay_alu instid0(VALU_DEP_1) | instskip(SKIP_1) | instid1(VALU_DEP_1)
	v_fma_f64 v[80:81], v[92:93], v[98:99], v[80:81]
	s_waitcnt lgkmcnt(0)
	v_fma_f64 v[80:81], v[94:95], v[100:101], v[80:81]
	s_waitcnt vmcnt(2)
	s_delay_alu instid0(VALU_DEP_1)
	v_fma_f64 v[84:85], v[84:85], v[102:103], v[80:81]
	ds_load_b128 v[80:83], v1 offset:528
	ds_load_b128 v[92:95], v1 offset:544
	s_waitcnt lgkmcnt(1)
	v_fma_f64 v[80:81], v[86:87], v[80:81], v[84:85]
	s_waitcnt vmcnt(1)
	s_delay_alu instid0(VALU_DEP_1) | instskip(SKIP_1) | instid1(VALU_DEP_1)
	v_fma_f64 v[76:77], v[76:77], v[82:83], v[80:81]
	s_waitcnt lgkmcnt(0)
	v_fma_f64 v[76:77], v[78:79], v[92:93], v[76:77]
	ds_load_b64 v[78:79], v1 offset:560
	s_waitcnt vmcnt(0)
	v_fma_f64 v[76:77], v[88:89], v[94:95], v[76:77]
	s_waitcnt lgkmcnt(0)
	s_delay_alu instid0(VALU_DEP_1) | instskip(NEXT) | instid1(VALU_DEP_1)
	v_fma_f64 v[76:77], v[90:91], v[78:79], v[76:77]
	v_add_f64 v[74:75], v[74:75], -v[76:77]
	scratch_store_b64 off, v[74:75], off offset:72
	v_cmpx_lt_u32_e32 8, v0
	s_cbranch_execz .LBB98_203
; %bb.202:
	scratch_load_b64 v[74:75], off, off offset:64
	v_mov_b32_e32 v2, v1
	scratch_store_b64 off, v[1:2], off offset:64
	s_waitcnt vmcnt(0)
	ds_store_b64 v3, v[74:75]
.LBB98_203:
	s_or_b32 exec_lo, exec_lo, s0
	s_waitcnt lgkmcnt(0)
	s_waitcnt_vscnt null, 0x0
	s_barrier
	buffer_gl0_inv
	s_clause 0x4
	scratch_load_b128 v[74:77], off, off offset:64
	scratch_load_b128 v[78:81], off, off offset:80
	;; [unrolled: 1-line block ×5, first 2 shown]
	ds_load_2addr_b64 v[94:97], v1 offset0:45 offset1:46
	ds_load_2addr_b64 v[98:101], v1 offset0:47 offset1:48
	scratch_load_b128 v[102:105], off, off offset:144
	s_mov_b32 s0, exec_lo
	s_waitcnt vmcnt(5) lgkmcnt(1)
	v_fma_f64 v[76:77], v[76:77], v[94:95], 0
	s_waitcnt vmcnt(4)
	s_delay_alu instid0(VALU_DEP_1) | instskip(SKIP_1) | instid1(VALU_DEP_1)
	v_fma_f64 v[76:77], v[78:79], v[96:97], v[76:77]
	s_waitcnt lgkmcnt(0)
	v_fma_f64 v[80:81], v[80:81], v[98:99], v[76:77]
	scratch_load_b128 v[76:79], off, off offset:160
	s_waitcnt vmcnt(4)
	v_fma_f64 v[98:99], v[82:83], v[100:101], v[80:81]
	ds_load_2addr_b64 v[80:83], v1 offset0:49 offset1:50
	ds_load_2addr_b64 v[94:97], v1 offset0:51 offset1:52
	s_waitcnt lgkmcnt(1)
	v_fma_f64 v[80:81], v[84:85], v[80:81], v[98:99]
	scratch_load_b128 v[98:101], off, off offset:176
	s_waitcnt vmcnt(4)
	v_fma_f64 v[80:81], v[86:87], v[82:83], v[80:81]
	s_waitcnt lgkmcnt(0)
	s_delay_alu instid0(VALU_DEP_1)
	v_fma_f64 v[84:85], v[88:89], v[94:95], v[80:81]
	scratch_load_b128 v[80:83], off, off offset:192
	s_waitcnt vmcnt(4)
	v_fma_f64 v[94:95], v[90:91], v[96:97], v[84:85]
	ds_load_2addr_b64 v[84:87], v1 offset0:53 offset1:54
	ds_load_2addr_b64 v[88:91], v1 offset0:55 offset1:56
	s_waitcnt lgkmcnt(1)
	v_fma_f64 v[84:85], v[92:93], v[84:85], v[94:95]
	scratch_load_b128 v[92:95], off, off offset:208
	s_waitcnt vmcnt(4)
	v_fma_f64 v[84:85], v[102:103], v[86:87], v[84:85]
	s_waitcnt lgkmcnt(0)
	s_delay_alu instid0(VALU_DEP_1)
	;; [unrolled: 13-line block ×3, first 2 shown]
	v_fma_f64 v[96:97], v[100:101], v[102:103], v[88:89]
	scratch_load_b128 v[88:91], off, off offset:256
	s_waitcnt vmcnt(4)
	v_fma_f64 v[80:81], v[80:81], v[104:105], v[96:97]
	ds_load_2addr_b64 v[96:99], v1 offset0:61 offset1:62
	ds_load_2addr_b64 v[100:103], v1 offset0:63 offset1:64
	s_waitcnt lgkmcnt(1)
	v_fma_f64 v[80:81], v[82:83], v[96:97], v[80:81]
	scratch_load_b64 v[96:97], off, off offset:272
	s_waitcnt vmcnt(4)
	v_fma_f64 v[80:81], v[92:93], v[98:99], v[80:81]
	s_waitcnt lgkmcnt(0)
	s_delay_alu instid0(VALU_DEP_1) | instskip(SKIP_1) | instid1(VALU_DEP_1)
	v_fma_f64 v[80:81], v[94:95], v[100:101], v[80:81]
	s_waitcnt vmcnt(3)
	v_fma_f64 v[84:85], v[84:85], v[102:103], v[80:81]
	ds_load_2addr_b64 v[80:83], v1 offset0:65 offset1:66
	ds_load_2addr_b64 v[92:95], v1 offset0:67 offset1:68
	s_waitcnt lgkmcnt(1)
	v_fma_f64 v[80:81], v[86:87], v[80:81], v[84:85]
	s_waitcnt vmcnt(2)
	s_delay_alu instid0(VALU_DEP_1) | instskip(SKIP_1) | instid1(VALU_DEP_1)
	v_fma_f64 v[76:77], v[76:77], v[82:83], v[80:81]
	s_waitcnt lgkmcnt(0)
	v_fma_f64 v[76:77], v[78:79], v[92:93], v[76:77]
	s_waitcnt vmcnt(1)
	s_delay_alu instid0(VALU_DEP_1) | instskip(SKIP_4) | instid1(VALU_DEP_1)
	v_fma_f64 v[80:81], v[88:89], v[94:95], v[76:77]
	ds_load_2addr_b64 v[76:79], v1 offset0:69 offset1:70
	s_waitcnt lgkmcnt(0)
	v_fma_f64 v[1:2], v[90:91], v[76:77], v[80:81]
	s_waitcnt vmcnt(0)
	v_fma_f64 v[1:2], v[96:97], v[78:79], v[1:2]
	s_delay_alu instid0(VALU_DEP_1)
	v_add_f64 v[1:2], v[74:75], -v[1:2]
	scratch_store_b64 off, v[1:2], off offset:64
	v_cmpx_lt_u32_e32 7, v0
	s_cbranch_execz .LBB98_205
; %bb.204:
	scratch_load_b64 v[1:2], off, off offset:56
	v_mov_b32_e32 v74, 0
	s_delay_alu instid0(VALU_DEP_1)
	v_mov_b32_e32 v75, v74
	scratch_store_b64 off, v[74:75], off offset:56
	s_waitcnt vmcnt(0)
	ds_store_b64 v3, v[1:2]
.LBB98_205:
	s_or_b32 exec_lo, exec_lo, s0
	s_waitcnt lgkmcnt(0)
	s_waitcnt_vscnt null, 0x0
	s_barrier
	buffer_gl0_inv
	s_clause 0x4
	scratch_load_b128 v[74:77], off, off offset:56
	scratch_load_b128 v[78:81], off, off offset:72
	;; [unrolled: 1-line block ×5, first 2 shown]
	v_mov_b32_e32 v1, 0
	ds_load_b128 v[94:97], v1 offset:352
	ds_load_b128 v[98:101], v1 offset:368
	scratch_load_b128 v[102:105], off, off offset:136
	s_mov_b32 s0, exec_lo
	s_waitcnt vmcnt(5) lgkmcnt(1)
	v_fma_f64 v[76:77], v[76:77], v[94:95], 0
	s_waitcnt vmcnt(4)
	s_delay_alu instid0(VALU_DEP_1) | instskip(SKIP_1) | instid1(VALU_DEP_1)
	v_fma_f64 v[76:77], v[78:79], v[96:97], v[76:77]
	s_waitcnt lgkmcnt(0)
	v_fma_f64 v[80:81], v[80:81], v[98:99], v[76:77]
	scratch_load_b128 v[76:79], off, off offset:152
	s_waitcnt vmcnt(4)
	v_fma_f64 v[98:99], v[82:83], v[100:101], v[80:81]
	ds_load_b128 v[80:83], v1 offset:384
	ds_load_b128 v[94:97], v1 offset:400
	s_waitcnt lgkmcnt(1)
	v_fma_f64 v[80:81], v[84:85], v[80:81], v[98:99]
	scratch_load_b128 v[98:101], off, off offset:168
	s_waitcnt vmcnt(4)
	v_fma_f64 v[80:81], v[86:87], v[82:83], v[80:81]
	s_waitcnt lgkmcnt(0)
	s_delay_alu instid0(VALU_DEP_1)
	v_fma_f64 v[84:85], v[88:89], v[94:95], v[80:81]
	scratch_load_b128 v[80:83], off, off offset:184
	s_waitcnt vmcnt(4)
	v_fma_f64 v[94:95], v[90:91], v[96:97], v[84:85]
	ds_load_b128 v[84:87], v1 offset:416
	ds_load_b128 v[88:91], v1 offset:432
	s_waitcnt lgkmcnt(1)
	v_fma_f64 v[84:85], v[92:93], v[84:85], v[94:95]
	scratch_load_b128 v[92:95], off, off offset:200
	s_waitcnt vmcnt(4)
	v_fma_f64 v[84:85], v[102:103], v[86:87], v[84:85]
	s_waitcnt lgkmcnt(0)
	s_delay_alu instid0(VALU_DEP_1)
	;; [unrolled: 13-line block ×3, first 2 shown]
	v_fma_f64 v[96:97], v[100:101], v[102:103], v[88:89]
	scratch_load_b128 v[88:91], off, off offset:248
	s_waitcnt vmcnt(4)
	v_fma_f64 v[80:81], v[80:81], v[104:105], v[96:97]
	ds_load_b128 v[96:99], v1 offset:480
	ds_load_b128 v[100:103], v1 offset:496
	s_waitcnt lgkmcnt(1)
	v_fma_f64 v[96:97], v[82:83], v[96:97], v[80:81]
	scratch_load_b128 v[80:83], off, off offset:264
	s_waitcnt vmcnt(4)
	v_fma_f64 v[92:93], v[92:93], v[98:99], v[96:97]
	s_waitcnt lgkmcnt(0)
	s_delay_alu instid0(VALU_DEP_1) | instskip(SKIP_1) | instid1(VALU_DEP_1)
	v_fma_f64 v[92:93], v[94:95], v[100:101], v[92:93]
	s_waitcnt vmcnt(3)
	v_fma_f64 v[84:85], v[84:85], v[102:103], v[92:93]
	ds_load_b128 v[92:95], v1 offset:512
	ds_load_b128 v[96:99], v1 offset:528
	s_waitcnt lgkmcnt(1)
	v_fma_f64 v[84:85], v[86:87], v[92:93], v[84:85]
	s_waitcnt vmcnt(2)
	s_delay_alu instid0(VALU_DEP_1) | instskip(SKIP_1) | instid1(VALU_DEP_1)
	v_fma_f64 v[76:77], v[76:77], v[94:95], v[84:85]
	s_waitcnt lgkmcnt(0)
	v_fma_f64 v[76:77], v[78:79], v[96:97], v[76:77]
	s_waitcnt vmcnt(1)
	s_delay_alu instid0(VALU_DEP_1)
	v_fma_f64 v[84:85], v[88:89], v[98:99], v[76:77]
	ds_load_b128 v[76:79], v1 offset:544
	ds_load_b64 v[86:87], v1 offset:560
	s_waitcnt lgkmcnt(1)
	v_fma_f64 v[76:77], v[90:91], v[76:77], v[84:85]
	s_waitcnt vmcnt(0)
	s_delay_alu instid0(VALU_DEP_1) | instskip(SKIP_1) | instid1(VALU_DEP_1)
	v_fma_f64 v[76:77], v[80:81], v[78:79], v[76:77]
	s_waitcnt lgkmcnt(0)
	v_fma_f64 v[76:77], v[82:83], v[86:87], v[76:77]
	s_delay_alu instid0(VALU_DEP_1)
	v_add_f64 v[74:75], v[74:75], -v[76:77]
	scratch_store_b64 off, v[74:75], off offset:56
	v_cmpx_lt_u32_e32 6, v0
	s_cbranch_execz .LBB98_207
; %bb.206:
	scratch_load_b64 v[74:75], off, off offset:48
	v_mov_b32_e32 v2, v1
	scratch_store_b64 off, v[1:2], off offset:48
	s_waitcnt vmcnt(0)
	ds_store_b64 v3, v[74:75]
.LBB98_207:
	s_or_b32 exec_lo, exec_lo, s0
	s_waitcnt lgkmcnt(0)
	s_waitcnt_vscnt null, 0x0
	s_barrier
	buffer_gl0_inv
	s_clause 0x4
	scratch_load_b128 v[74:77], off, off offset:48
	scratch_load_b128 v[78:81], off, off offset:64
	;; [unrolled: 1-line block ×5, first 2 shown]
	ds_load_2addr_b64 v[94:97], v1 offset0:43 offset1:44
	ds_load_2addr_b64 v[98:101], v1 offset0:45 offset1:46
	scratch_load_b128 v[102:105], off, off offset:128
	s_mov_b32 s0, exec_lo
	s_waitcnt vmcnt(5) lgkmcnt(1)
	v_fma_f64 v[76:77], v[76:77], v[94:95], 0
	s_waitcnt vmcnt(4)
	s_delay_alu instid0(VALU_DEP_1) | instskip(SKIP_1) | instid1(VALU_DEP_1)
	v_fma_f64 v[76:77], v[78:79], v[96:97], v[76:77]
	s_waitcnt lgkmcnt(0)
	v_fma_f64 v[80:81], v[80:81], v[98:99], v[76:77]
	scratch_load_b128 v[76:79], off, off offset:144
	s_waitcnt vmcnt(4)
	v_fma_f64 v[98:99], v[82:83], v[100:101], v[80:81]
	ds_load_2addr_b64 v[80:83], v1 offset0:47 offset1:48
	ds_load_2addr_b64 v[94:97], v1 offset0:49 offset1:50
	s_waitcnt lgkmcnt(1)
	v_fma_f64 v[80:81], v[84:85], v[80:81], v[98:99]
	scratch_load_b128 v[98:101], off, off offset:160
	s_waitcnt vmcnt(4)
	v_fma_f64 v[80:81], v[86:87], v[82:83], v[80:81]
	s_waitcnt lgkmcnt(0)
	s_delay_alu instid0(VALU_DEP_1)
	v_fma_f64 v[84:85], v[88:89], v[94:95], v[80:81]
	scratch_load_b128 v[80:83], off, off offset:176
	s_waitcnt vmcnt(4)
	v_fma_f64 v[94:95], v[90:91], v[96:97], v[84:85]
	ds_load_2addr_b64 v[84:87], v1 offset0:51 offset1:52
	ds_load_2addr_b64 v[88:91], v1 offset0:53 offset1:54
	s_waitcnt lgkmcnt(1)
	v_fma_f64 v[84:85], v[92:93], v[84:85], v[94:95]
	scratch_load_b128 v[92:95], off, off offset:192
	s_waitcnt vmcnt(4)
	v_fma_f64 v[84:85], v[102:103], v[86:87], v[84:85]
	s_waitcnt lgkmcnt(0)
	s_delay_alu instid0(VALU_DEP_1)
	v_fma_f64 v[88:89], v[104:105], v[88:89], v[84:85]
	scratch_load_b128 v[84:87], off, off offset:208
	s_waitcnt vmcnt(4)
	v_fma_f64 v[76:77], v[76:77], v[90:91], v[88:89]
	ds_load_2addr_b64 v[88:91], v1 offset0:55 offset1:56
	ds_load_2addr_b64 v[102:105], v1 offset0:57 offset1:58
	s_waitcnt lgkmcnt(1)
	v_fma_f64 v[88:89], v[78:79], v[88:89], v[76:77]
	scratch_load_b128 v[76:79], off, off offset:224
	s_waitcnt vmcnt(4)
	v_fma_f64 v[88:89], v[98:99], v[90:91], v[88:89]
	s_waitcnt lgkmcnt(0)
	s_delay_alu instid0(VALU_DEP_1)
	v_fma_f64 v[96:97], v[100:101], v[102:103], v[88:89]
	scratch_load_b128 v[88:91], off, off offset:240
	s_waitcnt vmcnt(4)
	v_fma_f64 v[80:81], v[80:81], v[104:105], v[96:97]
	ds_load_2addr_b64 v[96:99], v1 offset0:59 offset1:60
	ds_load_2addr_b64 v[100:103], v1 offset0:61 offset1:62
	s_waitcnt lgkmcnt(1)
	v_fma_f64 v[96:97], v[82:83], v[96:97], v[80:81]
	scratch_load_b128 v[80:83], off, off offset:256
	s_waitcnt vmcnt(4)
	v_fma_f64 v[92:93], v[92:93], v[98:99], v[96:97]
	s_waitcnt lgkmcnt(0)
	s_delay_alu instid0(VALU_DEP_1)
	v_fma_f64 v[92:93], v[94:95], v[100:101], v[92:93]
	scratch_load_b64 v[100:101], off, off offset:272
	s_waitcnt vmcnt(4)
	v_fma_f64 v[84:85], v[84:85], v[102:103], v[92:93]
	ds_load_2addr_b64 v[92:95], v1 offset0:63 offset1:64
	ds_load_2addr_b64 v[96:99], v1 offset0:65 offset1:66
	s_waitcnt lgkmcnt(1)
	v_fma_f64 v[84:85], v[86:87], v[92:93], v[84:85]
	s_waitcnt vmcnt(3)
	s_delay_alu instid0(VALU_DEP_1) | instskip(SKIP_1) | instid1(VALU_DEP_1)
	v_fma_f64 v[76:77], v[76:77], v[94:95], v[84:85]
	s_waitcnt lgkmcnt(0)
	v_fma_f64 v[76:77], v[78:79], v[96:97], v[76:77]
	s_waitcnt vmcnt(2)
	s_delay_alu instid0(VALU_DEP_1)
	v_fma_f64 v[88:89], v[88:89], v[98:99], v[76:77]
	ds_load_2addr_b64 v[76:79], v1 offset0:67 offset1:68
	ds_load_2addr_b64 v[84:87], v1 offset0:69 offset1:70
	s_waitcnt lgkmcnt(1)
	v_fma_f64 v[1:2], v[90:91], v[76:77], v[88:89]
	s_waitcnt vmcnt(1)
	s_delay_alu instid0(VALU_DEP_1) | instskip(SKIP_1) | instid1(VALU_DEP_1)
	v_fma_f64 v[1:2], v[80:81], v[78:79], v[1:2]
	s_waitcnt lgkmcnt(0)
	v_fma_f64 v[1:2], v[82:83], v[84:85], v[1:2]
	s_waitcnt vmcnt(0)
	s_delay_alu instid0(VALU_DEP_1) | instskip(NEXT) | instid1(VALU_DEP_1)
	v_fma_f64 v[1:2], v[100:101], v[86:87], v[1:2]
	v_add_f64 v[1:2], v[74:75], -v[1:2]
	scratch_store_b64 off, v[1:2], off offset:48
	v_cmpx_lt_u32_e32 5, v0
	s_cbranch_execz .LBB98_209
; %bb.208:
	scratch_load_b64 v[1:2], off, off offset:40
	v_mov_b32_e32 v74, 0
	s_delay_alu instid0(VALU_DEP_1)
	v_mov_b32_e32 v75, v74
	scratch_store_b64 off, v[74:75], off offset:40
	s_waitcnt vmcnt(0)
	ds_store_b64 v3, v[1:2]
.LBB98_209:
	s_or_b32 exec_lo, exec_lo, s0
	s_waitcnt lgkmcnt(0)
	s_waitcnt_vscnt null, 0x0
	s_barrier
	buffer_gl0_inv
	s_clause 0x4
	scratch_load_b128 v[74:77], off, off offset:40
	scratch_load_b128 v[78:81], off, off offset:56
	scratch_load_b128 v[82:85], off, off offset:72
	scratch_load_b128 v[86:89], off, off offset:88
	scratch_load_b128 v[90:93], off, off offset:104
	v_mov_b32_e32 v1, 0
	ds_load_b128 v[94:97], v1 offset:336
	ds_load_b128 v[98:101], v1 offset:352
	scratch_load_b128 v[102:105], off, off offset:120
	s_mov_b32 s0, exec_lo
	s_waitcnt vmcnt(5) lgkmcnt(1)
	v_fma_f64 v[76:77], v[76:77], v[94:95], 0
	s_waitcnt vmcnt(4)
	s_delay_alu instid0(VALU_DEP_1) | instskip(SKIP_1) | instid1(VALU_DEP_1)
	v_fma_f64 v[76:77], v[78:79], v[96:97], v[76:77]
	s_waitcnt lgkmcnt(0)
	v_fma_f64 v[80:81], v[80:81], v[98:99], v[76:77]
	scratch_load_b128 v[76:79], off, off offset:136
	s_waitcnt vmcnt(4)
	v_fma_f64 v[98:99], v[82:83], v[100:101], v[80:81]
	ds_load_b128 v[80:83], v1 offset:368
	ds_load_b128 v[94:97], v1 offset:384
	s_waitcnt lgkmcnt(1)
	v_fma_f64 v[80:81], v[84:85], v[80:81], v[98:99]
	scratch_load_b128 v[98:101], off, off offset:152
	s_waitcnt vmcnt(4)
	v_fma_f64 v[80:81], v[86:87], v[82:83], v[80:81]
	s_waitcnt lgkmcnt(0)
	s_delay_alu instid0(VALU_DEP_1)
	v_fma_f64 v[84:85], v[88:89], v[94:95], v[80:81]
	scratch_load_b128 v[80:83], off, off offset:168
	s_waitcnt vmcnt(4)
	v_fma_f64 v[94:95], v[90:91], v[96:97], v[84:85]
	ds_load_b128 v[84:87], v1 offset:400
	ds_load_b128 v[88:91], v1 offset:416
	s_waitcnt lgkmcnt(1)
	v_fma_f64 v[84:85], v[92:93], v[84:85], v[94:95]
	scratch_load_b128 v[92:95], off, off offset:184
	s_waitcnt vmcnt(4)
	v_fma_f64 v[84:85], v[102:103], v[86:87], v[84:85]
	s_waitcnt lgkmcnt(0)
	s_delay_alu instid0(VALU_DEP_1)
	;; [unrolled: 13-line block ×4, first 2 shown]
	v_fma_f64 v[96:97], v[94:95], v[100:101], v[92:93]
	scratch_load_b128 v[92:95], off, off offset:264
	s_waitcnt vmcnt(4)
	v_fma_f64 v[84:85], v[84:85], v[102:103], v[96:97]
	ds_load_b128 v[96:99], v1 offset:496
	ds_load_b128 v[100:103], v1 offset:512
	s_waitcnt lgkmcnt(1)
	v_fma_f64 v[84:85], v[86:87], v[96:97], v[84:85]
	s_waitcnt vmcnt(3)
	s_delay_alu instid0(VALU_DEP_1) | instskip(SKIP_1) | instid1(VALU_DEP_1)
	v_fma_f64 v[76:77], v[76:77], v[98:99], v[84:85]
	s_waitcnt lgkmcnt(0)
	v_fma_f64 v[76:77], v[78:79], v[100:101], v[76:77]
	s_waitcnt vmcnt(2)
	s_delay_alu instid0(VALU_DEP_1)
	v_fma_f64 v[88:89], v[88:89], v[102:103], v[76:77]
	ds_load_b128 v[76:79], v1 offset:528
	ds_load_b128 v[84:87], v1 offset:544
	s_waitcnt lgkmcnt(1)
	v_fma_f64 v[76:77], v[90:91], v[76:77], v[88:89]
	s_waitcnt vmcnt(1)
	s_delay_alu instid0(VALU_DEP_1) | instskip(SKIP_4) | instid1(VALU_DEP_1)
	v_fma_f64 v[76:77], v[80:81], v[78:79], v[76:77]
	ds_load_b64 v[78:79], v1 offset:560
	s_waitcnt lgkmcnt(1)
	v_fma_f64 v[76:77], v[82:83], v[84:85], v[76:77]
	s_waitcnt vmcnt(0)
	v_fma_f64 v[76:77], v[92:93], v[86:87], v[76:77]
	s_waitcnt lgkmcnt(0)
	s_delay_alu instid0(VALU_DEP_1) | instskip(NEXT) | instid1(VALU_DEP_1)
	v_fma_f64 v[76:77], v[94:95], v[78:79], v[76:77]
	v_add_f64 v[74:75], v[74:75], -v[76:77]
	scratch_store_b64 off, v[74:75], off offset:40
	v_cmpx_lt_u32_e32 4, v0
	s_cbranch_execz .LBB98_211
; %bb.210:
	scratch_load_b64 v[74:75], off, off offset:32
	v_mov_b32_e32 v2, v1
	scratch_store_b64 off, v[1:2], off offset:32
	s_waitcnt vmcnt(0)
	ds_store_b64 v3, v[74:75]
.LBB98_211:
	s_or_b32 exec_lo, exec_lo, s0
	s_waitcnt lgkmcnt(0)
	s_waitcnt_vscnt null, 0x0
	s_barrier
	buffer_gl0_inv
	s_clause 0x4
	scratch_load_b128 v[74:77], off, off offset:32
	scratch_load_b128 v[78:81], off, off offset:48
	;; [unrolled: 1-line block ×5, first 2 shown]
	ds_load_2addr_b64 v[94:97], v1 offset0:41 offset1:42
	ds_load_2addr_b64 v[98:101], v1 offset0:43 offset1:44
	scratch_load_b128 v[102:105], off, off offset:112
	s_mov_b32 s0, exec_lo
	s_waitcnt vmcnt(5) lgkmcnt(1)
	v_fma_f64 v[76:77], v[76:77], v[94:95], 0
	s_waitcnt vmcnt(4)
	s_delay_alu instid0(VALU_DEP_1) | instskip(SKIP_1) | instid1(VALU_DEP_1)
	v_fma_f64 v[76:77], v[78:79], v[96:97], v[76:77]
	s_waitcnt lgkmcnt(0)
	v_fma_f64 v[80:81], v[80:81], v[98:99], v[76:77]
	scratch_load_b128 v[76:79], off, off offset:128
	s_waitcnt vmcnt(4)
	v_fma_f64 v[98:99], v[82:83], v[100:101], v[80:81]
	ds_load_2addr_b64 v[80:83], v1 offset0:45 offset1:46
	ds_load_2addr_b64 v[94:97], v1 offset0:47 offset1:48
	s_waitcnt lgkmcnt(1)
	v_fma_f64 v[80:81], v[84:85], v[80:81], v[98:99]
	scratch_load_b128 v[98:101], off, off offset:144
	s_waitcnt vmcnt(4)
	v_fma_f64 v[80:81], v[86:87], v[82:83], v[80:81]
	s_waitcnt lgkmcnt(0)
	s_delay_alu instid0(VALU_DEP_1)
	v_fma_f64 v[84:85], v[88:89], v[94:95], v[80:81]
	scratch_load_b128 v[80:83], off, off offset:160
	s_waitcnt vmcnt(4)
	v_fma_f64 v[94:95], v[90:91], v[96:97], v[84:85]
	ds_load_2addr_b64 v[84:87], v1 offset0:49 offset1:50
	ds_load_2addr_b64 v[88:91], v1 offset0:51 offset1:52
	s_waitcnt lgkmcnt(1)
	v_fma_f64 v[84:85], v[92:93], v[84:85], v[94:95]
	scratch_load_b128 v[92:95], off, off offset:176
	s_waitcnt vmcnt(4)
	v_fma_f64 v[84:85], v[102:103], v[86:87], v[84:85]
	s_waitcnt lgkmcnt(0)
	s_delay_alu instid0(VALU_DEP_1)
	;; [unrolled: 13-line block ×4, first 2 shown]
	v_fma_f64 v[96:97], v[94:95], v[100:101], v[92:93]
	scratch_load_b128 v[92:95], off, off offset:256
	s_waitcnt vmcnt(4)
	v_fma_f64 v[84:85], v[84:85], v[102:103], v[96:97]
	ds_load_2addr_b64 v[96:99], v1 offset0:61 offset1:62
	ds_load_2addr_b64 v[100:103], v1 offset0:63 offset1:64
	s_waitcnt lgkmcnt(1)
	v_fma_f64 v[84:85], v[86:87], v[96:97], v[84:85]
	scratch_load_b64 v[96:97], off, off offset:272
	s_waitcnt vmcnt(4)
	v_fma_f64 v[76:77], v[76:77], v[98:99], v[84:85]
	s_waitcnt lgkmcnt(0)
	s_delay_alu instid0(VALU_DEP_1) | instskip(SKIP_1) | instid1(VALU_DEP_1)
	v_fma_f64 v[76:77], v[78:79], v[100:101], v[76:77]
	s_waitcnt vmcnt(3)
	v_fma_f64 v[88:89], v[88:89], v[102:103], v[76:77]
	ds_load_2addr_b64 v[76:79], v1 offset0:65 offset1:66
	ds_load_2addr_b64 v[84:87], v1 offset0:67 offset1:68
	s_waitcnt lgkmcnt(1)
	v_fma_f64 v[76:77], v[90:91], v[76:77], v[88:89]
	s_waitcnt vmcnt(2)
	s_delay_alu instid0(VALU_DEP_1) | instskip(SKIP_1) | instid1(VALU_DEP_1)
	v_fma_f64 v[76:77], v[80:81], v[78:79], v[76:77]
	s_waitcnt lgkmcnt(0)
	v_fma_f64 v[76:77], v[82:83], v[84:85], v[76:77]
	s_waitcnt vmcnt(1)
	s_delay_alu instid0(VALU_DEP_1) | instskip(SKIP_4) | instid1(VALU_DEP_1)
	v_fma_f64 v[80:81], v[92:93], v[86:87], v[76:77]
	ds_load_2addr_b64 v[76:79], v1 offset0:69 offset1:70
	s_waitcnt lgkmcnt(0)
	v_fma_f64 v[1:2], v[94:95], v[76:77], v[80:81]
	s_waitcnt vmcnt(0)
	v_fma_f64 v[1:2], v[96:97], v[78:79], v[1:2]
	s_delay_alu instid0(VALU_DEP_1)
	v_add_f64 v[1:2], v[74:75], -v[1:2]
	scratch_store_b64 off, v[1:2], off offset:32
	v_cmpx_lt_u32_e32 3, v0
	s_cbranch_execz .LBB98_213
; %bb.212:
	scratch_load_b64 v[1:2], off, off offset:24
	v_mov_b32_e32 v74, 0
	s_delay_alu instid0(VALU_DEP_1)
	v_mov_b32_e32 v75, v74
	scratch_store_b64 off, v[74:75], off offset:24
	s_waitcnt vmcnt(0)
	ds_store_b64 v3, v[1:2]
.LBB98_213:
	s_or_b32 exec_lo, exec_lo, s0
	s_waitcnt lgkmcnt(0)
	s_waitcnt_vscnt null, 0x0
	s_barrier
	buffer_gl0_inv
	s_clause 0x4
	scratch_load_b128 v[74:77], off, off offset:24
	scratch_load_b128 v[78:81], off, off offset:40
	;; [unrolled: 1-line block ×5, first 2 shown]
	v_mov_b32_e32 v1, 0
	ds_load_b128 v[94:97], v1 offset:320
	ds_load_b128 v[98:101], v1 offset:336
	scratch_load_b128 v[102:105], off, off offset:104
	s_mov_b32 s0, exec_lo
	s_waitcnt vmcnt(5) lgkmcnt(1)
	v_fma_f64 v[76:77], v[76:77], v[94:95], 0
	s_waitcnt vmcnt(4)
	s_delay_alu instid0(VALU_DEP_1) | instskip(SKIP_1) | instid1(VALU_DEP_1)
	v_fma_f64 v[76:77], v[78:79], v[96:97], v[76:77]
	s_waitcnt lgkmcnt(0)
	v_fma_f64 v[80:81], v[80:81], v[98:99], v[76:77]
	scratch_load_b128 v[76:79], off, off offset:120
	s_waitcnt vmcnt(4)
	v_fma_f64 v[98:99], v[82:83], v[100:101], v[80:81]
	ds_load_b128 v[80:83], v1 offset:352
	ds_load_b128 v[94:97], v1 offset:368
	s_waitcnt lgkmcnt(1)
	v_fma_f64 v[80:81], v[84:85], v[80:81], v[98:99]
	scratch_load_b128 v[98:101], off, off offset:136
	s_waitcnt vmcnt(4)
	v_fma_f64 v[80:81], v[86:87], v[82:83], v[80:81]
	s_waitcnt lgkmcnt(0)
	s_delay_alu instid0(VALU_DEP_1)
	v_fma_f64 v[84:85], v[88:89], v[94:95], v[80:81]
	scratch_load_b128 v[80:83], off, off offset:152
	s_waitcnt vmcnt(4)
	v_fma_f64 v[94:95], v[90:91], v[96:97], v[84:85]
	ds_load_b128 v[84:87], v1 offset:384
	ds_load_b128 v[88:91], v1 offset:400
	s_waitcnt lgkmcnt(1)
	v_fma_f64 v[84:85], v[92:93], v[84:85], v[94:95]
	scratch_load_b128 v[92:95], off, off offset:168
	s_waitcnt vmcnt(4)
	v_fma_f64 v[84:85], v[102:103], v[86:87], v[84:85]
	s_waitcnt lgkmcnt(0)
	s_delay_alu instid0(VALU_DEP_1)
	;; [unrolled: 13-line block ×4, first 2 shown]
	v_fma_f64 v[96:97], v[94:95], v[100:101], v[92:93]
	scratch_load_b128 v[92:95], off, off offset:248
	s_waitcnt vmcnt(4)
	v_fma_f64 v[84:85], v[84:85], v[102:103], v[96:97]
	ds_load_b128 v[96:99], v1 offset:480
	ds_load_b128 v[100:103], v1 offset:496
	s_waitcnt lgkmcnt(1)
	v_fma_f64 v[96:97], v[86:87], v[96:97], v[84:85]
	scratch_load_b128 v[84:87], off, off offset:264
	s_waitcnt vmcnt(4)
	v_fma_f64 v[76:77], v[76:77], v[98:99], v[96:97]
	s_waitcnt lgkmcnt(0)
	s_delay_alu instid0(VALU_DEP_1) | instskip(SKIP_1) | instid1(VALU_DEP_1)
	v_fma_f64 v[76:77], v[78:79], v[100:101], v[76:77]
	s_waitcnt vmcnt(3)
	v_fma_f64 v[88:89], v[88:89], v[102:103], v[76:77]
	ds_load_b128 v[76:79], v1 offset:512
	ds_load_b128 v[96:99], v1 offset:528
	s_waitcnt lgkmcnt(1)
	v_fma_f64 v[76:77], v[90:91], v[76:77], v[88:89]
	s_waitcnt vmcnt(2)
	s_delay_alu instid0(VALU_DEP_1) | instskip(SKIP_1) | instid1(VALU_DEP_1)
	v_fma_f64 v[76:77], v[80:81], v[78:79], v[76:77]
	s_waitcnt lgkmcnt(0)
	v_fma_f64 v[76:77], v[82:83], v[96:97], v[76:77]
	s_waitcnt vmcnt(1)
	s_delay_alu instid0(VALU_DEP_1)
	v_fma_f64 v[80:81], v[92:93], v[98:99], v[76:77]
	ds_load_b128 v[76:79], v1 offset:544
	ds_load_b64 v[82:83], v1 offset:560
	s_waitcnt lgkmcnt(1)
	v_fma_f64 v[76:77], v[94:95], v[76:77], v[80:81]
	s_waitcnt vmcnt(0)
	s_delay_alu instid0(VALU_DEP_1) | instskip(SKIP_1) | instid1(VALU_DEP_1)
	v_fma_f64 v[76:77], v[84:85], v[78:79], v[76:77]
	s_waitcnt lgkmcnt(0)
	v_fma_f64 v[76:77], v[86:87], v[82:83], v[76:77]
	s_delay_alu instid0(VALU_DEP_1)
	v_add_f64 v[74:75], v[74:75], -v[76:77]
	scratch_store_b64 off, v[74:75], off offset:24
	v_cmpx_lt_u32_e32 2, v0
	s_cbranch_execz .LBB98_215
; %bb.214:
	scratch_load_b64 v[74:75], off, off offset:16
	v_mov_b32_e32 v2, v1
	scratch_store_b64 off, v[1:2], off offset:16
	s_waitcnt vmcnt(0)
	ds_store_b64 v3, v[74:75]
.LBB98_215:
	s_or_b32 exec_lo, exec_lo, s0
	s_waitcnt lgkmcnt(0)
	s_waitcnt_vscnt null, 0x0
	s_barrier
	buffer_gl0_inv
	s_clause 0x4
	scratch_load_b128 v[74:77], off, off offset:16
	scratch_load_b128 v[78:81], off, off offset:32
	;; [unrolled: 1-line block ×5, first 2 shown]
	ds_load_2addr_b64 v[94:97], v1 offset0:39 offset1:40
	ds_load_2addr_b64 v[98:101], v1 offset0:41 offset1:42
	scratch_load_b128 v[102:105], off, off offset:96
	s_mov_b32 s0, exec_lo
	s_waitcnt vmcnt(5) lgkmcnt(1)
	v_fma_f64 v[76:77], v[76:77], v[94:95], 0
	s_waitcnt vmcnt(4)
	s_delay_alu instid0(VALU_DEP_1) | instskip(SKIP_1) | instid1(VALU_DEP_1)
	v_fma_f64 v[76:77], v[78:79], v[96:97], v[76:77]
	s_waitcnt lgkmcnt(0)
	v_fma_f64 v[80:81], v[80:81], v[98:99], v[76:77]
	scratch_load_b128 v[76:79], off, off offset:112
	s_waitcnt vmcnt(4)
	v_fma_f64 v[98:99], v[82:83], v[100:101], v[80:81]
	ds_load_2addr_b64 v[80:83], v1 offset0:43 offset1:44
	ds_load_2addr_b64 v[94:97], v1 offset0:45 offset1:46
	s_waitcnt lgkmcnt(1)
	v_fma_f64 v[80:81], v[84:85], v[80:81], v[98:99]
	scratch_load_b128 v[98:101], off, off offset:128
	s_waitcnt vmcnt(4)
	v_fma_f64 v[80:81], v[86:87], v[82:83], v[80:81]
	s_waitcnt lgkmcnt(0)
	s_delay_alu instid0(VALU_DEP_1)
	v_fma_f64 v[84:85], v[88:89], v[94:95], v[80:81]
	scratch_load_b128 v[80:83], off, off offset:144
	s_waitcnt vmcnt(4)
	v_fma_f64 v[94:95], v[90:91], v[96:97], v[84:85]
	ds_load_2addr_b64 v[84:87], v1 offset0:47 offset1:48
	ds_load_2addr_b64 v[88:91], v1 offset0:49 offset1:50
	s_waitcnt lgkmcnt(1)
	v_fma_f64 v[84:85], v[92:93], v[84:85], v[94:95]
	scratch_load_b128 v[92:95], off, off offset:160
	s_waitcnt vmcnt(4)
	v_fma_f64 v[84:85], v[102:103], v[86:87], v[84:85]
	s_waitcnt lgkmcnt(0)
	s_delay_alu instid0(VALU_DEP_1)
	;; [unrolled: 13-line block ×5, first 2 shown]
	v_fma_f64 v[76:77], v[78:79], v[100:101], v[76:77]
	scratch_load_b64 v[100:101], off, off offset:272
	s_waitcnt vmcnt(4)
	v_fma_f64 v[88:89], v[88:89], v[102:103], v[76:77]
	ds_load_2addr_b64 v[76:79], v1 offset0:63 offset1:64
	ds_load_2addr_b64 v[96:99], v1 offset0:65 offset1:66
	s_waitcnt lgkmcnt(1)
	v_fma_f64 v[76:77], v[90:91], v[76:77], v[88:89]
	s_waitcnt vmcnt(3)
	s_delay_alu instid0(VALU_DEP_1) | instskip(SKIP_1) | instid1(VALU_DEP_1)
	v_fma_f64 v[76:77], v[80:81], v[78:79], v[76:77]
	s_waitcnt lgkmcnt(0)
	v_fma_f64 v[76:77], v[82:83], v[96:97], v[76:77]
	s_waitcnt vmcnt(2)
	s_delay_alu instid0(VALU_DEP_1)
	v_fma_f64 v[88:89], v[92:93], v[98:99], v[76:77]
	ds_load_2addr_b64 v[76:79], v1 offset0:67 offset1:68
	ds_load_2addr_b64 v[80:83], v1 offset0:69 offset1:70
	s_waitcnt lgkmcnt(1)
	v_fma_f64 v[1:2], v[94:95], v[76:77], v[88:89]
	s_waitcnt vmcnt(1)
	s_delay_alu instid0(VALU_DEP_1) | instskip(SKIP_1) | instid1(VALU_DEP_1)
	v_fma_f64 v[1:2], v[84:85], v[78:79], v[1:2]
	s_waitcnt lgkmcnt(0)
	v_fma_f64 v[1:2], v[86:87], v[80:81], v[1:2]
	s_waitcnt vmcnt(0)
	s_delay_alu instid0(VALU_DEP_1) | instskip(NEXT) | instid1(VALU_DEP_1)
	v_fma_f64 v[1:2], v[100:101], v[82:83], v[1:2]
	v_add_f64 v[1:2], v[74:75], -v[1:2]
	scratch_store_b64 off, v[1:2], off offset:16
	v_cmpx_lt_u32_e32 1, v0
	s_cbranch_execz .LBB98_217
; %bb.216:
	scratch_load_b64 v[1:2], off, off offset:8
	v_mov_b32_e32 v74, 0
	s_delay_alu instid0(VALU_DEP_1)
	v_mov_b32_e32 v75, v74
	scratch_store_b64 off, v[74:75], off offset:8
	s_waitcnt vmcnt(0)
	ds_store_b64 v3, v[1:2]
.LBB98_217:
	s_or_b32 exec_lo, exec_lo, s0
	s_waitcnt lgkmcnt(0)
	s_waitcnt_vscnt null, 0x0
	s_barrier
	buffer_gl0_inv
	s_clause 0x4
	scratch_load_b128 v[75:78], off, off offset:8
	scratch_load_b128 v[79:82], off, off offset:24
	;; [unrolled: 1-line block ×5, first 2 shown]
	v_mov_b32_e32 v74, 0
	ds_load_b128 v[95:98], v74 offset:304
	ds_load_b128 v[99:102], v74 offset:320
	scratch_load_b128 v[103:106], off, off offset:88
	s_mov_b32 s0, exec_lo
	s_waitcnt vmcnt(5) lgkmcnt(1)
	v_fma_f64 v[1:2], v[77:78], v[95:96], 0
	s_waitcnt vmcnt(4)
	s_delay_alu instid0(VALU_DEP_1) | instskip(SKIP_4) | instid1(VALU_DEP_1)
	v_fma_f64 v[1:2], v[79:80], v[97:98], v[1:2]
	scratch_load_b128 v[77:80], off, off offset:104
	s_waitcnt lgkmcnt(0)
	v_fma_f64 v[1:2], v[81:82], v[99:100], v[1:2]
	s_waitcnt vmcnt(4)
	v_fma_f64 v[1:2], v[83:84], v[101:102], v[1:2]
	ds_load_b128 v[81:84], v74 offset:336
	ds_load_b128 v[95:98], v74 offset:352
	scratch_load_b128 v[99:102], off, off offset:120
	s_waitcnt lgkmcnt(1)
	v_fma_f64 v[1:2], v[85:86], v[81:82], v[1:2]
	s_waitcnt vmcnt(4)
	s_delay_alu instid0(VALU_DEP_1) | instskip(SKIP_4) | instid1(VALU_DEP_1)
	v_fma_f64 v[1:2], v[87:88], v[83:84], v[1:2]
	scratch_load_b128 v[81:84], off, off offset:136
	s_waitcnt lgkmcnt(0)
	v_fma_f64 v[1:2], v[89:90], v[95:96], v[1:2]
	s_waitcnt vmcnt(4)
	v_fma_f64 v[1:2], v[91:92], v[97:98], v[1:2]
	ds_load_b128 v[85:88], v74 offset:368
	ds_load_b128 v[89:92], v74 offset:384
	s_waitcnt lgkmcnt(1)
	v_fma_f64 v[1:2], v[93:94], v[85:86], v[1:2]
	scratch_load_b128 v[93:96], off, off offset:152
	s_waitcnt vmcnt(4)
	v_fma_f64 v[1:2], v[103:104], v[87:88], v[1:2]
	scratch_load_b128 v[85:88], off, off offset:168
	s_waitcnt lgkmcnt(0)
	v_fma_f64 v[1:2], v[105:106], v[89:90], v[1:2]
	s_waitcnt vmcnt(4)
	s_delay_alu instid0(VALU_DEP_1)
	v_fma_f64 v[1:2], v[77:78], v[91:92], v[1:2]
	ds_load_b128 v[89:92], v74 offset:400
	ds_load_b128 v[103:106], v74 offset:416
	s_waitcnt lgkmcnt(1)
	v_fma_f64 v[1:2], v[79:80], v[89:90], v[1:2]
	scratch_load_b128 v[77:80], off, off offset:184
	s_waitcnt vmcnt(4)
	v_fma_f64 v[1:2], v[99:100], v[91:92], v[1:2]
	scratch_load_b128 v[89:92], off, off offset:200
	s_waitcnt lgkmcnt(0)
	v_fma_f64 v[1:2], v[101:102], v[103:104], v[1:2]
	ds_load_b128 v[97:100], v74 offset:432
	ds_load_b128 v[101:104], v74 offset:448
	s_waitcnt vmcnt(4)
	v_fma_f64 v[1:2], v[81:82], v[105:106], v[1:2]
	s_waitcnt lgkmcnt(1)
	s_delay_alu instid0(VALU_DEP_1) | instskip(SKIP_4) | instid1(VALU_DEP_1)
	v_fma_f64 v[1:2], v[83:84], v[97:98], v[1:2]
	scratch_load_b128 v[81:84], off, off offset:216
	s_waitcnt vmcnt(4)
	v_fma_f64 v[1:2], v[93:94], v[99:100], v[1:2]
	s_waitcnt lgkmcnt(0)
	v_fma_f64 v[1:2], v[95:96], v[101:102], v[1:2]
	scratch_load_b128 v[93:96], off, off offset:232
	s_waitcnt vmcnt(4)
	v_fma_f64 v[1:2], v[85:86], v[103:104], v[1:2]
	ds_load_b128 v[97:100], v74 offset:464
	ds_load_b128 v[101:104], v74 offset:480
	s_waitcnt lgkmcnt(1)
	v_fma_f64 v[1:2], v[87:88], v[97:98], v[1:2]
	scratch_load_b128 v[85:88], off, off offset:248
	s_waitcnt vmcnt(4)
	v_fma_f64 v[1:2], v[77:78], v[99:100], v[1:2]
	s_waitcnt lgkmcnt(0)
	s_delay_alu instid0(VALU_DEP_1)
	v_fma_f64 v[1:2], v[79:80], v[101:102], v[1:2]
	scratch_load_b128 v[77:80], off, off offset:264
	s_waitcnt vmcnt(4)
	v_fma_f64 v[1:2], v[89:90], v[103:104], v[1:2]
	ds_load_b128 v[97:100], v74 offset:496
	ds_load_b128 v[101:104], v74 offset:512
	s_waitcnt lgkmcnt(1)
	v_fma_f64 v[1:2], v[91:92], v[97:98], v[1:2]
	s_waitcnt vmcnt(3)
	s_delay_alu instid0(VALU_DEP_1) | instskip(SKIP_1) | instid1(VALU_DEP_1)
	v_fma_f64 v[1:2], v[81:82], v[99:100], v[1:2]
	s_waitcnt lgkmcnt(0)
	v_fma_f64 v[1:2], v[83:84], v[101:102], v[1:2]
	ds_load_b128 v[81:84], v74 offset:528
	ds_load_b128 v[89:92], v74 offset:544
	s_waitcnt vmcnt(2)
	v_fma_f64 v[1:2], v[93:94], v[103:104], v[1:2]
	s_waitcnt lgkmcnt(1)
	s_delay_alu instid0(VALU_DEP_1) | instskip(SKIP_1) | instid1(VALU_DEP_1)
	v_fma_f64 v[1:2], v[95:96], v[81:82], v[1:2]
	s_waitcnt vmcnt(1)
	v_fma_f64 v[1:2], v[85:86], v[83:84], v[1:2]
	s_waitcnt lgkmcnt(0)
	s_delay_alu instid0(VALU_DEP_1) | instskip(SKIP_1) | instid1(VALU_DEP_1)
	v_fma_f64 v[1:2], v[87:88], v[89:90], v[1:2]
	s_waitcnt vmcnt(0)
	v_fma_f64 v[1:2], v[77:78], v[91:92], v[1:2]
	ds_load_b64 v[77:78], v74 offset:560
	s_waitcnt lgkmcnt(0)
	v_fma_f64 v[1:2], v[79:80], v[77:78], v[1:2]
	s_delay_alu instid0(VALU_DEP_1)
	v_add_f64 v[1:2], v[75:76], -v[1:2]
	scratch_store_b64 off, v[1:2], off offset:8
	v_cmpx_ne_u32_e32 0, v0
	s_cbranch_execz .LBB98_219
; %bb.218:
	scratch_load_b64 v[0:1], off, off
	v_mov_b32_e32 v75, v74
	scratch_store_b64 off, v[74:75], off
	s_waitcnt vmcnt(0)
	ds_store_b64 v3, v[0:1]
.LBB98_219:
	s_or_b32 exec_lo, exec_lo, s0
	s_waitcnt lgkmcnt(0)
	s_waitcnt_vscnt null, 0x0
	s_barrier
	buffer_gl0_inv
	s_clause 0x4
	scratch_load_b128 v[75:78], off, off
	scratch_load_b128 v[0:3], off, off offset:16
	scratch_load_b128 v[79:82], off, off offset:32
	scratch_load_b128 v[83:86], off, off offset:48
	scratch_load_b128 v[87:90], off, off offset:64
	ds_load_2addr_b64 v[91:94], v74 offset0:37 offset1:38
	ds_load_2addr_b64 v[95:98], v74 offset0:39 offset1:40
	scratch_load_b128 v[99:102], off, off offset:80
	s_and_b32 vcc_lo, exec_lo, s14
	s_waitcnt vmcnt(5) lgkmcnt(1)
	v_fma_f64 v[77:78], v[77:78], v[91:92], 0
	s_waitcnt vmcnt(4)
	s_delay_alu instid0(VALU_DEP_1) | instskip(SKIP_1) | instid1(VALU_DEP_1)
	v_fma_f64 v[0:1], v[0:1], v[93:94], v[77:78]
	s_waitcnt lgkmcnt(0)
	v_fma_f64 v[77:78], v[2:3], v[95:96], v[0:1]
	scratch_load_b128 v[0:3], off, off offset:96
	s_waitcnt vmcnt(4)
	v_fma_f64 v[95:96], v[79:80], v[97:98], v[77:78]
	ds_load_2addr_b64 v[77:80], v74 offset0:41 offset1:42
	ds_load_2addr_b64 v[91:94], v74 offset0:43 offset1:44
	s_waitcnt lgkmcnt(1)
	v_fma_f64 v[77:78], v[81:82], v[77:78], v[95:96]
	scratch_load_b128 v[95:98], off, off offset:112
	s_waitcnt vmcnt(4)
	v_fma_f64 v[77:78], v[83:84], v[79:80], v[77:78]
	s_waitcnt lgkmcnt(0)
	s_delay_alu instid0(VALU_DEP_1)
	v_fma_f64 v[81:82], v[85:86], v[91:92], v[77:78]
	scratch_load_b128 v[77:80], off, off offset:128
	s_waitcnt vmcnt(4)
	v_fma_f64 v[91:92], v[87:88], v[93:94], v[81:82]
	ds_load_2addr_b64 v[81:84], v74 offset0:45 offset1:46
	ds_load_2addr_b64 v[85:88], v74 offset0:47 offset1:48
	s_waitcnt lgkmcnt(1)
	v_fma_f64 v[81:82], v[89:90], v[81:82], v[91:92]
	scratch_load_b128 v[89:92], off, off offset:144
	s_waitcnt vmcnt(4)
	v_fma_f64 v[81:82], v[99:100], v[83:84], v[81:82]
	s_waitcnt lgkmcnt(0)
	s_delay_alu instid0(VALU_DEP_1)
	;; [unrolled: 13-line block ×5, first 2 shown]
	v_fma_f64 v[93:94], v[2:3], v[97:98], v[0:1]
	scratch_load_b128 v[0:3], off, off offset:256
	s_waitcnt vmcnt(4)
	v_fma_f64 v[85:86], v[85:86], v[99:100], v[93:94]
	ds_load_2addr_b64 v[93:96], v74 offset0:61 offset1:62
	ds_load_2addr_b64 v[97:100], v74 offset0:63 offset1:64
	s_waitcnt lgkmcnt(1)
	v_fma_f64 v[85:86], v[87:88], v[93:94], v[85:86]
	scratch_load_b64 v[93:94], off, off offset:272
	s_waitcnt vmcnt(4)
	v_fma_f64 v[77:78], v[77:78], v[95:96], v[85:86]
	s_waitcnt lgkmcnt(0)
	s_delay_alu instid0(VALU_DEP_1) | instskip(SKIP_1) | instid1(VALU_DEP_1)
	v_fma_f64 v[77:78], v[79:80], v[97:98], v[77:78]
	s_waitcnt vmcnt(3)
	v_fma_f64 v[89:90], v[89:90], v[99:100], v[77:78]
	ds_load_2addr_b64 v[77:80], v74 offset0:65 offset1:66
	ds_load_2addr_b64 v[85:88], v74 offset0:67 offset1:68
	s_waitcnt lgkmcnt(1)
	v_fma_f64 v[77:78], v[91:92], v[77:78], v[89:90]
	s_waitcnt vmcnt(2)
	s_delay_alu instid0(VALU_DEP_1) | instskip(SKIP_1) | instid1(VALU_DEP_1)
	v_fma_f64 v[77:78], v[81:82], v[79:80], v[77:78]
	s_waitcnt lgkmcnt(0)
	v_fma_f64 v[77:78], v[83:84], v[85:86], v[77:78]
	s_waitcnt vmcnt(1)
	s_delay_alu instid0(VALU_DEP_1) | instskip(SKIP_4) | instid1(VALU_DEP_1)
	v_fma_f64 v[0:1], v[0:1], v[87:88], v[77:78]
	ds_load_2addr_b64 v[77:80], v74 offset0:69 offset1:70
	s_waitcnt lgkmcnt(0)
	v_fma_f64 v[0:1], v[2:3], v[77:78], v[0:1]
	s_waitcnt vmcnt(0)
	v_fma_f64 v[0:1], v[93:94], v[79:80], v[0:1]
	s_delay_alu instid0(VALU_DEP_1)
	v_add_f64 v[0:1], v[75:76], -v[0:1]
	scratch_store_b64 off, v[0:1], off
	s_cbranch_vccz .LBB98_289
; %bb.220:
	v_dual_mov_b32 v0, s2 :: v_dual_mov_b32 v1, s3
	s_mov_b32 s0, exec_lo
	flat_load_b32 v0, v[0:1] offset:132
	s_waitcnt vmcnt(0) lgkmcnt(0)
	v_cmpx_ne_u32_e32 34, v0
	s_cbranch_execz .LBB98_222
; %bb.221:
	v_lshl_add_u32 v74, v0, 3, 0
	scratch_load_b64 v[0:1], v74, off offset:-8
	s_waitcnt vmcnt(0)
	scratch_store_b64 off, v[0:1], off offset:264
	scratch_store_b64 v74, v[2:3], off offset:-8
.LBB98_222:
	s_or_b32 exec_lo, exec_lo, s0
	v_dual_mov_b32 v0, s2 :: v_dual_mov_b32 v1, s3
	s_mov_b32 s0, exec_lo
	flat_load_b32 v0, v[0:1] offset:128
	s_waitcnt vmcnt(0) lgkmcnt(0)
	v_cmpx_ne_u32_e32 33, v0
	s_cbranch_execz .LBB98_224
; %bb.223:
	v_lshl_add_u32 v74, v0, 3, 0
	scratch_load_b64 v[0:1], v74, off offset:-8
	scratch_load_b64 v[2:3], off, off offset:256
	s_waitcnt vmcnt(1)
	scratch_store_b64 off, v[0:1], off offset:256
	s_waitcnt vmcnt(0)
	scratch_store_b64 v74, v[2:3], off offset:-8
.LBB98_224:
	s_or_b32 exec_lo, exec_lo, s0
	v_dual_mov_b32 v0, s2 :: v_dual_mov_b32 v1, s3
	s_mov_b32 s0, exec_lo
	flat_load_b32 v0, v[0:1] offset:124
	s_waitcnt vmcnt(0) lgkmcnt(0)
	v_cmpx_ne_u32_e32 32, v0
	s_cbranch_execz .LBB98_226
; %bb.225:
	v_lshl_add_u32 v74, v0, 3, 0
	scratch_load_b64 v[0:1], v74, off offset:-8
	scratch_load_b64 v[2:3], off, off offset:248
	s_waitcnt vmcnt(1)
	scratch_store_b64 off, v[0:1], off offset:248
	s_waitcnt vmcnt(0)
	scratch_store_b64 v74, v[2:3], off offset:-8
.LBB98_226:
	;; [unrolled: 16-line block ×32, first 2 shown]
	s_or_b32 exec_lo, exec_lo, s0
	v_dual_mov_b32 v0, s2 :: v_dual_mov_b32 v1, s3
	s_mov_b32 s0, exec_lo
	flat_load_b32 v2, v[0:1]
	scratch_load_b64 v[0:1], off, off
	s_waitcnt vmcnt(1) lgkmcnt(0)
	v_cmpx_ne_u32_e32 1, v2
	s_cbranch_execz .LBB98_288
; %bb.287:
	v_lshl_add_u32 v74, v2, 3, 0
	scratch_load_b64 v[2:3], v74, off offset:-8
	s_waitcnt vmcnt(0)
	scratch_store_b64 off, v[2:3], off
	scratch_store_b64 v74, v[0:1], off offset:-8
	scratch_load_b64 v[0:1], off, off
.LBB98_288:
	s_or_b32 exec_lo, exec_lo, s0
.LBB98_289:
	s_clause 0x9
	scratch_load_b128 v[74:77], off, off offset:8
	scratch_load_b128 v[78:81], off, off offset:24
	;; [unrolled: 1-line block ×10, first 2 shown]
	s_waitcnt vmcnt(10)
	global_store_b64 v[6:7], v[0:1], off
	s_clause 0x1
	scratch_load_b128 v[0:3], off, off offset:168
	scratch_load_b128 v[114:117], off, off offset:184
	s_waitcnt vmcnt(11)
	s_clause 0x1
	global_store_b64 v[4:5], v[74:75], off
	global_store_b64 v[10:11], v[76:77], off
	s_clause 0x1
	scratch_load_b128 v[4:7], off, off offset:200
	scratch_load_b128 v[74:77], off, off offset:216
	s_waitcnt vmcnt(12)
	s_clause 0x1
	global_store_b64 v[8:9], v[78:79], off
	;; [unrolled: 7-line block ×3, first 2 shown]
	global_store_b64 v[18:19], v[84:85], off
	scratch_load_b128 v[12:15], off, off offset:264
	s_waitcnt vmcnt(13)
	s_clause 0x1
	global_store_b64 v[16:17], v[86:87], off
	global_store_b64 v[20:21], v[88:89], off
	s_waitcnt vmcnt(12)
	s_clause 0x1
	global_store_b64 v[22:23], v[90:91], off
	global_store_b64 v[24:25], v[92:93], off
	;; [unrolled: 4-line block ×14, first 2 shown]
	s_endpgm
	.section	.rodata,"a",@progbits
	.p2align	6, 0x0
	.amdhsa_kernel _ZN9rocsolver6v33100L18getri_kernel_smallILi35EdPKPdEEvT1_iilPiilS6_bb
		.amdhsa_group_segment_fixed_size 568
		.amdhsa_private_segment_fixed_size 288
		.amdhsa_kernarg_size 60
		.amdhsa_user_sgpr_count 15
		.amdhsa_user_sgpr_dispatch_ptr 0
		.amdhsa_user_sgpr_queue_ptr 0
		.amdhsa_user_sgpr_kernarg_segment_ptr 1
		.amdhsa_user_sgpr_dispatch_id 0
		.amdhsa_user_sgpr_private_segment_size 0
		.amdhsa_wavefront_size32 1
		.amdhsa_uses_dynamic_stack 0
		.amdhsa_enable_private_segment 1
		.amdhsa_system_sgpr_workgroup_id_x 1
		.amdhsa_system_sgpr_workgroup_id_y 0
		.amdhsa_system_sgpr_workgroup_id_z 0
		.amdhsa_system_sgpr_workgroup_info 0
		.amdhsa_system_vgpr_workitem_id 0
		.amdhsa_next_free_vgpr 120
		.amdhsa_next_free_sgpr 17
		.amdhsa_reserve_vcc 1
		.amdhsa_float_round_mode_32 0
		.amdhsa_float_round_mode_16_64 0
		.amdhsa_float_denorm_mode_32 3
		.amdhsa_float_denorm_mode_16_64 3
		.amdhsa_dx10_clamp 1
		.amdhsa_ieee_mode 1
		.amdhsa_fp16_overflow 0
		.amdhsa_workgroup_processor_mode 1
		.amdhsa_memory_ordered 1
		.amdhsa_forward_progress 0
		.amdhsa_shared_vgpr_count 0
		.amdhsa_exception_fp_ieee_invalid_op 0
		.amdhsa_exception_fp_denorm_src 0
		.amdhsa_exception_fp_ieee_div_zero 0
		.amdhsa_exception_fp_ieee_overflow 0
		.amdhsa_exception_fp_ieee_underflow 0
		.amdhsa_exception_fp_ieee_inexact 0
		.amdhsa_exception_int_div_zero 0
	.end_amdhsa_kernel
	.section	.text._ZN9rocsolver6v33100L18getri_kernel_smallILi35EdPKPdEEvT1_iilPiilS6_bb,"axG",@progbits,_ZN9rocsolver6v33100L18getri_kernel_smallILi35EdPKPdEEvT1_iilPiilS6_bb,comdat
.Lfunc_end98:
	.size	_ZN9rocsolver6v33100L18getri_kernel_smallILi35EdPKPdEEvT1_iilPiilS6_bb, .Lfunc_end98-_ZN9rocsolver6v33100L18getri_kernel_smallILi35EdPKPdEEvT1_iilPiilS6_bb
                                        ; -- End function
	.section	.AMDGPU.csdata,"",@progbits
; Kernel info:
; codeLenInByte = 28348
; NumSgprs: 19
; NumVgprs: 120
; ScratchSize: 288
; MemoryBound: 0
; FloatMode: 240
; IeeeMode: 1
; LDSByteSize: 568 bytes/workgroup (compile time only)
; SGPRBlocks: 2
; VGPRBlocks: 14
; NumSGPRsForWavesPerEU: 19
; NumVGPRsForWavesPerEU: 120
; Occupancy: 12
; WaveLimiterHint : 1
; COMPUTE_PGM_RSRC2:SCRATCH_EN: 1
; COMPUTE_PGM_RSRC2:USER_SGPR: 15
; COMPUTE_PGM_RSRC2:TRAP_HANDLER: 0
; COMPUTE_PGM_RSRC2:TGID_X_EN: 1
; COMPUTE_PGM_RSRC2:TGID_Y_EN: 0
; COMPUTE_PGM_RSRC2:TGID_Z_EN: 0
; COMPUTE_PGM_RSRC2:TIDIG_COMP_CNT: 0
	.section	.text._ZN9rocsolver6v33100L18getri_kernel_smallILi36EdPKPdEEvT1_iilPiilS6_bb,"axG",@progbits,_ZN9rocsolver6v33100L18getri_kernel_smallILi36EdPKPdEEvT1_iilPiilS6_bb,comdat
	.globl	_ZN9rocsolver6v33100L18getri_kernel_smallILi36EdPKPdEEvT1_iilPiilS6_bb ; -- Begin function _ZN9rocsolver6v33100L18getri_kernel_smallILi36EdPKPdEEvT1_iilPiilS6_bb
	.p2align	8
	.type	_ZN9rocsolver6v33100L18getri_kernel_smallILi36EdPKPdEEvT1_iilPiilS6_bb,@function
_ZN9rocsolver6v33100L18getri_kernel_smallILi36EdPKPdEEvT1_iilPiilS6_bb: ; @_ZN9rocsolver6v33100L18getri_kernel_smallILi36EdPKPdEEvT1_iilPiilS6_bb
; %bb.0:
	s_mov_b32 s2, exec_lo
	v_cmpx_gt_u32_e32 36, v0
	s_cbranch_execz .LBB99_154
; %bb.1:
	s_clause 0x1
	s_load_b32 s13, s[0:1], 0x38
	s_load_b64 s[2:3], s[0:1], 0x0
	s_mov_b32 s8, s15
	s_load_b128 s[4:7], s[0:1], 0x28
	s_waitcnt lgkmcnt(0)
	s_bitcmp1_b32 s13, 8
	s_cselect_b32 s12, -1, 0
	s_ashr_i32 s9, s15, 31
	s_delay_alu instid0(SALU_CYCLE_1) | instskip(NEXT) | instid1(SALU_CYCLE_1)
	s_lshl_b64 s[10:11], s[8:9], 3
	s_add_u32 s2, s2, s10
	s_addc_u32 s3, s3, s11
	s_load_b64 s[10:11], s[2:3], 0x0
	s_bfe_u32 s2, s13, 0x10008
	s_delay_alu instid0(SALU_CYCLE_1)
	s_cmp_eq_u32 s2, 0
                                        ; implicit-def: $sgpr2_sgpr3
	s_cbranch_scc1 .LBB99_3
; %bb.2:
	s_clause 0x1
	s_load_b32 s2, s[0:1], 0x20
	s_load_b64 s[14:15], s[0:1], 0x18
	s_mul_i32 s3, s8, s5
	s_mul_hi_u32 s5, s8, s4
	s_mul_i32 s16, s9, s4
	s_add_i32 s3, s5, s3
	s_mul_i32 s4, s8, s4
	s_add_i32 s5, s3, s16
	s_delay_alu instid0(SALU_CYCLE_1)
	s_lshl_b64 s[4:5], s[4:5], 2
	s_waitcnt lgkmcnt(0)
	s_ashr_i32 s3, s2, 31
	s_add_u32 s4, s14, s4
	s_addc_u32 s5, s15, s5
	s_lshl_b64 s[2:3], s[2:3], 2
	s_delay_alu instid0(SALU_CYCLE_1)
	s_add_u32 s2, s4, s2
	s_addc_u32 s3, s5, s3
.LBB99_3:
	s_load_b64 s[4:5], s[0:1], 0x8
	v_lshlrev_b32_e32 v77, 3, v0
	s_waitcnt lgkmcnt(0)
	v_add3_u32 v3, s5, s5, v0
	s_ashr_i32 s1, s4, 31
	s_mov_b32 s0, s4
	s_mov_b32 s14, s5
	s_lshl_b64 s[0:1], s[0:1], 3
	v_add_nc_u32_e32 v9, s5, v3
	v_ashrrev_i32_e32 v4, 31, v3
	s_add_u32 s0, s10, s0
	s_addc_u32 s1, s11, s1
	v_add_co_u32 v5, s4, s0, v77
	v_add_nc_u32_e32 v11, s5, v9
	v_ashrrev_i32_e32 v10, 31, v9
	s_ashr_i32 s15, s5, 31
	v_add_co_ci_u32_e64 v6, null, s1, 0, s4
	s_delay_alu instid0(VALU_DEP_3)
	v_add_nc_u32_e32 v15, s5, v11
	v_lshlrev_b64 v[3:4], 3, v[3:4]
	s_lshl_b64 s[10:11], s[14:15], 3
	v_lshlrev_b64 v[13:14], 3, v[9:10]
	v_add_co_u32 v7, vcc_lo, v5, s10
	v_ashrrev_i32_e32 v12, 31, v11
	v_add_nc_u32_e32 v17, s5, v15
	v_add_co_ci_u32_e32 v8, vcc_lo, s11, v6, vcc_lo
	v_add_co_u32 v9, vcc_lo, s0, v3
	v_add_co_ci_u32_e32 v10, vcc_lo, s1, v4, vcc_lo
	v_ashrrev_i32_e32 v16, 31, v15
	v_lshlrev_b64 v[19:20], 3, v[11:12]
	v_add_co_u32 v11, vcc_lo, s0, v13
	v_add_nc_u32_e32 v13, s5, v17
	s_delay_alu instid0(VALU_DEP_4) | instskip(SKIP_2) | instid1(VALU_DEP_4)
	v_lshlrev_b64 v[21:22], 3, v[15:16]
	v_add_co_ci_u32_e32 v12, vcc_lo, s1, v14, vcc_lo
	v_add_co_u32 v15, vcc_lo, s0, v19
	v_add_nc_u32_e32 v23, s5, v13
	v_ashrrev_i32_e32 v18, 31, v17
	v_add_co_ci_u32_e32 v16, vcc_lo, s1, v20, vcc_lo
	v_add_co_u32 v19, vcc_lo, s0, v21
	s_delay_alu instid0(VALU_DEP_4)
	v_add_nc_u32_e32 v21, s5, v23
	v_ashrrev_i32_e32 v14, 31, v13
	v_lshlrev_b64 v[17:18], 3, v[17:18]
	v_ashrrev_i32_e32 v24, 31, v23
	v_add_co_ci_u32_e32 v20, vcc_lo, s1, v22, vcc_lo
	v_add_nc_u32_e32 v25, s5, v21
	v_lshlrev_b64 v[13:14], 3, v[13:14]
	v_ashrrev_i32_e32 v22, 31, v21
	v_add_co_u32 v17, vcc_lo, s0, v17
	v_lshlrev_b64 v[23:24], 3, v[23:24]
	v_add_nc_u32_e32 v29, s5, v25
	v_add_co_ci_u32_e32 v18, vcc_lo, s1, v18, vcc_lo
	v_add_co_u32 v13, vcc_lo, s0, v13
	v_lshlrev_b64 v[27:28], 3, v[21:22]
	s_clause 0x3
	global_load_b64 v[1:2], v77, s[0:1]
	global_load_b64 v[3:4], v[7:8], off
	global_load_b64 v[51:52], v[9:10], off
	global_load_b64 v[53:54], v[11:12], off
	v_add_co_ci_u32_e32 v14, vcc_lo, s1, v14, vcc_lo
	v_add_co_u32 v21, vcc_lo, s0, v23
	v_ashrrev_i32_e32 v30, 31, v29
	v_add_co_ci_u32_e32 v22, vcc_lo, s1, v24, vcc_lo
	v_add_co_u32 v23, vcc_lo, s0, v27
	v_ashrrev_i32_e32 v26, 31, v25
	v_add_co_ci_u32_e32 v24, vcc_lo, s1, v28, vcc_lo
	v_lshlrev_b64 v[27:28], 3, v[29:30]
	v_add_nc_u32_e32 v29, s5, v29
	s_delay_alu instid0(VALU_DEP_4)
	v_lshlrev_b64 v[25:26], 3, v[25:26]
	s_clause 0x3
	global_load_b64 v[57:58], v[15:16], off
	global_load_b64 v[59:60], v[19:20], off
	;; [unrolled: 1-line block ×4, first 2 shown]
	s_bitcmp0_b32 s13, 0
	v_add_nc_u32_e32 v31, s5, v29
	v_ashrrev_i32_e32 v30, 31, v29
	v_add_co_u32 v25, vcc_lo, s0, v25
	v_add_co_ci_u32_e32 v26, vcc_lo, s1, v26, vcc_lo
	s_delay_alu instid0(VALU_DEP_4) | instskip(SKIP_3) | instid1(VALU_DEP_4)
	v_add_nc_u32_e32 v33, s5, v31
	v_add_co_u32 v27, vcc_lo, s0, v27
	v_ashrrev_i32_e32 v32, 31, v31
	v_add_co_ci_u32_e32 v28, vcc_lo, s1, v28, vcc_lo
	v_add_nc_u32_e32 v37, s5, v33
	v_lshlrev_b64 v[29:30], 3, v[29:30]
	s_clause 0x3
	global_load_b64 v[65:66], v[21:22], off
	global_load_b64 v[67:68], v[23:24], off
	;; [unrolled: 1-line block ×4, first 2 shown]
	v_ashrrev_i32_e32 v34, 31, v33
	v_lshlrev_b64 v[31:32], 3, v[31:32]
	v_ashrrev_i32_e32 v38, 31, v37
	v_add_co_u32 v29, vcc_lo, s0, v29
	s_delay_alu instid0(VALU_DEP_4)
	v_lshlrev_b64 v[33:34], 3, v[33:34]
	v_add_co_ci_u32_e32 v30, vcc_lo, s1, v30, vcc_lo
	v_add_co_u32 v31, vcc_lo, s0, v31
	v_lshlrev_b64 v[35:36], 3, v[37:38]
	v_add_co_ci_u32_e32 v32, vcc_lo, s1, v32, vcc_lo
	v_add_co_u32 v33, vcc_lo, s0, v33
	v_add_co_ci_u32_e32 v34, vcc_lo, s1, v34, vcc_lo
	s_delay_alu instid0(VALU_DEP_4)
	v_add_co_u32 v35, vcc_lo, s0, v35
	v_add_co_ci_u32_e32 v36, vcc_lo, s1, v36, vcc_lo
	s_clause 0x3
	global_load_b64 v[78:79], v[29:30], off
	global_load_b64 v[80:81], v[31:32], off
	;; [unrolled: 1-line block ×4, first 2 shown]
	v_add_nc_u32_e32 v37, s5, v37
	s_delay_alu instid0(VALU_DEP_1) | instskip(SKIP_1) | instid1(VALU_DEP_2)
	v_add_nc_u32_e32 v39, s5, v37
	v_ashrrev_i32_e32 v38, 31, v37
	v_add_nc_u32_e32 v41, s5, v39
	v_ashrrev_i32_e32 v40, 31, v39
	s_delay_alu instid0(VALU_DEP_3) | instskip(NEXT) | instid1(VALU_DEP_3)
	v_lshlrev_b64 v[37:38], 3, v[37:38]
	v_add_nc_u32_e32 v43, s5, v41
	v_ashrrev_i32_e32 v42, 31, v41
	s_delay_alu instid0(VALU_DEP_4) | instskip(NEXT) | instid1(VALU_DEP_4)
	v_lshlrev_b64 v[39:40], 3, v[39:40]
	v_add_co_u32 v37, vcc_lo, s0, v37
	s_delay_alu instid0(VALU_DEP_4) | instskip(SKIP_3) | instid1(VALU_DEP_4)
	v_add_nc_u32_e32 v45, s5, v43
	v_ashrrev_i32_e32 v44, 31, v43
	v_lshlrev_b64 v[41:42], 3, v[41:42]
	v_add_co_ci_u32_e32 v38, vcc_lo, s1, v38, vcc_lo
	v_add_nc_u32_e32 v47, s5, v45
	v_ashrrev_i32_e32 v46, 31, v45
	v_add_co_u32 v39, vcc_lo, s0, v39
	v_lshlrev_b64 v[43:44], 3, v[43:44]
	s_delay_alu instid0(VALU_DEP_4) | instskip(SKIP_2) | instid1(VALU_DEP_3)
	v_add_nc_u32_e32 v49, s5, v47
	v_add_co_ci_u32_e32 v40, vcc_lo, s1, v40, vcc_lo
	v_add_co_u32 v41, vcc_lo, s0, v41
	v_add_nc_u32_e32 v55, s5, v49
	v_lshlrev_b64 v[45:46], 3, v[45:46]
	v_ashrrev_i32_e32 v48, 31, v47
	v_add_co_ci_u32_e32 v42, vcc_lo, s1, v42, vcc_lo
	s_delay_alu instid0(VALU_DEP_4) | instskip(SKIP_2) | instid1(VALU_DEP_3)
	v_add_nc_u32_e32 v73, s5, v55
	v_add_co_u32 v43, vcc_lo, s0, v43
	v_add_co_ci_u32_e32 v44, vcc_lo, s1, v44, vcc_lo
	v_add_nc_u32_e32 v75, s5, v73
	v_lshlrev_b64 v[91:92], 3, v[47:48]
	v_add_co_u32 v47, vcc_lo, s0, v45
	v_ashrrev_i32_e32 v50, 31, v49
	s_delay_alu instid0(VALU_DEP_4) | instskip(SKIP_2) | instid1(VALU_DEP_4)
	v_add_nc_u32_e32 v90, s5, v75
	v_add_co_ci_u32_e32 v48, vcc_lo, s1, v46, vcc_lo
	v_ashrrev_i32_e32 v56, 31, v55
	v_lshlrev_b64 v[96:97], 3, v[49:50]
	s_delay_alu instid0(VALU_DEP_4)
	v_add_nc_u32_e32 v104, s5, v90
	v_ashrrev_i32_e32 v74, 31, v73
	global_load_b64 v[86:87], v[37:38], off
	v_ashrrev_i32_e32 v76, 31, v75
	v_add_nc_u32_e32 v106, s5, v104
	v_ashrrev_i32_e32 v105, 31, v104
	s_delay_alu instid0(VALU_DEP_2) | instskip(SKIP_1) | instid1(VALU_DEP_2)
	v_add_nc_u32_e32 v108, s5, v106
	v_ashrrev_i32_e32 v107, 31, v106
	v_add_nc_u32_e32 v110, s5, v108
	v_ashrrev_i32_e32 v109, 31, v108
	s_delay_alu instid0(VALU_DEP_2) | instskip(SKIP_1) | instid1(VALU_DEP_2)
	v_add_nc_u32_e32 v112, s5, v110
	;; [unrolled: 5-line block ×4, first 2 shown]
	v_ashrrev_i32_e32 v119, 31, v118
	v_ashrrev_i32_e32 v89, 31, v88
	s_delay_alu instid0(VALU_DEP_1) | instskip(NEXT) | instid1(VALU_DEP_1)
	v_lshlrev_b64 v[88:89], 3, v[88:89]
	v_add_co_u32 v45, vcc_lo, s0, v88
	s_delay_alu instid0(VALU_DEP_2)
	v_add_co_ci_u32_e32 v46, vcc_lo, s1, v89, vcc_lo
	v_add_co_u32 v49, vcc_lo, s0, v91
	v_add_co_ci_u32_e32 v50, vcc_lo, s1, v92, vcc_lo
	global_load_b64 v[92:93], v[45:46], off
	v_ashrrev_i32_e32 v91, 31, v90
	s_waitcnt vmcnt(16)
	scratch_store_b128 off, v[1:4], off
	s_waitcnt vmcnt(14)
	scratch_store_b128 off, v[51:54], off offset:16
	v_lshlrev_b64 v[53:54], 3, v[55:56]
	v_add_co_u32 v51, vcc_lo, s0, v96
	v_lshlrev_b64 v[55:56], 3, v[73:74]
	v_add_co_ci_u32_e32 v52, vcc_lo, s1, v97, vcc_lo
	s_delay_alu instid0(VALU_DEP_4)
	v_add_co_u32 v53, vcc_lo, s0, v53
	v_lshlrev_b64 v[73:74], 3, v[75:76]
	v_add_co_ci_u32_e32 v54, vcc_lo, s1, v54, vcc_lo
	v_add_co_u32 v55, vcc_lo, s0, v55
	v_lshlrev_b64 v[75:76], 3, v[90:91]
	v_add_co_ci_u32_e32 v56, vcc_lo, s1, v56, vcc_lo
	s_clause 0x3
	global_load_b64 v[88:89], v[39:40], off
	global_load_b64 v[1:2], v[41:42], off
	;; [unrolled: 1-line block ×4, first 2 shown]
	s_waitcnt vmcnt(16)
	scratch_store_b128 off, v[57:60], off offset:32
	s_waitcnt vmcnt(14)
	scratch_store_b128 off, v[61:64], off offset:48
	v_add_co_u32 v57, vcc_lo, s0, v73
	v_lshlrev_b64 v[61:62], 3, v[104:105]
	v_add_co_ci_u32_e32 v58, vcc_lo, s1, v74, vcc_lo
	v_add_co_u32 v59, vcc_lo, s0, v75
	v_lshlrev_b64 v[63:64], 3, v[106:107]
	v_add_co_ci_u32_e32 v60, vcc_lo, s1, v76, vcc_lo
	;; [unrolled: 3-line block ×4, first 2 shown]
	s_clause 0x3
	global_load_b64 v[96:97], v[49:50], off
	global_load_b64 v[98:99], v[51:52], off
	;; [unrolled: 1-line block ×4, first 2 shown]
	s_waitcnt vmcnt(16)
	scratch_store_b128 off, v[65:68], off offset:64
	s_waitcnt vmcnt(14)
	scratch_store_b128 off, v[69:72], off offset:80
	v_add_co_u32 v65, vcc_lo, s0, v73
	v_lshlrev_b64 v[69:70], 3, v[112:113]
	v_add_co_ci_u32_e32 v66, vcc_lo, s1, v74, vcc_lo
	v_add_co_u32 v67, vcc_lo, s0, v75
	v_lshlrev_b64 v[71:72], 3, v[114:115]
	v_add_co_ci_u32_e32 v68, vcc_lo, s1, v76, vcc_lo
	;; [unrolled: 3-line block ×4, first 2 shown]
	v_add_co_u32 v73, vcc_lo, s0, v73
	v_add_co_ci_u32_e32 v74, vcc_lo, s1, v74, vcc_lo
	s_delay_alu instid0(VALU_DEP_4)
	v_add_co_u32 v75, vcc_lo, s0, v75
	v_add_co_ci_u32_e32 v76, vcc_lo, s1, v76, vcc_lo
	s_clause 0x3
	global_load_b64 v[104:105], v[57:58], off
	global_load_b64 v[106:107], v[59:60], off
	;; [unrolled: 1-line block ×4, first 2 shown]
	s_waitcnt vmcnt(16)
	scratch_store_b128 off, v[78:81], off offset:96
	s_clause 0x2
	global_load_b64 v[112:113], v[65:66], off
	global_load_b64 v[78:79], v[67:68], off
	;; [unrolled: 1-line block ×3, first 2 shown]
	s_waitcnt vmcnt(17)
	scratch_store_b128 off, v[82:85], off offset:112
	s_clause 0x2
	global_load_b64 v[82:83], v[71:72], off
	global_load_b64 v[84:85], v[73:74], off
	;; [unrolled: 1-line block ×3, first 2 shown]
	s_mov_b32 s1, -1
	s_waitcnt vmcnt(17)
	scratch_store_b128 off, v[86:89], off offset:128
	s_waitcnt vmcnt(15)
	scratch_store_b128 off, v[1:4], off offset:144
	;; [unrolled: 2-line block ×10, first 2 shown]
	s_cbranch_scc1 .LBB99_152
; %bb.4:
	v_cmp_eq_u32_e64 s0, 0, v0
	s_delay_alu instid0(VALU_DEP_1)
	s_and_saveexec_b32 s1, s0
	s_cbranch_execz .LBB99_6
; %bb.5:
	v_mov_b32_e32 v1, 0
	ds_store_b32 v1, v1 offset:576
.LBB99_6:
	s_or_b32 exec_lo, exec_lo, s1
	s_waitcnt lgkmcnt(0)
	s_waitcnt_vscnt null, 0x0
	s_barrier
	buffer_gl0_inv
	scratch_load_b64 v[1:2], v77, off
	s_mov_b32 s4, exec_lo
	s_waitcnt vmcnt(0)
	v_cmpx_eq_f64_e32 0, v[1:2]
	s_cbranch_execz .LBB99_10
; %bb.7:
	v_mov_b32_e32 v1, 0
	s_mov_b32 s5, 0
	ds_load_b32 v2, v1 offset:576
	s_waitcnt lgkmcnt(0)
	v_readfirstlane_b32 s1, v2
	v_add_nc_u32_e32 v2, 1, v0
	s_delay_alu instid0(VALU_DEP_2) | instskip(NEXT) | instid1(VALU_DEP_1)
	s_cmp_eq_u32 s1, 0
	v_cmp_gt_i32_e32 vcc_lo, s1, v2
	s_cselect_b32 s10, -1, 0
	s_delay_alu instid0(SALU_CYCLE_1) | instskip(NEXT) | instid1(SALU_CYCLE_1)
	s_or_b32 s10, s10, vcc_lo
	s_and_b32 exec_lo, exec_lo, s10
	s_cbranch_execz .LBB99_10
; %bb.8:
	v_mov_b32_e32 v3, s1
.LBB99_9:                               ; =>This Inner Loop Header: Depth=1
	ds_cmpstore_rtn_b32 v3, v1, v2, v3 offset:576
	s_waitcnt lgkmcnt(0)
	v_cmp_ne_u32_e32 vcc_lo, 0, v3
	v_cmp_le_i32_e64 s1, v3, v2
	s_delay_alu instid0(VALU_DEP_1) | instskip(NEXT) | instid1(SALU_CYCLE_1)
	s_and_b32 s1, vcc_lo, s1
	s_and_b32 s1, exec_lo, s1
	s_delay_alu instid0(SALU_CYCLE_1) | instskip(NEXT) | instid1(SALU_CYCLE_1)
	s_or_b32 s5, s1, s5
	s_and_not1_b32 exec_lo, exec_lo, s5
	s_cbranch_execnz .LBB99_9
.LBB99_10:
	s_or_b32 exec_lo, exec_lo, s4
	v_mov_b32_e32 v1, 0
	s_barrier
	buffer_gl0_inv
	ds_load_b32 v2, v1 offset:576
	s_and_saveexec_b32 s1, s0
	s_cbranch_execz .LBB99_12
; %bb.11:
	s_lshl_b64 s[4:5], s[8:9], 2
	s_delay_alu instid0(SALU_CYCLE_1)
	s_add_u32 s4, s6, s4
	s_addc_u32 s5, s7, s5
	s_waitcnt lgkmcnt(0)
	global_store_b32 v1, v2, s[4:5]
.LBB99_12:
	s_or_b32 exec_lo, exec_lo, s1
	s_waitcnt lgkmcnt(0)
	v_cmp_ne_u32_e32 vcc_lo, 0, v2
	s_mov_b32 s1, 0
	s_cbranch_vccnz .LBB99_152
; %bb.13:
	v_add_nc_u32_e32 v3, 0, v77
	v_add_nc_u32_e32 v4, 0x120, v77
	scratch_load_b64 v[1:2], v3, off
	s_waitcnt vmcnt(0)
	v_div_scale_f64 v[78:79], null, v[1:2], v[1:2], 1.0
	v_div_scale_f64 v[84:85], vcc_lo, 1.0, v[1:2], 1.0
	s_delay_alu instid0(VALU_DEP_2) | instskip(SKIP_2) | instid1(VALU_DEP_1)
	v_rcp_f64_e32 v[80:81], v[78:79]
	s_waitcnt_depctr 0xfff
	v_fma_f64 v[82:83], -v[78:79], v[80:81], 1.0
	v_fma_f64 v[80:81], v[80:81], v[82:83], v[80:81]
	s_delay_alu instid0(VALU_DEP_1) | instskip(NEXT) | instid1(VALU_DEP_1)
	v_fma_f64 v[82:83], -v[78:79], v[80:81], 1.0
	v_fma_f64 v[80:81], v[80:81], v[82:83], v[80:81]
	s_delay_alu instid0(VALU_DEP_1) | instskip(NEXT) | instid1(VALU_DEP_1)
	v_mul_f64 v[82:83], v[84:85], v[80:81]
	v_fma_f64 v[78:79], -v[78:79], v[82:83], v[84:85]
	s_delay_alu instid0(VALU_DEP_1) | instskip(NEXT) | instid1(VALU_DEP_1)
	v_div_fmas_f64 v[78:79], v[78:79], v[80:81], v[82:83]
	v_div_fixup_f64 v[1:2], v[78:79], v[1:2], 1.0
	scratch_store_b64 v3, v[1:2], off
	scratch_load_b64 v[78:79], off, off offset:8
	v_xor_b32_e32 v2, 0x80000000, v2
	s_waitcnt vmcnt(0)
	ds_store_2addr_b64 v77, v[1:2], v[78:79] offset1:36
	s_waitcnt lgkmcnt(0)
	s_waitcnt_vscnt null, 0x0
	s_barrier
	buffer_gl0_inv
	s_and_saveexec_b32 s1, s0
	s_cbranch_execz .LBB99_15
; %bb.14:
	scratch_load_b64 v[1:2], v3, off
	ds_load_b64 v[78:79], v4
	s_waitcnt vmcnt(0) lgkmcnt(0)
	v_fma_f64 v[1:2], v[1:2], v[78:79], 0
	v_mov_b32_e32 v78, 0
	ds_load_b64 v[78:79], v78 offset:8
	s_waitcnt lgkmcnt(0)
	v_mul_f64 v[1:2], v[1:2], v[78:79]
	scratch_store_b64 off, v[1:2], off offset:8
.LBB99_15:
	s_or_b32 exec_lo, exec_lo, s1
	s_waitcnt_vscnt null, 0x0
	s_barrier
	buffer_gl0_inv
	scratch_load_b64 v[1:2], off, off offset:16
	s_mov_b32 s1, exec_lo
	s_waitcnt vmcnt(0)
	ds_store_b64 v4, v[1:2]
	s_waitcnt lgkmcnt(0)
	s_barrier
	buffer_gl0_inv
	v_cmpx_gt_u32_e32 2, v0
	s_cbranch_execz .LBB99_19
; %bb.16:
	scratch_load_b64 v[1:2], v3, off
	ds_load_b64 v[78:79], v4
	s_waitcnt vmcnt(0) lgkmcnt(0)
	v_fma_f64 v[1:2], v[1:2], v[78:79], 0
	s_and_saveexec_b32 s4, s0
	s_cbranch_execz .LBB99_18
; %bb.17:
	scratch_load_b64 v[78:79], off, off offset:8
	v_mov_b32_e32 v80, 0
	ds_load_b64 v[80:81], v80 offset:296
	s_waitcnt vmcnt(0) lgkmcnt(0)
	v_fma_f64 v[1:2], v[78:79], v[80:81], v[1:2]
.LBB99_18:
	s_or_b32 exec_lo, exec_lo, s4
	v_mov_b32_e32 v78, 0
	ds_load_b64 v[78:79], v78 offset:16
	s_waitcnt lgkmcnt(0)
	v_mul_f64 v[1:2], v[1:2], v[78:79]
	scratch_store_b64 off, v[1:2], off offset:16
.LBB99_19:
	s_or_b32 exec_lo, exec_lo, s1
	s_waitcnt_vscnt null, 0x0
	s_barrier
	buffer_gl0_inv
	scratch_load_b64 v[1:2], off, off offset:24
	v_add_nc_u32_e32 v78, -1, v0
	s_mov_b32 s0, exec_lo
	s_waitcnt vmcnt(0)
	ds_store_b64 v4, v[1:2]
	s_waitcnt lgkmcnt(0)
	s_barrier
	buffer_gl0_inv
	v_cmpx_gt_u32_e32 3, v0
	s_cbranch_execz .LBB99_23
; %bb.20:
	v_dual_mov_b32 v1, 0 :: v_dual_add_nc_u32 v80, 0x120, v77
	v_dual_mov_b32 v2, 0 :: v_dual_add_nc_u32 v79, -1, v0
	v_add_nc_u32_e32 v81, 0, v77
	s_mov_b32 s1, 0
.LBB99_21:                              ; =>This Inner Loop Header: Depth=1
	scratch_load_b64 v[82:83], v81, off
	ds_load_b64 v[84:85], v80
	v_add_nc_u32_e32 v79, 1, v79
	v_add_nc_u32_e32 v80, 8, v80
	v_add_nc_u32_e32 v81, 8, v81
	s_delay_alu instid0(VALU_DEP_3)
	v_cmp_lt_u32_e32 vcc_lo, 1, v79
	s_or_b32 s1, vcc_lo, s1
	s_waitcnt vmcnt(0) lgkmcnt(0)
	v_fma_f64 v[1:2], v[82:83], v[84:85], v[1:2]
	s_and_not1_b32 exec_lo, exec_lo, s1
	s_cbranch_execnz .LBB99_21
; %bb.22:
	s_or_b32 exec_lo, exec_lo, s1
	v_mov_b32_e32 v79, 0
	ds_load_b64 v[79:80], v79 offset:24
	s_waitcnt lgkmcnt(0)
	v_mul_f64 v[1:2], v[1:2], v[79:80]
	scratch_store_b64 off, v[1:2], off offset:24
.LBB99_23:
	s_or_b32 exec_lo, exec_lo, s0
	s_waitcnt_vscnt null, 0x0
	s_barrier
	buffer_gl0_inv
	scratch_load_b64 v[1:2], off, off offset:32
	s_mov_b32 s0, exec_lo
	s_waitcnt vmcnt(0)
	ds_store_b64 v4, v[1:2]
	s_waitcnt lgkmcnt(0)
	s_barrier
	buffer_gl0_inv
	v_cmpx_gt_u32_e32 4, v0
	s_cbranch_execz .LBB99_27
; %bb.24:
	v_dual_mov_b32 v1, 0 :: v_dual_add_nc_u32 v80, 0x120, v77
	v_dual_mov_b32 v2, 0 :: v_dual_add_nc_u32 v79, -1, v0
	v_add_nc_u32_e32 v81, 0, v77
	s_mov_b32 s1, 0
.LBB99_25:                              ; =>This Inner Loop Header: Depth=1
	scratch_load_b64 v[82:83], v81, off
	ds_load_b64 v[84:85], v80
	v_add_nc_u32_e32 v79, 1, v79
	v_add_nc_u32_e32 v80, 8, v80
	v_add_nc_u32_e32 v81, 8, v81
	s_delay_alu instid0(VALU_DEP_3)
	v_cmp_lt_u32_e32 vcc_lo, 2, v79
	s_or_b32 s1, vcc_lo, s1
	s_waitcnt vmcnt(0) lgkmcnt(0)
	v_fma_f64 v[1:2], v[82:83], v[84:85], v[1:2]
	s_and_not1_b32 exec_lo, exec_lo, s1
	s_cbranch_execnz .LBB99_25
; %bb.26:
	s_or_b32 exec_lo, exec_lo, s1
	v_mov_b32_e32 v79, 0
	ds_load_b64 v[79:80], v79 offset:32
	s_waitcnt lgkmcnt(0)
	v_mul_f64 v[1:2], v[1:2], v[79:80]
	scratch_store_b64 off, v[1:2], off offset:32
.LBB99_27:
	s_or_b32 exec_lo, exec_lo, s0
	s_waitcnt_vscnt null, 0x0
	s_barrier
	buffer_gl0_inv
	scratch_load_b64 v[1:2], off, off offset:40
	;; [unrolled: 39-line block ×20, first 2 shown]
	s_mov_b32 s0, exec_lo
	s_waitcnt vmcnt(0)
	ds_store_b64 v4, v[1:2]
	s_waitcnt lgkmcnt(0)
	s_barrier
	buffer_gl0_inv
	v_cmpx_gt_u32_e32 23, v0
	s_cbranch_execz .LBB99_103
; %bb.100:
	v_dual_mov_b32 v1, 0 :: v_dual_add_nc_u32 v80, 0x120, v77
	v_dual_mov_b32 v2, 0 :: v_dual_add_nc_u32 v79, -1, v0
	v_add_nc_u32_e32 v81, 0, v77
	s_mov_b32 s1, 0
.LBB99_101:                             ; =>This Inner Loop Header: Depth=1
	scratch_load_b64 v[82:83], v81, off
	ds_load_b64 v[84:85], v80
	v_add_nc_u32_e32 v79, 1, v79
	v_add_nc_u32_e32 v80, 8, v80
	v_add_nc_u32_e32 v81, 8, v81
	s_delay_alu instid0(VALU_DEP_3)
	v_cmp_lt_u32_e32 vcc_lo, 21, v79
	s_or_b32 s1, vcc_lo, s1
	s_waitcnt vmcnt(0) lgkmcnt(0)
	v_fma_f64 v[1:2], v[82:83], v[84:85], v[1:2]
	s_and_not1_b32 exec_lo, exec_lo, s1
	s_cbranch_execnz .LBB99_101
; %bb.102:
	s_or_b32 exec_lo, exec_lo, s1
	v_mov_b32_e32 v79, 0
	ds_load_b64 v[79:80], v79 offset:184
	s_waitcnt lgkmcnt(0)
	v_mul_f64 v[1:2], v[1:2], v[79:80]
	scratch_store_b64 off, v[1:2], off offset:184
.LBB99_103:
	s_or_b32 exec_lo, exec_lo, s0
	s_waitcnt_vscnt null, 0x0
	s_barrier
	buffer_gl0_inv
	scratch_load_b64 v[1:2], off, off offset:192
	s_mov_b32 s0, exec_lo
	s_waitcnt vmcnt(0)
	ds_store_b64 v4, v[1:2]
	s_waitcnt lgkmcnt(0)
	s_barrier
	buffer_gl0_inv
	v_cmpx_gt_u32_e32 24, v0
	s_cbranch_execz .LBB99_107
; %bb.104:
	v_dual_mov_b32 v1, 0 :: v_dual_add_nc_u32 v80, 0x120, v77
	v_dual_mov_b32 v2, 0 :: v_dual_add_nc_u32 v79, -1, v0
	v_add_nc_u32_e32 v81, 0, v77
	s_mov_b32 s1, 0
.LBB99_105:                             ; =>This Inner Loop Header: Depth=1
	scratch_load_b64 v[82:83], v81, off
	ds_load_b64 v[84:85], v80
	v_add_nc_u32_e32 v79, 1, v79
	v_add_nc_u32_e32 v80, 8, v80
	v_add_nc_u32_e32 v81, 8, v81
	s_delay_alu instid0(VALU_DEP_3)
	v_cmp_lt_u32_e32 vcc_lo, 22, v79
	s_or_b32 s1, vcc_lo, s1
	s_waitcnt vmcnt(0) lgkmcnt(0)
	v_fma_f64 v[1:2], v[82:83], v[84:85], v[1:2]
	s_and_not1_b32 exec_lo, exec_lo, s1
	s_cbranch_execnz .LBB99_105
; %bb.106:
	s_or_b32 exec_lo, exec_lo, s1
	v_mov_b32_e32 v79, 0
	ds_load_b64 v[79:80], v79 offset:192
	s_waitcnt lgkmcnt(0)
	v_mul_f64 v[1:2], v[1:2], v[79:80]
	scratch_store_b64 off, v[1:2], off offset:192
.LBB99_107:
	s_or_b32 exec_lo, exec_lo, s0
	s_waitcnt_vscnt null, 0x0
	s_barrier
	buffer_gl0_inv
	scratch_load_b64 v[1:2], off, off offset:200
	;; [unrolled: 39-line block ×12, first 2 shown]
	s_mov_b32 s0, exec_lo
	s_waitcnt vmcnt(0)
	ds_store_b64 v4, v[1:2]
	s_waitcnt lgkmcnt(0)
	s_barrier
	buffer_gl0_inv
	v_cmpx_ne_u32_e32 35, v0
	s_cbranch_execz .LBB99_151
; %bb.148:
	v_mov_b32_e32 v1, 0
	v_mov_b32_e32 v2, 0
	s_mov_b32 s1, 0
.LBB99_149:                             ; =>This Inner Loop Header: Depth=1
	scratch_load_b64 v[79:80], v3, off
	ds_load_b64 v[81:82], v4
	v_add_nc_u32_e32 v78, 1, v78
	v_add_nc_u32_e32 v4, 8, v4
	;; [unrolled: 1-line block ×3, first 2 shown]
	s_delay_alu instid0(VALU_DEP_3)
	v_cmp_lt_u32_e32 vcc_lo, 33, v78
	s_or_b32 s1, vcc_lo, s1
	s_waitcnt vmcnt(0) lgkmcnt(0)
	v_fma_f64 v[1:2], v[79:80], v[81:82], v[1:2]
	s_and_not1_b32 exec_lo, exec_lo, s1
	s_cbranch_execnz .LBB99_149
; %bb.150:
	s_or_b32 exec_lo, exec_lo, s1
	v_mov_b32_e32 v3, 0
	ds_load_b64 v[3:4], v3 offset:280
	s_waitcnt lgkmcnt(0)
	v_mul_f64 v[1:2], v[1:2], v[3:4]
	scratch_store_b64 off, v[1:2], off offset:280
.LBB99_151:
	s_or_b32 exec_lo, exec_lo, s0
	s_mov_b32 s1, -1
	s_waitcnt_vscnt null, 0x0
	s_barrier
	buffer_gl0_inv
.LBB99_152:
	s_and_b32 vcc_lo, exec_lo, s1
	s_cbranch_vccz .LBB99_154
; %bb.153:
	s_lshl_b64 s[0:1], s[8:9], 2
	v_mov_b32_e32 v1, 0
	s_add_u32 s0, s6, s0
	s_addc_u32 s1, s7, s1
	global_load_b32 v1, v1, s[0:1]
	s_waitcnt vmcnt(0)
	v_cmp_ne_u32_e32 vcc_lo, 0, v1
	s_cbranch_vccz .LBB99_155
.LBB99_154:
	s_endpgm
.LBB99_155:
	v_lshl_add_u32 v3, v0, 3, 0x120
	s_mov_b32 s0, exec_lo
	v_cmpx_eq_u32_e32 35, v0
	s_cbranch_execz .LBB99_157
; %bb.156:
	scratch_load_b64 v[1:2], off, off offset:272
	v_mov_b32_e32 v77, 0
	s_delay_alu instid0(VALU_DEP_1)
	v_mov_b32_e32 v78, v77
	scratch_store_b64 off, v[77:78], off offset:272
	s_waitcnt vmcnt(0)
	ds_store_b64 v3, v[1:2]
.LBB99_157:
	s_or_b32 exec_lo, exec_lo, s0
	s_waitcnt lgkmcnt(0)
	s_waitcnt_vscnt null, 0x0
	s_barrier
	buffer_gl0_inv
	scratch_load_b128 v[77:80], off, off offset:272
	v_mov_b32_e32 v1, 0
	s_mov_b32 s0, exec_lo
	ds_load_b64 v[81:82], v1 offset:568
	s_waitcnt vmcnt(0) lgkmcnt(0)
	v_fma_f64 v[79:80], v[79:80], v[81:82], 0
	s_delay_alu instid0(VALU_DEP_1)
	v_add_f64 v[77:78], v[77:78], -v[79:80]
	scratch_store_b64 off, v[77:78], off offset:272
	v_cmpx_lt_u32_e32 33, v0
	s_cbranch_execz .LBB99_159
; %bb.158:
	scratch_load_b64 v[77:78], off, off offset:264
	v_mov_b32_e32 v2, v1
	scratch_store_b64 off, v[1:2], off offset:264
	s_waitcnt vmcnt(0)
	ds_store_b64 v3, v[77:78]
.LBB99_159:
	s_or_b32 exec_lo, exec_lo, s0
	s_waitcnt lgkmcnt(0)
	s_waitcnt_vscnt null, 0x0
	s_barrier
	buffer_gl0_inv
	s_clause 0x1
	scratch_load_b128 v[77:80], off, off offset:264
	scratch_load_b64 v[85:86], off, off offset:280
	ds_load_b128 v[81:84], v1 offset:560
	s_mov_b32 s0, exec_lo
	s_waitcnt vmcnt(1) lgkmcnt(0)
	v_fma_f64 v[1:2], v[79:80], v[81:82], 0
	s_waitcnt vmcnt(0)
	s_delay_alu instid0(VALU_DEP_1) | instskip(NEXT) | instid1(VALU_DEP_1)
	v_fma_f64 v[1:2], v[85:86], v[83:84], v[1:2]
	v_add_f64 v[1:2], v[77:78], -v[1:2]
	scratch_store_b64 off, v[1:2], off offset:264
	v_cmpx_lt_u32_e32 32, v0
	s_cbranch_execz .LBB99_161
; %bb.160:
	scratch_load_b64 v[1:2], off, off offset:256
	v_mov_b32_e32 v77, 0
	s_delay_alu instid0(VALU_DEP_1)
	v_mov_b32_e32 v78, v77
	scratch_store_b64 off, v[77:78], off offset:256
	s_waitcnt vmcnt(0)
	ds_store_b64 v3, v[1:2]
.LBB99_161:
	s_or_b32 exec_lo, exec_lo, s0
	s_waitcnt lgkmcnt(0)
	s_waitcnt_vscnt null, 0x0
	s_barrier
	buffer_gl0_inv
	s_clause 0x1
	scratch_load_b128 v[77:80], off, off offset:256
	scratch_load_b128 v[81:84], off, off offset:272
	v_mov_b32_e32 v1, 0
	ds_load_2addr_b64 v[85:88], v1 offset0:69 offset1:70
	ds_load_b64 v[89:90], v1 offset:568
	s_mov_b32 s0, exec_lo
	s_waitcnt vmcnt(1) lgkmcnt(1)
	v_fma_f64 v[79:80], v[79:80], v[85:86], 0
	s_waitcnt vmcnt(0)
	s_delay_alu instid0(VALU_DEP_1) | instskip(SKIP_1) | instid1(VALU_DEP_1)
	v_fma_f64 v[79:80], v[81:82], v[87:88], v[79:80]
	s_waitcnt lgkmcnt(0)
	v_fma_f64 v[79:80], v[83:84], v[89:90], v[79:80]
	s_delay_alu instid0(VALU_DEP_1)
	v_add_f64 v[77:78], v[77:78], -v[79:80]
	scratch_store_b64 off, v[77:78], off offset:256
	v_cmpx_lt_u32_e32 31, v0
	s_cbranch_execz .LBB99_163
; %bb.162:
	scratch_load_b64 v[77:78], off, off offset:248
	v_mov_b32_e32 v2, v1
	scratch_store_b64 off, v[1:2], off offset:248
	s_waitcnt vmcnt(0)
	ds_store_b64 v3, v[77:78]
.LBB99_163:
	s_or_b32 exec_lo, exec_lo, s0
	s_waitcnt lgkmcnt(0)
	s_waitcnt_vscnt null, 0x0
	s_barrier
	buffer_gl0_inv
	s_clause 0x2
	scratch_load_b128 v[77:80], off, off offset:248
	scratch_load_b128 v[81:84], off, off offset:264
	scratch_load_b64 v[93:94], off, off offset:280
	ds_load_b128 v[85:88], v1 offset:544
	ds_load_b128 v[89:92], v1 offset:560
	s_mov_b32 s0, exec_lo
	s_waitcnt vmcnt(2) lgkmcnt(1)
	v_fma_f64 v[1:2], v[79:80], v[85:86], 0
	s_waitcnt vmcnt(1)
	s_delay_alu instid0(VALU_DEP_1) | instskip(SKIP_1) | instid1(VALU_DEP_1)
	v_fma_f64 v[1:2], v[81:82], v[87:88], v[1:2]
	s_waitcnt lgkmcnt(0)
	v_fma_f64 v[1:2], v[83:84], v[89:90], v[1:2]
	s_waitcnt vmcnt(0)
	s_delay_alu instid0(VALU_DEP_1) | instskip(NEXT) | instid1(VALU_DEP_1)
	v_fma_f64 v[1:2], v[93:94], v[91:92], v[1:2]
	v_add_f64 v[1:2], v[77:78], -v[1:2]
	scratch_store_b64 off, v[1:2], off offset:248
	v_cmpx_lt_u32_e32 30, v0
	s_cbranch_execz .LBB99_165
; %bb.164:
	scratch_load_b64 v[1:2], off, off offset:240
	v_mov_b32_e32 v77, 0
	s_delay_alu instid0(VALU_DEP_1)
	v_mov_b32_e32 v78, v77
	scratch_store_b64 off, v[77:78], off offset:240
	s_waitcnt vmcnt(0)
	ds_store_b64 v3, v[1:2]
.LBB99_165:
	s_or_b32 exec_lo, exec_lo, s0
	s_waitcnt lgkmcnt(0)
	s_waitcnt_vscnt null, 0x0
	s_barrier
	buffer_gl0_inv
	s_clause 0x2
	scratch_load_b128 v[77:80], off, off offset:240
	scratch_load_b128 v[81:84], off, off offset:256
	;; [unrolled: 1-line block ×3, first 2 shown]
	v_mov_b32_e32 v1, 0
	s_mov_b32 s0, exec_lo
	ds_load_2addr_b64 v[89:92], v1 offset0:67 offset1:68
	s_waitcnt vmcnt(2) lgkmcnt(0)
	v_fma_f64 v[79:80], v[79:80], v[89:90], 0
	s_waitcnt vmcnt(1)
	s_delay_alu instid0(VALU_DEP_1) | instskip(SKIP_4) | instid1(VALU_DEP_1)
	v_fma_f64 v[89:90], v[81:82], v[91:92], v[79:80]
	ds_load_2addr_b64 v[79:82], v1 offset0:69 offset1:70
	s_waitcnt lgkmcnt(0)
	v_fma_f64 v[79:80], v[83:84], v[79:80], v[89:90]
	s_waitcnt vmcnt(0)
	v_fma_f64 v[79:80], v[85:86], v[81:82], v[79:80]
	ds_load_b64 v[81:82], v1 offset:568
	s_waitcnt lgkmcnt(0)
	v_fma_f64 v[79:80], v[87:88], v[81:82], v[79:80]
	s_delay_alu instid0(VALU_DEP_1)
	v_add_f64 v[77:78], v[77:78], -v[79:80]
	scratch_store_b64 off, v[77:78], off offset:240
	v_cmpx_lt_u32_e32 29, v0
	s_cbranch_execz .LBB99_167
; %bb.166:
	scratch_load_b64 v[77:78], off, off offset:232
	v_mov_b32_e32 v2, v1
	scratch_store_b64 off, v[1:2], off offset:232
	s_waitcnt vmcnt(0)
	ds_store_b64 v3, v[77:78]
.LBB99_167:
	s_or_b32 exec_lo, exec_lo, s0
	s_waitcnt lgkmcnt(0)
	s_waitcnt_vscnt null, 0x0
	s_barrier
	buffer_gl0_inv
	s_clause 0x3
	scratch_load_b128 v[77:80], off, off offset:232
	scratch_load_b128 v[81:84], off, off offset:248
	;; [unrolled: 1-line block ×3, first 2 shown]
	scratch_load_b64 v[93:94], off, off offset:280
	ds_load_b128 v[89:92], v1 offset:528
	s_mov_b32 s0, exec_lo
	s_waitcnt vmcnt(3) lgkmcnt(0)
	v_fma_f64 v[79:80], v[79:80], v[89:90], 0
	s_waitcnt vmcnt(2)
	s_delay_alu instid0(VALU_DEP_1) | instskip(SKIP_4) | instid1(VALU_DEP_1)
	v_fma_f64 v[89:90], v[81:82], v[91:92], v[79:80]
	ds_load_b128 v[79:82], v1 offset:544
	s_waitcnt lgkmcnt(0)
	v_fma_f64 v[79:80], v[83:84], v[79:80], v[89:90]
	s_waitcnt vmcnt(1)
	v_fma_f64 v[83:84], v[85:86], v[81:82], v[79:80]
	ds_load_b128 v[79:82], v1 offset:560
	s_waitcnt lgkmcnt(0)
	v_fma_f64 v[1:2], v[87:88], v[79:80], v[83:84]
	s_waitcnt vmcnt(0)
	s_delay_alu instid0(VALU_DEP_1) | instskip(NEXT) | instid1(VALU_DEP_1)
	v_fma_f64 v[1:2], v[93:94], v[81:82], v[1:2]
	v_add_f64 v[1:2], v[77:78], -v[1:2]
	scratch_store_b64 off, v[1:2], off offset:232
	v_cmpx_lt_u32_e32 28, v0
	s_cbranch_execz .LBB99_169
; %bb.168:
	scratch_load_b64 v[1:2], off, off offset:224
	v_mov_b32_e32 v77, 0
	s_delay_alu instid0(VALU_DEP_1)
	v_mov_b32_e32 v78, v77
	scratch_store_b64 off, v[77:78], off offset:224
	s_waitcnt vmcnt(0)
	ds_store_b64 v3, v[1:2]
.LBB99_169:
	s_or_b32 exec_lo, exec_lo, s0
	s_waitcnt lgkmcnt(0)
	s_waitcnt_vscnt null, 0x0
	s_barrier
	buffer_gl0_inv
	s_clause 0x3
	scratch_load_b128 v[77:80], off, off offset:224
	scratch_load_b128 v[81:84], off, off offset:240
	;; [unrolled: 1-line block ×4, first 2 shown]
	v_mov_b32_e32 v1, 0
	s_mov_b32 s0, exec_lo
	ds_load_2addr_b64 v[93:96], v1 offset0:65 offset1:66
	s_waitcnt vmcnt(3) lgkmcnt(0)
	v_fma_f64 v[79:80], v[79:80], v[93:94], 0
	s_waitcnt vmcnt(2)
	s_delay_alu instid0(VALU_DEP_1) | instskip(SKIP_4) | instid1(VALU_DEP_1)
	v_fma_f64 v[93:94], v[81:82], v[95:96], v[79:80]
	ds_load_2addr_b64 v[79:82], v1 offset0:67 offset1:68
	s_waitcnt lgkmcnt(0)
	v_fma_f64 v[79:80], v[83:84], v[79:80], v[93:94]
	s_waitcnt vmcnt(1)
	v_fma_f64 v[83:84], v[85:86], v[81:82], v[79:80]
	ds_load_2addr_b64 v[79:82], v1 offset0:69 offset1:70
	s_waitcnt lgkmcnt(0)
	v_fma_f64 v[79:80], v[87:88], v[79:80], v[83:84]
	s_waitcnt vmcnt(0)
	s_delay_alu instid0(VALU_DEP_1) | instskip(SKIP_3) | instid1(VALU_DEP_1)
	v_fma_f64 v[79:80], v[89:90], v[81:82], v[79:80]
	ds_load_b64 v[81:82], v1 offset:568
	s_waitcnt lgkmcnt(0)
	v_fma_f64 v[79:80], v[91:92], v[81:82], v[79:80]
	v_add_f64 v[77:78], v[77:78], -v[79:80]
	scratch_store_b64 off, v[77:78], off offset:224
	v_cmpx_lt_u32_e32 27, v0
	s_cbranch_execz .LBB99_171
; %bb.170:
	scratch_load_b64 v[77:78], off, off offset:216
	v_mov_b32_e32 v2, v1
	scratch_store_b64 off, v[1:2], off offset:216
	s_waitcnt vmcnt(0)
	ds_store_b64 v3, v[77:78]
.LBB99_171:
	s_or_b32 exec_lo, exec_lo, s0
	s_waitcnt lgkmcnt(0)
	s_waitcnt_vscnt null, 0x0
	s_barrier
	buffer_gl0_inv
	s_clause 0x4
	scratch_load_b128 v[77:80], off, off offset:216
	scratch_load_b128 v[81:84], off, off offset:232
	;; [unrolled: 1-line block ×4, first 2 shown]
	scratch_load_b64 v[101:102], off, off offset:280
	ds_load_b128 v[93:96], v1 offset:512
	ds_load_b128 v[97:100], v1 offset:528
	s_mov_b32 s0, exec_lo
	s_waitcnt vmcnt(4) lgkmcnt(1)
	v_fma_f64 v[79:80], v[79:80], v[93:94], 0
	s_waitcnt vmcnt(3)
	s_delay_alu instid0(VALU_DEP_1) | instskip(SKIP_1) | instid1(VALU_DEP_1)
	v_fma_f64 v[79:80], v[81:82], v[95:96], v[79:80]
	s_waitcnt lgkmcnt(0)
	v_fma_f64 v[79:80], v[83:84], v[97:98], v[79:80]
	s_waitcnt vmcnt(2)
	s_delay_alu instid0(VALU_DEP_1)
	v_fma_f64 v[93:94], v[85:86], v[99:100], v[79:80]
	ds_load_b128 v[79:82], v1 offset:544
	ds_load_b128 v[83:86], v1 offset:560
	s_waitcnt lgkmcnt(1)
	v_fma_f64 v[1:2], v[87:88], v[79:80], v[93:94]
	s_waitcnt vmcnt(1)
	s_delay_alu instid0(VALU_DEP_1) | instskip(SKIP_1) | instid1(VALU_DEP_1)
	v_fma_f64 v[1:2], v[89:90], v[81:82], v[1:2]
	s_waitcnt lgkmcnt(0)
	v_fma_f64 v[1:2], v[91:92], v[83:84], v[1:2]
	s_waitcnt vmcnt(0)
	s_delay_alu instid0(VALU_DEP_1) | instskip(NEXT) | instid1(VALU_DEP_1)
	v_fma_f64 v[1:2], v[101:102], v[85:86], v[1:2]
	v_add_f64 v[1:2], v[77:78], -v[1:2]
	scratch_store_b64 off, v[1:2], off offset:216
	v_cmpx_lt_u32_e32 26, v0
	s_cbranch_execz .LBB99_173
; %bb.172:
	scratch_load_b64 v[1:2], off, off offset:208
	v_mov_b32_e32 v77, 0
	s_delay_alu instid0(VALU_DEP_1)
	v_mov_b32_e32 v78, v77
	scratch_store_b64 off, v[77:78], off offset:208
	s_waitcnt vmcnt(0)
	ds_store_b64 v3, v[1:2]
.LBB99_173:
	s_or_b32 exec_lo, exec_lo, s0
	s_waitcnt lgkmcnt(0)
	s_waitcnt_vscnt null, 0x0
	s_barrier
	buffer_gl0_inv
	s_clause 0x4
	scratch_load_b128 v[77:80], off, off offset:208
	scratch_load_b128 v[81:84], off, off offset:224
	;; [unrolled: 1-line block ×5, first 2 shown]
	v_mov_b32_e32 v1, 0
	ds_load_2addr_b64 v[97:100], v1 offset0:63 offset1:64
	ds_load_2addr_b64 v[101:104], v1 offset0:65 offset1:66
	s_mov_b32 s0, exec_lo
	s_waitcnt vmcnt(4) lgkmcnt(1)
	v_fma_f64 v[79:80], v[79:80], v[97:98], 0
	s_waitcnt vmcnt(3)
	s_delay_alu instid0(VALU_DEP_1) | instskip(SKIP_1) | instid1(VALU_DEP_1)
	v_fma_f64 v[79:80], v[81:82], v[99:100], v[79:80]
	s_waitcnt lgkmcnt(0)
	v_fma_f64 v[79:80], v[83:84], v[101:102], v[79:80]
	s_waitcnt vmcnt(2)
	s_delay_alu instid0(VALU_DEP_1)
	v_fma_f64 v[97:98], v[85:86], v[103:104], v[79:80]
	ds_load_2addr_b64 v[79:82], v1 offset0:67 offset1:68
	ds_load_2addr_b64 v[83:86], v1 offset0:69 offset1:70
	s_waitcnt lgkmcnt(1)
	v_fma_f64 v[79:80], v[87:88], v[79:80], v[97:98]
	s_waitcnt vmcnt(1)
	s_delay_alu instid0(VALU_DEP_1) | instskip(SKIP_4) | instid1(VALU_DEP_1)
	v_fma_f64 v[79:80], v[89:90], v[81:82], v[79:80]
	ds_load_b64 v[81:82], v1 offset:568
	s_waitcnt lgkmcnt(1)
	v_fma_f64 v[79:80], v[91:92], v[83:84], v[79:80]
	s_waitcnt vmcnt(0)
	v_fma_f64 v[79:80], v[93:94], v[85:86], v[79:80]
	s_waitcnt lgkmcnt(0)
	s_delay_alu instid0(VALU_DEP_1) | instskip(NEXT) | instid1(VALU_DEP_1)
	v_fma_f64 v[79:80], v[95:96], v[81:82], v[79:80]
	v_add_f64 v[77:78], v[77:78], -v[79:80]
	scratch_store_b64 off, v[77:78], off offset:208
	v_cmpx_lt_u32_e32 25, v0
	s_cbranch_execz .LBB99_175
; %bb.174:
	scratch_load_b64 v[77:78], off, off offset:200
	v_mov_b32_e32 v2, v1
	scratch_store_b64 off, v[1:2], off offset:200
	s_waitcnt vmcnt(0)
	ds_store_b64 v3, v[77:78]
.LBB99_175:
	s_or_b32 exec_lo, exec_lo, s0
	s_waitcnt lgkmcnt(0)
	s_waitcnt_vscnt null, 0x0
	s_barrier
	buffer_gl0_inv
	s_clause 0x4
	scratch_load_b128 v[77:80], off, off offset:200
	scratch_load_b128 v[81:84], off, off offset:216
	;; [unrolled: 1-line block ×5, first 2 shown]
	ds_load_b128 v[97:100], v1 offset:496
	ds_load_b128 v[101:104], v1 offset:512
	s_mov_b32 s0, exec_lo
	s_waitcnt vmcnt(4) lgkmcnt(1)
	v_fma_f64 v[79:80], v[79:80], v[97:98], 0
	scratch_load_b64 v[97:98], off, off offset:280
	s_waitcnt vmcnt(4)
	v_fma_f64 v[79:80], v[81:82], v[99:100], v[79:80]
	s_waitcnt lgkmcnt(0)
	s_delay_alu instid0(VALU_DEP_1) | instskip(SKIP_1) | instid1(VALU_DEP_1)
	v_fma_f64 v[79:80], v[83:84], v[101:102], v[79:80]
	s_waitcnt vmcnt(3)
	v_fma_f64 v[99:100], v[85:86], v[103:104], v[79:80]
	ds_load_b128 v[79:82], v1 offset:528
	ds_load_b128 v[83:86], v1 offset:544
	s_waitcnt lgkmcnt(1)
	v_fma_f64 v[79:80], v[87:88], v[79:80], v[99:100]
	s_waitcnt vmcnt(2)
	s_delay_alu instid0(VALU_DEP_1) | instskip(SKIP_1) | instid1(VALU_DEP_1)
	v_fma_f64 v[79:80], v[89:90], v[81:82], v[79:80]
	s_waitcnt lgkmcnt(0)
	v_fma_f64 v[79:80], v[91:92], v[83:84], v[79:80]
	s_waitcnt vmcnt(1)
	s_delay_alu instid0(VALU_DEP_1) | instskip(SKIP_4) | instid1(VALU_DEP_1)
	v_fma_f64 v[83:84], v[93:94], v[85:86], v[79:80]
	ds_load_b128 v[79:82], v1 offset:560
	s_waitcnt lgkmcnt(0)
	v_fma_f64 v[1:2], v[95:96], v[79:80], v[83:84]
	s_waitcnt vmcnt(0)
	v_fma_f64 v[1:2], v[97:98], v[81:82], v[1:2]
	s_delay_alu instid0(VALU_DEP_1)
	v_add_f64 v[1:2], v[77:78], -v[1:2]
	scratch_store_b64 off, v[1:2], off offset:200
	v_cmpx_lt_u32_e32 24, v0
	s_cbranch_execz .LBB99_177
; %bb.176:
	scratch_load_b64 v[1:2], off, off offset:192
	v_mov_b32_e32 v77, 0
	s_delay_alu instid0(VALU_DEP_1)
	v_mov_b32_e32 v78, v77
	scratch_store_b64 off, v[77:78], off offset:192
	s_waitcnt vmcnt(0)
	ds_store_b64 v3, v[1:2]
.LBB99_177:
	s_or_b32 exec_lo, exec_lo, s0
	s_waitcnt lgkmcnt(0)
	s_waitcnt_vscnt null, 0x0
	s_barrier
	buffer_gl0_inv
	s_clause 0x4
	scratch_load_b128 v[77:80], off, off offset:192
	scratch_load_b128 v[81:84], off, off offset:208
	;; [unrolled: 1-line block ×5, first 2 shown]
	v_mov_b32_e32 v1, 0
	ds_load_2addr_b64 v[97:100], v1 offset0:61 offset1:62
	ds_load_2addr_b64 v[101:104], v1 offset0:63 offset1:64
	scratch_load_b128 v[105:108], off, off offset:272
	s_mov_b32 s0, exec_lo
	s_waitcnt vmcnt(5) lgkmcnt(1)
	v_fma_f64 v[79:80], v[79:80], v[97:98], 0
	s_waitcnt vmcnt(4)
	s_delay_alu instid0(VALU_DEP_1) | instskip(SKIP_1) | instid1(VALU_DEP_1)
	v_fma_f64 v[79:80], v[81:82], v[99:100], v[79:80]
	s_waitcnt lgkmcnt(0)
	v_fma_f64 v[79:80], v[83:84], v[101:102], v[79:80]
	s_waitcnt vmcnt(3)
	s_delay_alu instid0(VALU_DEP_1)
	v_fma_f64 v[97:98], v[85:86], v[103:104], v[79:80]
	ds_load_2addr_b64 v[79:82], v1 offset0:65 offset1:66
	ds_load_2addr_b64 v[83:86], v1 offset0:67 offset1:68
	s_waitcnt lgkmcnt(1)
	v_fma_f64 v[79:80], v[87:88], v[79:80], v[97:98]
	s_waitcnt vmcnt(2)
	s_delay_alu instid0(VALU_DEP_1) | instskip(SKIP_1) | instid1(VALU_DEP_1)
	v_fma_f64 v[79:80], v[89:90], v[81:82], v[79:80]
	s_waitcnt lgkmcnt(0)
	v_fma_f64 v[79:80], v[91:92], v[83:84], v[79:80]
	s_waitcnt vmcnt(1)
	s_delay_alu instid0(VALU_DEP_1)
	v_fma_f64 v[83:84], v[93:94], v[85:86], v[79:80]
	ds_load_2addr_b64 v[79:82], v1 offset0:69 offset1:70
	ds_load_b64 v[85:86], v1 offset:568
	s_waitcnt lgkmcnt(1)
	v_fma_f64 v[79:80], v[95:96], v[79:80], v[83:84]
	s_waitcnt vmcnt(0)
	s_delay_alu instid0(VALU_DEP_1) | instskip(SKIP_1) | instid1(VALU_DEP_1)
	v_fma_f64 v[79:80], v[105:106], v[81:82], v[79:80]
	s_waitcnt lgkmcnt(0)
	v_fma_f64 v[79:80], v[107:108], v[85:86], v[79:80]
	s_delay_alu instid0(VALU_DEP_1)
	v_add_f64 v[77:78], v[77:78], -v[79:80]
	scratch_store_b64 off, v[77:78], off offset:192
	v_cmpx_lt_u32_e32 23, v0
	s_cbranch_execz .LBB99_179
; %bb.178:
	scratch_load_b64 v[77:78], off, off offset:184
	v_mov_b32_e32 v2, v1
	scratch_store_b64 off, v[1:2], off offset:184
	s_waitcnt vmcnt(0)
	ds_store_b64 v3, v[77:78]
.LBB99_179:
	s_or_b32 exec_lo, exec_lo, s0
	s_waitcnt lgkmcnt(0)
	s_waitcnt_vscnt null, 0x0
	s_barrier
	buffer_gl0_inv
	s_clause 0x4
	scratch_load_b128 v[77:80], off, off offset:184
	scratch_load_b128 v[81:84], off, off offset:200
	;; [unrolled: 1-line block ×5, first 2 shown]
	ds_load_b128 v[97:100], v1 offset:480
	ds_load_b128 v[101:104], v1 offset:496
	scratch_load_b128 v[105:108], off, off offset:264
	s_mov_b32 s0, exec_lo
	s_waitcnt vmcnt(5) lgkmcnt(1)
	v_fma_f64 v[79:80], v[79:80], v[97:98], 0
	scratch_load_b64 v[97:98], off, off offset:280
	s_waitcnt vmcnt(5)
	v_fma_f64 v[79:80], v[81:82], v[99:100], v[79:80]
	s_waitcnt lgkmcnt(0)
	s_delay_alu instid0(VALU_DEP_1) | instskip(SKIP_1) | instid1(VALU_DEP_1)
	v_fma_f64 v[79:80], v[83:84], v[101:102], v[79:80]
	s_waitcnt vmcnt(4)
	v_fma_f64 v[99:100], v[85:86], v[103:104], v[79:80]
	ds_load_b128 v[79:82], v1 offset:512
	ds_load_b128 v[83:86], v1 offset:528
	s_waitcnt lgkmcnt(1)
	v_fma_f64 v[79:80], v[87:88], v[79:80], v[99:100]
	s_waitcnt vmcnt(3)
	s_delay_alu instid0(VALU_DEP_1) | instskip(SKIP_1) | instid1(VALU_DEP_1)
	v_fma_f64 v[79:80], v[89:90], v[81:82], v[79:80]
	s_waitcnt lgkmcnt(0)
	v_fma_f64 v[79:80], v[91:92], v[83:84], v[79:80]
	s_waitcnt vmcnt(2)
	s_delay_alu instid0(VALU_DEP_1)
	v_fma_f64 v[87:88], v[93:94], v[85:86], v[79:80]
	ds_load_b128 v[79:82], v1 offset:544
	ds_load_b128 v[83:86], v1 offset:560
	s_waitcnt lgkmcnt(1)
	v_fma_f64 v[1:2], v[95:96], v[79:80], v[87:88]
	s_waitcnt vmcnt(1)
	s_delay_alu instid0(VALU_DEP_1) | instskip(SKIP_1) | instid1(VALU_DEP_1)
	v_fma_f64 v[1:2], v[105:106], v[81:82], v[1:2]
	s_waitcnt lgkmcnt(0)
	v_fma_f64 v[1:2], v[107:108], v[83:84], v[1:2]
	s_waitcnt vmcnt(0)
	s_delay_alu instid0(VALU_DEP_1) | instskip(NEXT) | instid1(VALU_DEP_1)
	v_fma_f64 v[1:2], v[97:98], v[85:86], v[1:2]
	v_add_f64 v[1:2], v[77:78], -v[1:2]
	scratch_store_b64 off, v[1:2], off offset:184
	v_cmpx_lt_u32_e32 22, v0
	s_cbranch_execz .LBB99_181
; %bb.180:
	scratch_load_b64 v[1:2], off, off offset:176
	v_mov_b32_e32 v77, 0
	s_delay_alu instid0(VALU_DEP_1)
	v_mov_b32_e32 v78, v77
	scratch_store_b64 off, v[77:78], off offset:176
	s_waitcnt vmcnt(0)
	ds_store_b64 v3, v[1:2]
.LBB99_181:
	s_or_b32 exec_lo, exec_lo, s0
	s_waitcnt lgkmcnt(0)
	s_waitcnt_vscnt null, 0x0
	s_barrier
	buffer_gl0_inv
	s_clause 0x4
	scratch_load_b128 v[77:80], off, off offset:176
	scratch_load_b128 v[81:84], off, off offset:192
	;; [unrolled: 1-line block ×5, first 2 shown]
	v_mov_b32_e32 v1, 0
	ds_load_2addr_b64 v[97:100], v1 offset0:59 offset1:60
	ds_load_2addr_b64 v[101:104], v1 offset0:61 offset1:62
	scratch_load_b128 v[105:108], off, off offset:256
	s_mov_b32 s0, exec_lo
	s_waitcnt vmcnt(5) lgkmcnt(1)
	v_fma_f64 v[79:80], v[79:80], v[97:98], 0
	s_waitcnt vmcnt(4)
	s_delay_alu instid0(VALU_DEP_1) | instskip(SKIP_1) | instid1(VALU_DEP_1)
	v_fma_f64 v[79:80], v[81:82], v[99:100], v[79:80]
	s_waitcnt lgkmcnt(0)
	v_fma_f64 v[83:84], v[83:84], v[101:102], v[79:80]
	scratch_load_b128 v[79:82], off, off offset:272
	s_waitcnt vmcnt(4)
	v_fma_f64 v[101:102], v[85:86], v[103:104], v[83:84]
	ds_load_2addr_b64 v[83:86], v1 offset0:63 offset1:64
	ds_load_2addr_b64 v[97:100], v1 offset0:65 offset1:66
	s_waitcnt lgkmcnt(1)
	v_fma_f64 v[83:84], v[87:88], v[83:84], v[101:102]
	s_waitcnt vmcnt(3)
	s_delay_alu instid0(VALU_DEP_1) | instskip(SKIP_1) | instid1(VALU_DEP_1)
	v_fma_f64 v[83:84], v[89:90], v[85:86], v[83:84]
	s_waitcnt lgkmcnt(0)
	v_fma_f64 v[83:84], v[91:92], v[97:98], v[83:84]
	s_waitcnt vmcnt(2)
	s_delay_alu instid0(VALU_DEP_1)
	v_fma_f64 v[91:92], v[93:94], v[99:100], v[83:84]
	ds_load_2addr_b64 v[83:86], v1 offset0:67 offset1:68
	ds_load_2addr_b64 v[87:90], v1 offset0:69 offset1:70
	s_waitcnt lgkmcnt(1)
	v_fma_f64 v[83:84], v[95:96], v[83:84], v[91:92]
	s_waitcnt vmcnt(1)
	s_delay_alu instid0(VALU_DEP_1) | instskip(SKIP_1) | instid1(VALU_DEP_1)
	v_fma_f64 v[83:84], v[105:106], v[85:86], v[83:84]
	s_waitcnt lgkmcnt(0)
	v_fma_f64 v[83:84], v[107:108], v[87:88], v[83:84]
	s_waitcnt vmcnt(0)
	s_delay_alu instid0(VALU_DEP_1) | instskip(SKIP_3) | instid1(VALU_DEP_1)
	v_fma_f64 v[79:80], v[79:80], v[89:90], v[83:84]
	ds_load_b64 v[83:84], v1 offset:568
	s_waitcnt lgkmcnt(0)
	v_fma_f64 v[79:80], v[81:82], v[83:84], v[79:80]
	v_add_f64 v[77:78], v[77:78], -v[79:80]
	scratch_store_b64 off, v[77:78], off offset:176
	v_cmpx_lt_u32_e32 21, v0
	s_cbranch_execz .LBB99_183
; %bb.182:
	scratch_load_b64 v[77:78], off, off offset:168
	v_mov_b32_e32 v2, v1
	scratch_store_b64 off, v[1:2], off offset:168
	s_waitcnt vmcnt(0)
	ds_store_b64 v3, v[77:78]
.LBB99_183:
	s_or_b32 exec_lo, exec_lo, s0
	s_waitcnt lgkmcnt(0)
	s_waitcnt_vscnt null, 0x0
	s_barrier
	buffer_gl0_inv
	s_clause 0x4
	scratch_load_b128 v[77:80], off, off offset:168
	scratch_load_b128 v[81:84], off, off offset:184
	scratch_load_b128 v[85:88], off, off offset:200
	scratch_load_b128 v[89:92], off, off offset:216
	scratch_load_b128 v[93:96], off, off offset:232
	ds_load_b128 v[97:100], v1 offset:464
	ds_load_b128 v[101:104], v1 offset:480
	scratch_load_b128 v[105:108], off, off offset:248
	s_mov_b32 s0, exec_lo
	s_waitcnt vmcnt(5) lgkmcnt(1)
	v_fma_f64 v[79:80], v[79:80], v[97:98], 0
	s_waitcnt vmcnt(4)
	s_delay_alu instid0(VALU_DEP_1) | instskip(SKIP_1) | instid1(VALU_DEP_1)
	v_fma_f64 v[79:80], v[81:82], v[99:100], v[79:80]
	s_waitcnt lgkmcnt(0)
	v_fma_f64 v[83:84], v[83:84], v[101:102], v[79:80]
	scratch_load_b128 v[79:82], off, off offset:264
	s_waitcnt vmcnt(4)
	v_fma_f64 v[101:102], v[85:86], v[103:104], v[83:84]
	ds_load_b128 v[83:86], v1 offset:496
	ds_load_b128 v[97:100], v1 offset:512
	s_waitcnt lgkmcnt(1)
	v_fma_f64 v[83:84], v[87:88], v[83:84], v[101:102]
	scratch_load_b64 v[101:102], off, off offset:280
	s_waitcnt vmcnt(4)
	v_fma_f64 v[83:84], v[89:90], v[85:86], v[83:84]
	s_waitcnt lgkmcnt(0)
	s_delay_alu instid0(VALU_DEP_1) | instskip(SKIP_1) | instid1(VALU_DEP_1)
	v_fma_f64 v[83:84], v[91:92], v[97:98], v[83:84]
	s_waitcnt vmcnt(3)
	v_fma_f64 v[91:92], v[93:94], v[99:100], v[83:84]
	ds_load_b128 v[83:86], v1 offset:528
	ds_load_b128 v[87:90], v1 offset:544
	s_waitcnt lgkmcnt(1)
	v_fma_f64 v[83:84], v[95:96], v[83:84], v[91:92]
	s_waitcnt vmcnt(2)
	s_delay_alu instid0(VALU_DEP_1) | instskip(SKIP_1) | instid1(VALU_DEP_1)
	v_fma_f64 v[83:84], v[105:106], v[85:86], v[83:84]
	s_waitcnt lgkmcnt(0)
	v_fma_f64 v[83:84], v[107:108], v[87:88], v[83:84]
	s_waitcnt vmcnt(1)
	s_delay_alu instid0(VALU_DEP_1) | instskip(SKIP_4) | instid1(VALU_DEP_1)
	v_fma_f64 v[79:80], v[79:80], v[89:90], v[83:84]
	ds_load_b128 v[83:86], v1 offset:560
	s_waitcnt lgkmcnt(0)
	v_fma_f64 v[1:2], v[81:82], v[83:84], v[79:80]
	s_waitcnt vmcnt(0)
	v_fma_f64 v[1:2], v[101:102], v[85:86], v[1:2]
	s_delay_alu instid0(VALU_DEP_1)
	v_add_f64 v[1:2], v[77:78], -v[1:2]
	scratch_store_b64 off, v[1:2], off offset:168
	v_cmpx_lt_u32_e32 20, v0
	s_cbranch_execz .LBB99_185
; %bb.184:
	scratch_load_b64 v[1:2], off, off offset:160
	v_mov_b32_e32 v77, 0
	s_delay_alu instid0(VALU_DEP_1)
	v_mov_b32_e32 v78, v77
	scratch_store_b64 off, v[77:78], off offset:160
	s_waitcnt vmcnt(0)
	ds_store_b64 v3, v[1:2]
.LBB99_185:
	s_or_b32 exec_lo, exec_lo, s0
	s_waitcnt lgkmcnt(0)
	s_waitcnt_vscnt null, 0x0
	s_barrier
	buffer_gl0_inv
	s_clause 0x4
	scratch_load_b128 v[77:80], off, off offset:160
	scratch_load_b128 v[81:84], off, off offset:176
	;; [unrolled: 1-line block ×5, first 2 shown]
	v_mov_b32_e32 v1, 0
	ds_load_2addr_b64 v[97:100], v1 offset0:57 offset1:58
	ds_load_2addr_b64 v[101:104], v1 offset0:59 offset1:60
	scratch_load_b128 v[105:108], off, off offset:240
	s_mov_b32 s0, exec_lo
	s_waitcnt vmcnt(5) lgkmcnt(1)
	v_fma_f64 v[79:80], v[79:80], v[97:98], 0
	s_waitcnt vmcnt(4)
	s_delay_alu instid0(VALU_DEP_1) | instskip(SKIP_1) | instid1(VALU_DEP_1)
	v_fma_f64 v[79:80], v[81:82], v[99:100], v[79:80]
	s_waitcnt lgkmcnt(0)
	v_fma_f64 v[83:84], v[83:84], v[101:102], v[79:80]
	scratch_load_b128 v[79:82], off, off offset:256
	s_waitcnt vmcnt(4)
	v_fma_f64 v[101:102], v[85:86], v[103:104], v[83:84]
	ds_load_2addr_b64 v[83:86], v1 offset0:61 offset1:62
	ds_load_2addr_b64 v[97:100], v1 offset0:63 offset1:64
	s_waitcnt lgkmcnt(1)
	v_fma_f64 v[83:84], v[87:88], v[83:84], v[101:102]
	scratch_load_b128 v[101:104], off, off offset:272
	s_waitcnt vmcnt(4)
	v_fma_f64 v[83:84], v[89:90], v[85:86], v[83:84]
	s_waitcnt lgkmcnt(0)
	s_delay_alu instid0(VALU_DEP_1) | instskip(SKIP_1) | instid1(VALU_DEP_1)
	v_fma_f64 v[83:84], v[91:92], v[97:98], v[83:84]
	s_waitcnt vmcnt(3)
	v_fma_f64 v[91:92], v[93:94], v[99:100], v[83:84]
	ds_load_2addr_b64 v[83:86], v1 offset0:65 offset1:66
	ds_load_2addr_b64 v[87:90], v1 offset0:67 offset1:68
	s_waitcnt lgkmcnt(1)
	v_fma_f64 v[83:84], v[95:96], v[83:84], v[91:92]
	s_waitcnt vmcnt(2)
	s_delay_alu instid0(VALU_DEP_1) | instskip(SKIP_1) | instid1(VALU_DEP_1)
	v_fma_f64 v[83:84], v[105:106], v[85:86], v[83:84]
	s_waitcnt lgkmcnt(0)
	v_fma_f64 v[83:84], v[107:108], v[87:88], v[83:84]
	s_waitcnt vmcnt(1)
	s_delay_alu instid0(VALU_DEP_1)
	v_fma_f64 v[79:80], v[79:80], v[89:90], v[83:84]
	ds_load_2addr_b64 v[83:86], v1 offset0:69 offset1:70
	ds_load_b64 v[87:88], v1 offset:568
	s_waitcnt lgkmcnt(1)
	v_fma_f64 v[79:80], v[81:82], v[83:84], v[79:80]
	s_waitcnt vmcnt(0)
	s_delay_alu instid0(VALU_DEP_1) | instskip(SKIP_1) | instid1(VALU_DEP_1)
	v_fma_f64 v[79:80], v[101:102], v[85:86], v[79:80]
	s_waitcnt lgkmcnt(0)
	v_fma_f64 v[79:80], v[103:104], v[87:88], v[79:80]
	s_delay_alu instid0(VALU_DEP_1)
	v_add_f64 v[77:78], v[77:78], -v[79:80]
	scratch_store_b64 off, v[77:78], off offset:160
	v_cmpx_lt_u32_e32 19, v0
	s_cbranch_execz .LBB99_187
; %bb.186:
	scratch_load_b64 v[77:78], off, off offset:152
	v_mov_b32_e32 v2, v1
	scratch_store_b64 off, v[1:2], off offset:152
	s_waitcnt vmcnt(0)
	ds_store_b64 v3, v[77:78]
.LBB99_187:
	s_or_b32 exec_lo, exec_lo, s0
	s_waitcnt lgkmcnt(0)
	s_waitcnt_vscnt null, 0x0
	s_barrier
	buffer_gl0_inv
	s_clause 0x4
	scratch_load_b128 v[77:80], off, off offset:152
	scratch_load_b128 v[81:84], off, off offset:168
	;; [unrolled: 1-line block ×5, first 2 shown]
	ds_load_b128 v[97:100], v1 offset:448
	ds_load_b128 v[101:104], v1 offset:464
	scratch_load_b128 v[105:108], off, off offset:232
	s_mov_b32 s0, exec_lo
	s_waitcnt vmcnt(5) lgkmcnt(1)
	v_fma_f64 v[79:80], v[79:80], v[97:98], 0
	s_waitcnt vmcnt(4)
	s_delay_alu instid0(VALU_DEP_1) | instskip(SKIP_1) | instid1(VALU_DEP_1)
	v_fma_f64 v[79:80], v[81:82], v[99:100], v[79:80]
	s_waitcnt lgkmcnt(0)
	v_fma_f64 v[83:84], v[83:84], v[101:102], v[79:80]
	scratch_load_b128 v[79:82], off, off offset:248
	s_waitcnt vmcnt(4)
	v_fma_f64 v[101:102], v[85:86], v[103:104], v[83:84]
	ds_load_b128 v[83:86], v1 offset:480
	ds_load_b128 v[97:100], v1 offset:496
	s_waitcnt lgkmcnt(1)
	v_fma_f64 v[83:84], v[87:88], v[83:84], v[101:102]
	scratch_load_b128 v[101:104], off, off offset:264
	s_waitcnt vmcnt(4)
	v_fma_f64 v[83:84], v[89:90], v[85:86], v[83:84]
	s_waitcnt lgkmcnt(0)
	s_delay_alu instid0(VALU_DEP_1)
	v_fma_f64 v[83:84], v[91:92], v[97:98], v[83:84]
	scratch_load_b64 v[91:92], off, off offset:280
	s_waitcnt vmcnt(4)
	v_fma_f64 v[93:94], v[93:94], v[99:100], v[83:84]
	ds_load_b128 v[83:86], v1 offset:512
	ds_load_b128 v[87:90], v1 offset:528
	s_waitcnt lgkmcnt(1)
	v_fma_f64 v[83:84], v[95:96], v[83:84], v[93:94]
	s_waitcnt vmcnt(3)
	s_delay_alu instid0(VALU_DEP_1) | instskip(SKIP_1) | instid1(VALU_DEP_1)
	v_fma_f64 v[83:84], v[105:106], v[85:86], v[83:84]
	s_waitcnt lgkmcnt(0)
	v_fma_f64 v[83:84], v[107:108], v[87:88], v[83:84]
	s_waitcnt vmcnt(2)
	s_delay_alu instid0(VALU_DEP_1)
	v_fma_f64 v[79:80], v[79:80], v[89:90], v[83:84]
	ds_load_b128 v[83:86], v1 offset:544
	ds_load_b128 v[87:90], v1 offset:560
	s_waitcnt lgkmcnt(1)
	v_fma_f64 v[1:2], v[81:82], v[83:84], v[79:80]
	s_waitcnt vmcnt(1)
	s_delay_alu instid0(VALU_DEP_1) | instskip(SKIP_1) | instid1(VALU_DEP_1)
	v_fma_f64 v[1:2], v[101:102], v[85:86], v[1:2]
	s_waitcnt lgkmcnt(0)
	v_fma_f64 v[1:2], v[103:104], v[87:88], v[1:2]
	s_waitcnt vmcnt(0)
	s_delay_alu instid0(VALU_DEP_1) | instskip(NEXT) | instid1(VALU_DEP_1)
	v_fma_f64 v[1:2], v[91:92], v[89:90], v[1:2]
	v_add_f64 v[1:2], v[77:78], -v[1:2]
	scratch_store_b64 off, v[1:2], off offset:152
	v_cmpx_lt_u32_e32 18, v0
	s_cbranch_execz .LBB99_189
; %bb.188:
	scratch_load_b64 v[1:2], off, off offset:144
	v_mov_b32_e32 v77, 0
	s_delay_alu instid0(VALU_DEP_1)
	v_mov_b32_e32 v78, v77
	scratch_store_b64 off, v[77:78], off offset:144
	s_waitcnt vmcnt(0)
	ds_store_b64 v3, v[1:2]
.LBB99_189:
	s_or_b32 exec_lo, exec_lo, s0
	s_waitcnt lgkmcnt(0)
	s_waitcnt_vscnt null, 0x0
	s_barrier
	buffer_gl0_inv
	s_clause 0x4
	scratch_load_b128 v[77:80], off, off offset:144
	scratch_load_b128 v[81:84], off, off offset:160
	;; [unrolled: 1-line block ×5, first 2 shown]
	v_mov_b32_e32 v1, 0
	ds_load_2addr_b64 v[97:100], v1 offset0:55 offset1:56
	ds_load_2addr_b64 v[101:104], v1 offset0:57 offset1:58
	scratch_load_b128 v[105:108], off, off offset:224
	s_mov_b32 s0, exec_lo
	s_waitcnt vmcnt(5) lgkmcnt(1)
	v_fma_f64 v[79:80], v[79:80], v[97:98], 0
	s_waitcnt vmcnt(4)
	s_delay_alu instid0(VALU_DEP_1) | instskip(SKIP_1) | instid1(VALU_DEP_1)
	v_fma_f64 v[79:80], v[81:82], v[99:100], v[79:80]
	s_waitcnt lgkmcnt(0)
	v_fma_f64 v[83:84], v[83:84], v[101:102], v[79:80]
	scratch_load_b128 v[79:82], off, off offset:240
	s_waitcnt vmcnt(4)
	v_fma_f64 v[101:102], v[85:86], v[103:104], v[83:84]
	ds_load_2addr_b64 v[83:86], v1 offset0:59 offset1:60
	ds_load_2addr_b64 v[97:100], v1 offset0:61 offset1:62
	s_waitcnt lgkmcnt(1)
	v_fma_f64 v[83:84], v[87:88], v[83:84], v[101:102]
	scratch_load_b128 v[101:104], off, off offset:256
	s_waitcnt vmcnt(4)
	v_fma_f64 v[83:84], v[89:90], v[85:86], v[83:84]
	s_waitcnt lgkmcnt(0)
	s_delay_alu instid0(VALU_DEP_1)
	v_fma_f64 v[87:88], v[91:92], v[97:98], v[83:84]
	scratch_load_b128 v[83:86], off, off offset:272
	s_waitcnt vmcnt(4)
	v_fma_f64 v[97:98], v[93:94], v[99:100], v[87:88]
	ds_load_2addr_b64 v[87:90], v1 offset0:63 offset1:64
	ds_load_2addr_b64 v[91:94], v1 offset0:65 offset1:66
	s_waitcnt lgkmcnt(1)
	v_fma_f64 v[87:88], v[95:96], v[87:88], v[97:98]
	s_waitcnt vmcnt(3)
	s_delay_alu instid0(VALU_DEP_1) | instskip(SKIP_1) | instid1(VALU_DEP_1)
	v_fma_f64 v[87:88], v[105:106], v[89:90], v[87:88]
	s_waitcnt lgkmcnt(0)
	v_fma_f64 v[87:88], v[107:108], v[91:92], v[87:88]
	s_waitcnt vmcnt(2)
	s_delay_alu instid0(VALU_DEP_1)
	v_fma_f64 v[79:80], v[79:80], v[93:94], v[87:88]
	ds_load_2addr_b64 v[87:90], v1 offset0:67 offset1:68
	ds_load_2addr_b64 v[91:94], v1 offset0:69 offset1:70
	s_waitcnt lgkmcnt(1)
	v_fma_f64 v[79:80], v[81:82], v[87:88], v[79:80]
	ds_load_b64 v[81:82], v1 offset:568
	s_waitcnt vmcnt(1)
	v_fma_f64 v[79:80], v[101:102], v[89:90], v[79:80]
	s_waitcnt lgkmcnt(1)
	s_delay_alu instid0(VALU_DEP_1) | instskip(SKIP_1) | instid1(VALU_DEP_1)
	v_fma_f64 v[79:80], v[103:104], v[91:92], v[79:80]
	s_waitcnt vmcnt(0)
	v_fma_f64 v[79:80], v[83:84], v[93:94], v[79:80]
	s_waitcnt lgkmcnt(0)
	s_delay_alu instid0(VALU_DEP_1) | instskip(NEXT) | instid1(VALU_DEP_1)
	v_fma_f64 v[79:80], v[85:86], v[81:82], v[79:80]
	v_add_f64 v[77:78], v[77:78], -v[79:80]
	scratch_store_b64 off, v[77:78], off offset:144
	v_cmpx_lt_u32_e32 17, v0
	s_cbranch_execz .LBB99_191
; %bb.190:
	scratch_load_b64 v[77:78], off, off offset:136
	v_mov_b32_e32 v2, v1
	scratch_store_b64 off, v[1:2], off offset:136
	s_waitcnt vmcnt(0)
	ds_store_b64 v3, v[77:78]
.LBB99_191:
	s_or_b32 exec_lo, exec_lo, s0
	s_waitcnt lgkmcnt(0)
	s_waitcnt_vscnt null, 0x0
	s_barrier
	buffer_gl0_inv
	s_clause 0x4
	scratch_load_b128 v[77:80], off, off offset:136
	scratch_load_b128 v[81:84], off, off offset:152
	;; [unrolled: 1-line block ×5, first 2 shown]
	ds_load_b128 v[97:100], v1 offset:432
	ds_load_b128 v[101:104], v1 offset:448
	scratch_load_b128 v[105:108], off, off offset:216
	s_mov_b32 s0, exec_lo
	s_waitcnt vmcnt(5) lgkmcnt(1)
	v_fma_f64 v[79:80], v[79:80], v[97:98], 0
	s_waitcnt vmcnt(4)
	s_delay_alu instid0(VALU_DEP_1) | instskip(SKIP_1) | instid1(VALU_DEP_1)
	v_fma_f64 v[79:80], v[81:82], v[99:100], v[79:80]
	s_waitcnt lgkmcnt(0)
	v_fma_f64 v[83:84], v[83:84], v[101:102], v[79:80]
	scratch_load_b128 v[79:82], off, off offset:232
	s_waitcnt vmcnt(4)
	v_fma_f64 v[101:102], v[85:86], v[103:104], v[83:84]
	ds_load_b128 v[83:86], v1 offset:464
	ds_load_b128 v[97:100], v1 offset:480
	s_waitcnt lgkmcnt(1)
	v_fma_f64 v[83:84], v[87:88], v[83:84], v[101:102]
	scratch_load_b128 v[101:104], off, off offset:248
	s_waitcnt vmcnt(4)
	v_fma_f64 v[83:84], v[89:90], v[85:86], v[83:84]
	s_waitcnt lgkmcnt(0)
	s_delay_alu instid0(VALU_DEP_1)
	v_fma_f64 v[87:88], v[91:92], v[97:98], v[83:84]
	scratch_load_b128 v[83:86], off, off offset:264
	s_waitcnt vmcnt(4)
	v_fma_f64 v[97:98], v[93:94], v[99:100], v[87:88]
	ds_load_b128 v[87:90], v1 offset:496
	ds_load_b128 v[91:94], v1 offset:512
	s_waitcnt lgkmcnt(1)
	v_fma_f64 v[87:88], v[95:96], v[87:88], v[97:98]
	scratch_load_b64 v[95:96], off, off offset:280
	s_waitcnt vmcnt(4)
	v_fma_f64 v[87:88], v[105:106], v[89:90], v[87:88]
	s_waitcnt lgkmcnt(0)
	s_delay_alu instid0(VALU_DEP_1) | instskip(SKIP_1) | instid1(VALU_DEP_1)
	v_fma_f64 v[87:88], v[107:108], v[91:92], v[87:88]
	s_waitcnt vmcnt(3)
	v_fma_f64 v[79:80], v[79:80], v[93:94], v[87:88]
	ds_load_b128 v[87:90], v1 offset:528
	ds_load_b128 v[91:94], v1 offset:544
	s_waitcnt lgkmcnt(1)
	v_fma_f64 v[79:80], v[81:82], v[87:88], v[79:80]
	s_waitcnt vmcnt(2)
	s_delay_alu instid0(VALU_DEP_1) | instskip(SKIP_1) | instid1(VALU_DEP_1)
	v_fma_f64 v[79:80], v[101:102], v[89:90], v[79:80]
	s_waitcnt lgkmcnt(0)
	v_fma_f64 v[79:80], v[103:104], v[91:92], v[79:80]
	s_waitcnt vmcnt(1)
	s_delay_alu instid0(VALU_DEP_1) | instskip(SKIP_4) | instid1(VALU_DEP_1)
	v_fma_f64 v[83:84], v[83:84], v[93:94], v[79:80]
	ds_load_b128 v[79:82], v1 offset:560
	s_waitcnt lgkmcnt(0)
	v_fma_f64 v[1:2], v[85:86], v[79:80], v[83:84]
	s_waitcnt vmcnt(0)
	v_fma_f64 v[1:2], v[95:96], v[81:82], v[1:2]
	s_delay_alu instid0(VALU_DEP_1)
	v_add_f64 v[1:2], v[77:78], -v[1:2]
	scratch_store_b64 off, v[1:2], off offset:136
	v_cmpx_lt_u32_e32 16, v0
	s_cbranch_execz .LBB99_193
; %bb.192:
	scratch_load_b64 v[1:2], off, off offset:128
	v_mov_b32_e32 v77, 0
	s_delay_alu instid0(VALU_DEP_1)
	v_mov_b32_e32 v78, v77
	scratch_store_b64 off, v[77:78], off offset:128
	s_waitcnt vmcnt(0)
	ds_store_b64 v3, v[1:2]
.LBB99_193:
	s_or_b32 exec_lo, exec_lo, s0
	s_waitcnt lgkmcnt(0)
	s_waitcnt_vscnt null, 0x0
	s_barrier
	buffer_gl0_inv
	s_clause 0x4
	scratch_load_b128 v[77:80], off, off offset:128
	scratch_load_b128 v[81:84], off, off offset:144
	;; [unrolled: 1-line block ×5, first 2 shown]
	v_mov_b32_e32 v1, 0
	ds_load_2addr_b64 v[97:100], v1 offset0:53 offset1:54
	ds_load_2addr_b64 v[101:104], v1 offset0:55 offset1:56
	scratch_load_b128 v[105:108], off, off offset:208
	s_mov_b32 s0, exec_lo
	s_waitcnt vmcnt(5) lgkmcnt(1)
	v_fma_f64 v[79:80], v[79:80], v[97:98], 0
	s_waitcnt vmcnt(4)
	s_delay_alu instid0(VALU_DEP_1) | instskip(SKIP_1) | instid1(VALU_DEP_1)
	v_fma_f64 v[79:80], v[81:82], v[99:100], v[79:80]
	s_waitcnt lgkmcnt(0)
	v_fma_f64 v[83:84], v[83:84], v[101:102], v[79:80]
	scratch_load_b128 v[79:82], off, off offset:224
	s_waitcnt vmcnt(4)
	v_fma_f64 v[101:102], v[85:86], v[103:104], v[83:84]
	ds_load_2addr_b64 v[83:86], v1 offset0:57 offset1:58
	ds_load_2addr_b64 v[97:100], v1 offset0:59 offset1:60
	s_waitcnt lgkmcnt(1)
	v_fma_f64 v[83:84], v[87:88], v[83:84], v[101:102]
	scratch_load_b128 v[101:104], off, off offset:240
	s_waitcnt vmcnt(4)
	v_fma_f64 v[83:84], v[89:90], v[85:86], v[83:84]
	s_waitcnt lgkmcnt(0)
	s_delay_alu instid0(VALU_DEP_1)
	v_fma_f64 v[87:88], v[91:92], v[97:98], v[83:84]
	scratch_load_b128 v[83:86], off, off offset:256
	s_waitcnt vmcnt(4)
	v_fma_f64 v[97:98], v[93:94], v[99:100], v[87:88]
	ds_load_2addr_b64 v[87:90], v1 offset0:61 offset1:62
	ds_load_2addr_b64 v[91:94], v1 offset0:63 offset1:64
	s_waitcnt lgkmcnt(1)
	v_fma_f64 v[87:88], v[95:96], v[87:88], v[97:98]
	scratch_load_b128 v[95:98], off, off offset:272
	s_waitcnt vmcnt(4)
	v_fma_f64 v[87:88], v[105:106], v[89:90], v[87:88]
	s_waitcnt lgkmcnt(0)
	s_delay_alu instid0(VALU_DEP_1) | instskip(SKIP_1) | instid1(VALU_DEP_1)
	v_fma_f64 v[87:88], v[107:108], v[91:92], v[87:88]
	s_waitcnt vmcnt(3)
	v_fma_f64 v[79:80], v[79:80], v[93:94], v[87:88]
	ds_load_2addr_b64 v[87:90], v1 offset0:65 offset1:66
	ds_load_2addr_b64 v[91:94], v1 offset0:67 offset1:68
	s_waitcnt lgkmcnt(1)
	v_fma_f64 v[79:80], v[81:82], v[87:88], v[79:80]
	s_waitcnt vmcnt(2)
	s_delay_alu instid0(VALU_DEP_1) | instskip(SKIP_1) | instid1(VALU_DEP_1)
	v_fma_f64 v[79:80], v[101:102], v[89:90], v[79:80]
	s_waitcnt lgkmcnt(0)
	v_fma_f64 v[79:80], v[103:104], v[91:92], v[79:80]
	s_waitcnt vmcnt(1)
	s_delay_alu instid0(VALU_DEP_1)
	v_fma_f64 v[83:84], v[83:84], v[93:94], v[79:80]
	ds_load_2addr_b64 v[79:82], v1 offset0:69 offset1:70
	ds_load_b64 v[87:88], v1 offset:568
	s_waitcnt lgkmcnt(1)
	v_fma_f64 v[79:80], v[85:86], v[79:80], v[83:84]
	s_waitcnt vmcnt(0)
	s_delay_alu instid0(VALU_DEP_1) | instskip(SKIP_1) | instid1(VALU_DEP_1)
	v_fma_f64 v[79:80], v[95:96], v[81:82], v[79:80]
	s_waitcnt lgkmcnt(0)
	v_fma_f64 v[79:80], v[97:98], v[87:88], v[79:80]
	s_delay_alu instid0(VALU_DEP_1)
	v_add_f64 v[77:78], v[77:78], -v[79:80]
	scratch_store_b64 off, v[77:78], off offset:128
	v_cmpx_lt_u32_e32 15, v0
	s_cbranch_execz .LBB99_195
; %bb.194:
	scratch_load_b64 v[77:78], off, off offset:120
	v_mov_b32_e32 v2, v1
	scratch_store_b64 off, v[1:2], off offset:120
	s_waitcnt vmcnt(0)
	ds_store_b64 v3, v[77:78]
.LBB99_195:
	s_or_b32 exec_lo, exec_lo, s0
	s_waitcnt lgkmcnt(0)
	s_waitcnt_vscnt null, 0x0
	s_barrier
	buffer_gl0_inv
	s_clause 0x4
	scratch_load_b128 v[77:80], off, off offset:120
	scratch_load_b128 v[81:84], off, off offset:136
	scratch_load_b128 v[85:88], off, off offset:152
	scratch_load_b128 v[89:92], off, off offset:168
	scratch_load_b128 v[93:96], off, off offset:184
	ds_load_b128 v[97:100], v1 offset:416
	ds_load_b128 v[101:104], v1 offset:432
	scratch_load_b128 v[105:108], off, off offset:200
	s_mov_b32 s0, exec_lo
	s_waitcnt vmcnt(5) lgkmcnt(1)
	v_fma_f64 v[79:80], v[79:80], v[97:98], 0
	s_waitcnt vmcnt(4)
	s_delay_alu instid0(VALU_DEP_1) | instskip(SKIP_1) | instid1(VALU_DEP_1)
	v_fma_f64 v[79:80], v[81:82], v[99:100], v[79:80]
	s_waitcnt lgkmcnt(0)
	v_fma_f64 v[83:84], v[83:84], v[101:102], v[79:80]
	scratch_load_b128 v[79:82], off, off offset:216
	s_waitcnt vmcnt(4)
	v_fma_f64 v[101:102], v[85:86], v[103:104], v[83:84]
	ds_load_b128 v[83:86], v1 offset:448
	ds_load_b128 v[97:100], v1 offset:464
	s_waitcnt lgkmcnt(1)
	v_fma_f64 v[83:84], v[87:88], v[83:84], v[101:102]
	scratch_load_b128 v[101:104], off, off offset:232
	s_waitcnt vmcnt(4)
	v_fma_f64 v[83:84], v[89:90], v[85:86], v[83:84]
	s_waitcnt lgkmcnt(0)
	s_delay_alu instid0(VALU_DEP_1)
	v_fma_f64 v[87:88], v[91:92], v[97:98], v[83:84]
	scratch_load_b128 v[83:86], off, off offset:248
	s_waitcnt vmcnt(4)
	v_fma_f64 v[97:98], v[93:94], v[99:100], v[87:88]
	ds_load_b128 v[87:90], v1 offset:480
	ds_load_b128 v[91:94], v1 offset:496
	scratch_load_b64 v[99:100], off, off offset:280
	s_waitcnt lgkmcnt(1)
	v_fma_f64 v[87:88], v[95:96], v[87:88], v[97:98]
	scratch_load_b128 v[95:98], off, off offset:264
	s_waitcnt vmcnt(5)
	v_fma_f64 v[87:88], v[105:106], v[89:90], v[87:88]
	s_waitcnt lgkmcnt(0)
	s_delay_alu instid0(VALU_DEP_1) | instskip(SKIP_1) | instid1(VALU_DEP_1)
	v_fma_f64 v[87:88], v[107:108], v[91:92], v[87:88]
	s_waitcnt vmcnt(4)
	v_fma_f64 v[79:80], v[79:80], v[93:94], v[87:88]
	ds_load_b128 v[87:90], v1 offset:512
	ds_load_b128 v[91:94], v1 offset:528
	s_waitcnt lgkmcnt(1)
	v_fma_f64 v[79:80], v[81:82], v[87:88], v[79:80]
	s_waitcnt vmcnt(3)
	s_delay_alu instid0(VALU_DEP_1) | instskip(SKIP_1) | instid1(VALU_DEP_1)
	v_fma_f64 v[79:80], v[101:102], v[89:90], v[79:80]
	s_waitcnt lgkmcnt(0)
	v_fma_f64 v[79:80], v[103:104], v[91:92], v[79:80]
	s_waitcnt vmcnt(2)
	s_delay_alu instid0(VALU_DEP_1)
	v_fma_f64 v[83:84], v[83:84], v[93:94], v[79:80]
	ds_load_b128 v[79:82], v1 offset:544
	ds_load_b128 v[87:90], v1 offset:560
	s_waitcnt lgkmcnt(1)
	v_fma_f64 v[1:2], v[85:86], v[79:80], v[83:84]
	s_waitcnt vmcnt(0)
	s_delay_alu instid0(VALU_DEP_1) | instskip(SKIP_1) | instid1(VALU_DEP_1)
	v_fma_f64 v[1:2], v[95:96], v[81:82], v[1:2]
	s_waitcnt lgkmcnt(0)
	v_fma_f64 v[1:2], v[97:98], v[87:88], v[1:2]
	s_delay_alu instid0(VALU_DEP_1) | instskip(NEXT) | instid1(VALU_DEP_1)
	v_fma_f64 v[1:2], v[99:100], v[89:90], v[1:2]
	v_add_f64 v[1:2], v[77:78], -v[1:2]
	scratch_store_b64 off, v[1:2], off offset:120
	v_cmpx_lt_u32_e32 14, v0
	s_cbranch_execz .LBB99_197
; %bb.196:
	scratch_load_b64 v[1:2], off, off offset:112
	v_mov_b32_e32 v77, 0
	s_delay_alu instid0(VALU_DEP_1)
	v_mov_b32_e32 v78, v77
	scratch_store_b64 off, v[77:78], off offset:112
	s_waitcnt vmcnt(0)
	ds_store_b64 v3, v[1:2]
.LBB99_197:
	s_or_b32 exec_lo, exec_lo, s0
	s_waitcnt lgkmcnt(0)
	s_waitcnt_vscnt null, 0x0
	s_barrier
	buffer_gl0_inv
	s_clause 0x4
	scratch_load_b128 v[77:80], off, off offset:112
	scratch_load_b128 v[81:84], off, off offset:128
	;; [unrolled: 1-line block ×5, first 2 shown]
	v_mov_b32_e32 v1, 0
	ds_load_2addr_b64 v[97:100], v1 offset0:51 offset1:52
	ds_load_2addr_b64 v[101:104], v1 offset0:53 offset1:54
	scratch_load_b128 v[105:108], off, off offset:192
	s_mov_b32 s0, exec_lo
	s_waitcnt vmcnt(5) lgkmcnt(1)
	v_fma_f64 v[79:80], v[79:80], v[97:98], 0
	s_waitcnt vmcnt(4)
	s_delay_alu instid0(VALU_DEP_1) | instskip(SKIP_1) | instid1(VALU_DEP_1)
	v_fma_f64 v[79:80], v[81:82], v[99:100], v[79:80]
	s_waitcnt lgkmcnt(0)
	v_fma_f64 v[83:84], v[83:84], v[101:102], v[79:80]
	scratch_load_b128 v[79:82], off, off offset:208
	s_waitcnt vmcnt(4)
	v_fma_f64 v[101:102], v[85:86], v[103:104], v[83:84]
	ds_load_2addr_b64 v[83:86], v1 offset0:55 offset1:56
	ds_load_2addr_b64 v[97:100], v1 offset0:57 offset1:58
	s_waitcnt lgkmcnt(1)
	v_fma_f64 v[83:84], v[87:88], v[83:84], v[101:102]
	scratch_load_b128 v[101:104], off, off offset:224
	s_waitcnt vmcnt(4)
	v_fma_f64 v[83:84], v[89:90], v[85:86], v[83:84]
	s_waitcnt lgkmcnt(0)
	s_delay_alu instid0(VALU_DEP_1)
	v_fma_f64 v[87:88], v[91:92], v[97:98], v[83:84]
	scratch_load_b128 v[83:86], off, off offset:240
	s_waitcnt vmcnt(4)
	v_fma_f64 v[97:98], v[93:94], v[99:100], v[87:88]
	ds_load_2addr_b64 v[87:90], v1 offset0:59 offset1:60
	ds_load_2addr_b64 v[91:94], v1 offset0:61 offset1:62
	s_waitcnt lgkmcnt(1)
	v_fma_f64 v[87:88], v[95:96], v[87:88], v[97:98]
	scratch_load_b128 v[95:98], off, off offset:256
	s_waitcnt vmcnt(4)
	v_fma_f64 v[87:88], v[105:106], v[89:90], v[87:88]
	s_waitcnt lgkmcnt(0)
	s_delay_alu instid0(VALU_DEP_1)
	v_fma_f64 v[91:92], v[107:108], v[91:92], v[87:88]
	scratch_load_b128 v[87:90], off, off offset:272
	s_waitcnt vmcnt(4)
	v_fma_f64 v[79:80], v[79:80], v[93:94], v[91:92]
	ds_load_2addr_b64 v[91:94], v1 offset0:63 offset1:64
	ds_load_2addr_b64 v[105:108], v1 offset0:65 offset1:66
	s_waitcnt lgkmcnt(1)
	v_fma_f64 v[79:80], v[81:82], v[91:92], v[79:80]
	s_waitcnt vmcnt(3)
	s_delay_alu instid0(VALU_DEP_1) | instskip(SKIP_1) | instid1(VALU_DEP_1)
	v_fma_f64 v[79:80], v[101:102], v[93:94], v[79:80]
	s_waitcnt lgkmcnt(0)
	v_fma_f64 v[79:80], v[103:104], v[105:106], v[79:80]
	s_waitcnt vmcnt(2)
	s_delay_alu instid0(VALU_DEP_1)
	v_fma_f64 v[83:84], v[83:84], v[107:108], v[79:80]
	ds_load_2addr_b64 v[79:82], v1 offset0:67 offset1:68
	ds_load_2addr_b64 v[91:94], v1 offset0:69 offset1:70
	s_waitcnt lgkmcnt(1)
	v_fma_f64 v[79:80], v[85:86], v[79:80], v[83:84]
	s_waitcnt vmcnt(1)
	s_delay_alu instid0(VALU_DEP_1) | instskip(SKIP_4) | instid1(VALU_DEP_1)
	v_fma_f64 v[79:80], v[95:96], v[81:82], v[79:80]
	ds_load_b64 v[81:82], v1 offset:568
	s_waitcnt lgkmcnt(1)
	v_fma_f64 v[79:80], v[97:98], v[91:92], v[79:80]
	s_waitcnt vmcnt(0)
	v_fma_f64 v[79:80], v[87:88], v[93:94], v[79:80]
	s_waitcnt lgkmcnt(0)
	s_delay_alu instid0(VALU_DEP_1) | instskip(NEXT) | instid1(VALU_DEP_1)
	v_fma_f64 v[79:80], v[89:90], v[81:82], v[79:80]
	v_add_f64 v[77:78], v[77:78], -v[79:80]
	scratch_store_b64 off, v[77:78], off offset:112
	v_cmpx_lt_u32_e32 13, v0
	s_cbranch_execz .LBB99_199
; %bb.198:
	scratch_load_b64 v[77:78], off, off offset:104
	v_mov_b32_e32 v2, v1
	scratch_store_b64 off, v[1:2], off offset:104
	s_waitcnt vmcnt(0)
	ds_store_b64 v3, v[77:78]
.LBB99_199:
	s_or_b32 exec_lo, exec_lo, s0
	s_waitcnt lgkmcnt(0)
	s_waitcnt_vscnt null, 0x0
	s_barrier
	buffer_gl0_inv
	s_clause 0x4
	scratch_load_b128 v[77:80], off, off offset:104
	scratch_load_b128 v[81:84], off, off offset:120
	;; [unrolled: 1-line block ×5, first 2 shown]
	ds_load_b128 v[97:100], v1 offset:400
	ds_load_b128 v[101:104], v1 offset:416
	scratch_load_b128 v[105:108], off, off offset:184
	s_mov_b32 s0, exec_lo
	s_waitcnt vmcnt(5) lgkmcnt(1)
	v_fma_f64 v[79:80], v[79:80], v[97:98], 0
	s_waitcnt vmcnt(4)
	s_delay_alu instid0(VALU_DEP_1) | instskip(SKIP_1) | instid1(VALU_DEP_1)
	v_fma_f64 v[79:80], v[81:82], v[99:100], v[79:80]
	s_waitcnt lgkmcnt(0)
	v_fma_f64 v[83:84], v[83:84], v[101:102], v[79:80]
	scratch_load_b128 v[79:82], off, off offset:200
	s_waitcnt vmcnt(4)
	v_fma_f64 v[101:102], v[85:86], v[103:104], v[83:84]
	ds_load_b128 v[83:86], v1 offset:432
	ds_load_b128 v[97:100], v1 offset:448
	s_waitcnt lgkmcnt(1)
	v_fma_f64 v[83:84], v[87:88], v[83:84], v[101:102]
	scratch_load_b128 v[101:104], off, off offset:216
	s_waitcnt vmcnt(4)
	v_fma_f64 v[83:84], v[89:90], v[85:86], v[83:84]
	s_waitcnt lgkmcnt(0)
	s_delay_alu instid0(VALU_DEP_1)
	v_fma_f64 v[87:88], v[91:92], v[97:98], v[83:84]
	scratch_load_b128 v[83:86], off, off offset:232
	s_waitcnt vmcnt(4)
	v_fma_f64 v[97:98], v[93:94], v[99:100], v[87:88]
	ds_load_b128 v[87:90], v1 offset:464
	ds_load_b128 v[91:94], v1 offset:480
	s_waitcnt lgkmcnt(1)
	v_fma_f64 v[87:88], v[95:96], v[87:88], v[97:98]
	scratch_load_b128 v[95:98], off, off offset:248
	s_waitcnt vmcnt(4)
	v_fma_f64 v[87:88], v[105:106], v[89:90], v[87:88]
	s_waitcnt lgkmcnt(0)
	s_delay_alu instid0(VALU_DEP_1)
	v_fma_f64 v[91:92], v[107:108], v[91:92], v[87:88]
	scratch_load_b128 v[87:90], off, off offset:264
	s_waitcnt vmcnt(4)
	v_fma_f64 v[79:80], v[79:80], v[93:94], v[91:92]
	ds_load_b128 v[91:94], v1 offset:496
	ds_load_b128 v[105:108], v1 offset:512
	scratch_load_b64 v[99:100], off, off offset:280
	s_waitcnt lgkmcnt(1)
	v_fma_f64 v[79:80], v[81:82], v[91:92], v[79:80]
	s_waitcnt vmcnt(4)
	s_delay_alu instid0(VALU_DEP_1) | instskip(SKIP_1) | instid1(VALU_DEP_1)
	v_fma_f64 v[79:80], v[101:102], v[93:94], v[79:80]
	s_waitcnt lgkmcnt(0)
	v_fma_f64 v[79:80], v[103:104], v[105:106], v[79:80]
	s_waitcnt vmcnt(3)
	s_delay_alu instid0(VALU_DEP_1)
	v_fma_f64 v[83:84], v[83:84], v[107:108], v[79:80]
	ds_load_b128 v[79:82], v1 offset:528
	ds_load_b128 v[91:94], v1 offset:544
	s_waitcnt lgkmcnt(1)
	v_fma_f64 v[79:80], v[85:86], v[79:80], v[83:84]
	s_waitcnt vmcnt(2)
	s_delay_alu instid0(VALU_DEP_1) | instskip(SKIP_1) | instid1(VALU_DEP_1)
	v_fma_f64 v[79:80], v[95:96], v[81:82], v[79:80]
	s_waitcnt lgkmcnt(0)
	v_fma_f64 v[79:80], v[97:98], v[91:92], v[79:80]
	s_waitcnt vmcnt(1)
	s_delay_alu instid0(VALU_DEP_1) | instskip(SKIP_4) | instid1(VALU_DEP_1)
	v_fma_f64 v[83:84], v[87:88], v[93:94], v[79:80]
	ds_load_b128 v[79:82], v1 offset:560
	s_waitcnt lgkmcnt(0)
	v_fma_f64 v[1:2], v[89:90], v[79:80], v[83:84]
	s_waitcnt vmcnt(0)
	v_fma_f64 v[1:2], v[99:100], v[81:82], v[1:2]
	s_delay_alu instid0(VALU_DEP_1)
	v_add_f64 v[1:2], v[77:78], -v[1:2]
	scratch_store_b64 off, v[1:2], off offset:104
	v_cmpx_lt_u32_e32 12, v0
	s_cbranch_execz .LBB99_201
; %bb.200:
	scratch_load_b64 v[1:2], off, off offset:96
	v_mov_b32_e32 v77, 0
	s_delay_alu instid0(VALU_DEP_1)
	v_mov_b32_e32 v78, v77
	scratch_store_b64 off, v[77:78], off offset:96
	s_waitcnt vmcnt(0)
	ds_store_b64 v3, v[1:2]
.LBB99_201:
	s_or_b32 exec_lo, exec_lo, s0
	s_waitcnt lgkmcnt(0)
	s_waitcnt_vscnt null, 0x0
	s_barrier
	buffer_gl0_inv
	s_clause 0x4
	scratch_load_b128 v[77:80], off, off offset:96
	scratch_load_b128 v[81:84], off, off offset:112
	;; [unrolled: 1-line block ×5, first 2 shown]
	v_mov_b32_e32 v1, 0
	ds_load_2addr_b64 v[97:100], v1 offset0:49 offset1:50
	ds_load_2addr_b64 v[101:104], v1 offset0:51 offset1:52
	scratch_load_b128 v[105:108], off, off offset:176
	s_mov_b32 s0, exec_lo
	s_waitcnt vmcnt(5) lgkmcnt(1)
	v_fma_f64 v[79:80], v[79:80], v[97:98], 0
	s_waitcnt vmcnt(4)
	s_delay_alu instid0(VALU_DEP_1) | instskip(SKIP_1) | instid1(VALU_DEP_1)
	v_fma_f64 v[79:80], v[81:82], v[99:100], v[79:80]
	s_waitcnt lgkmcnt(0)
	v_fma_f64 v[83:84], v[83:84], v[101:102], v[79:80]
	scratch_load_b128 v[79:82], off, off offset:192
	s_waitcnt vmcnt(4)
	v_fma_f64 v[101:102], v[85:86], v[103:104], v[83:84]
	ds_load_2addr_b64 v[83:86], v1 offset0:53 offset1:54
	ds_load_2addr_b64 v[97:100], v1 offset0:55 offset1:56
	s_waitcnt lgkmcnt(1)
	v_fma_f64 v[83:84], v[87:88], v[83:84], v[101:102]
	scratch_load_b128 v[101:104], off, off offset:208
	s_waitcnt vmcnt(4)
	v_fma_f64 v[83:84], v[89:90], v[85:86], v[83:84]
	s_waitcnt lgkmcnt(0)
	s_delay_alu instid0(VALU_DEP_1)
	v_fma_f64 v[87:88], v[91:92], v[97:98], v[83:84]
	scratch_load_b128 v[83:86], off, off offset:224
	s_waitcnt vmcnt(4)
	v_fma_f64 v[97:98], v[93:94], v[99:100], v[87:88]
	ds_load_2addr_b64 v[87:90], v1 offset0:57 offset1:58
	ds_load_2addr_b64 v[91:94], v1 offset0:59 offset1:60
	s_waitcnt lgkmcnt(1)
	v_fma_f64 v[87:88], v[95:96], v[87:88], v[97:98]
	scratch_load_b128 v[95:98], off, off offset:240
	s_waitcnt vmcnt(4)
	v_fma_f64 v[87:88], v[105:106], v[89:90], v[87:88]
	s_waitcnt lgkmcnt(0)
	s_delay_alu instid0(VALU_DEP_1)
	v_fma_f64 v[91:92], v[107:108], v[91:92], v[87:88]
	scratch_load_b128 v[87:90], off, off offset:256
	s_waitcnt vmcnt(4)
	v_fma_f64 v[79:80], v[79:80], v[93:94], v[91:92]
	ds_load_2addr_b64 v[91:94], v1 offset0:61 offset1:62
	ds_load_2addr_b64 v[105:108], v1 offset0:63 offset1:64
	s_waitcnt lgkmcnt(1)
	v_fma_f64 v[91:92], v[81:82], v[91:92], v[79:80]
	scratch_load_b128 v[79:82], off, off offset:272
	s_waitcnt vmcnt(4)
	v_fma_f64 v[91:92], v[101:102], v[93:94], v[91:92]
	s_waitcnt lgkmcnt(0)
	s_delay_alu instid0(VALU_DEP_1) | instskip(SKIP_1) | instid1(VALU_DEP_1)
	v_fma_f64 v[91:92], v[103:104], v[105:106], v[91:92]
	s_waitcnt vmcnt(3)
	v_fma_f64 v[83:84], v[83:84], v[107:108], v[91:92]
	ds_load_2addr_b64 v[91:94], v1 offset0:65 offset1:66
	ds_load_2addr_b64 v[99:102], v1 offset0:67 offset1:68
	s_waitcnt lgkmcnt(1)
	v_fma_f64 v[83:84], v[85:86], v[91:92], v[83:84]
	s_waitcnt vmcnt(2)
	s_delay_alu instid0(VALU_DEP_1) | instskip(SKIP_1) | instid1(VALU_DEP_1)
	v_fma_f64 v[83:84], v[95:96], v[93:94], v[83:84]
	s_waitcnt lgkmcnt(0)
	v_fma_f64 v[83:84], v[97:98], v[99:100], v[83:84]
	s_waitcnt vmcnt(1)
	s_delay_alu instid0(VALU_DEP_1)
	v_fma_f64 v[87:88], v[87:88], v[101:102], v[83:84]
	ds_load_2addr_b64 v[83:86], v1 offset0:69 offset1:70
	ds_load_b64 v[91:92], v1 offset:568
	s_waitcnt lgkmcnt(1)
	v_fma_f64 v[83:84], v[89:90], v[83:84], v[87:88]
	s_waitcnt vmcnt(0)
	s_delay_alu instid0(VALU_DEP_1) | instskip(SKIP_1) | instid1(VALU_DEP_1)
	v_fma_f64 v[79:80], v[79:80], v[85:86], v[83:84]
	s_waitcnt lgkmcnt(0)
	v_fma_f64 v[79:80], v[81:82], v[91:92], v[79:80]
	s_delay_alu instid0(VALU_DEP_1)
	v_add_f64 v[77:78], v[77:78], -v[79:80]
	scratch_store_b64 off, v[77:78], off offset:96
	v_cmpx_lt_u32_e32 11, v0
	s_cbranch_execz .LBB99_203
; %bb.202:
	scratch_load_b64 v[77:78], off, off offset:88
	v_mov_b32_e32 v2, v1
	scratch_store_b64 off, v[1:2], off offset:88
	s_waitcnt vmcnt(0)
	ds_store_b64 v3, v[77:78]
.LBB99_203:
	s_or_b32 exec_lo, exec_lo, s0
	s_waitcnt lgkmcnt(0)
	s_waitcnt_vscnt null, 0x0
	s_barrier
	buffer_gl0_inv
	s_clause 0x4
	scratch_load_b128 v[77:80], off, off offset:88
	scratch_load_b128 v[81:84], off, off offset:104
	;; [unrolled: 1-line block ×5, first 2 shown]
	ds_load_b128 v[97:100], v1 offset:384
	ds_load_b128 v[101:104], v1 offset:400
	scratch_load_b128 v[105:108], off, off offset:168
	s_mov_b32 s0, exec_lo
	s_waitcnt vmcnt(5) lgkmcnt(1)
	v_fma_f64 v[79:80], v[79:80], v[97:98], 0
	s_waitcnt vmcnt(4)
	s_delay_alu instid0(VALU_DEP_1) | instskip(SKIP_1) | instid1(VALU_DEP_1)
	v_fma_f64 v[79:80], v[81:82], v[99:100], v[79:80]
	s_waitcnt lgkmcnt(0)
	v_fma_f64 v[83:84], v[83:84], v[101:102], v[79:80]
	scratch_load_b128 v[79:82], off, off offset:184
	s_waitcnt vmcnt(4)
	v_fma_f64 v[101:102], v[85:86], v[103:104], v[83:84]
	ds_load_b128 v[83:86], v1 offset:416
	ds_load_b128 v[97:100], v1 offset:432
	s_waitcnt lgkmcnt(1)
	v_fma_f64 v[83:84], v[87:88], v[83:84], v[101:102]
	scratch_load_b128 v[101:104], off, off offset:200
	s_waitcnt vmcnt(4)
	v_fma_f64 v[83:84], v[89:90], v[85:86], v[83:84]
	s_waitcnt lgkmcnt(0)
	s_delay_alu instid0(VALU_DEP_1)
	v_fma_f64 v[87:88], v[91:92], v[97:98], v[83:84]
	scratch_load_b128 v[83:86], off, off offset:216
	s_waitcnt vmcnt(4)
	v_fma_f64 v[97:98], v[93:94], v[99:100], v[87:88]
	ds_load_b128 v[87:90], v1 offset:448
	ds_load_b128 v[91:94], v1 offset:464
	s_waitcnt lgkmcnt(1)
	v_fma_f64 v[87:88], v[95:96], v[87:88], v[97:98]
	scratch_load_b128 v[95:98], off, off offset:232
	s_waitcnt vmcnt(4)
	v_fma_f64 v[87:88], v[105:106], v[89:90], v[87:88]
	s_waitcnt lgkmcnt(0)
	s_delay_alu instid0(VALU_DEP_1)
	;; [unrolled: 13-line block ×3, first 2 shown]
	v_fma_f64 v[91:92], v[103:104], v[105:106], v[91:92]
	scratch_load_b64 v[103:104], off, off offset:280
	s_waitcnt vmcnt(4)
	v_fma_f64 v[83:84], v[83:84], v[107:108], v[91:92]
	ds_load_b128 v[91:94], v1 offset:512
	ds_load_b128 v[99:102], v1 offset:528
	s_waitcnt lgkmcnt(1)
	v_fma_f64 v[83:84], v[85:86], v[91:92], v[83:84]
	s_waitcnt vmcnt(3)
	s_delay_alu instid0(VALU_DEP_1) | instskip(SKIP_1) | instid1(VALU_DEP_1)
	v_fma_f64 v[83:84], v[95:96], v[93:94], v[83:84]
	s_waitcnt lgkmcnt(0)
	v_fma_f64 v[83:84], v[97:98], v[99:100], v[83:84]
	s_waitcnt vmcnt(2)
	s_delay_alu instid0(VALU_DEP_1)
	v_fma_f64 v[87:88], v[87:88], v[101:102], v[83:84]
	ds_load_b128 v[83:86], v1 offset:544
	ds_load_b128 v[91:94], v1 offset:560
	s_waitcnt lgkmcnt(1)
	v_fma_f64 v[1:2], v[89:90], v[83:84], v[87:88]
	s_waitcnt vmcnt(1)
	s_delay_alu instid0(VALU_DEP_1) | instskip(SKIP_1) | instid1(VALU_DEP_1)
	v_fma_f64 v[1:2], v[79:80], v[85:86], v[1:2]
	s_waitcnt lgkmcnt(0)
	v_fma_f64 v[1:2], v[81:82], v[91:92], v[1:2]
	s_waitcnt vmcnt(0)
	s_delay_alu instid0(VALU_DEP_1) | instskip(NEXT) | instid1(VALU_DEP_1)
	v_fma_f64 v[1:2], v[103:104], v[93:94], v[1:2]
	v_add_f64 v[1:2], v[77:78], -v[1:2]
	scratch_store_b64 off, v[1:2], off offset:88
	v_cmpx_lt_u32_e32 10, v0
	s_cbranch_execz .LBB99_205
; %bb.204:
	scratch_load_b64 v[1:2], off, off offset:80
	v_mov_b32_e32 v77, 0
	s_delay_alu instid0(VALU_DEP_1)
	v_mov_b32_e32 v78, v77
	scratch_store_b64 off, v[77:78], off offset:80
	s_waitcnt vmcnt(0)
	ds_store_b64 v3, v[1:2]
.LBB99_205:
	s_or_b32 exec_lo, exec_lo, s0
	s_waitcnt lgkmcnt(0)
	s_waitcnt_vscnt null, 0x0
	s_barrier
	buffer_gl0_inv
	s_clause 0x4
	scratch_load_b128 v[77:80], off, off offset:80
	scratch_load_b128 v[81:84], off, off offset:96
	;; [unrolled: 1-line block ×5, first 2 shown]
	v_mov_b32_e32 v1, 0
	ds_load_2addr_b64 v[97:100], v1 offset0:47 offset1:48
	ds_load_2addr_b64 v[101:104], v1 offset0:49 offset1:50
	scratch_load_b128 v[105:108], off, off offset:160
	s_mov_b32 s0, exec_lo
	s_waitcnt vmcnt(5) lgkmcnt(1)
	v_fma_f64 v[79:80], v[79:80], v[97:98], 0
	s_waitcnt vmcnt(4)
	s_delay_alu instid0(VALU_DEP_1) | instskip(SKIP_1) | instid1(VALU_DEP_1)
	v_fma_f64 v[79:80], v[81:82], v[99:100], v[79:80]
	s_waitcnt lgkmcnt(0)
	v_fma_f64 v[83:84], v[83:84], v[101:102], v[79:80]
	scratch_load_b128 v[79:82], off, off offset:176
	s_waitcnt vmcnt(4)
	v_fma_f64 v[101:102], v[85:86], v[103:104], v[83:84]
	ds_load_2addr_b64 v[83:86], v1 offset0:51 offset1:52
	ds_load_2addr_b64 v[97:100], v1 offset0:53 offset1:54
	s_waitcnt lgkmcnt(1)
	v_fma_f64 v[83:84], v[87:88], v[83:84], v[101:102]
	scratch_load_b128 v[101:104], off, off offset:192
	s_waitcnt vmcnt(4)
	v_fma_f64 v[83:84], v[89:90], v[85:86], v[83:84]
	s_waitcnt lgkmcnt(0)
	s_delay_alu instid0(VALU_DEP_1)
	v_fma_f64 v[87:88], v[91:92], v[97:98], v[83:84]
	scratch_load_b128 v[83:86], off, off offset:208
	s_waitcnt vmcnt(4)
	v_fma_f64 v[97:98], v[93:94], v[99:100], v[87:88]
	ds_load_2addr_b64 v[87:90], v1 offset0:55 offset1:56
	ds_load_2addr_b64 v[91:94], v1 offset0:57 offset1:58
	s_waitcnt lgkmcnt(1)
	v_fma_f64 v[87:88], v[95:96], v[87:88], v[97:98]
	scratch_load_b128 v[95:98], off, off offset:224
	s_waitcnt vmcnt(4)
	v_fma_f64 v[87:88], v[105:106], v[89:90], v[87:88]
	s_waitcnt lgkmcnt(0)
	s_delay_alu instid0(VALU_DEP_1)
	;; [unrolled: 13-line block ×3, first 2 shown]
	v_fma_f64 v[99:100], v[103:104], v[105:106], v[91:92]
	scratch_load_b128 v[91:94], off, off offset:272
	s_waitcnt vmcnt(4)
	v_fma_f64 v[83:84], v[83:84], v[107:108], v[99:100]
	ds_load_2addr_b64 v[99:102], v1 offset0:63 offset1:64
	ds_load_2addr_b64 v[103:106], v1 offset0:65 offset1:66
	s_waitcnt lgkmcnt(1)
	v_fma_f64 v[83:84], v[85:86], v[99:100], v[83:84]
	s_waitcnt vmcnt(3)
	s_delay_alu instid0(VALU_DEP_1) | instskip(SKIP_1) | instid1(VALU_DEP_1)
	v_fma_f64 v[83:84], v[95:96], v[101:102], v[83:84]
	s_waitcnt lgkmcnt(0)
	v_fma_f64 v[83:84], v[97:98], v[103:104], v[83:84]
	s_waitcnt vmcnt(2)
	s_delay_alu instid0(VALU_DEP_1)
	v_fma_f64 v[87:88], v[87:88], v[105:106], v[83:84]
	ds_load_2addr_b64 v[83:86], v1 offset0:67 offset1:68
	ds_load_2addr_b64 v[95:98], v1 offset0:69 offset1:70
	s_waitcnt lgkmcnt(1)
	v_fma_f64 v[83:84], v[89:90], v[83:84], v[87:88]
	s_waitcnt vmcnt(1)
	s_delay_alu instid0(VALU_DEP_1) | instskip(SKIP_1) | instid1(VALU_DEP_1)
	v_fma_f64 v[79:80], v[79:80], v[85:86], v[83:84]
	s_waitcnt lgkmcnt(0)
	v_fma_f64 v[79:80], v[81:82], v[95:96], v[79:80]
	ds_load_b64 v[81:82], v1 offset:568
	s_waitcnt vmcnt(0)
	v_fma_f64 v[79:80], v[91:92], v[97:98], v[79:80]
	s_waitcnt lgkmcnt(0)
	s_delay_alu instid0(VALU_DEP_1) | instskip(NEXT) | instid1(VALU_DEP_1)
	v_fma_f64 v[79:80], v[93:94], v[81:82], v[79:80]
	v_add_f64 v[77:78], v[77:78], -v[79:80]
	scratch_store_b64 off, v[77:78], off offset:80
	v_cmpx_lt_u32_e32 9, v0
	s_cbranch_execz .LBB99_207
; %bb.206:
	scratch_load_b64 v[77:78], off, off offset:72
	v_mov_b32_e32 v2, v1
	scratch_store_b64 off, v[1:2], off offset:72
	s_waitcnt vmcnt(0)
	ds_store_b64 v3, v[77:78]
.LBB99_207:
	s_or_b32 exec_lo, exec_lo, s0
	s_waitcnt lgkmcnt(0)
	s_waitcnt_vscnt null, 0x0
	s_barrier
	buffer_gl0_inv
	s_clause 0x4
	scratch_load_b128 v[77:80], off, off offset:72
	scratch_load_b128 v[81:84], off, off offset:88
	;; [unrolled: 1-line block ×5, first 2 shown]
	ds_load_b128 v[97:100], v1 offset:368
	ds_load_b128 v[101:104], v1 offset:384
	scratch_load_b128 v[105:108], off, off offset:152
	s_mov_b32 s0, exec_lo
	s_waitcnt vmcnt(5) lgkmcnt(1)
	v_fma_f64 v[79:80], v[79:80], v[97:98], 0
	s_waitcnt vmcnt(4)
	s_delay_alu instid0(VALU_DEP_1) | instskip(SKIP_1) | instid1(VALU_DEP_1)
	v_fma_f64 v[79:80], v[81:82], v[99:100], v[79:80]
	s_waitcnt lgkmcnt(0)
	v_fma_f64 v[83:84], v[83:84], v[101:102], v[79:80]
	scratch_load_b128 v[79:82], off, off offset:168
	s_waitcnt vmcnt(4)
	v_fma_f64 v[101:102], v[85:86], v[103:104], v[83:84]
	ds_load_b128 v[83:86], v1 offset:400
	ds_load_b128 v[97:100], v1 offset:416
	s_waitcnt lgkmcnt(1)
	v_fma_f64 v[83:84], v[87:88], v[83:84], v[101:102]
	scratch_load_b128 v[101:104], off, off offset:184
	s_waitcnt vmcnt(4)
	v_fma_f64 v[83:84], v[89:90], v[85:86], v[83:84]
	s_waitcnt lgkmcnt(0)
	s_delay_alu instid0(VALU_DEP_1)
	v_fma_f64 v[87:88], v[91:92], v[97:98], v[83:84]
	scratch_load_b128 v[83:86], off, off offset:200
	s_waitcnt vmcnt(4)
	v_fma_f64 v[97:98], v[93:94], v[99:100], v[87:88]
	ds_load_b128 v[87:90], v1 offset:432
	ds_load_b128 v[91:94], v1 offset:448
	s_waitcnt lgkmcnt(1)
	v_fma_f64 v[87:88], v[95:96], v[87:88], v[97:98]
	scratch_load_b128 v[95:98], off, off offset:216
	s_waitcnt vmcnt(4)
	v_fma_f64 v[87:88], v[105:106], v[89:90], v[87:88]
	s_waitcnt lgkmcnt(0)
	s_delay_alu instid0(VALU_DEP_1)
	;; [unrolled: 13-line block ×3, first 2 shown]
	v_fma_f64 v[99:100], v[103:104], v[105:106], v[91:92]
	scratch_load_b128 v[91:94], off, off offset:264
	s_waitcnt vmcnt(4)
	v_fma_f64 v[83:84], v[83:84], v[107:108], v[99:100]
	ds_load_b128 v[99:102], v1 offset:496
	ds_load_b128 v[103:106], v1 offset:512
	s_waitcnt lgkmcnt(1)
	v_fma_f64 v[83:84], v[85:86], v[99:100], v[83:84]
	scratch_load_b64 v[99:100], off, off offset:280
	s_waitcnt vmcnt(4)
	v_fma_f64 v[83:84], v[95:96], v[101:102], v[83:84]
	s_waitcnt lgkmcnt(0)
	s_delay_alu instid0(VALU_DEP_1) | instskip(SKIP_1) | instid1(VALU_DEP_1)
	v_fma_f64 v[83:84], v[97:98], v[103:104], v[83:84]
	s_waitcnt vmcnt(3)
	v_fma_f64 v[87:88], v[87:88], v[105:106], v[83:84]
	ds_load_b128 v[83:86], v1 offset:528
	ds_load_b128 v[95:98], v1 offset:544
	s_waitcnt lgkmcnt(1)
	v_fma_f64 v[83:84], v[89:90], v[83:84], v[87:88]
	s_waitcnt vmcnt(2)
	s_delay_alu instid0(VALU_DEP_1) | instskip(SKIP_1) | instid1(VALU_DEP_1)
	v_fma_f64 v[79:80], v[79:80], v[85:86], v[83:84]
	s_waitcnt lgkmcnt(0)
	v_fma_f64 v[79:80], v[81:82], v[95:96], v[79:80]
	s_waitcnt vmcnt(1)
	s_delay_alu instid0(VALU_DEP_1) | instskip(SKIP_4) | instid1(VALU_DEP_1)
	v_fma_f64 v[83:84], v[91:92], v[97:98], v[79:80]
	ds_load_b128 v[79:82], v1 offset:560
	s_waitcnt lgkmcnt(0)
	v_fma_f64 v[1:2], v[93:94], v[79:80], v[83:84]
	s_waitcnt vmcnt(0)
	v_fma_f64 v[1:2], v[99:100], v[81:82], v[1:2]
	s_delay_alu instid0(VALU_DEP_1)
	v_add_f64 v[1:2], v[77:78], -v[1:2]
	scratch_store_b64 off, v[1:2], off offset:72
	v_cmpx_lt_u32_e32 8, v0
	s_cbranch_execz .LBB99_209
; %bb.208:
	scratch_load_b64 v[1:2], off, off offset:64
	v_mov_b32_e32 v77, 0
	s_delay_alu instid0(VALU_DEP_1)
	v_mov_b32_e32 v78, v77
	scratch_store_b64 off, v[77:78], off offset:64
	s_waitcnt vmcnt(0)
	ds_store_b64 v3, v[1:2]
.LBB99_209:
	s_or_b32 exec_lo, exec_lo, s0
	s_waitcnt lgkmcnt(0)
	s_waitcnt_vscnt null, 0x0
	s_barrier
	buffer_gl0_inv
	s_clause 0x4
	scratch_load_b128 v[77:80], off, off offset:64
	scratch_load_b128 v[81:84], off, off offset:80
	;; [unrolled: 1-line block ×5, first 2 shown]
	v_mov_b32_e32 v1, 0
	ds_load_2addr_b64 v[97:100], v1 offset0:45 offset1:46
	ds_load_2addr_b64 v[101:104], v1 offset0:47 offset1:48
	scratch_load_b128 v[105:108], off, off offset:144
	s_mov_b32 s0, exec_lo
	s_waitcnt vmcnt(5) lgkmcnt(1)
	v_fma_f64 v[79:80], v[79:80], v[97:98], 0
	s_waitcnt vmcnt(4)
	s_delay_alu instid0(VALU_DEP_1) | instskip(SKIP_1) | instid1(VALU_DEP_1)
	v_fma_f64 v[79:80], v[81:82], v[99:100], v[79:80]
	s_waitcnt lgkmcnt(0)
	v_fma_f64 v[83:84], v[83:84], v[101:102], v[79:80]
	scratch_load_b128 v[79:82], off, off offset:160
	s_waitcnt vmcnt(4)
	v_fma_f64 v[101:102], v[85:86], v[103:104], v[83:84]
	ds_load_2addr_b64 v[83:86], v1 offset0:49 offset1:50
	ds_load_2addr_b64 v[97:100], v1 offset0:51 offset1:52
	s_waitcnt lgkmcnt(1)
	v_fma_f64 v[83:84], v[87:88], v[83:84], v[101:102]
	scratch_load_b128 v[101:104], off, off offset:176
	s_waitcnt vmcnt(4)
	v_fma_f64 v[83:84], v[89:90], v[85:86], v[83:84]
	s_waitcnt lgkmcnt(0)
	s_delay_alu instid0(VALU_DEP_1)
	v_fma_f64 v[87:88], v[91:92], v[97:98], v[83:84]
	scratch_load_b128 v[83:86], off, off offset:192
	s_waitcnt vmcnt(4)
	v_fma_f64 v[97:98], v[93:94], v[99:100], v[87:88]
	ds_load_2addr_b64 v[87:90], v1 offset0:53 offset1:54
	ds_load_2addr_b64 v[91:94], v1 offset0:55 offset1:56
	s_waitcnt lgkmcnt(1)
	v_fma_f64 v[87:88], v[95:96], v[87:88], v[97:98]
	scratch_load_b128 v[95:98], off, off offset:208
	s_waitcnt vmcnt(4)
	v_fma_f64 v[87:88], v[105:106], v[89:90], v[87:88]
	s_waitcnt lgkmcnt(0)
	s_delay_alu instid0(VALU_DEP_1)
	;; [unrolled: 13-line block ×3, first 2 shown]
	v_fma_f64 v[99:100], v[103:104], v[105:106], v[91:92]
	scratch_load_b128 v[91:94], off, off offset:256
	s_waitcnt vmcnt(4)
	v_fma_f64 v[83:84], v[83:84], v[107:108], v[99:100]
	ds_load_2addr_b64 v[99:102], v1 offset0:61 offset1:62
	ds_load_2addr_b64 v[103:106], v1 offset0:63 offset1:64
	s_waitcnt lgkmcnt(1)
	v_fma_f64 v[99:100], v[85:86], v[99:100], v[83:84]
	scratch_load_b128 v[83:86], off, off offset:272
	s_waitcnt vmcnt(4)
	v_fma_f64 v[95:96], v[95:96], v[101:102], v[99:100]
	s_waitcnt lgkmcnt(0)
	s_delay_alu instid0(VALU_DEP_1) | instskip(SKIP_1) | instid1(VALU_DEP_1)
	v_fma_f64 v[95:96], v[97:98], v[103:104], v[95:96]
	s_waitcnt vmcnt(3)
	v_fma_f64 v[87:88], v[87:88], v[105:106], v[95:96]
	ds_load_2addr_b64 v[95:98], v1 offset0:65 offset1:66
	ds_load_2addr_b64 v[99:102], v1 offset0:67 offset1:68
	s_waitcnt lgkmcnt(1)
	v_fma_f64 v[87:88], v[89:90], v[95:96], v[87:88]
	s_waitcnt vmcnt(2)
	s_delay_alu instid0(VALU_DEP_1) | instskip(SKIP_1) | instid1(VALU_DEP_1)
	v_fma_f64 v[79:80], v[79:80], v[97:98], v[87:88]
	s_waitcnt lgkmcnt(0)
	v_fma_f64 v[79:80], v[81:82], v[99:100], v[79:80]
	s_waitcnt vmcnt(1)
	s_delay_alu instid0(VALU_DEP_1)
	v_fma_f64 v[87:88], v[91:92], v[101:102], v[79:80]
	ds_load_2addr_b64 v[79:82], v1 offset0:69 offset1:70
	ds_load_b64 v[89:90], v1 offset:568
	s_waitcnt lgkmcnt(1)
	v_fma_f64 v[79:80], v[93:94], v[79:80], v[87:88]
	s_waitcnt vmcnt(0)
	s_delay_alu instid0(VALU_DEP_1) | instskip(SKIP_1) | instid1(VALU_DEP_1)
	v_fma_f64 v[79:80], v[83:84], v[81:82], v[79:80]
	s_waitcnt lgkmcnt(0)
	v_fma_f64 v[79:80], v[85:86], v[89:90], v[79:80]
	s_delay_alu instid0(VALU_DEP_1)
	v_add_f64 v[77:78], v[77:78], -v[79:80]
	scratch_store_b64 off, v[77:78], off offset:64
	v_cmpx_lt_u32_e32 7, v0
	s_cbranch_execz .LBB99_211
; %bb.210:
	scratch_load_b64 v[77:78], off, off offset:56
	v_mov_b32_e32 v2, v1
	scratch_store_b64 off, v[1:2], off offset:56
	s_waitcnt vmcnt(0)
	ds_store_b64 v3, v[77:78]
.LBB99_211:
	s_or_b32 exec_lo, exec_lo, s0
	s_waitcnt lgkmcnt(0)
	s_waitcnt_vscnt null, 0x0
	s_barrier
	buffer_gl0_inv
	s_clause 0x4
	scratch_load_b128 v[77:80], off, off offset:56
	scratch_load_b128 v[81:84], off, off offset:72
	;; [unrolled: 1-line block ×5, first 2 shown]
	ds_load_b128 v[97:100], v1 offset:352
	ds_load_b128 v[101:104], v1 offset:368
	scratch_load_b128 v[105:108], off, off offset:136
	s_mov_b32 s0, exec_lo
	s_waitcnt vmcnt(5) lgkmcnt(1)
	v_fma_f64 v[79:80], v[79:80], v[97:98], 0
	s_waitcnt vmcnt(4)
	s_delay_alu instid0(VALU_DEP_1) | instskip(SKIP_1) | instid1(VALU_DEP_1)
	v_fma_f64 v[79:80], v[81:82], v[99:100], v[79:80]
	s_waitcnt lgkmcnt(0)
	v_fma_f64 v[83:84], v[83:84], v[101:102], v[79:80]
	scratch_load_b128 v[79:82], off, off offset:152
	s_waitcnt vmcnt(4)
	v_fma_f64 v[101:102], v[85:86], v[103:104], v[83:84]
	ds_load_b128 v[83:86], v1 offset:384
	ds_load_b128 v[97:100], v1 offset:400
	s_waitcnt lgkmcnt(1)
	v_fma_f64 v[83:84], v[87:88], v[83:84], v[101:102]
	scratch_load_b128 v[101:104], off, off offset:168
	s_waitcnt vmcnt(4)
	v_fma_f64 v[83:84], v[89:90], v[85:86], v[83:84]
	s_waitcnt lgkmcnt(0)
	s_delay_alu instid0(VALU_DEP_1)
	v_fma_f64 v[87:88], v[91:92], v[97:98], v[83:84]
	scratch_load_b128 v[83:86], off, off offset:184
	s_waitcnt vmcnt(4)
	v_fma_f64 v[97:98], v[93:94], v[99:100], v[87:88]
	ds_load_b128 v[87:90], v1 offset:416
	ds_load_b128 v[91:94], v1 offset:432
	s_waitcnt lgkmcnt(1)
	v_fma_f64 v[87:88], v[95:96], v[87:88], v[97:98]
	scratch_load_b128 v[95:98], off, off offset:200
	s_waitcnt vmcnt(4)
	v_fma_f64 v[87:88], v[105:106], v[89:90], v[87:88]
	s_waitcnt lgkmcnt(0)
	s_delay_alu instid0(VALU_DEP_1)
	;; [unrolled: 13-line block ×4, first 2 shown]
	v_fma_f64 v[95:96], v[97:98], v[103:104], v[95:96]
	scratch_load_b64 v[103:104], off, off offset:280
	s_waitcnt vmcnt(4)
	v_fma_f64 v[87:88], v[87:88], v[105:106], v[95:96]
	ds_load_b128 v[95:98], v1 offset:512
	ds_load_b128 v[99:102], v1 offset:528
	s_waitcnt lgkmcnt(1)
	v_fma_f64 v[87:88], v[89:90], v[95:96], v[87:88]
	s_waitcnt vmcnt(3)
	s_delay_alu instid0(VALU_DEP_1) | instskip(SKIP_1) | instid1(VALU_DEP_1)
	v_fma_f64 v[79:80], v[79:80], v[97:98], v[87:88]
	s_waitcnt lgkmcnt(0)
	v_fma_f64 v[79:80], v[81:82], v[99:100], v[79:80]
	s_waitcnt vmcnt(2)
	s_delay_alu instid0(VALU_DEP_1)
	v_fma_f64 v[91:92], v[91:92], v[101:102], v[79:80]
	ds_load_b128 v[79:82], v1 offset:544
	ds_load_b128 v[87:90], v1 offset:560
	s_waitcnt lgkmcnt(1)
	v_fma_f64 v[1:2], v[93:94], v[79:80], v[91:92]
	s_waitcnt vmcnt(1)
	s_delay_alu instid0(VALU_DEP_1) | instskip(SKIP_1) | instid1(VALU_DEP_1)
	v_fma_f64 v[1:2], v[83:84], v[81:82], v[1:2]
	s_waitcnt lgkmcnt(0)
	v_fma_f64 v[1:2], v[85:86], v[87:88], v[1:2]
	s_waitcnt vmcnt(0)
	s_delay_alu instid0(VALU_DEP_1) | instskip(NEXT) | instid1(VALU_DEP_1)
	v_fma_f64 v[1:2], v[103:104], v[89:90], v[1:2]
	v_add_f64 v[1:2], v[77:78], -v[1:2]
	scratch_store_b64 off, v[1:2], off offset:56
	v_cmpx_lt_u32_e32 6, v0
	s_cbranch_execz .LBB99_213
; %bb.212:
	scratch_load_b64 v[1:2], off, off offset:48
	v_mov_b32_e32 v77, 0
	s_delay_alu instid0(VALU_DEP_1)
	v_mov_b32_e32 v78, v77
	scratch_store_b64 off, v[77:78], off offset:48
	s_waitcnt vmcnt(0)
	ds_store_b64 v3, v[1:2]
.LBB99_213:
	s_or_b32 exec_lo, exec_lo, s0
	s_waitcnt lgkmcnt(0)
	s_waitcnt_vscnt null, 0x0
	s_barrier
	buffer_gl0_inv
	s_clause 0x4
	scratch_load_b128 v[77:80], off, off offset:48
	scratch_load_b128 v[81:84], off, off offset:64
	;; [unrolled: 1-line block ×5, first 2 shown]
	v_mov_b32_e32 v1, 0
	ds_load_2addr_b64 v[97:100], v1 offset0:43 offset1:44
	ds_load_2addr_b64 v[101:104], v1 offset0:45 offset1:46
	scratch_load_b128 v[105:108], off, off offset:128
	s_mov_b32 s0, exec_lo
	s_waitcnt vmcnt(5) lgkmcnt(1)
	v_fma_f64 v[79:80], v[79:80], v[97:98], 0
	s_waitcnt vmcnt(4)
	s_delay_alu instid0(VALU_DEP_1) | instskip(SKIP_1) | instid1(VALU_DEP_1)
	v_fma_f64 v[79:80], v[81:82], v[99:100], v[79:80]
	s_waitcnt lgkmcnt(0)
	v_fma_f64 v[83:84], v[83:84], v[101:102], v[79:80]
	scratch_load_b128 v[79:82], off, off offset:144
	s_waitcnt vmcnt(4)
	v_fma_f64 v[101:102], v[85:86], v[103:104], v[83:84]
	ds_load_2addr_b64 v[83:86], v1 offset0:47 offset1:48
	ds_load_2addr_b64 v[97:100], v1 offset0:49 offset1:50
	s_waitcnt lgkmcnt(1)
	v_fma_f64 v[83:84], v[87:88], v[83:84], v[101:102]
	scratch_load_b128 v[101:104], off, off offset:160
	s_waitcnt vmcnt(4)
	v_fma_f64 v[83:84], v[89:90], v[85:86], v[83:84]
	s_waitcnt lgkmcnt(0)
	s_delay_alu instid0(VALU_DEP_1)
	v_fma_f64 v[87:88], v[91:92], v[97:98], v[83:84]
	scratch_load_b128 v[83:86], off, off offset:176
	s_waitcnt vmcnt(4)
	v_fma_f64 v[97:98], v[93:94], v[99:100], v[87:88]
	ds_load_2addr_b64 v[87:90], v1 offset0:51 offset1:52
	ds_load_2addr_b64 v[91:94], v1 offset0:53 offset1:54
	s_waitcnt lgkmcnt(1)
	v_fma_f64 v[87:88], v[95:96], v[87:88], v[97:98]
	scratch_load_b128 v[95:98], off, off offset:192
	s_waitcnt vmcnt(4)
	v_fma_f64 v[87:88], v[105:106], v[89:90], v[87:88]
	s_waitcnt lgkmcnt(0)
	s_delay_alu instid0(VALU_DEP_1)
	;; [unrolled: 13-line block ×4, first 2 shown]
	v_fma_f64 v[99:100], v[97:98], v[103:104], v[95:96]
	scratch_load_b128 v[95:98], off, off offset:272
	s_waitcnt vmcnt(4)
	v_fma_f64 v[87:88], v[87:88], v[105:106], v[99:100]
	ds_load_2addr_b64 v[99:102], v1 offset0:63 offset1:64
	ds_load_2addr_b64 v[103:106], v1 offset0:65 offset1:66
	s_waitcnt lgkmcnt(1)
	v_fma_f64 v[87:88], v[89:90], v[99:100], v[87:88]
	s_waitcnt vmcnt(3)
	s_delay_alu instid0(VALU_DEP_1) | instskip(SKIP_1) | instid1(VALU_DEP_1)
	v_fma_f64 v[79:80], v[79:80], v[101:102], v[87:88]
	s_waitcnt lgkmcnt(0)
	v_fma_f64 v[79:80], v[81:82], v[103:104], v[79:80]
	s_waitcnt vmcnt(2)
	s_delay_alu instid0(VALU_DEP_1)
	v_fma_f64 v[91:92], v[91:92], v[105:106], v[79:80]
	ds_load_2addr_b64 v[79:82], v1 offset0:67 offset1:68
	ds_load_2addr_b64 v[87:90], v1 offset0:69 offset1:70
	s_waitcnt lgkmcnt(1)
	v_fma_f64 v[79:80], v[93:94], v[79:80], v[91:92]
	s_waitcnt vmcnt(1)
	s_delay_alu instid0(VALU_DEP_1) | instskip(SKIP_4) | instid1(VALU_DEP_1)
	v_fma_f64 v[79:80], v[83:84], v[81:82], v[79:80]
	ds_load_b64 v[81:82], v1 offset:568
	s_waitcnt lgkmcnt(1)
	v_fma_f64 v[79:80], v[85:86], v[87:88], v[79:80]
	s_waitcnt vmcnt(0)
	v_fma_f64 v[79:80], v[95:96], v[89:90], v[79:80]
	s_waitcnt lgkmcnt(0)
	s_delay_alu instid0(VALU_DEP_1) | instskip(NEXT) | instid1(VALU_DEP_1)
	v_fma_f64 v[79:80], v[97:98], v[81:82], v[79:80]
	v_add_f64 v[77:78], v[77:78], -v[79:80]
	scratch_store_b64 off, v[77:78], off offset:48
	v_cmpx_lt_u32_e32 5, v0
	s_cbranch_execz .LBB99_215
; %bb.214:
	scratch_load_b64 v[77:78], off, off offset:40
	v_mov_b32_e32 v2, v1
	scratch_store_b64 off, v[1:2], off offset:40
	s_waitcnt vmcnt(0)
	ds_store_b64 v3, v[77:78]
.LBB99_215:
	s_or_b32 exec_lo, exec_lo, s0
	s_waitcnt lgkmcnt(0)
	s_waitcnt_vscnt null, 0x0
	s_barrier
	buffer_gl0_inv
	s_clause 0x4
	scratch_load_b128 v[77:80], off, off offset:40
	scratch_load_b128 v[81:84], off, off offset:56
	;; [unrolled: 1-line block ×5, first 2 shown]
	ds_load_b128 v[97:100], v1 offset:336
	ds_load_b128 v[101:104], v1 offset:352
	scratch_load_b128 v[105:108], off, off offset:120
	s_mov_b32 s0, exec_lo
	s_waitcnt vmcnt(5) lgkmcnt(1)
	v_fma_f64 v[79:80], v[79:80], v[97:98], 0
	s_waitcnt vmcnt(4)
	s_delay_alu instid0(VALU_DEP_1) | instskip(SKIP_1) | instid1(VALU_DEP_1)
	v_fma_f64 v[79:80], v[81:82], v[99:100], v[79:80]
	s_waitcnt lgkmcnt(0)
	v_fma_f64 v[83:84], v[83:84], v[101:102], v[79:80]
	scratch_load_b128 v[79:82], off, off offset:136
	s_waitcnt vmcnt(4)
	v_fma_f64 v[101:102], v[85:86], v[103:104], v[83:84]
	ds_load_b128 v[83:86], v1 offset:368
	ds_load_b128 v[97:100], v1 offset:384
	s_waitcnt lgkmcnt(1)
	v_fma_f64 v[83:84], v[87:88], v[83:84], v[101:102]
	scratch_load_b128 v[101:104], off, off offset:152
	s_waitcnt vmcnt(4)
	v_fma_f64 v[83:84], v[89:90], v[85:86], v[83:84]
	s_waitcnt lgkmcnt(0)
	s_delay_alu instid0(VALU_DEP_1)
	v_fma_f64 v[87:88], v[91:92], v[97:98], v[83:84]
	scratch_load_b128 v[83:86], off, off offset:168
	s_waitcnt vmcnt(4)
	v_fma_f64 v[97:98], v[93:94], v[99:100], v[87:88]
	ds_load_b128 v[87:90], v1 offset:400
	ds_load_b128 v[91:94], v1 offset:416
	s_waitcnt lgkmcnt(1)
	v_fma_f64 v[87:88], v[95:96], v[87:88], v[97:98]
	scratch_load_b128 v[95:98], off, off offset:184
	s_waitcnt vmcnt(4)
	v_fma_f64 v[87:88], v[105:106], v[89:90], v[87:88]
	s_waitcnt lgkmcnt(0)
	s_delay_alu instid0(VALU_DEP_1)
	;; [unrolled: 13-line block ×4, first 2 shown]
	v_fma_f64 v[99:100], v[97:98], v[103:104], v[95:96]
	scratch_load_b128 v[95:98], off, off offset:264
	s_waitcnt vmcnt(4)
	v_fma_f64 v[87:88], v[87:88], v[105:106], v[99:100]
	ds_load_b128 v[99:102], v1 offset:496
	ds_load_b128 v[103:106], v1 offset:512
	s_waitcnt lgkmcnt(1)
	v_fma_f64 v[87:88], v[89:90], v[99:100], v[87:88]
	scratch_load_b64 v[99:100], off, off offset:280
	s_waitcnt vmcnt(4)
	v_fma_f64 v[79:80], v[79:80], v[101:102], v[87:88]
	s_waitcnt lgkmcnt(0)
	s_delay_alu instid0(VALU_DEP_1) | instskip(SKIP_1) | instid1(VALU_DEP_1)
	v_fma_f64 v[79:80], v[81:82], v[103:104], v[79:80]
	s_waitcnt vmcnt(3)
	v_fma_f64 v[91:92], v[91:92], v[105:106], v[79:80]
	ds_load_b128 v[79:82], v1 offset:528
	ds_load_b128 v[87:90], v1 offset:544
	s_waitcnt lgkmcnt(1)
	v_fma_f64 v[79:80], v[93:94], v[79:80], v[91:92]
	s_waitcnt vmcnt(2)
	s_delay_alu instid0(VALU_DEP_1) | instskip(SKIP_1) | instid1(VALU_DEP_1)
	v_fma_f64 v[79:80], v[83:84], v[81:82], v[79:80]
	s_waitcnt lgkmcnt(0)
	v_fma_f64 v[79:80], v[85:86], v[87:88], v[79:80]
	s_waitcnt vmcnt(1)
	s_delay_alu instid0(VALU_DEP_1) | instskip(SKIP_4) | instid1(VALU_DEP_1)
	v_fma_f64 v[83:84], v[95:96], v[89:90], v[79:80]
	ds_load_b128 v[79:82], v1 offset:560
	s_waitcnt lgkmcnt(0)
	v_fma_f64 v[1:2], v[97:98], v[79:80], v[83:84]
	s_waitcnt vmcnt(0)
	v_fma_f64 v[1:2], v[99:100], v[81:82], v[1:2]
	s_delay_alu instid0(VALU_DEP_1)
	v_add_f64 v[1:2], v[77:78], -v[1:2]
	scratch_store_b64 off, v[1:2], off offset:40
	v_cmpx_lt_u32_e32 4, v0
	s_cbranch_execz .LBB99_217
; %bb.216:
	scratch_load_b64 v[1:2], off, off offset:32
	v_mov_b32_e32 v77, 0
	s_delay_alu instid0(VALU_DEP_1)
	v_mov_b32_e32 v78, v77
	scratch_store_b64 off, v[77:78], off offset:32
	s_waitcnt vmcnt(0)
	ds_store_b64 v3, v[1:2]
.LBB99_217:
	s_or_b32 exec_lo, exec_lo, s0
	s_waitcnt lgkmcnt(0)
	s_waitcnt_vscnt null, 0x0
	s_barrier
	buffer_gl0_inv
	s_clause 0x4
	scratch_load_b128 v[77:80], off, off offset:32
	scratch_load_b128 v[81:84], off, off offset:48
	scratch_load_b128 v[85:88], off, off offset:64
	scratch_load_b128 v[89:92], off, off offset:80
	scratch_load_b128 v[93:96], off, off offset:96
	v_mov_b32_e32 v1, 0
	ds_load_2addr_b64 v[97:100], v1 offset0:41 offset1:42
	ds_load_2addr_b64 v[101:104], v1 offset0:43 offset1:44
	scratch_load_b128 v[105:108], off, off offset:112
	s_mov_b32 s0, exec_lo
	s_waitcnt vmcnt(5) lgkmcnt(1)
	v_fma_f64 v[79:80], v[79:80], v[97:98], 0
	s_waitcnt vmcnt(4)
	s_delay_alu instid0(VALU_DEP_1) | instskip(SKIP_1) | instid1(VALU_DEP_1)
	v_fma_f64 v[79:80], v[81:82], v[99:100], v[79:80]
	s_waitcnt lgkmcnt(0)
	v_fma_f64 v[83:84], v[83:84], v[101:102], v[79:80]
	scratch_load_b128 v[79:82], off, off offset:128
	s_waitcnt vmcnt(4)
	v_fma_f64 v[101:102], v[85:86], v[103:104], v[83:84]
	ds_load_2addr_b64 v[83:86], v1 offset0:45 offset1:46
	ds_load_2addr_b64 v[97:100], v1 offset0:47 offset1:48
	s_waitcnt lgkmcnt(1)
	v_fma_f64 v[83:84], v[87:88], v[83:84], v[101:102]
	scratch_load_b128 v[101:104], off, off offset:144
	s_waitcnt vmcnt(4)
	v_fma_f64 v[83:84], v[89:90], v[85:86], v[83:84]
	s_waitcnt lgkmcnt(0)
	s_delay_alu instid0(VALU_DEP_1)
	v_fma_f64 v[87:88], v[91:92], v[97:98], v[83:84]
	scratch_load_b128 v[83:86], off, off offset:160
	s_waitcnt vmcnt(4)
	v_fma_f64 v[97:98], v[93:94], v[99:100], v[87:88]
	ds_load_2addr_b64 v[87:90], v1 offset0:49 offset1:50
	ds_load_2addr_b64 v[91:94], v1 offset0:51 offset1:52
	s_waitcnt lgkmcnt(1)
	v_fma_f64 v[87:88], v[95:96], v[87:88], v[97:98]
	scratch_load_b128 v[95:98], off, off offset:176
	s_waitcnt vmcnt(4)
	v_fma_f64 v[87:88], v[105:106], v[89:90], v[87:88]
	s_waitcnt lgkmcnt(0)
	s_delay_alu instid0(VALU_DEP_1)
	v_fma_f64 v[91:92], v[107:108], v[91:92], v[87:88]
	scratch_load_b128 v[87:90], off, off offset:192
	s_waitcnt vmcnt(4)
	v_fma_f64 v[79:80], v[79:80], v[93:94], v[91:92]
	ds_load_2addr_b64 v[91:94], v1 offset0:53 offset1:54
	ds_load_2addr_b64 v[105:108], v1 offset0:55 offset1:56
	s_waitcnt lgkmcnt(1)
	v_fma_f64 v[91:92], v[81:82], v[91:92], v[79:80]
	scratch_load_b128 v[79:82], off, off offset:208
	s_waitcnt vmcnt(4)
	v_fma_f64 v[91:92], v[101:102], v[93:94], v[91:92]
	s_waitcnt lgkmcnt(0)
	s_delay_alu instid0(VALU_DEP_1)
	v_fma_f64 v[99:100], v[103:104], v[105:106], v[91:92]
	scratch_load_b128 v[91:94], off, off offset:224
	s_waitcnt vmcnt(4)
	v_fma_f64 v[83:84], v[83:84], v[107:108], v[99:100]
	ds_load_2addr_b64 v[99:102], v1 offset0:57 offset1:58
	ds_load_2addr_b64 v[103:106], v1 offset0:59 offset1:60
	s_waitcnt lgkmcnt(1)
	v_fma_f64 v[99:100], v[85:86], v[99:100], v[83:84]
	scratch_load_b128 v[83:86], off, off offset:240
	s_waitcnt vmcnt(4)
	v_fma_f64 v[95:96], v[95:96], v[101:102], v[99:100]
	s_waitcnt lgkmcnt(0)
	s_delay_alu instid0(VALU_DEP_1)
	v_fma_f64 v[99:100], v[97:98], v[103:104], v[95:96]
	scratch_load_b128 v[95:98], off, off offset:256
	s_waitcnt vmcnt(4)
	v_fma_f64 v[87:88], v[87:88], v[105:106], v[99:100]
	ds_load_2addr_b64 v[99:102], v1 offset0:61 offset1:62
	ds_load_2addr_b64 v[103:106], v1 offset0:63 offset1:64
	s_waitcnt lgkmcnt(1)
	v_fma_f64 v[99:100], v[89:90], v[99:100], v[87:88]
	scratch_load_b128 v[87:90], off, off offset:272
	s_waitcnt vmcnt(4)
	v_fma_f64 v[79:80], v[79:80], v[101:102], v[99:100]
	s_waitcnt lgkmcnt(0)
	s_delay_alu instid0(VALU_DEP_1) | instskip(SKIP_1) | instid1(VALU_DEP_1)
	v_fma_f64 v[79:80], v[81:82], v[103:104], v[79:80]
	s_waitcnt vmcnt(3)
	v_fma_f64 v[91:92], v[91:92], v[105:106], v[79:80]
	ds_load_2addr_b64 v[79:82], v1 offset0:65 offset1:66
	ds_load_2addr_b64 v[99:102], v1 offset0:67 offset1:68
	s_waitcnt lgkmcnt(1)
	v_fma_f64 v[79:80], v[93:94], v[79:80], v[91:92]
	s_waitcnt vmcnt(2)
	s_delay_alu instid0(VALU_DEP_1) | instskip(SKIP_1) | instid1(VALU_DEP_1)
	v_fma_f64 v[79:80], v[83:84], v[81:82], v[79:80]
	s_waitcnt lgkmcnt(0)
	v_fma_f64 v[79:80], v[85:86], v[99:100], v[79:80]
	s_waitcnt vmcnt(1)
	s_delay_alu instid0(VALU_DEP_1)
	v_fma_f64 v[83:84], v[95:96], v[101:102], v[79:80]
	ds_load_2addr_b64 v[79:82], v1 offset0:69 offset1:70
	ds_load_b64 v[85:86], v1 offset:568
	s_waitcnt lgkmcnt(1)
	v_fma_f64 v[79:80], v[97:98], v[79:80], v[83:84]
	s_waitcnt vmcnt(0)
	s_delay_alu instid0(VALU_DEP_1) | instskip(SKIP_1) | instid1(VALU_DEP_1)
	v_fma_f64 v[79:80], v[87:88], v[81:82], v[79:80]
	s_waitcnt lgkmcnt(0)
	v_fma_f64 v[79:80], v[89:90], v[85:86], v[79:80]
	s_delay_alu instid0(VALU_DEP_1)
	v_add_f64 v[77:78], v[77:78], -v[79:80]
	scratch_store_b64 off, v[77:78], off offset:32
	v_cmpx_lt_u32_e32 3, v0
	s_cbranch_execz .LBB99_219
; %bb.218:
	scratch_load_b64 v[77:78], off, off offset:24
	v_mov_b32_e32 v2, v1
	scratch_store_b64 off, v[1:2], off offset:24
	s_waitcnt vmcnt(0)
	ds_store_b64 v3, v[77:78]
.LBB99_219:
	s_or_b32 exec_lo, exec_lo, s0
	s_waitcnt lgkmcnt(0)
	s_waitcnt_vscnt null, 0x0
	s_barrier
	buffer_gl0_inv
	s_clause 0x4
	scratch_load_b128 v[77:80], off, off offset:24
	scratch_load_b128 v[81:84], off, off offset:40
	;; [unrolled: 1-line block ×5, first 2 shown]
	ds_load_b128 v[97:100], v1 offset:320
	ds_load_b128 v[101:104], v1 offset:336
	scratch_load_b128 v[105:108], off, off offset:104
	s_mov_b32 s0, exec_lo
	s_waitcnt vmcnt(5) lgkmcnt(1)
	v_fma_f64 v[79:80], v[79:80], v[97:98], 0
	s_waitcnt vmcnt(4)
	s_delay_alu instid0(VALU_DEP_1) | instskip(SKIP_1) | instid1(VALU_DEP_1)
	v_fma_f64 v[79:80], v[81:82], v[99:100], v[79:80]
	s_waitcnt lgkmcnt(0)
	v_fma_f64 v[83:84], v[83:84], v[101:102], v[79:80]
	scratch_load_b128 v[79:82], off, off offset:120
	s_waitcnt vmcnt(4)
	v_fma_f64 v[101:102], v[85:86], v[103:104], v[83:84]
	ds_load_b128 v[83:86], v1 offset:352
	ds_load_b128 v[97:100], v1 offset:368
	s_waitcnt lgkmcnt(1)
	v_fma_f64 v[83:84], v[87:88], v[83:84], v[101:102]
	scratch_load_b128 v[101:104], off, off offset:136
	s_waitcnt vmcnt(4)
	v_fma_f64 v[83:84], v[89:90], v[85:86], v[83:84]
	s_waitcnt lgkmcnt(0)
	s_delay_alu instid0(VALU_DEP_1)
	v_fma_f64 v[87:88], v[91:92], v[97:98], v[83:84]
	scratch_load_b128 v[83:86], off, off offset:152
	s_waitcnt vmcnt(4)
	v_fma_f64 v[97:98], v[93:94], v[99:100], v[87:88]
	ds_load_b128 v[87:90], v1 offset:384
	ds_load_b128 v[91:94], v1 offset:400
	s_waitcnt lgkmcnt(1)
	v_fma_f64 v[87:88], v[95:96], v[87:88], v[97:98]
	scratch_load_b128 v[95:98], off, off offset:168
	s_waitcnt vmcnt(4)
	v_fma_f64 v[87:88], v[105:106], v[89:90], v[87:88]
	s_waitcnt lgkmcnt(0)
	s_delay_alu instid0(VALU_DEP_1)
	;; [unrolled: 13-line block ×5, first 2 shown]
	v_fma_f64 v[79:80], v[81:82], v[103:104], v[79:80]
	scratch_load_b64 v[103:104], off, off offset:280
	s_waitcnt vmcnt(4)
	v_fma_f64 v[91:92], v[91:92], v[105:106], v[79:80]
	ds_load_b128 v[79:82], v1 offset:512
	ds_load_b128 v[99:102], v1 offset:528
	s_waitcnt lgkmcnt(1)
	v_fma_f64 v[79:80], v[93:94], v[79:80], v[91:92]
	s_waitcnt vmcnt(3)
	s_delay_alu instid0(VALU_DEP_1) | instskip(SKIP_1) | instid1(VALU_DEP_1)
	v_fma_f64 v[79:80], v[83:84], v[81:82], v[79:80]
	s_waitcnt lgkmcnt(0)
	v_fma_f64 v[79:80], v[85:86], v[99:100], v[79:80]
	s_waitcnt vmcnt(2)
	s_delay_alu instid0(VALU_DEP_1)
	v_fma_f64 v[91:92], v[95:96], v[101:102], v[79:80]
	ds_load_b128 v[79:82], v1 offset:544
	ds_load_b128 v[83:86], v1 offset:560
	s_waitcnt lgkmcnt(1)
	v_fma_f64 v[1:2], v[97:98], v[79:80], v[91:92]
	s_waitcnt vmcnt(1)
	s_delay_alu instid0(VALU_DEP_1) | instskip(SKIP_1) | instid1(VALU_DEP_1)
	v_fma_f64 v[1:2], v[87:88], v[81:82], v[1:2]
	s_waitcnt lgkmcnt(0)
	v_fma_f64 v[1:2], v[89:90], v[83:84], v[1:2]
	s_waitcnt vmcnt(0)
	s_delay_alu instid0(VALU_DEP_1) | instskip(NEXT) | instid1(VALU_DEP_1)
	v_fma_f64 v[1:2], v[103:104], v[85:86], v[1:2]
	v_add_f64 v[1:2], v[77:78], -v[1:2]
	scratch_store_b64 off, v[1:2], off offset:24
	v_cmpx_lt_u32_e32 2, v0
	s_cbranch_execz .LBB99_221
; %bb.220:
	scratch_load_b64 v[1:2], off, off offset:16
	v_mov_b32_e32 v77, 0
	s_delay_alu instid0(VALU_DEP_1)
	v_mov_b32_e32 v78, v77
	scratch_store_b64 off, v[77:78], off offset:16
	s_waitcnt vmcnt(0)
	ds_store_b64 v3, v[1:2]
.LBB99_221:
	s_or_b32 exec_lo, exec_lo, s0
	s_waitcnt lgkmcnt(0)
	s_waitcnt_vscnt null, 0x0
	s_barrier
	buffer_gl0_inv
	s_clause 0x4
	scratch_load_b128 v[77:80], off, off offset:16
	scratch_load_b128 v[81:84], off, off offset:32
	;; [unrolled: 1-line block ×5, first 2 shown]
	v_mov_b32_e32 v1, 0
	ds_load_2addr_b64 v[97:100], v1 offset0:39 offset1:40
	ds_load_2addr_b64 v[101:104], v1 offset0:41 offset1:42
	scratch_load_b128 v[105:108], off, off offset:96
	s_mov_b32 s0, exec_lo
	s_waitcnt vmcnt(5) lgkmcnt(1)
	v_fma_f64 v[79:80], v[79:80], v[97:98], 0
	s_waitcnt vmcnt(4)
	s_delay_alu instid0(VALU_DEP_1) | instskip(SKIP_1) | instid1(VALU_DEP_1)
	v_fma_f64 v[79:80], v[81:82], v[99:100], v[79:80]
	s_waitcnt lgkmcnt(0)
	v_fma_f64 v[83:84], v[83:84], v[101:102], v[79:80]
	scratch_load_b128 v[79:82], off, off offset:112
	s_waitcnt vmcnt(4)
	v_fma_f64 v[101:102], v[85:86], v[103:104], v[83:84]
	ds_load_2addr_b64 v[83:86], v1 offset0:43 offset1:44
	ds_load_2addr_b64 v[97:100], v1 offset0:45 offset1:46
	s_waitcnt lgkmcnt(1)
	v_fma_f64 v[83:84], v[87:88], v[83:84], v[101:102]
	scratch_load_b128 v[101:104], off, off offset:128
	s_waitcnt vmcnt(4)
	v_fma_f64 v[83:84], v[89:90], v[85:86], v[83:84]
	s_waitcnt lgkmcnt(0)
	s_delay_alu instid0(VALU_DEP_1)
	v_fma_f64 v[87:88], v[91:92], v[97:98], v[83:84]
	scratch_load_b128 v[83:86], off, off offset:144
	s_waitcnt vmcnt(4)
	v_fma_f64 v[97:98], v[93:94], v[99:100], v[87:88]
	ds_load_2addr_b64 v[87:90], v1 offset0:47 offset1:48
	ds_load_2addr_b64 v[91:94], v1 offset0:49 offset1:50
	s_waitcnt lgkmcnt(1)
	v_fma_f64 v[87:88], v[95:96], v[87:88], v[97:98]
	scratch_load_b128 v[95:98], off, off offset:160
	s_waitcnt vmcnt(4)
	v_fma_f64 v[87:88], v[105:106], v[89:90], v[87:88]
	s_waitcnt lgkmcnt(0)
	s_delay_alu instid0(VALU_DEP_1)
	;; [unrolled: 13-line block ×5, first 2 shown]
	v_fma_f64 v[99:100], v[81:82], v[103:104], v[79:80]
	scratch_load_b128 v[79:82], off, off offset:272
	s_waitcnt vmcnt(4)
	v_fma_f64 v[91:92], v[91:92], v[105:106], v[99:100]
	ds_load_2addr_b64 v[99:102], v1 offset0:63 offset1:64
	ds_load_2addr_b64 v[103:106], v1 offset0:65 offset1:66
	s_waitcnt lgkmcnt(1)
	v_fma_f64 v[91:92], v[93:94], v[99:100], v[91:92]
	s_waitcnt vmcnt(3)
	s_delay_alu instid0(VALU_DEP_1) | instskip(SKIP_1) | instid1(VALU_DEP_1)
	v_fma_f64 v[83:84], v[83:84], v[101:102], v[91:92]
	s_waitcnt lgkmcnt(0)
	v_fma_f64 v[83:84], v[85:86], v[103:104], v[83:84]
	s_waitcnt vmcnt(2)
	s_delay_alu instid0(VALU_DEP_1)
	v_fma_f64 v[95:96], v[95:96], v[105:106], v[83:84]
	ds_load_2addr_b64 v[83:86], v1 offset0:67 offset1:68
	ds_load_2addr_b64 v[91:94], v1 offset0:69 offset1:70
	s_waitcnt lgkmcnt(1)
	v_fma_f64 v[83:84], v[97:98], v[83:84], v[95:96]
	s_waitcnt vmcnt(1)
	s_delay_alu instid0(VALU_DEP_1) | instskip(SKIP_1) | instid1(VALU_DEP_1)
	v_fma_f64 v[83:84], v[87:88], v[85:86], v[83:84]
	s_waitcnt lgkmcnt(0)
	v_fma_f64 v[83:84], v[89:90], v[91:92], v[83:84]
	s_waitcnt vmcnt(0)
	s_delay_alu instid0(VALU_DEP_1) | instskip(SKIP_3) | instid1(VALU_DEP_1)
	v_fma_f64 v[79:80], v[79:80], v[93:94], v[83:84]
	ds_load_b64 v[83:84], v1 offset:568
	s_waitcnt lgkmcnt(0)
	v_fma_f64 v[79:80], v[81:82], v[83:84], v[79:80]
	v_add_f64 v[77:78], v[77:78], -v[79:80]
	scratch_store_b64 off, v[77:78], off offset:16
	v_cmpx_lt_u32_e32 1, v0
	s_cbranch_execz .LBB99_223
; %bb.222:
	scratch_load_b64 v[77:78], off, off offset:8
	v_mov_b32_e32 v2, v1
	scratch_store_b64 off, v[1:2], off offset:8
	s_waitcnt vmcnt(0)
	ds_store_b64 v3, v[77:78]
.LBB99_223:
	s_or_b32 exec_lo, exec_lo, s0
	s_waitcnt lgkmcnt(0)
	s_waitcnt_vscnt null, 0x0
	s_barrier
	buffer_gl0_inv
	s_clause 0x4
	scratch_load_b128 v[77:80], off, off offset:8
	scratch_load_b128 v[81:84], off, off offset:24
	;; [unrolled: 1-line block ×5, first 2 shown]
	ds_load_b128 v[97:100], v1 offset:304
	ds_load_b128 v[101:104], v1 offset:320
	scratch_load_b128 v[105:108], off, off offset:88
	s_mov_b32 s0, exec_lo
	s_waitcnt vmcnt(5) lgkmcnt(1)
	v_fma_f64 v[79:80], v[79:80], v[97:98], 0
	s_waitcnt vmcnt(4)
	s_delay_alu instid0(VALU_DEP_1) | instskip(SKIP_1) | instid1(VALU_DEP_1)
	v_fma_f64 v[79:80], v[81:82], v[99:100], v[79:80]
	s_waitcnt lgkmcnt(0)
	v_fma_f64 v[83:84], v[83:84], v[101:102], v[79:80]
	scratch_load_b128 v[79:82], off, off offset:104
	s_waitcnt vmcnt(4)
	v_fma_f64 v[101:102], v[85:86], v[103:104], v[83:84]
	ds_load_b128 v[83:86], v1 offset:336
	ds_load_b128 v[97:100], v1 offset:352
	s_waitcnt lgkmcnt(1)
	v_fma_f64 v[83:84], v[87:88], v[83:84], v[101:102]
	scratch_load_b128 v[101:104], off, off offset:120
	s_waitcnt vmcnt(4)
	v_fma_f64 v[83:84], v[89:90], v[85:86], v[83:84]
	s_waitcnt lgkmcnt(0)
	s_delay_alu instid0(VALU_DEP_1)
	v_fma_f64 v[87:88], v[91:92], v[97:98], v[83:84]
	scratch_load_b128 v[83:86], off, off offset:136
	s_waitcnt vmcnt(4)
	v_fma_f64 v[97:98], v[93:94], v[99:100], v[87:88]
	ds_load_b128 v[87:90], v1 offset:368
	ds_load_b128 v[91:94], v1 offset:384
	s_waitcnt lgkmcnt(1)
	v_fma_f64 v[87:88], v[95:96], v[87:88], v[97:98]
	scratch_load_b128 v[95:98], off, off offset:152
	s_waitcnt vmcnt(4)
	v_fma_f64 v[87:88], v[105:106], v[89:90], v[87:88]
	s_waitcnt lgkmcnt(0)
	s_delay_alu instid0(VALU_DEP_1)
	;; [unrolled: 13-line block ×5, first 2 shown]
	v_fma_f64 v[99:100], v[81:82], v[103:104], v[79:80]
	scratch_load_b128 v[79:82], off, off offset:264
	s_waitcnt vmcnt(4)
	v_fma_f64 v[91:92], v[91:92], v[105:106], v[99:100]
	ds_load_b128 v[99:102], v1 offset:496
	ds_load_b128 v[103:106], v1 offset:512
	s_waitcnt lgkmcnt(1)
	v_fma_f64 v[91:92], v[93:94], v[99:100], v[91:92]
	scratch_load_b64 v[99:100], off, off offset:280
	s_waitcnt vmcnt(4)
	v_fma_f64 v[83:84], v[83:84], v[101:102], v[91:92]
	s_waitcnt lgkmcnt(0)
	s_delay_alu instid0(VALU_DEP_1) | instskip(SKIP_1) | instid1(VALU_DEP_1)
	v_fma_f64 v[83:84], v[85:86], v[103:104], v[83:84]
	s_waitcnt vmcnt(3)
	v_fma_f64 v[95:96], v[95:96], v[105:106], v[83:84]
	ds_load_b128 v[83:86], v1 offset:528
	ds_load_b128 v[91:94], v1 offset:544
	s_waitcnt lgkmcnt(1)
	v_fma_f64 v[83:84], v[97:98], v[83:84], v[95:96]
	s_waitcnt vmcnt(2)
	s_delay_alu instid0(VALU_DEP_1) | instskip(SKIP_1) | instid1(VALU_DEP_1)
	v_fma_f64 v[83:84], v[87:88], v[85:86], v[83:84]
	s_waitcnt lgkmcnt(0)
	v_fma_f64 v[83:84], v[89:90], v[91:92], v[83:84]
	s_waitcnt vmcnt(1)
	s_delay_alu instid0(VALU_DEP_1) | instskip(SKIP_4) | instid1(VALU_DEP_1)
	v_fma_f64 v[79:80], v[79:80], v[93:94], v[83:84]
	ds_load_b128 v[83:86], v1 offset:560
	s_waitcnt lgkmcnt(0)
	v_fma_f64 v[1:2], v[81:82], v[83:84], v[79:80]
	s_waitcnt vmcnt(0)
	v_fma_f64 v[1:2], v[99:100], v[85:86], v[1:2]
	s_delay_alu instid0(VALU_DEP_1)
	v_add_f64 v[1:2], v[77:78], -v[1:2]
	scratch_store_b64 off, v[1:2], off offset:8
	v_cmpx_ne_u32_e32 0, v0
	s_cbranch_execz .LBB99_225
; %bb.224:
	scratch_load_b64 v[0:1], off, off
	v_mov_b32_e32 v77, 0
	s_delay_alu instid0(VALU_DEP_1)
	v_mov_b32_e32 v78, v77
	scratch_store_b64 off, v[77:78], off
	s_waitcnt vmcnt(0)
	ds_store_b64 v3, v[0:1]
.LBB99_225:
	s_or_b32 exec_lo, exec_lo, s0
	s_waitcnt lgkmcnt(0)
	s_waitcnt_vscnt null, 0x0
	s_barrier
	buffer_gl0_inv
	s_clause 0x4
	scratch_load_b128 v[77:80], off, off
	scratch_load_b128 v[0:3], off, off offset:16
	scratch_load_b128 v[81:84], off, off offset:32
	;; [unrolled: 1-line block ×4, first 2 shown]
	v_mov_b32_e32 v4, 0
	ds_load_2addr_b64 v[93:96], v4 offset0:37 offset1:38
	ds_load_2addr_b64 v[97:100], v4 offset0:39 offset1:40
	scratch_load_b128 v[101:104], off, off offset:80
	s_and_b32 vcc_lo, exec_lo, s12
	s_waitcnt vmcnt(5) lgkmcnt(1)
	v_fma_f64 v[79:80], v[79:80], v[93:94], 0
	s_waitcnt vmcnt(4)
	s_delay_alu instid0(VALU_DEP_1) | instskip(SKIP_1) | instid1(VALU_DEP_1)
	v_fma_f64 v[0:1], v[0:1], v[95:96], v[79:80]
	s_waitcnt lgkmcnt(0)
	v_fma_f64 v[79:80], v[2:3], v[97:98], v[0:1]
	scratch_load_b128 v[0:3], off, off offset:96
	s_waitcnt vmcnt(4)
	v_fma_f64 v[97:98], v[81:82], v[99:100], v[79:80]
	ds_load_2addr_b64 v[79:82], v4 offset0:41 offset1:42
	ds_load_2addr_b64 v[93:96], v4 offset0:43 offset1:44
	s_waitcnt lgkmcnt(1)
	v_fma_f64 v[79:80], v[83:84], v[79:80], v[97:98]
	scratch_load_b128 v[97:100], off, off offset:112
	s_waitcnt vmcnt(4)
	v_fma_f64 v[79:80], v[85:86], v[81:82], v[79:80]
	s_waitcnt lgkmcnt(0)
	s_delay_alu instid0(VALU_DEP_1)
	v_fma_f64 v[83:84], v[87:88], v[93:94], v[79:80]
	scratch_load_b128 v[79:82], off, off offset:128
	s_waitcnt vmcnt(4)
	v_fma_f64 v[93:94], v[89:90], v[95:96], v[83:84]
	ds_load_2addr_b64 v[83:86], v4 offset0:45 offset1:46
	ds_load_2addr_b64 v[87:90], v4 offset0:47 offset1:48
	s_waitcnt lgkmcnt(1)
	v_fma_f64 v[83:84], v[91:92], v[83:84], v[93:94]
	scratch_load_b128 v[91:94], off, off offset:144
	s_waitcnt vmcnt(4)
	v_fma_f64 v[83:84], v[101:102], v[85:86], v[83:84]
	s_waitcnt lgkmcnt(0)
	s_delay_alu instid0(VALU_DEP_1)
	;; [unrolled: 13-line block ×4, first 2 shown]
	v_fma_f64 v[95:96], v[93:94], v[99:100], v[91:92]
	scratch_load_b128 v[91:94], off, off offset:224
	s_waitcnt vmcnt(4)
	v_fma_f64 v[83:84], v[83:84], v[101:102], v[95:96]
	ds_load_2addr_b64 v[95:98], v4 offset0:57 offset1:58
	ds_load_2addr_b64 v[99:102], v4 offset0:59 offset1:60
	s_waitcnt lgkmcnt(1)
	v_fma_f64 v[95:96], v[85:86], v[95:96], v[83:84]
	scratch_load_b128 v[83:86], off, off offset:240
	s_waitcnt vmcnt(4)
	v_fma_f64 v[0:1], v[0:1], v[97:98], v[95:96]
	scratch_load_b128 v[95:98], off, off offset:256
	s_waitcnt lgkmcnt(0)
	v_fma_f64 v[0:1], v[2:3], v[99:100], v[0:1]
	s_waitcnt vmcnt(4)
	s_delay_alu instid0(VALU_DEP_1)
	v_fma_f64 v[0:1], v[87:88], v[101:102], v[0:1]
	ds_load_2addr_b64 v[99:102], v4 offset0:61 offset1:62
	ds_load_2addr_b64 v[103:106], v4 offset0:63 offset1:64
	s_waitcnt lgkmcnt(1)
	v_fma_f64 v[87:88], v[89:90], v[99:100], v[0:1]
	scratch_load_b128 v[0:3], off, off offset:272
	s_waitcnt vmcnt(4)
	v_fma_f64 v[79:80], v[79:80], v[101:102], v[87:88]
	s_waitcnt lgkmcnt(0)
	s_delay_alu instid0(VALU_DEP_1) | instskip(SKIP_1) | instid1(VALU_DEP_1)
	v_fma_f64 v[79:80], v[81:82], v[103:104], v[79:80]
	s_waitcnt vmcnt(3)
	v_fma_f64 v[91:92], v[91:92], v[105:106], v[79:80]
	ds_load_2addr_b64 v[79:82], v4 offset0:65 offset1:66
	ds_load_2addr_b64 v[87:90], v4 offset0:67 offset1:68
	s_waitcnt lgkmcnt(1)
	v_fma_f64 v[79:80], v[93:94], v[79:80], v[91:92]
	s_waitcnt vmcnt(2)
	s_delay_alu instid0(VALU_DEP_1) | instskip(SKIP_1) | instid1(VALU_DEP_1)
	v_fma_f64 v[79:80], v[83:84], v[81:82], v[79:80]
	s_waitcnt lgkmcnt(0)
	v_fma_f64 v[79:80], v[85:86], v[87:88], v[79:80]
	s_waitcnt vmcnt(1)
	s_delay_alu instid0(VALU_DEP_1)
	v_fma_f64 v[83:84], v[95:96], v[89:90], v[79:80]
	ds_load_2addr_b64 v[79:82], v4 offset0:69 offset1:70
	ds_load_b64 v[85:86], v4 offset:568
	s_waitcnt lgkmcnt(1)
	v_fma_f64 v[79:80], v[97:98], v[79:80], v[83:84]
	s_waitcnt vmcnt(0)
	s_delay_alu instid0(VALU_DEP_1) | instskip(SKIP_1) | instid1(VALU_DEP_1)
	v_fma_f64 v[79:80], v[0:1], v[81:82], v[79:80]
	s_waitcnt lgkmcnt(0)
	v_fma_f64 v[2:3], v[2:3], v[85:86], v[79:80]
	s_delay_alu instid0(VALU_DEP_1)
	v_add_f64 v[2:3], v[77:78], -v[2:3]
	scratch_store_b64 off, v[2:3], off
	s_cbranch_vccz .LBB99_297
; %bb.226:
	v_dual_mov_b32 v2, s2 :: v_dual_mov_b32 v3, s3
	s_mov_b32 s0, exec_lo
	flat_load_b32 v2, v[2:3] offset:136
	s_waitcnt vmcnt(0) lgkmcnt(0)
	v_cmpx_ne_u32_e32 35, v2
	s_cbranch_execz .LBB99_228
; %bb.227:
	v_lshl_add_u32 v4, v2, 3, 0
	scratch_load_b64 v[2:3], v4, off offset:-8
	s_waitcnt vmcnt(0)
	scratch_store_b64 off, v[2:3], off offset:272
	scratch_store_b64 v4, v[0:1], off offset:-8
.LBB99_228:
	s_or_b32 exec_lo, exec_lo, s0
	v_dual_mov_b32 v0, s2 :: v_dual_mov_b32 v1, s3
	s_mov_b32 s0, exec_lo
	flat_load_b32 v0, v[0:1] offset:132
	s_waitcnt vmcnt(0) lgkmcnt(0)
	v_cmpx_ne_u32_e32 34, v0
	s_cbranch_execz .LBB99_230
; %bb.229:
	v_lshl_add_u32 v4, v0, 3, 0
	scratch_load_b64 v[0:1], v4, off offset:-8
	scratch_load_b64 v[2:3], off, off offset:264
	s_waitcnt vmcnt(1)
	scratch_store_b64 off, v[0:1], off offset:264
	s_waitcnt vmcnt(0)
	scratch_store_b64 v4, v[2:3], off offset:-8
.LBB99_230:
	s_or_b32 exec_lo, exec_lo, s0
	v_dual_mov_b32 v0, s2 :: v_dual_mov_b32 v1, s3
	s_mov_b32 s0, exec_lo
	flat_load_b32 v0, v[0:1] offset:128
	s_waitcnt vmcnt(0) lgkmcnt(0)
	v_cmpx_ne_u32_e32 33, v0
	s_cbranch_execz .LBB99_232
; %bb.231:
	v_lshl_add_u32 v4, v0, 3, 0
	scratch_load_b64 v[0:1], v4, off offset:-8
	scratch_load_b64 v[2:3], off, off offset:256
	s_waitcnt vmcnt(1)
	scratch_store_b64 off, v[0:1], off offset:256
	s_waitcnt vmcnt(0)
	scratch_store_b64 v4, v[2:3], off offset:-8
.LBB99_232:
	;; [unrolled: 16-line block ×33, first 2 shown]
	s_or_b32 exec_lo, exec_lo, s0
	v_dual_mov_b32 v0, s2 :: v_dual_mov_b32 v1, s3
	s_mov_b32 s0, exec_lo
	flat_load_b32 v0, v[0:1]
	scratch_load_b64 v[2:3], off, off
	s_waitcnt vmcnt(1) lgkmcnt(0)
	v_cmpx_ne_u32_e32 1, v0
	s_cbranch_execz .LBB99_296
; %bb.295:
	v_lshl_add_u32 v4, v0, 3, 0
	scratch_load_b64 v[0:1], v4, off offset:-8
	s_waitcnt vmcnt(0)
	scratch_store_b64 off, v[0:1], off
	scratch_store_b64 v4, v[2:3], off offset:-8
	scratch_load_b64 v[2:3], off, off
.LBB99_296:
	s_or_b32 exec_lo, exec_lo, s0
.LBB99_297:
	s_clause 0x9
	scratch_load_b128 v[77:80], off, off offset:8
	scratch_load_b128 v[81:84], off, off offset:24
	;; [unrolled: 1-line block ×10, first 2 shown]
	s_waitcnt vmcnt(10)
	global_store_b64 v[5:6], v[2:3], off
	s_clause 0x1
	scratch_load_b128 v[0:3], off, off offset:168
	scratch_load_b128 v[117:120], off, off offset:248
	s_waitcnt vmcnt(11)
	global_store_b64 v[7:8], v[77:78], off
	scratch_load_b128 v[4:7], off, off offset:184
	global_store_b64 v[9:10], v[79:80], off
	s_waitcnt vmcnt(11)
	s_clause 0x1
	global_store_b64 v[11:12], v[81:82], off
	global_store_b64 v[15:16], v[83:84], off
	s_waitcnt vmcnt(10)
	s_clause 0x1
	global_store_b64 v[19:20], v[85:86], off
	global_store_b64 v[17:18], v[87:88], off
	s_clause 0x4
	scratch_load_b128 v[77:80], off, off offset:200
	scratch_load_b128 v[8:11], off, off offset:216
	;; [unrolled: 1-line block ×4, first 2 shown]
	scratch_load_b64 v[19:20], off, off offset:280
	s_waitcnt vmcnt(14)
	s_clause 0x1
	global_store_b64 v[13:14], v[89:90], off
	global_store_b64 v[21:22], v[91:92], off
	s_waitcnt vmcnt(13)
	s_clause 0x1
	global_store_b64 v[23:24], v[93:94], off
	global_store_b64 v[25:26], v[95:96], off
	s_waitcnt vmcnt(12)
	s_clause 0x1
	global_store_b64 v[27:28], v[97:98], off
	global_store_b64 v[29:30], v[99:100], off
	s_waitcnt vmcnt(11)
	s_clause 0x1
	global_store_b64 v[31:32], v[101:102], off
	global_store_b64 v[33:34], v[103:104], off
	s_waitcnt vmcnt(10)
	s_clause 0x1
	global_store_b64 v[35:36], v[105:106], off
	global_store_b64 v[37:38], v[107:108], off
	s_waitcnt vmcnt(9)
	s_clause 0x1
	global_store_b64 v[39:40], v[109:110], off
	global_store_b64 v[41:42], v[111:112], off
	s_waitcnt vmcnt(8)
	s_clause 0x1
	global_store_b64 v[43:44], v[113:114], off
	global_store_b64 v[47:48], v[115:116], off
	s_waitcnt vmcnt(7)
	s_clause 0x1
	global_store_b64 v[49:50], v[0:1], off
	global_store_b64 v[51:52], v[2:3], off
	s_waitcnt vmcnt(5)
	s_clause 0x1
	global_store_b64 v[53:54], v[4:5], off
	global_store_b64 v[55:56], v[6:7], off
	s_waitcnt vmcnt(4)
	s_clause 0x1
	global_store_b64 v[57:58], v[77:78], off
	global_store_b64 v[59:60], v[79:80], off
	s_waitcnt vmcnt(3)
	s_clause 0x1
	global_store_b64 v[61:62], v[8:9], off
	global_store_b64 v[63:64], v[10:11], off
	s_waitcnt vmcnt(2)
	s_clause 0x3
	global_store_b64 v[65:66], v[81:82], off
	global_store_b64 v[67:68], v[83:84], off
	global_store_b64 v[69:70], v[117:118], off
	global_store_b64 v[71:72], v[119:120], off
	s_waitcnt vmcnt(1)
	s_clause 0x1
	global_store_b64 v[73:74], v[15:16], off
	global_store_b64 v[75:76], v[17:18], off
	s_waitcnt vmcnt(0)
	global_store_b64 v[45:46], v[19:20], off
	s_endpgm
	.section	.rodata,"a",@progbits
	.p2align	6, 0x0
	.amdhsa_kernel _ZN9rocsolver6v33100L18getri_kernel_smallILi36EdPKPdEEvT1_iilPiilS6_bb
		.amdhsa_group_segment_fixed_size 584
		.amdhsa_private_segment_fixed_size 304
		.amdhsa_kernarg_size 60
		.amdhsa_user_sgpr_count 15
		.amdhsa_user_sgpr_dispatch_ptr 0
		.amdhsa_user_sgpr_queue_ptr 0
		.amdhsa_user_sgpr_kernarg_segment_ptr 1
		.amdhsa_user_sgpr_dispatch_id 0
		.amdhsa_user_sgpr_private_segment_size 0
		.amdhsa_wavefront_size32 1
		.amdhsa_uses_dynamic_stack 0
		.amdhsa_enable_private_segment 1
		.amdhsa_system_sgpr_workgroup_id_x 1
		.amdhsa_system_sgpr_workgroup_id_y 0
		.amdhsa_system_sgpr_workgroup_id_z 0
		.amdhsa_system_sgpr_workgroup_info 0
		.amdhsa_system_vgpr_workitem_id 0
		.amdhsa_next_free_vgpr 121
		.amdhsa_next_free_sgpr 17
		.amdhsa_reserve_vcc 1
		.amdhsa_float_round_mode_32 0
		.amdhsa_float_round_mode_16_64 0
		.amdhsa_float_denorm_mode_32 3
		.amdhsa_float_denorm_mode_16_64 3
		.amdhsa_dx10_clamp 1
		.amdhsa_ieee_mode 1
		.amdhsa_fp16_overflow 0
		.amdhsa_workgroup_processor_mode 1
		.amdhsa_memory_ordered 1
		.amdhsa_forward_progress 0
		.amdhsa_shared_vgpr_count 0
		.amdhsa_exception_fp_ieee_invalid_op 0
		.amdhsa_exception_fp_denorm_src 0
		.amdhsa_exception_fp_ieee_div_zero 0
		.amdhsa_exception_fp_ieee_overflow 0
		.amdhsa_exception_fp_ieee_underflow 0
		.amdhsa_exception_fp_ieee_inexact 0
		.amdhsa_exception_int_div_zero 0
	.end_amdhsa_kernel
	.section	.text._ZN9rocsolver6v33100L18getri_kernel_smallILi36EdPKPdEEvT1_iilPiilS6_bb,"axG",@progbits,_ZN9rocsolver6v33100L18getri_kernel_smallILi36EdPKPdEEvT1_iilPiilS6_bb,comdat
.Lfunc_end99:
	.size	_ZN9rocsolver6v33100L18getri_kernel_smallILi36EdPKPdEEvT1_iilPiilS6_bb, .Lfunc_end99-_ZN9rocsolver6v33100L18getri_kernel_smallILi36EdPKPdEEvT1_iilPiilS6_bb
                                        ; -- End function
	.section	.AMDGPU.csdata,"",@progbits
; Kernel info:
; codeLenInByte = 29532
; NumSgprs: 19
; NumVgprs: 121
; ScratchSize: 304
; MemoryBound: 0
; FloatMode: 240
; IeeeMode: 1
; LDSByteSize: 584 bytes/workgroup (compile time only)
; SGPRBlocks: 2
; VGPRBlocks: 15
; NumSGPRsForWavesPerEU: 19
; NumVGPRsForWavesPerEU: 121
; Occupancy: 10
; WaveLimiterHint : 1
; COMPUTE_PGM_RSRC2:SCRATCH_EN: 1
; COMPUTE_PGM_RSRC2:USER_SGPR: 15
; COMPUTE_PGM_RSRC2:TRAP_HANDLER: 0
; COMPUTE_PGM_RSRC2:TGID_X_EN: 1
; COMPUTE_PGM_RSRC2:TGID_Y_EN: 0
; COMPUTE_PGM_RSRC2:TGID_Z_EN: 0
; COMPUTE_PGM_RSRC2:TIDIG_COMP_CNT: 0
	.section	.text._ZN9rocsolver6v33100L18getri_kernel_smallILi37EdPKPdEEvT1_iilPiilS6_bb,"axG",@progbits,_ZN9rocsolver6v33100L18getri_kernel_smallILi37EdPKPdEEvT1_iilPiilS6_bb,comdat
	.globl	_ZN9rocsolver6v33100L18getri_kernel_smallILi37EdPKPdEEvT1_iilPiilS6_bb ; -- Begin function _ZN9rocsolver6v33100L18getri_kernel_smallILi37EdPKPdEEvT1_iilPiilS6_bb
	.p2align	8
	.type	_ZN9rocsolver6v33100L18getri_kernel_smallILi37EdPKPdEEvT1_iilPiilS6_bb,@function
_ZN9rocsolver6v33100L18getri_kernel_smallILi37EdPKPdEEvT1_iilPiilS6_bb: ; @_ZN9rocsolver6v33100L18getri_kernel_smallILi37EdPKPdEEvT1_iilPiilS6_bb
; %bb.0:
	s_mov_b32 s2, exec_lo
	v_cmpx_gt_u32_e32 37, v0
	s_cbranch_execz .LBB100_158
; %bb.1:
	s_clause 0x1
	s_load_b32 s13, s[0:1], 0x38
	s_load_b64 s[2:3], s[0:1], 0x0
	s_mov_b32 s8, s15
	s_load_b128 s[4:7], s[0:1], 0x28
	s_waitcnt lgkmcnt(0)
	s_bitcmp1_b32 s13, 8
	s_cselect_b32 s12, -1, 0
	s_ashr_i32 s9, s15, 31
	s_delay_alu instid0(SALU_CYCLE_1) | instskip(NEXT) | instid1(SALU_CYCLE_1)
	s_lshl_b64 s[10:11], s[8:9], 3
	s_add_u32 s2, s2, s10
	s_addc_u32 s3, s3, s11
	s_load_b64 s[10:11], s[2:3], 0x0
	s_bfe_u32 s2, s13, 0x10008
	s_delay_alu instid0(SALU_CYCLE_1)
	s_cmp_eq_u32 s2, 0
                                        ; implicit-def: $sgpr2_sgpr3
	s_cbranch_scc1 .LBB100_3
; %bb.2:
	s_clause 0x1
	s_load_b32 s2, s[0:1], 0x20
	s_load_b64 s[14:15], s[0:1], 0x18
	s_mul_i32 s3, s8, s5
	s_mul_hi_u32 s5, s8, s4
	s_mul_i32 s16, s9, s4
	s_add_i32 s3, s5, s3
	s_mul_i32 s4, s8, s4
	s_add_i32 s5, s3, s16
	s_delay_alu instid0(SALU_CYCLE_1)
	s_lshl_b64 s[4:5], s[4:5], 2
	s_waitcnt lgkmcnt(0)
	s_ashr_i32 s3, s2, 31
	s_add_u32 s4, s14, s4
	s_addc_u32 s5, s15, s5
	s_lshl_b64 s[2:3], s[2:3], 2
	s_delay_alu instid0(SALU_CYCLE_1)
	s_add_u32 s2, s4, s2
	s_addc_u32 s3, s5, s3
.LBB100_3:
	s_load_b64 s[0:1], s[0:1], 0x8
	v_lshlrev_b32_e32 v87, 3, v0
	s_waitcnt lgkmcnt(0)
	v_add3_u32 v3, s1, s1, v0
	s_ashr_i32 s5, s0, 31
	s_mov_b32 s4, s0
	s_mov_b32 s14, s1
	s_lshl_b64 s[4:5], s[4:5], 3
	v_add_nc_u32_e32 v5, s1, v3
	v_ashrrev_i32_e32 v4, 31, v3
	s_add_u32 s4, s10, s4
	s_addc_u32 s5, s11, s5
	v_add_co_u32 v13, s0, s4, v87
	v_add_nc_u32_e32 v7, s1, v5
	s_ashr_i32 s15, s1, 31
	v_add_co_ci_u32_e64 v14, null, s5, 0, s0
	v_lshlrev_b64 v[3:4], 3, v[3:4]
	s_lshl_b64 s[10:11], s[14:15], 3
	v_ashrrev_i32_e32 v8, 31, v7
	v_add_co_u32 v15, vcc_lo, v13, s10
	v_add_nc_u32_e32 v9, s1, v7
	v_add_co_ci_u32_e32 v16, vcc_lo, s11, v14, vcc_lo
	v_add_co_u32 v17, vcc_lo, s4, v3
	v_add_co_ci_u32_e32 v18, vcc_lo, s5, v4, vcc_lo
	v_lshlrev_b64 v[3:4], 3, v[7:8]
	v_add_nc_u32_e32 v7, s1, v9
	v_ashrrev_i32_e32 v6, 31, v5
	v_ashrrev_i32_e32 v10, 31, v9
	global_load_b64 v[1:2], v87, s[4:5]
	s_bitcmp0_b32 s13, 0
	v_add_nc_u32_e32 v11, s1, v7
	v_lshlrev_b64 v[5:6], 3, v[5:6]
	v_ashrrev_i32_e32 v8, 31, v7
	s_delay_alu instid0(VALU_DEP_3) | instskip(SKIP_1) | instid1(VALU_DEP_4)
	v_add_nc_u32_e32 v27, s1, v11
	v_ashrrev_i32_e32 v12, 31, v11
	v_add_co_u32 v19, vcc_lo, s4, v5
	v_add_co_ci_u32_e32 v20, vcc_lo, s5, v6, vcc_lo
	s_delay_alu instid0(VALU_DEP_4) | instskip(SKIP_3) | instid1(VALU_DEP_4)
	v_add_nc_u32_e32 v29, s1, v27
	v_lshlrev_b64 v[5:6], 3, v[9:10]
	v_add_co_u32 v21, vcc_lo, s4, v3
	v_lshlrev_b64 v[25:26], 3, v[7:8]
	v_add_nc_u32_e32 v33, s1, v29
	v_add_co_ci_u32_e32 v22, vcc_lo, s5, v4, vcc_lo
	v_add_co_u32 v23, vcc_lo, s4, v5
	s_delay_alu instid0(VALU_DEP_3)
	v_add_nc_u32_e32 v35, s1, v33
	v_lshlrev_b64 v[11:12], 3, v[11:12]
	v_ashrrev_i32_e32 v28, 31, v27
	v_add_co_ci_u32_e32 v24, vcc_lo, s5, v6, vcc_lo
	v_add_co_u32 v25, vcc_lo, s4, v25
	v_ashrrev_i32_e32 v30, 31, v29
	v_add_nc_u32_e32 v37, s1, v35
	v_add_co_ci_u32_e32 v26, vcc_lo, s5, v26, vcc_lo
	v_lshlrev_b64 v[31:32], 3, v[27:28]
	v_add_co_u32 v27, vcc_lo, s4, v11
	v_add_co_ci_u32_e32 v28, vcc_lo, s5, v12, vcc_lo
	v_lshlrev_b64 v[11:12], 3, v[29:30]
	v_ashrrev_i32_e32 v34, 31, v33
	v_add_nc_u32_e32 v39, s1, v37
	v_add_co_u32 v29, vcc_lo, s4, v31
	v_ashrrev_i32_e32 v36, 31, v35
	v_add_co_ci_u32_e32 v30, vcc_lo, s5, v32, vcc_lo
	v_lshlrev_b64 v[33:34], 3, v[33:34]
	v_add_nc_u32_e32 v41, s1, v39
	v_add_co_u32 v31, vcc_lo, s4, v11
	v_add_co_ci_u32_e32 v32, vcc_lo, s5, v12, vcc_lo
	v_lshlrev_b64 v[11:12], 3, v[35:36]
	v_ashrrev_i32_e32 v38, 31, v37
	v_add_nc_u32_e32 v43, s1, v41
	v_add_co_u32 v33, vcc_lo, s4, v33
	v_ashrrev_i32_e32 v40, 31, v39
	v_add_co_ci_u32_e32 v34, vcc_lo, s5, v34, vcc_lo
	v_lshlrev_b64 v[37:38], 3, v[37:38]
	v_add_co_u32 v35, vcc_lo, s4, v11
	v_add_nc_u32_e32 v45, s1, v43
	v_add_co_ci_u32_e32 v36, vcc_lo, s5, v12, vcc_lo
	v_lshlrev_b64 v[11:12], 3, v[39:40]
	v_ashrrev_i32_e32 v42, 31, v41
	v_add_co_u32 v37, vcc_lo, s4, v37
	v_ashrrev_i32_e32 v44, 31, v43
	v_add_nc_u32_e32 v49, s1, v45
	v_add_co_ci_u32_e32 v38, vcc_lo, s5, v38, vcc_lo
	v_lshlrev_b64 v[41:42], 3, v[41:42]
	v_add_co_u32 v39, vcc_lo, s4, v11
	v_ashrrev_i32_e32 v46, 31, v45
	v_add_co_ci_u32_e32 v40, vcc_lo, s5, v12, vcc_lo
	v_lshlrev_b64 v[11:12], 3, v[43:44]
	v_ashrrev_i32_e32 v50, 31, v49
	v_add_co_u32 v41, vcc_lo, s4, v41
	v_lshlrev_b64 v[45:46], 3, v[45:46]
	v_add_co_ci_u32_e32 v42, vcc_lo, s5, v42, vcc_lo
	v_add_co_u32 v43, vcc_lo, s4, v11
	v_lshlrev_b64 v[47:48], 3, v[49:50]
	v_add_co_ci_u32_e32 v44, vcc_lo, s5, v12, vcc_lo
	v_add_co_u32 v45, vcc_lo, s4, v45
	v_add_co_ci_u32_e32 v46, vcc_lo, s5, v46, vcc_lo
	s_clause 0x3
	global_load_b64 v[3:4], v[15:16], off
	global_load_b64 v[5:6], v[17:18], off
	;; [unrolled: 1-line block ×4, first 2 shown]
	v_add_co_u32 v47, vcc_lo, s4, v47
	s_clause 0x8
	global_load_b64 v[11:12], v[23:24], off
	global_load_b64 v[88:89], v[25:26], off
	;; [unrolled: 1-line block ×9, first 2 shown]
	v_add_co_ci_u32_e32 v48, vcc_lo, s5, v48, vcc_lo
	s_clause 0x3
	global_load_b64 v[104:105], v[41:42], off
	global_load_b64 v[106:107], v[43:44], off
	;; [unrolled: 1-line block ×4, first 2 shown]
	v_add_nc_u32_e32 v49, s1, v49
	s_delay_alu instid0(VALU_DEP_1) | instskip(SKIP_1) | instid1(VALU_DEP_2)
	v_add_nc_u32_e32 v51, s1, v49
	v_ashrrev_i32_e32 v50, 31, v49
	v_add_nc_u32_e32 v53, s1, v51
	v_ashrrev_i32_e32 v52, 31, v51
	s_delay_alu instid0(VALU_DEP_3) | instskip(NEXT) | instid1(VALU_DEP_3)
	v_lshlrev_b64 v[49:50], 3, v[49:50]
	v_add_nc_u32_e32 v55, s1, v53
	v_ashrrev_i32_e32 v54, 31, v53
	s_delay_alu instid0(VALU_DEP_4) | instskip(NEXT) | instid1(VALU_DEP_4)
	v_lshlrev_b64 v[51:52], 3, v[51:52]
	v_add_co_u32 v49, vcc_lo, s4, v49
	s_delay_alu instid0(VALU_DEP_4) | instskip(SKIP_3) | instid1(VALU_DEP_4)
	v_add_nc_u32_e32 v57, s1, v55
	v_ashrrev_i32_e32 v56, 31, v55
	v_lshlrev_b64 v[53:54], 3, v[53:54]
	v_add_co_ci_u32_e32 v50, vcc_lo, s5, v50, vcc_lo
	v_add_nc_u32_e32 v59, s1, v57
	v_ashrrev_i32_e32 v58, 31, v57
	v_add_co_u32 v51, vcc_lo, s4, v51
	v_lshlrev_b64 v[55:56], 3, v[55:56]
	s_delay_alu instid0(VALU_DEP_4) | instskip(SKIP_3) | instid1(VALU_DEP_4)
	v_add_nc_u32_e32 v61, s1, v59
	v_ashrrev_i32_e32 v60, 31, v59
	v_add_co_ci_u32_e32 v52, vcc_lo, s5, v52, vcc_lo
	v_add_co_u32 v53, vcc_lo, s4, v53
	v_add_nc_u32_e32 v63, s1, v61
	v_lshlrev_b64 v[57:58], 3, v[57:58]
	v_ashrrev_i32_e32 v62, 31, v61
	v_add_co_ci_u32_e32 v54, vcc_lo, s5, v54, vcc_lo
	s_delay_alu instid0(VALU_DEP_4) | instskip(SKIP_3) | instid1(VALU_DEP_4)
	v_add_nc_u32_e32 v65, s1, v63
	v_add_co_u32 v55, vcc_lo, s4, v55
	v_lshlrev_b64 v[59:60], 3, v[59:60]
	v_ashrrev_i32_e32 v64, 31, v63
	v_add_nc_u32_e32 v67, s1, v65
	v_add_co_ci_u32_e32 v56, vcc_lo, s5, v56, vcc_lo
	v_add_co_u32 v57, vcc_lo, s4, v57
	s_delay_alu instid0(VALU_DEP_3) | instskip(SKIP_3) | instid1(VALU_DEP_4)
	v_add_nc_u32_e32 v69, s1, v67
	v_lshlrev_b64 v[61:62], 3, v[61:62]
	v_ashrrev_i32_e32 v66, 31, v65
	v_add_co_ci_u32_e32 v58, vcc_lo, s5, v58, vcc_lo
	v_add_nc_u32_e32 v71, s1, v69
	v_add_co_u32 v59, vcc_lo, s4, v59
	v_lshlrev_b64 v[63:64], 3, v[63:64]
	v_ashrrev_i32_e32 v68, 31, v67
	s_delay_alu instid0(VALU_DEP_4) | instskip(SKIP_2) | instid1(VALU_DEP_3)
	v_add_nc_u32_e32 v73, s1, v71
	v_add_co_ci_u32_e32 v60, vcc_lo, s5, v60, vcc_lo
	v_add_co_u32 v61, vcc_lo, s4, v61
	v_add_nc_u32_e32 v75, s1, v73
	v_lshlrev_b64 v[65:66], 3, v[65:66]
	v_ashrrev_i32_e32 v70, 31, v69
	v_add_co_ci_u32_e32 v62, vcc_lo, s5, v62, vcc_lo
	s_delay_alu instid0(VALU_DEP_4)
	v_add_nc_u32_e32 v77, s1, v75
	v_add_co_u32 v63, vcc_lo, s4, v63
	v_lshlrev_b64 v[67:68], 3, v[67:68]
	v_ashrrev_i32_e32 v72, 31, v71
	v_add_co_ci_u32_e32 v64, vcc_lo, s5, v64, vcc_lo
	v_add_co_u32 v65, vcc_lo, s4, v65
	v_lshlrev_b64 v[69:70], 3, v[69:70]
	v_ashrrev_i32_e32 v74, 31, v73
	v_add_nc_u32_e32 v79, s1, v77
	v_add_co_ci_u32_e32 v66, vcc_lo, s5, v66, vcc_lo
	v_add_co_u32 v67, vcc_lo, s4, v67
	v_lshlrev_b64 v[71:72], 3, v[71:72]
	v_ashrrev_i32_e32 v76, 31, v75
	v_add_co_ci_u32_e32 v68, vcc_lo, s5, v68, vcc_lo
	v_add_co_u32 v69, vcc_lo, s4, v69
	v_lshlrev_b64 v[73:74], 3, v[73:74]
	v_add_nc_u32_e32 v81, s1, v79
	v_ashrrev_i32_e32 v78, 31, v77
	v_add_co_ci_u32_e32 v70, vcc_lo, s5, v70, vcc_lo
	v_add_co_u32 v71, vcc_lo, s4, v71
	v_lshlrev_b64 v[75:76], 3, v[75:76]
	v_ashrrev_i32_e32 v80, 31, v79
	v_add_co_ci_u32_e32 v72, vcc_lo, s5, v72, vcc_lo
	v_add_nc_u32_e32 v85, s1, v81
	v_add_co_u32 v73, vcc_lo, s4, v73
	v_lshlrev_b64 v[77:78], 3, v[77:78]
	v_ashrrev_i32_e32 v82, 31, v81
	v_add_co_ci_u32_e32 v74, vcc_lo, s5, v74, vcc_lo
	v_add_co_u32 v75, vcc_lo, s4, v75
	v_lshlrev_b64 v[79:80], 3, v[79:80]
	v_add_nc_u32_e32 v112, s1, v85
	v_add_co_ci_u32_e32 v76, vcc_lo, s5, v76, vcc_lo
	v_add_co_u32 v77, vcc_lo, s4, v77
	v_lshlrev_b64 v[81:82], 3, v[81:82]
	v_ashrrev_i32_e32 v86, 31, v85
	v_add_co_ci_u32_e32 v78, vcc_lo, s5, v78, vcc_lo
	v_add_co_u32 v83, vcc_lo, s4, v79
	v_ashrrev_i32_e32 v113, 31, v112
	v_add_co_ci_u32_e32 v84, vcc_lo, s5, v80, vcc_lo
	v_lshlrev_b64 v[79:80], 3, v[85:86]
	v_add_co_u32 v85, vcc_lo, s4, v81
	v_add_co_ci_u32_e32 v86, vcc_lo, s5, v82, vcc_lo
	v_lshlrev_b64 v[81:82], 3, v[112:113]
	s_delay_alu instid0(VALU_DEP_4) | instskip(SKIP_2) | instid1(VALU_DEP_3)
	v_add_co_u32 v79, vcc_lo, s4, v79
	v_add_co_ci_u32_e32 v80, vcc_lo, s5, v80, vcc_lo
	s_mov_b32 s1, -1
	v_add_co_u32 v81, vcc_lo, s4, v81
	s_delay_alu instid0(VALU_DEP_4)
	v_add_co_ci_u32_e32 v82, vcc_lo, s5, v82, vcc_lo
	s_waitcnt vmcnt(16)
	scratch_store_b128 off, v[1:4], off
	s_clause 0x2
	global_load_b64 v[1:2], v[49:50], off
	global_load_b64 v[3:4], v[51:52], off
	global_load_b64 v[112:113], v[53:54], off
	s_waitcnt vmcnt(17)
	scratch_store_b128 off, v[5:8], off offset:16
	s_waitcnt vmcnt(15)
	scratch_store_b128 off, v[9:12], off offset:32
	s_clause 0x3
	global_load_b64 v[114:115], v[55:56], off
	global_load_b64 v[5:6], v[57:58], off
	global_load_b64 v[7:8], v[59:60], off
	global_load_b64 v[9:10], v[61:62], off
	s_waitcnt vmcnt(17)
	scratch_store_b128 off, v[88:91], off offset:48
	s_waitcnt vmcnt(15)
	scratch_store_b128 off, v[92:95], off offset:64
	s_clause 0x3
	global_load_b64 v[11:12], v[63:64], off
	;; [unrolled: 9-line block ×3, first 2 shown]
	global_load_b64 v[96:97], v[73:74], off
	global_load_b64 v[98:99], v[75:76], off
	;; [unrolled: 1-line block ×3, first 2 shown]
	s_waitcnt vmcnt(17)
	scratch_store_b128 off, v[104:107], off offset:112
	s_clause 0x2
	global_load_b64 v[102:103], v[83:84], off
	global_load_b64 v[104:105], v[85:86], off
	global_load_b64 v[106:107], v[79:80], off
	s_waitcnt vmcnt(18)
	scratch_store_b128 off, v[108:111], off offset:128
	global_load_b64 v[108:109], v[81:82], off
	s_waitcnt vmcnt(17)
	scratch_store_b128 off, v[1:4], off offset:144
	s_waitcnt vmcnt(15)
	scratch_store_b128 off, v[112:115], off offset:160
	;; [unrolled: 2-line block ×9, first 2 shown]
	s_waitcnt vmcnt(0)
	scratch_store_b64 off, v[108:109], off offset:288
	s_cbranch_scc1 .LBB100_156
; %bb.4:
	v_cmp_eq_u32_e64 s0, 0, v0
	s_delay_alu instid0(VALU_DEP_1)
	s_and_saveexec_b32 s1, s0
	s_cbranch_execz .LBB100_6
; %bb.5:
	v_mov_b32_e32 v1, 0
	ds_store_b32 v1, v1 offset:296
.LBB100_6:
	s_or_b32 exec_lo, exec_lo, s1
	s_waitcnt lgkmcnt(0)
	s_waitcnt_vscnt null, 0x0
	s_barrier
	buffer_gl0_inv
	scratch_load_b64 v[1:2], v87, off
	s_mov_b32 s4, exec_lo
	s_waitcnt vmcnt(0)
	v_cmpx_eq_f64_e32 0, v[1:2]
	s_cbranch_execz .LBB100_10
; %bb.7:
	v_mov_b32_e32 v1, 0
	s_mov_b32 s5, 0
	ds_load_b32 v2, v1 offset:296
	s_waitcnt lgkmcnt(0)
	v_readfirstlane_b32 s1, v2
	v_add_nc_u32_e32 v2, 1, v0
	s_delay_alu instid0(VALU_DEP_2) | instskip(NEXT) | instid1(VALU_DEP_1)
	s_cmp_eq_u32 s1, 0
	v_cmp_gt_i32_e32 vcc_lo, s1, v2
	s_cselect_b32 s10, -1, 0
	s_delay_alu instid0(SALU_CYCLE_1) | instskip(NEXT) | instid1(SALU_CYCLE_1)
	s_or_b32 s10, s10, vcc_lo
	s_and_b32 exec_lo, exec_lo, s10
	s_cbranch_execz .LBB100_10
; %bb.8:
	v_mov_b32_e32 v3, s1
.LBB100_9:                              ; =>This Inner Loop Header: Depth=1
	ds_cmpstore_rtn_b32 v3, v1, v2, v3 offset:296
	s_waitcnt lgkmcnt(0)
	v_cmp_ne_u32_e32 vcc_lo, 0, v3
	v_cmp_le_i32_e64 s1, v3, v2
	s_delay_alu instid0(VALU_DEP_1) | instskip(NEXT) | instid1(SALU_CYCLE_1)
	s_and_b32 s1, vcc_lo, s1
	s_and_b32 s1, exec_lo, s1
	s_delay_alu instid0(SALU_CYCLE_1) | instskip(NEXT) | instid1(SALU_CYCLE_1)
	s_or_b32 s5, s1, s5
	s_and_not1_b32 exec_lo, exec_lo, s5
	s_cbranch_execnz .LBB100_9
.LBB100_10:
	s_or_b32 exec_lo, exec_lo, s4
	v_mov_b32_e32 v1, 0
	s_barrier
	buffer_gl0_inv
	ds_load_b32 v2, v1 offset:296
	s_and_saveexec_b32 s1, s0
	s_cbranch_execz .LBB100_12
; %bb.11:
	s_lshl_b64 s[4:5], s[8:9], 2
	s_delay_alu instid0(SALU_CYCLE_1)
	s_add_u32 s4, s6, s4
	s_addc_u32 s5, s7, s5
	s_waitcnt lgkmcnt(0)
	global_store_b32 v1, v2, s[4:5]
.LBB100_12:
	s_or_b32 exec_lo, exec_lo, s1
	s_waitcnt lgkmcnt(0)
	v_cmp_ne_u32_e32 vcc_lo, 0, v2
	s_mov_b32 s1, 0
	s_cbranch_vccnz .LBB100_156
; %bb.13:
	v_add_nc_u32_e32 v3, 0, v87
	scratch_load_b64 v[1:2], v3, off
	s_waitcnt vmcnt(0)
	v_div_scale_f64 v[4:5], null, v[1:2], v[1:2], 1.0
	v_div_scale_f64 v[10:11], vcc_lo, 1.0, v[1:2], 1.0
	s_delay_alu instid0(VALU_DEP_2) | instskip(SKIP_2) | instid1(VALU_DEP_1)
	v_rcp_f64_e32 v[6:7], v[4:5]
	s_waitcnt_depctr 0xfff
	v_fma_f64 v[8:9], -v[4:5], v[6:7], 1.0
	v_fma_f64 v[6:7], v[6:7], v[8:9], v[6:7]
	s_delay_alu instid0(VALU_DEP_1) | instskip(NEXT) | instid1(VALU_DEP_1)
	v_fma_f64 v[8:9], -v[4:5], v[6:7], 1.0
	v_fma_f64 v[6:7], v[6:7], v[8:9], v[6:7]
	s_delay_alu instid0(VALU_DEP_1) | instskip(NEXT) | instid1(VALU_DEP_1)
	v_mul_f64 v[8:9], v[10:11], v[6:7]
	v_fma_f64 v[4:5], -v[4:5], v[8:9], v[10:11]
	s_delay_alu instid0(VALU_DEP_1) | instskip(NEXT) | instid1(VALU_DEP_1)
	v_div_fmas_f64 v[4:5], v[4:5], v[6:7], v[8:9]
	v_div_fixup_f64 v[1:2], v[4:5], v[1:2], 1.0
	v_add_nc_u32_e32 v4, 0x130, v87
	scratch_store_b64 v3, v[1:2], off
	scratch_load_b64 v[5:6], off, off offset:8
	v_xor_b32_e32 v2, 0x80000000, v2
	s_waitcnt vmcnt(0)
	ds_store_2addr_b64 v87, v[1:2], v[5:6] offset1:38
	s_waitcnt lgkmcnt(0)
	s_waitcnt_vscnt null, 0x0
	s_barrier
	buffer_gl0_inv
	s_and_saveexec_b32 s1, s0
	s_cbranch_execz .LBB100_15
; %bb.14:
	scratch_load_b64 v[1:2], v3, off
	ds_load_b64 v[5:6], v4
	s_waitcnt vmcnt(0) lgkmcnt(0)
	v_fma_f64 v[1:2], v[1:2], v[5:6], 0
	v_mov_b32_e32 v5, 0
	ds_load_b64 v[5:6], v5 offset:8
	s_waitcnt lgkmcnt(0)
	v_mul_f64 v[1:2], v[1:2], v[5:6]
	scratch_store_b64 off, v[1:2], off offset:8
.LBB100_15:
	s_or_b32 exec_lo, exec_lo, s1
	s_waitcnt_vscnt null, 0x0
	s_barrier
	buffer_gl0_inv
	scratch_load_b64 v[1:2], off, off offset:16
	s_mov_b32 s1, exec_lo
	s_waitcnt vmcnt(0)
	ds_store_b64 v4, v[1:2]
	s_waitcnt lgkmcnt(0)
	s_barrier
	buffer_gl0_inv
	v_cmpx_gt_u32_e32 2, v0
	s_cbranch_execz .LBB100_19
; %bb.16:
	scratch_load_b64 v[1:2], v3, off
	ds_load_b64 v[5:6], v4
	s_waitcnt vmcnt(0) lgkmcnt(0)
	v_fma_f64 v[1:2], v[1:2], v[5:6], 0
	s_and_saveexec_b32 s4, s0
	s_cbranch_execz .LBB100_18
; %bb.17:
	scratch_load_b64 v[5:6], off, off offset:8
	v_mov_b32_e32 v7, 0
	ds_load_b64 v[7:8], v7 offset:312
	s_waitcnt vmcnt(0) lgkmcnt(0)
	v_fma_f64 v[1:2], v[5:6], v[7:8], v[1:2]
.LBB100_18:
	s_or_b32 exec_lo, exec_lo, s4
	v_mov_b32_e32 v5, 0
	ds_load_b64 v[5:6], v5 offset:16
	s_waitcnt lgkmcnt(0)
	v_mul_f64 v[1:2], v[1:2], v[5:6]
	scratch_store_b64 off, v[1:2], off offset:16
.LBB100_19:
	s_or_b32 exec_lo, exec_lo, s1
	s_waitcnt_vscnt null, 0x0
	s_barrier
	buffer_gl0_inv
	scratch_load_b64 v[1:2], off, off offset:24
	v_add_nc_u32_e32 v5, -1, v0
	s_mov_b32 s0, exec_lo
	s_waitcnt vmcnt(0)
	ds_store_b64 v4, v[1:2]
	s_waitcnt lgkmcnt(0)
	s_barrier
	buffer_gl0_inv
	v_cmpx_gt_u32_e32 3, v0
	s_cbranch_execz .LBB100_23
; %bb.20:
	v_dual_mov_b32 v1, 0 :: v_dual_add_nc_u32 v6, -1, v0
	v_dual_mov_b32 v2, 0 :: v_dual_add_nc_u32 v7, 0x130, v87
	v_add_nc_u32_e32 v8, 0, v87
	s_mov_b32 s1, 0
.LBB100_21:                             ; =>This Inner Loop Header: Depth=1
	scratch_load_b64 v[9:10], v8, off
	ds_load_b64 v[11:12], v7
	v_add_nc_u32_e32 v6, 1, v6
	v_add_nc_u32_e32 v7, 8, v7
	v_add_nc_u32_e32 v8, 8, v8
	s_delay_alu instid0(VALU_DEP_3)
	v_cmp_lt_u32_e32 vcc_lo, 1, v6
	s_or_b32 s1, vcc_lo, s1
	s_waitcnt vmcnt(0) lgkmcnt(0)
	v_fma_f64 v[1:2], v[9:10], v[11:12], v[1:2]
	s_and_not1_b32 exec_lo, exec_lo, s1
	s_cbranch_execnz .LBB100_21
; %bb.22:
	s_or_b32 exec_lo, exec_lo, s1
	v_mov_b32_e32 v6, 0
	ds_load_b64 v[6:7], v6 offset:24
	s_waitcnt lgkmcnt(0)
	v_mul_f64 v[1:2], v[1:2], v[6:7]
	scratch_store_b64 off, v[1:2], off offset:24
.LBB100_23:
	s_or_b32 exec_lo, exec_lo, s0
	s_waitcnt_vscnt null, 0x0
	s_barrier
	buffer_gl0_inv
	scratch_load_b64 v[1:2], off, off offset:32
	s_mov_b32 s0, exec_lo
	s_waitcnt vmcnt(0)
	ds_store_b64 v4, v[1:2]
	s_waitcnt lgkmcnt(0)
	s_barrier
	buffer_gl0_inv
	v_cmpx_gt_u32_e32 4, v0
	s_cbranch_execz .LBB100_27
; %bb.24:
	v_dual_mov_b32 v1, 0 :: v_dual_add_nc_u32 v6, -1, v0
	v_dual_mov_b32 v2, 0 :: v_dual_add_nc_u32 v7, 0x130, v87
	v_add_nc_u32_e32 v8, 0, v87
	s_mov_b32 s1, 0
.LBB100_25:                             ; =>This Inner Loop Header: Depth=1
	scratch_load_b64 v[9:10], v8, off
	ds_load_b64 v[11:12], v7
	v_add_nc_u32_e32 v6, 1, v6
	v_add_nc_u32_e32 v7, 8, v7
	v_add_nc_u32_e32 v8, 8, v8
	s_delay_alu instid0(VALU_DEP_3)
	v_cmp_lt_u32_e32 vcc_lo, 2, v6
	s_or_b32 s1, vcc_lo, s1
	s_waitcnt vmcnt(0) lgkmcnt(0)
	v_fma_f64 v[1:2], v[9:10], v[11:12], v[1:2]
	s_and_not1_b32 exec_lo, exec_lo, s1
	s_cbranch_execnz .LBB100_25
; %bb.26:
	s_or_b32 exec_lo, exec_lo, s1
	v_mov_b32_e32 v6, 0
	ds_load_b64 v[6:7], v6 offset:32
	s_waitcnt lgkmcnt(0)
	v_mul_f64 v[1:2], v[1:2], v[6:7]
	scratch_store_b64 off, v[1:2], off offset:32
.LBB100_27:
	s_or_b32 exec_lo, exec_lo, s0
	s_waitcnt_vscnt null, 0x0
	s_barrier
	buffer_gl0_inv
	scratch_load_b64 v[1:2], off, off offset:40
	;; [unrolled: 39-line block ×20, first 2 shown]
	s_mov_b32 s0, exec_lo
	s_waitcnt vmcnt(0)
	ds_store_b64 v4, v[1:2]
	s_waitcnt lgkmcnt(0)
	s_barrier
	buffer_gl0_inv
	v_cmpx_gt_u32_e32 23, v0
	s_cbranch_execz .LBB100_103
; %bb.100:
	v_dual_mov_b32 v1, 0 :: v_dual_add_nc_u32 v6, -1, v0
	v_dual_mov_b32 v2, 0 :: v_dual_add_nc_u32 v7, 0x130, v87
	v_add_nc_u32_e32 v8, 0, v87
	s_mov_b32 s1, 0
.LBB100_101:                            ; =>This Inner Loop Header: Depth=1
	scratch_load_b64 v[9:10], v8, off
	ds_load_b64 v[11:12], v7
	v_add_nc_u32_e32 v6, 1, v6
	v_add_nc_u32_e32 v7, 8, v7
	v_add_nc_u32_e32 v8, 8, v8
	s_delay_alu instid0(VALU_DEP_3)
	v_cmp_lt_u32_e32 vcc_lo, 21, v6
	s_or_b32 s1, vcc_lo, s1
	s_waitcnt vmcnt(0) lgkmcnt(0)
	v_fma_f64 v[1:2], v[9:10], v[11:12], v[1:2]
	s_and_not1_b32 exec_lo, exec_lo, s1
	s_cbranch_execnz .LBB100_101
; %bb.102:
	s_or_b32 exec_lo, exec_lo, s1
	v_mov_b32_e32 v6, 0
	ds_load_b64 v[6:7], v6 offset:184
	s_waitcnt lgkmcnt(0)
	v_mul_f64 v[1:2], v[1:2], v[6:7]
	scratch_store_b64 off, v[1:2], off offset:184
.LBB100_103:
	s_or_b32 exec_lo, exec_lo, s0
	s_waitcnt_vscnt null, 0x0
	s_barrier
	buffer_gl0_inv
	scratch_load_b64 v[1:2], off, off offset:192
	s_mov_b32 s0, exec_lo
	s_waitcnt vmcnt(0)
	ds_store_b64 v4, v[1:2]
	s_waitcnt lgkmcnt(0)
	s_barrier
	buffer_gl0_inv
	v_cmpx_gt_u32_e32 24, v0
	s_cbranch_execz .LBB100_107
; %bb.104:
	v_dual_mov_b32 v1, 0 :: v_dual_add_nc_u32 v6, -1, v0
	v_dual_mov_b32 v2, 0 :: v_dual_add_nc_u32 v7, 0x130, v87
	v_add_nc_u32_e32 v8, 0, v87
	s_mov_b32 s1, 0
.LBB100_105:                            ; =>This Inner Loop Header: Depth=1
	scratch_load_b64 v[9:10], v8, off
	ds_load_b64 v[11:12], v7
	v_add_nc_u32_e32 v6, 1, v6
	v_add_nc_u32_e32 v7, 8, v7
	v_add_nc_u32_e32 v8, 8, v8
	s_delay_alu instid0(VALU_DEP_3)
	v_cmp_lt_u32_e32 vcc_lo, 22, v6
	s_or_b32 s1, vcc_lo, s1
	s_waitcnt vmcnt(0) lgkmcnt(0)
	v_fma_f64 v[1:2], v[9:10], v[11:12], v[1:2]
	s_and_not1_b32 exec_lo, exec_lo, s1
	s_cbranch_execnz .LBB100_105
; %bb.106:
	s_or_b32 exec_lo, exec_lo, s1
	v_mov_b32_e32 v6, 0
	ds_load_b64 v[6:7], v6 offset:192
	s_waitcnt lgkmcnt(0)
	v_mul_f64 v[1:2], v[1:2], v[6:7]
	scratch_store_b64 off, v[1:2], off offset:192
.LBB100_107:
	s_or_b32 exec_lo, exec_lo, s0
	s_waitcnt_vscnt null, 0x0
	s_barrier
	buffer_gl0_inv
	scratch_load_b64 v[1:2], off, off offset:200
	;; [unrolled: 39-line block ×13, first 2 shown]
	s_mov_b32 s0, exec_lo
	s_waitcnt vmcnt(0)
	ds_store_b64 v4, v[1:2]
	s_waitcnt lgkmcnt(0)
	s_barrier
	buffer_gl0_inv
	v_cmpx_ne_u32_e32 36, v0
	s_cbranch_execz .LBB100_155
; %bb.152:
	v_mov_b32_e32 v1, 0
	v_mov_b32_e32 v2, 0
	s_mov_b32 s1, 0
.LBB100_153:                            ; =>This Inner Loop Header: Depth=1
	scratch_load_b64 v[6:7], v3, off
	ds_load_b64 v[8:9], v4
	v_add_nc_u32_e32 v5, 1, v5
	v_add_nc_u32_e32 v4, 8, v4
	;; [unrolled: 1-line block ×3, first 2 shown]
	s_delay_alu instid0(VALU_DEP_3)
	v_cmp_lt_u32_e32 vcc_lo, 34, v5
	s_or_b32 s1, vcc_lo, s1
	s_waitcnt vmcnt(0) lgkmcnt(0)
	v_fma_f64 v[1:2], v[6:7], v[8:9], v[1:2]
	s_and_not1_b32 exec_lo, exec_lo, s1
	s_cbranch_execnz .LBB100_153
; %bb.154:
	s_or_b32 exec_lo, exec_lo, s1
	v_mov_b32_e32 v3, 0
	ds_load_b64 v[3:4], v3 offset:288
	s_waitcnt lgkmcnt(0)
	v_mul_f64 v[1:2], v[1:2], v[3:4]
	scratch_store_b64 off, v[1:2], off offset:288
.LBB100_155:
	s_or_b32 exec_lo, exec_lo, s0
	s_mov_b32 s1, -1
	s_waitcnt_vscnt null, 0x0
	s_barrier
	buffer_gl0_inv
.LBB100_156:
	s_and_b32 vcc_lo, exec_lo, s1
	s_cbranch_vccz .LBB100_158
; %bb.157:
	s_lshl_b64 s[0:1], s[8:9], 2
	v_mov_b32_e32 v1, 0
	s_add_u32 s0, s6, s0
	s_addc_u32 s1, s7, s1
	global_load_b32 v1, v1, s[0:1]
	s_waitcnt vmcnt(0)
	v_cmp_ne_u32_e32 vcc_lo, 0, v1
	s_cbranch_vccz .LBB100_159
.LBB100_158:
	s_endpgm
.LBB100_159:
	v_lshl_add_u32 v3, v0, 3, 0x130
	s_mov_b32 s0, exec_lo
	v_cmpx_eq_u32_e32 36, v0
	s_cbranch_execz .LBB100_161
; %bb.160:
	scratch_load_b64 v[1:2], off, off offset:280
	v_mov_b32_e32 v4, 0
	s_delay_alu instid0(VALU_DEP_1)
	v_mov_b32_e32 v5, v4
	scratch_store_b64 off, v[4:5], off offset:280
	s_waitcnt vmcnt(0)
	ds_store_b64 v3, v[1:2]
.LBB100_161:
	s_or_b32 exec_lo, exec_lo, s0
	s_waitcnt lgkmcnt(0)
	s_waitcnt_vscnt null, 0x0
	s_barrier
	buffer_gl0_inv
	scratch_load_b128 v[4:7], off, off offset:280
	v_mov_b32_e32 v1, 0
	s_mov_b32 s0, exec_lo
	ds_load_b64 v[8:9], v1 offset:592
	s_waitcnt vmcnt(0) lgkmcnt(0)
	v_fma_f64 v[6:7], v[6:7], v[8:9], 0
	s_delay_alu instid0(VALU_DEP_1)
	v_add_f64 v[4:5], v[4:5], -v[6:7]
	scratch_store_b64 off, v[4:5], off offset:280
	v_cmpx_lt_u32_e32 34, v0
	s_cbranch_execz .LBB100_163
; %bb.162:
	scratch_load_b64 v[4:5], off, off offset:272
	v_mov_b32_e32 v2, v1
	scratch_store_b64 off, v[1:2], off offset:272
	s_waitcnt vmcnt(0)
	ds_store_b64 v3, v[4:5]
.LBB100_163:
	s_or_b32 exec_lo, exec_lo, s0
	s_waitcnt lgkmcnt(0)
	s_waitcnt_vscnt null, 0x0
	s_barrier
	buffer_gl0_inv
	s_clause 0x1
	scratch_load_b128 v[4:7], off, off offset:272
	scratch_load_b64 v[87:88], off, off offset:288
	ds_load_2addr_b64 v[8:11], v1 offset0:73 offset1:74
	s_mov_b32 s0, exec_lo
	s_waitcnt vmcnt(1) lgkmcnt(0)
	v_fma_f64 v[1:2], v[6:7], v[8:9], 0
	s_waitcnt vmcnt(0)
	s_delay_alu instid0(VALU_DEP_1) | instskip(NEXT) | instid1(VALU_DEP_1)
	v_fma_f64 v[1:2], v[87:88], v[10:11], v[1:2]
	v_add_f64 v[1:2], v[4:5], -v[1:2]
	scratch_store_b64 off, v[1:2], off offset:272
	v_cmpx_lt_u32_e32 33, v0
	s_cbranch_execz .LBB100_165
; %bb.164:
	scratch_load_b64 v[1:2], off, off offset:264
	v_mov_b32_e32 v4, 0
	s_delay_alu instid0(VALU_DEP_1)
	v_mov_b32_e32 v5, v4
	scratch_store_b64 off, v[4:5], off offset:264
	s_waitcnt vmcnt(0)
	ds_store_b64 v3, v[1:2]
.LBB100_165:
	s_or_b32 exec_lo, exec_lo, s0
	s_waitcnt lgkmcnt(0)
	s_waitcnt_vscnt null, 0x0
	s_barrier
	buffer_gl0_inv
	s_clause 0x1
	scratch_load_b128 v[4:7], off, off offset:264
	scratch_load_b128 v[8:11], off, off offset:280
	v_mov_b32_e32 v1, 0
	ds_load_b128 v[87:90], v1 offset:576
	ds_load_b64 v[91:92], v1 offset:592
	s_mov_b32 s0, exec_lo
	s_waitcnt vmcnt(1) lgkmcnt(1)
	v_fma_f64 v[6:7], v[6:7], v[87:88], 0
	s_waitcnt vmcnt(0)
	s_delay_alu instid0(VALU_DEP_1) | instskip(SKIP_1) | instid1(VALU_DEP_1)
	v_fma_f64 v[6:7], v[8:9], v[89:90], v[6:7]
	s_waitcnt lgkmcnt(0)
	v_fma_f64 v[6:7], v[10:11], v[91:92], v[6:7]
	s_delay_alu instid0(VALU_DEP_1)
	v_add_f64 v[4:5], v[4:5], -v[6:7]
	scratch_store_b64 off, v[4:5], off offset:264
	v_cmpx_lt_u32_e32 32, v0
	s_cbranch_execz .LBB100_167
; %bb.166:
	scratch_load_b64 v[4:5], off, off offset:256
	v_mov_b32_e32 v2, v1
	scratch_store_b64 off, v[1:2], off offset:256
	s_waitcnt vmcnt(0)
	ds_store_b64 v3, v[4:5]
.LBB100_167:
	s_or_b32 exec_lo, exec_lo, s0
	s_waitcnt lgkmcnt(0)
	s_waitcnt_vscnt null, 0x0
	s_barrier
	buffer_gl0_inv
	s_clause 0x2
	scratch_load_b128 v[4:7], off, off offset:256
	scratch_load_b128 v[8:11], off, off offset:272
	scratch_load_b64 v[95:96], off, off offset:288
	ds_load_2addr_b64 v[87:90], v1 offset0:71 offset1:72
	ds_load_2addr_b64 v[91:94], v1 offset0:73 offset1:74
	s_mov_b32 s0, exec_lo
	s_waitcnt vmcnt(2) lgkmcnt(1)
	v_fma_f64 v[1:2], v[6:7], v[87:88], 0
	s_waitcnt vmcnt(1)
	s_delay_alu instid0(VALU_DEP_1) | instskip(SKIP_1) | instid1(VALU_DEP_1)
	v_fma_f64 v[1:2], v[8:9], v[89:90], v[1:2]
	s_waitcnt lgkmcnt(0)
	v_fma_f64 v[1:2], v[10:11], v[91:92], v[1:2]
	s_waitcnt vmcnt(0)
	s_delay_alu instid0(VALU_DEP_1) | instskip(NEXT) | instid1(VALU_DEP_1)
	v_fma_f64 v[1:2], v[95:96], v[93:94], v[1:2]
	v_add_f64 v[1:2], v[4:5], -v[1:2]
	scratch_store_b64 off, v[1:2], off offset:256
	v_cmpx_lt_u32_e32 31, v0
	s_cbranch_execz .LBB100_169
; %bb.168:
	scratch_load_b64 v[1:2], off, off offset:248
	v_mov_b32_e32 v4, 0
	s_delay_alu instid0(VALU_DEP_1)
	v_mov_b32_e32 v5, v4
	scratch_store_b64 off, v[4:5], off offset:248
	s_waitcnt vmcnt(0)
	ds_store_b64 v3, v[1:2]
.LBB100_169:
	s_or_b32 exec_lo, exec_lo, s0
	s_waitcnt lgkmcnt(0)
	s_waitcnt_vscnt null, 0x0
	s_barrier
	buffer_gl0_inv
	s_clause 0x2
	scratch_load_b128 v[4:7], off, off offset:248
	scratch_load_b128 v[8:11], off, off offset:264
	;; [unrolled: 1-line block ×3, first 2 shown]
	v_mov_b32_e32 v1, 0
	s_mov_b32 s0, exec_lo
	ds_load_b128 v[91:94], v1 offset:560
	s_waitcnt vmcnt(2) lgkmcnt(0)
	v_fma_f64 v[6:7], v[6:7], v[91:92], 0
	s_waitcnt vmcnt(1)
	s_delay_alu instid0(VALU_DEP_1) | instskip(SKIP_4) | instid1(VALU_DEP_1)
	v_fma_f64 v[91:92], v[8:9], v[93:94], v[6:7]
	ds_load_b128 v[6:9], v1 offset:576
	s_waitcnt lgkmcnt(0)
	v_fma_f64 v[6:7], v[10:11], v[6:7], v[91:92]
	s_waitcnt vmcnt(0)
	v_fma_f64 v[6:7], v[87:88], v[8:9], v[6:7]
	ds_load_b64 v[8:9], v1 offset:592
	s_waitcnt lgkmcnt(0)
	v_fma_f64 v[6:7], v[89:90], v[8:9], v[6:7]
	s_delay_alu instid0(VALU_DEP_1)
	v_add_f64 v[4:5], v[4:5], -v[6:7]
	scratch_store_b64 off, v[4:5], off offset:248
	v_cmpx_lt_u32_e32 30, v0
	s_cbranch_execz .LBB100_171
; %bb.170:
	scratch_load_b64 v[4:5], off, off offset:240
	v_mov_b32_e32 v2, v1
	scratch_store_b64 off, v[1:2], off offset:240
	s_waitcnt vmcnt(0)
	ds_store_b64 v3, v[4:5]
.LBB100_171:
	s_or_b32 exec_lo, exec_lo, s0
	s_waitcnt lgkmcnt(0)
	s_waitcnt_vscnt null, 0x0
	s_barrier
	buffer_gl0_inv
	s_clause 0x3
	scratch_load_b128 v[4:7], off, off offset:240
	scratch_load_b128 v[8:11], off, off offset:256
	;; [unrolled: 1-line block ×3, first 2 shown]
	scratch_load_b64 v[95:96], off, off offset:288
	ds_load_2addr_b64 v[91:94], v1 offset0:69 offset1:70
	s_mov_b32 s0, exec_lo
	s_waitcnt vmcnt(3) lgkmcnt(0)
	v_fma_f64 v[6:7], v[6:7], v[91:92], 0
	s_waitcnt vmcnt(2)
	s_delay_alu instid0(VALU_DEP_1) | instskip(SKIP_4) | instid1(VALU_DEP_1)
	v_fma_f64 v[91:92], v[8:9], v[93:94], v[6:7]
	ds_load_2addr_b64 v[6:9], v1 offset0:71 offset1:72
	s_waitcnt lgkmcnt(0)
	v_fma_f64 v[6:7], v[10:11], v[6:7], v[91:92]
	s_waitcnt vmcnt(1)
	v_fma_f64 v[10:11], v[87:88], v[8:9], v[6:7]
	ds_load_2addr_b64 v[6:9], v1 offset0:73 offset1:74
	s_waitcnt lgkmcnt(0)
	v_fma_f64 v[1:2], v[89:90], v[6:7], v[10:11]
	s_waitcnt vmcnt(0)
	s_delay_alu instid0(VALU_DEP_1) | instskip(NEXT) | instid1(VALU_DEP_1)
	v_fma_f64 v[1:2], v[95:96], v[8:9], v[1:2]
	v_add_f64 v[1:2], v[4:5], -v[1:2]
	scratch_store_b64 off, v[1:2], off offset:240
	v_cmpx_lt_u32_e32 29, v0
	s_cbranch_execz .LBB100_173
; %bb.172:
	scratch_load_b64 v[1:2], off, off offset:232
	v_mov_b32_e32 v4, 0
	s_delay_alu instid0(VALU_DEP_1)
	v_mov_b32_e32 v5, v4
	scratch_store_b64 off, v[4:5], off offset:232
	s_waitcnt vmcnt(0)
	ds_store_b64 v3, v[1:2]
.LBB100_173:
	s_or_b32 exec_lo, exec_lo, s0
	s_waitcnt lgkmcnt(0)
	s_waitcnt_vscnt null, 0x0
	s_barrier
	buffer_gl0_inv
	s_clause 0x3
	scratch_load_b128 v[4:7], off, off offset:232
	scratch_load_b128 v[8:11], off, off offset:248
	;; [unrolled: 1-line block ×4, first 2 shown]
	v_mov_b32_e32 v1, 0
	ds_load_b128 v[95:98], v1 offset:544
	ds_load_b128 v[99:102], v1 offset:560
	s_mov_b32 s0, exec_lo
	s_waitcnt vmcnt(3) lgkmcnt(1)
	v_fma_f64 v[6:7], v[6:7], v[95:96], 0
	s_waitcnt vmcnt(2)
	s_delay_alu instid0(VALU_DEP_1) | instskip(SKIP_1) | instid1(VALU_DEP_1)
	v_fma_f64 v[6:7], v[8:9], v[97:98], v[6:7]
	s_waitcnt lgkmcnt(0)
	v_fma_f64 v[6:7], v[10:11], v[99:100], v[6:7]
	s_waitcnt vmcnt(1)
	s_delay_alu instid0(VALU_DEP_1)
	v_fma_f64 v[10:11], v[87:88], v[101:102], v[6:7]
	ds_load_b128 v[6:9], v1 offset:576
	ds_load_b64 v[87:88], v1 offset:592
	s_waitcnt lgkmcnt(1)
	v_fma_f64 v[6:7], v[89:90], v[6:7], v[10:11]
	s_waitcnt vmcnt(0)
	s_delay_alu instid0(VALU_DEP_1) | instskip(SKIP_1) | instid1(VALU_DEP_1)
	v_fma_f64 v[6:7], v[91:92], v[8:9], v[6:7]
	s_waitcnt lgkmcnt(0)
	v_fma_f64 v[6:7], v[93:94], v[87:88], v[6:7]
	s_delay_alu instid0(VALU_DEP_1)
	v_add_f64 v[4:5], v[4:5], -v[6:7]
	scratch_store_b64 off, v[4:5], off offset:232
	v_cmpx_lt_u32_e32 28, v0
	s_cbranch_execz .LBB100_175
; %bb.174:
	scratch_load_b64 v[4:5], off, off offset:224
	v_mov_b32_e32 v2, v1
	scratch_store_b64 off, v[1:2], off offset:224
	s_waitcnt vmcnt(0)
	ds_store_b64 v3, v[4:5]
.LBB100_175:
	s_or_b32 exec_lo, exec_lo, s0
	s_waitcnt lgkmcnt(0)
	s_waitcnt_vscnt null, 0x0
	s_barrier
	buffer_gl0_inv
	s_clause 0x4
	scratch_load_b128 v[4:7], off, off offset:224
	scratch_load_b128 v[8:11], off, off offset:240
	;; [unrolled: 1-line block ×4, first 2 shown]
	scratch_load_b64 v[103:104], off, off offset:288
	ds_load_2addr_b64 v[95:98], v1 offset0:67 offset1:68
	ds_load_2addr_b64 v[99:102], v1 offset0:69 offset1:70
	s_mov_b32 s0, exec_lo
	s_waitcnt vmcnt(4) lgkmcnt(1)
	v_fma_f64 v[6:7], v[6:7], v[95:96], 0
	s_waitcnt vmcnt(3)
	s_delay_alu instid0(VALU_DEP_1) | instskip(SKIP_1) | instid1(VALU_DEP_1)
	v_fma_f64 v[6:7], v[8:9], v[97:98], v[6:7]
	s_waitcnt lgkmcnt(0)
	v_fma_f64 v[6:7], v[10:11], v[99:100], v[6:7]
	s_waitcnt vmcnt(2)
	s_delay_alu instid0(VALU_DEP_1)
	v_fma_f64 v[10:11], v[87:88], v[101:102], v[6:7]
	ds_load_2addr_b64 v[6:9], v1 offset0:71 offset1:72
	ds_load_2addr_b64 v[95:98], v1 offset0:73 offset1:74
	s_waitcnt lgkmcnt(1)
	v_fma_f64 v[1:2], v[89:90], v[6:7], v[10:11]
	s_waitcnt vmcnt(1)
	s_delay_alu instid0(VALU_DEP_1) | instskip(SKIP_1) | instid1(VALU_DEP_1)
	v_fma_f64 v[1:2], v[91:92], v[8:9], v[1:2]
	s_waitcnt lgkmcnt(0)
	v_fma_f64 v[1:2], v[93:94], v[95:96], v[1:2]
	s_waitcnt vmcnt(0)
	s_delay_alu instid0(VALU_DEP_1) | instskip(NEXT) | instid1(VALU_DEP_1)
	v_fma_f64 v[1:2], v[103:104], v[97:98], v[1:2]
	v_add_f64 v[1:2], v[4:5], -v[1:2]
	scratch_store_b64 off, v[1:2], off offset:224
	v_cmpx_lt_u32_e32 27, v0
	s_cbranch_execz .LBB100_177
; %bb.176:
	scratch_load_b64 v[1:2], off, off offset:216
	v_mov_b32_e32 v4, 0
	s_delay_alu instid0(VALU_DEP_1)
	v_mov_b32_e32 v5, v4
	scratch_store_b64 off, v[4:5], off offset:216
	s_waitcnt vmcnt(0)
	ds_store_b64 v3, v[1:2]
.LBB100_177:
	s_or_b32 exec_lo, exec_lo, s0
	s_waitcnt lgkmcnt(0)
	s_waitcnt_vscnt null, 0x0
	s_barrier
	buffer_gl0_inv
	s_clause 0x4
	scratch_load_b128 v[4:7], off, off offset:216
	scratch_load_b128 v[8:11], off, off offset:232
	;; [unrolled: 1-line block ×5, first 2 shown]
	v_mov_b32_e32 v1, 0
	ds_load_b128 v[99:102], v1 offset:528
	ds_load_b128 v[103:106], v1 offset:544
	s_mov_b32 s0, exec_lo
	s_waitcnt vmcnt(4) lgkmcnt(1)
	v_fma_f64 v[6:7], v[6:7], v[99:100], 0
	s_waitcnt vmcnt(3)
	s_delay_alu instid0(VALU_DEP_1) | instskip(SKIP_1) | instid1(VALU_DEP_1)
	v_fma_f64 v[6:7], v[8:9], v[101:102], v[6:7]
	s_waitcnt lgkmcnt(0)
	v_fma_f64 v[6:7], v[10:11], v[103:104], v[6:7]
	s_waitcnt vmcnt(2)
	s_delay_alu instid0(VALU_DEP_1)
	v_fma_f64 v[10:11], v[87:88], v[105:106], v[6:7]
	ds_load_b128 v[6:9], v1 offset:560
	ds_load_b128 v[99:102], v1 offset:576
	s_waitcnt lgkmcnt(1)
	v_fma_f64 v[6:7], v[89:90], v[6:7], v[10:11]
	s_waitcnt vmcnt(1)
	s_delay_alu instid0(VALU_DEP_1) | instskip(SKIP_4) | instid1(VALU_DEP_1)
	v_fma_f64 v[6:7], v[91:92], v[8:9], v[6:7]
	ds_load_b64 v[8:9], v1 offset:592
	s_waitcnt lgkmcnt(1)
	v_fma_f64 v[6:7], v[93:94], v[99:100], v[6:7]
	s_waitcnt vmcnt(0)
	v_fma_f64 v[6:7], v[95:96], v[101:102], v[6:7]
	s_waitcnt lgkmcnt(0)
	s_delay_alu instid0(VALU_DEP_1) | instskip(NEXT) | instid1(VALU_DEP_1)
	v_fma_f64 v[6:7], v[97:98], v[8:9], v[6:7]
	v_add_f64 v[4:5], v[4:5], -v[6:7]
	scratch_store_b64 off, v[4:5], off offset:216
	v_cmpx_lt_u32_e32 26, v0
	s_cbranch_execz .LBB100_179
; %bb.178:
	scratch_load_b64 v[4:5], off, off offset:208
	v_mov_b32_e32 v2, v1
	scratch_store_b64 off, v[1:2], off offset:208
	s_waitcnt vmcnt(0)
	ds_store_b64 v3, v[4:5]
.LBB100_179:
	s_or_b32 exec_lo, exec_lo, s0
	s_waitcnt lgkmcnt(0)
	s_waitcnt_vscnt null, 0x0
	s_barrier
	buffer_gl0_inv
	s_clause 0x4
	scratch_load_b128 v[4:7], off, off offset:208
	scratch_load_b128 v[8:11], off, off offset:224
	;; [unrolled: 1-line block ×5, first 2 shown]
	ds_load_2addr_b64 v[99:102], v1 offset0:65 offset1:66
	ds_load_2addr_b64 v[103:106], v1 offset0:67 offset1:68
	scratch_load_b64 v[107:108], off, off offset:288
	s_mov_b32 s0, exec_lo
	s_waitcnt vmcnt(5) lgkmcnt(1)
	v_fma_f64 v[6:7], v[6:7], v[99:100], 0
	s_waitcnt vmcnt(4)
	s_delay_alu instid0(VALU_DEP_1) | instskip(SKIP_1) | instid1(VALU_DEP_1)
	v_fma_f64 v[6:7], v[8:9], v[101:102], v[6:7]
	s_waitcnt lgkmcnt(0)
	v_fma_f64 v[6:7], v[10:11], v[103:104], v[6:7]
	s_waitcnt vmcnt(3)
	s_delay_alu instid0(VALU_DEP_1)
	v_fma_f64 v[10:11], v[87:88], v[105:106], v[6:7]
	ds_load_2addr_b64 v[6:9], v1 offset0:69 offset1:70
	ds_load_2addr_b64 v[99:102], v1 offset0:71 offset1:72
	s_waitcnt lgkmcnt(1)
	v_fma_f64 v[6:7], v[89:90], v[6:7], v[10:11]
	s_waitcnt vmcnt(2)
	s_delay_alu instid0(VALU_DEP_1) | instskip(SKIP_1) | instid1(VALU_DEP_1)
	v_fma_f64 v[6:7], v[91:92], v[8:9], v[6:7]
	s_waitcnt lgkmcnt(0)
	v_fma_f64 v[6:7], v[93:94], v[99:100], v[6:7]
	s_waitcnt vmcnt(1)
	s_delay_alu instid0(VALU_DEP_1) | instskip(SKIP_4) | instid1(VALU_DEP_1)
	v_fma_f64 v[10:11], v[95:96], v[101:102], v[6:7]
	ds_load_2addr_b64 v[6:9], v1 offset0:73 offset1:74
	s_waitcnt lgkmcnt(0)
	v_fma_f64 v[1:2], v[97:98], v[6:7], v[10:11]
	s_waitcnt vmcnt(0)
	v_fma_f64 v[1:2], v[107:108], v[8:9], v[1:2]
	s_delay_alu instid0(VALU_DEP_1)
	v_add_f64 v[1:2], v[4:5], -v[1:2]
	scratch_store_b64 off, v[1:2], off offset:208
	v_cmpx_lt_u32_e32 25, v0
	s_cbranch_execz .LBB100_181
; %bb.180:
	scratch_load_b64 v[1:2], off, off offset:200
	v_mov_b32_e32 v4, 0
	s_delay_alu instid0(VALU_DEP_1)
	v_mov_b32_e32 v5, v4
	scratch_store_b64 off, v[4:5], off offset:200
	s_waitcnt vmcnt(0)
	ds_store_b64 v3, v[1:2]
.LBB100_181:
	s_or_b32 exec_lo, exec_lo, s0
	s_waitcnt lgkmcnt(0)
	s_waitcnt_vscnt null, 0x0
	s_barrier
	buffer_gl0_inv
	s_clause 0x4
	scratch_load_b128 v[4:7], off, off offset:200
	scratch_load_b128 v[8:11], off, off offset:216
	scratch_load_b128 v[87:90], off, off offset:232
	scratch_load_b128 v[91:94], off, off offset:248
	scratch_load_b128 v[95:98], off, off offset:264
	v_mov_b32_e32 v1, 0
	ds_load_b128 v[99:102], v1 offset:512
	ds_load_b128 v[103:106], v1 offset:528
	scratch_load_b128 v[107:110], off, off offset:280
	s_mov_b32 s0, exec_lo
	s_waitcnt vmcnt(5) lgkmcnt(1)
	v_fma_f64 v[6:7], v[6:7], v[99:100], 0
	s_waitcnt vmcnt(4)
	s_delay_alu instid0(VALU_DEP_1) | instskip(SKIP_1) | instid1(VALU_DEP_1)
	v_fma_f64 v[6:7], v[8:9], v[101:102], v[6:7]
	s_waitcnt lgkmcnt(0)
	v_fma_f64 v[6:7], v[10:11], v[103:104], v[6:7]
	s_waitcnt vmcnt(3)
	s_delay_alu instid0(VALU_DEP_1)
	v_fma_f64 v[10:11], v[87:88], v[105:106], v[6:7]
	ds_load_b128 v[6:9], v1 offset:544
	ds_load_b128 v[99:102], v1 offset:560
	s_waitcnt lgkmcnt(1)
	v_fma_f64 v[6:7], v[89:90], v[6:7], v[10:11]
	s_waitcnt vmcnt(2)
	s_delay_alu instid0(VALU_DEP_1) | instskip(SKIP_1) | instid1(VALU_DEP_1)
	v_fma_f64 v[6:7], v[91:92], v[8:9], v[6:7]
	s_waitcnt lgkmcnt(0)
	v_fma_f64 v[6:7], v[93:94], v[99:100], v[6:7]
	s_waitcnt vmcnt(1)
	s_delay_alu instid0(VALU_DEP_1)
	v_fma_f64 v[10:11], v[95:96], v[101:102], v[6:7]
	ds_load_b128 v[6:9], v1 offset:576
	ds_load_b64 v[87:88], v1 offset:592
	s_waitcnt lgkmcnt(1)
	v_fma_f64 v[6:7], v[97:98], v[6:7], v[10:11]
	s_waitcnt vmcnt(0)
	s_delay_alu instid0(VALU_DEP_1) | instskip(SKIP_1) | instid1(VALU_DEP_1)
	v_fma_f64 v[6:7], v[107:108], v[8:9], v[6:7]
	s_waitcnt lgkmcnt(0)
	v_fma_f64 v[6:7], v[109:110], v[87:88], v[6:7]
	s_delay_alu instid0(VALU_DEP_1)
	v_add_f64 v[4:5], v[4:5], -v[6:7]
	scratch_store_b64 off, v[4:5], off offset:200
	v_cmpx_lt_u32_e32 24, v0
	s_cbranch_execz .LBB100_183
; %bb.182:
	scratch_load_b64 v[4:5], off, off offset:192
	v_mov_b32_e32 v2, v1
	scratch_store_b64 off, v[1:2], off offset:192
	s_waitcnt vmcnt(0)
	ds_store_b64 v3, v[4:5]
.LBB100_183:
	s_or_b32 exec_lo, exec_lo, s0
	s_waitcnt lgkmcnt(0)
	s_waitcnt_vscnt null, 0x0
	s_barrier
	buffer_gl0_inv
	s_clause 0x4
	scratch_load_b128 v[4:7], off, off offset:192
	scratch_load_b128 v[8:11], off, off offset:208
	;; [unrolled: 1-line block ×5, first 2 shown]
	ds_load_2addr_b64 v[99:102], v1 offset0:63 offset1:64
	ds_load_2addr_b64 v[103:106], v1 offset0:65 offset1:66
	scratch_load_b128 v[107:110], off, off offset:272
	s_mov_b32 s0, exec_lo
	s_waitcnt vmcnt(5) lgkmcnt(1)
	v_fma_f64 v[6:7], v[6:7], v[99:100], 0
	s_waitcnt vmcnt(4)
	s_delay_alu instid0(VALU_DEP_1) | instskip(SKIP_1) | instid1(VALU_DEP_1)
	v_fma_f64 v[6:7], v[8:9], v[101:102], v[6:7]
	s_waitcnt lgkmcnt(0)
	v_fma_f64 v[6:7], v[10:11], v[103:104], v[6:7]
	scratch_load_b64 v[10:11], off, off offset:288
	s_waitcnt vmcnt(4)
	v_fma_f64 v[87:88], v[87:88], v[105:106], v[6:7]
	ds_load_2addr_b64 v[6:9], v1 offset0:67 offset1:68
	ds_load_2addr_b64 v[99:102], v1 offset0:69 offset1:70
	s_waitcnt lgkmcnt(1)
	v_fma_f64 v[6:7], v[89:90], v[6:7], v[87:88]
	s_waitcnt vmcnt(3)
	s_delay_alu instid0(VALU_DEP_1) | instskip(SKIP_1) | instid1(VALU_DEP_1)
	v_fma_f64 v[6:7], v[91:92], v[8:9], v[6:7]
	s_waitcnt lgkmcnt(0)
	v_fma_f64 v[6:7], v[93:94], v[99:100], v[6:7]
	s_waitcnt vmcnt(2)
	s_delay_alu instid0(VALU_DEP_1)
	v_fma_f64 v[91:92], v[95:96], v[101:102], v[6:7]
	ds_load_2addr_b64 v[6:9], v1 offset0:71 offset1:72
	ds_load_2addr_b64 v[87:90], v1 offset0:73 offset1:74
	s_waitcnt lgkmcnt(1)
	v_fma_f64 v[1:2], v[97:98], v[6:7], v[91:92]
	s_waitcnt vmcnt(1)
	s_delay_alu instid0(VALU_DEP_1) | instskip(SKIP_1) | instid1(VALU_DEP_1)
	v_fma_f64 v[1:2], v[107:108], v[8:9], v[1:2]
	s_waitcnt lgkmcnt(0)
	v_fma_f64 v[1:2], v[109:110], v[87:88], v[1:2]
	s_waitcnt vmcnt(0)
	s_delay_alu instid0(VALU_DEP_1) | instskip(NEXT) | instid1(VALU_DEP_1)
	v_fma_f64 v[1:2], v[10:11], v[89:90], v[1:2]
	v_add_f64 v[1:2], v[4:5], -v[1:2]
	scratch_store_b64 off, v[1:2], off offset:192
	v_cmpx_lt_u32_e32 23, v0
	s_cbranch_execz .LBB100_185
; %bb.184:
	scratch_load_b64 v[1:2], off, off offset:184
	v_mov_b32_e32 v4, 0
	s_delay_alu instid0(VALU_DEP_1)
	v_mov_b32_e32 v5, v4
	scratch_store_b64 off, v[4:5], off offset:184
	s_waitcnt vmcnt(0)
	ds_store_b64 v3, v[1:2]
.LBB100_185:
	s_or_b32 exec_lo, exec_lo, s0
	s_waitcnt lgkmcnt(0)
	s_waitcnt_vscnt null, 0x0
	s_barrier
	buffer_gl0_inv
	s_clause 0x4
	scratch_load_b128 v[4:7], off, off offset:184
	scratch_load_b128 v[8:11], off, off offset:200
	;; [unrolled: 1-line block ×5, first 2 shown]
	v_mov_b32_e32 v1, 0
	ds_load_b128 v[99:102], v1 offset:496
	ds_load_b128 v[103:106], v1 offset:512
	scratch_load_b128 v[107:110], off, off offset:264
	s_mov_b32 s0, exec_lo
	s_waitcnt vmcnt(5) lgkmcnt(1)
	v_fma_f64 v[6:7], v[6:7], v[99:100], 0
	s_waitcnt vmcnt(4)
	s_delay_alu instid0(VALU_DEP_1) | instskip(SKIP_1) | instid1(VALU_DEP_1)
	v_fma_f64 v[6:7], v[8:9], v[101:102], v[6:7]
	s_waitcnt lgkmcnt(0)
	v_fma_f64 v[10:11], v[10:11], v[103:104], v[6:7]
	scratch_load_b128 v[6:9], off, off offset:280
	s_waitcnt vmcnt(4)
	v_fma_f64 v[10:11], v[87:88], v[105:106], v[10:11]
	ds_load_b128 v[99:102], v1 offset:528
	ds_load_b128 v[103:106], v1 offset:544
	s_waitcnt lgkmcnt(1)
	v_fma_f64 v[10:11], v[89:90], v[99:100], v[10:11]
	s_waitcnt vmcnt(3)
	s_delay_alu instid0(VALU_DEP_1) | instskip(SKIP_1) | instid1(VALU_DEP_1)
	v_fma_f64 v[10:11], v[91:92], v[101:102], v[10:11]
	s_waitcnt lgkmcnt(0)
	v_fma_f64 v[10:11], v[93:94], v[103:104], v[10:11]
	ds_load_b128 v[87:90], v1 offset:560
	ds_load_b128 v[91:94], v1 offset:576
	s_waitcnt vmcnt(2)
	v_fma_f64 v[10:11], v[95:96], v[105:106], v[10:11]
	s_waitcnt lgkmcnt(1)
	s_delay_alu instid0(VALU_DEP_1) | instskip(SKIP_1) | instid1(VALU_DEP_1)
	v_fma_f64 v[10:11], v[97:98], v[87:88], v[10:11]
	s_waitcnt vmcnt(1)
	v_fma_f64 v[10:11], v[107:108], v[89:90], v[10:11]
	s_waitcnt lgkmcnt(0)
	s_delay_alu instid0(VALU_DEP_1) | instskip(SKIP_1) | instid1(VALU_DEP_1)
	v_fma_f64 v[10:11], v[109:110], v[91:92], v[10:11]
	s_waitcnt vmcnt(0)
	v_fma_f64 v[6:7], v[6:7], v[93:94], v[10:11]
	ds_load_b64 v[10:11], v1 offset:592
	s_waitcnt lgkmcnt(0)
	v_fma_f64 v[6:7], v[8:9], v[10:11], v[6:7]
	s_delay_alu instid0(VALU_DEP_1)
	v_add_f64 v[4:5], v[4:5], -v[6:7]
	scratch_store_b64 off, v[4:5], off offset:184
	v_cmpx_lt_u32_e32 22, v0
	s_cbranch_execz .LBB100_187
; %bb.186:
	scratch_load_b64 v[4:5], off, off offset:176
	v_mov_b32_e32 v2, v1
	scratch_store_b64 off, v[1:2], off offset:176
	s_waitcnt vmcnt(0)
	ds_store_b64 v3, v[4:5]
.LBB100_187:
	s_or_b32 exec_lo, exec_lo, s0
	s_waitcnt lgkmcnt(0)
	s_waitcnt_vscnt null, 0x0
	s_barrier
	buffer_gl0_inv
	s_clause 0x4
	scratch_load_b128 v[4:7], off, off offset:176
	scratch_load_b128 v[8:11], off, off offset:192
	scratch_load_b128 v[87:90], off, off offset:208
	scratch_load_b128 v[91:94], off, off offset:224
	scratch_load_b128 v[95:98], off, off offset:240
	ds_load_2addr_b64 v[99:102], v1 offset0:61 offset1:62
	ds_load_2addr_b64 v[103:106], v1 offset0:63 offset1:64
	scratch_load_b128 v[107:110], off, off offset:256
	s_mov_b32 s0, exec_lo
	s_waitcnt vmcnt(5) lgkmcnt(1)
	v_fma_f64 v[6:7], v[6:7], v[99:100], 0
	s_waitcnt vmcnt(4)
	s_delay_alu instid0(VALU_DEP_1) | instskip(SKIP_1) | instid1(VALU_DEP_1)
	v_fma_f64 v[6:7], v[8:9], v[101:102], v[6:7]
	s_waitcnt lgkmcnt(0)
	v_fma_f64 v[10:11], v[10:11], v[103:104], v[6:7]
	scratch_load_b128 v[6:9], off, off offset:272
	s_waitcnt vmcnt(4)
	v_fma_f64 v[10:11], v[87:88], v[105:106], v[10:11]
	ds_load_2addr_b64 v[99:102], v1 offset0:65 offset1:66
	ds_load_2addr_b64 v[103:106], v1 offset0:67 offset1:68
	s_waitcnt lgkmcnt(1)
	v_fma_f64 v[10:11], v[89:90], v[99:100], v[10:11]
	scratch_load_b64 v[99:100], off, off offset:288
	s_waitcnt vmcnt(4)
	v_fma_f64 v[10:11], v[91:92], v[101:102], v[10:11]
	s_waitcnt lgkmcnt(0)
	s_delay_alu instid0(VALU_DEP_1)
	v_fma_f64 v[10:11], v[93:94], v[103:104], v[10:11]
	ds_load_2addr_b64 v[87:90], v1 offset0:69 offset1:70
	ds_load_2addr_b64 v[91:94], v1 offset0:71 offset1:72
	s_waitcnt vmcnt(3)
	v_fma_f64 v[10:11], v[95:96], v[105:106], v[10:11]
	s_waitcnt lgkmcnt(1)
	s_delay_alu instid0(VALU_DEP_1) | instskip(SKIP_1) | instid1(VALU_DEP_1)
	v_fma_f64 v[10:11], v[97:98], v[87:88], v[10:11]
	s_waitcnt vmcnt(2)
	v_fma_f64 v[10:11], v[107:108], v[89:90], v[10:11]
	ds_load_2addr_b64 v[87:90], v1 offset0:73 offset1:74
	s_waitcnt lgkmcnt(1)
	v_fma_f64 v[10:11], v[109:110], v[91:92], v[10:11]
	s_waitcnt vmcnt(1)
	s_delay_alu instid0(VALU_DEP_1) | instskip(SKIP_1) | instid1(VALU_DEP_1)
	v_fma_f64 v[6:7], v[6:7], v[93:94], v[10:11]
	s_waitcnt lgkmcnt(0)
	v_fma_f64 v[1:2], v[8:9], v[87:88], v[6:7]
	s_waitcnt vmcnt(0)
	s_delay_alu instid0(VALU_DEP_1) | instskip(NEXT) | instid1(VALU_DEP_1)
	v_fma_f64 v[1:2], v[99:100], v[89:90], v[1:2]
	v_add_f64 v[1:2], v[4:5], -v[1:2]
	scratch_store_b64 off, v[1:2], off offset:176
	v_cmpx_lt_u32_e32 21, v0
	s_cbranch_execz .LBB100_189
; %bb.188:
	scratch_load_b64 v[1:2], off, off offset:168
	v_mov_b32_e32 v4, 0
	s_delay_alu instid0(VALU_DEP_1)
	v_mov_b32_e32 v5, v4
	scratch_store_b64 off, v[4:5], off offset:168
	s_waitcnt vmcnt(0)
	ds_store_b64 v3, v[1:2]
.LBB100_189:
	s_or_b32 exec_lo, exec_lo, s0
	s_waitcnt lgkmcnt(0)
	s_waitcnt_vscnt null, 0x0
	s_barrier
	buffer_gl0_inv
	s_clause 0x4
	scratch_load_b128 v[4:7], off, off offset:168
	scratch_load_b128 v[8:11], off, off offset:184
	;; [unrolled: 1-line block ×5, first 2 shown]
	v_mov_b32_e32 v1, 0
	ds_load_b128 v[99:102], v1 offset:480
	ds_load_b128 v[103:106], v1 offset:496
	scratch_load_b128 v[107:110], off, off offset:248
	s_mov_b32 s0, exec_lo
	s_waitcnt vmcnt(5) lgkmcnt(1)
	v_fma_f64 v[6:7], v[6:7], v[99:100], 0
	s_waitcnt vmcnt(4)
	s_delay_alu instid0(VALU_DEP_1) | instskip(SKIP_1) | instid1(VALU_DEP_1)
	v_fma_f64 v[6:7], v[8:9], v[101:102], v[6:7]
	s_waitcnt lgkmcnt(0)
	v_fma_f64 v[10:11], v[10:11], v[103:104], v[6:7]
	scratch_load_b128 v[6:9], off, off offset:264
	s_waitcnt vmcnt(4)
	v_fma_f64 v[10:11], v[87:88], v[105:106], v[10:11]
	ds_load_b128 v[99:102], v1 offset:512
	ds_load_b128 v[103:106], v1 offset:528
	s_waitcnt lgkmcnt(1)
	v_fma_f64 v[10:11], v[89:90], v[99:100], v[10:11]
	scratch_load_b128 v[87:90], off, off offset:280
	s_waitcnt vmcnt(4)
	v_fma_f64 v[10:11], v[91:92], v[101:102], v[10:11]
	s_waitcnt lgkmcnt(0)
	s_delay_alu instid0(VALU_DEP_1)
	v_fma_f64 v[10:11], v[93:94], v[103:104], v[10:11]
	ds_load_b128 v[91:94], v1 offset:544
	ds_load_b128 v[99:102], v1 offset:560
	s_waitcnt vmcnt(3)
	v_fma_f64 v[10:11], v[95:96], v[105:106], v[10:11]
	s_waitcnt lgkmcnt(1)
	s_delay_alu instid0(VALU_DEP_1) | instskip(SKIP_1) | instid1(VALU_DEP_1)
	v_fma_f64 v[10:11], v[97:98], v[91:92], v[10:11]
	s_waitcnt vmcnt(2)
	v_fma_f64 v[10:11], v[107:108], v[93:94], v[10:11]
	s_waitcnt lgkmcnt(0)
	s_delay_alu instid0(VALU_DEP_1) | instskip(SKIP_1) | instid1(VALU_DEP_1)
	v_fma_f64 v[10:11], v[109:110], v[99:100], v[10:11]
	s_waitcnt vmcnt(1)
	v_fma_f64 v[6:7], v[6:7], v[101:102], v[10:11]
	ds_load_b128 v[91:94], v1 offset:576
	ds_load_b64 v[10:11], v1 offset:592
	s_waitcnt lgkmcnt(1)
	v_fma_f64 v[6:7], v[8:9], v[91:92], v[6:7]
	s_waitcnt vmcnt(0)
	s_delay_alu instid0(VALU_DEP_1) | instskip(SKIP_1) | instid1(VALU_DEP_1)
	v_fma_f64 v[6:7], v[87:88], v[93:94], v[6:7]
	s_waitcnt lgkmcnt(0)
	v_fma_f64 v[6:7], v[89:90], v[10:11], v[6:7]
	s_delay_alu instid0(VALU_DEP_1)
	v_add_f64 v[4:5], v[4:5], -v[6:7]
	scratch_store_b64 off, v[4:5], off offset:168
	v_cmpx_lt_u32_e32 20, v0
	s_cbranch_execz .LBB100_191
; %bb.190:
	scratch_load_b64 v[4:5], off, off offset:160
	v_mov_b32_e32 v2, v1
	scratch_store_b64 off, v[1:2], off offset:160
	s_waitcnt vmcnt(0)
	ds_store_b64 v3, v[4:5]
.LBB100_191:
	s_or_b32 exec_lo, exec_lo, s0
	s_waitcnt lgkmcnt(0)
	s_waitcnt_vscnt null, 0x0
	s_barrier
	buffer_gl0_inv
	s_clause 0x4
	scratch_load_b128 v[4:7], off, off offset:160
	scratch_load_b128 v[8:11], off, off offset:176
	;; [unrolled: 1-line block ×5, first 2 shown]
	ds_load_2addr_b64 v[99:102], v1 offset0:59 offset1:60
	ds_load_2addr_b64 v[103:106], v1 offset0:61 offset1:62
	scratch_load_b128 v[107:110], off, off offset:240
	s_mov_b32 s0, exec_lo
	s_waitcnt vmcnt(5) lgkmcnt(1)
	v_fma_f64 v[6:7], v[6:7], v[99:100], 0
	s_waitcnt vmcnt(4)
	s_delay_alu instid0(VALU_DEP_1) | instskip(SKIP_1) | instid1(VALU_DEP_1)
	v_fma_f64 v[6:7], v[8:9], v[101:102], v[6:7]
	s_waitcnt lgkmcnt(0)
	v_fma_f64 v[10:11], v[10:11], v[103:104], v[6:7]
	scratch_load_b128 v[6:9], off, off offset:256
	s_waitcnt vmcnt(4)
	v_fma_f64 v[10:11], v[87:88], v[105:106], v[10:11]
	ds_load_2addr_b64 v[99:102], v1 offset0:63 offset1:64
	ds_load_2addr_b64 v[103:106], v1 offset0:65 offset1:66
	s_waitcnt lgkmcnt(1)
	v_fma_f64 v[10:11], v[89:90], v[99:100], v[10:11]
	scratch_load_b128 v[87:90], off, off offset:272
	s_waitcnt vmcnt(4)
	v_fma_f64 v[10:11], v[91:92], v[101:102], v[10:11]
	s_waitcnt lgkmcnt(0)
	s_delay_alu instid0(VALU_DEP_1)
	v_fma_f64 v[10:11], v[93:94], v[103:104], v[10:11]
	scratch_load_b64 v[103:104], off, off offset:288
	ds_load_2addr_b64 v[91:94], v1 offset0:67 offset1:68
	ds_load_2addr_b64 v[99:102], v1 offset0:69 offset1:70
	s_waitcnt vmcnt(4)
	v_fma_f64 v[10:11], v[95:96], v[105:106], v[10:11]
	s_waitcnt lgkmcnt(1)
	s_delay_alu instid0(VALU_DEP_1) | instskip(SKIP_1) | instid1(VALU_DEP_1)
	v_fma_f64 v[10:11], v[97:98], v[91:92], v[10:11]
	s_waitcnt vmcnt(3)
	v_fma_f64 v[10:11], v[107:108], v[93:94], v[10:11]
	ds_load_2addr_b64 v[91:94], v1 offset0:71 offset1:72
	ds_load_2addr_b64 v[95:98], v1 offset0:73 offset1:74
	s_waitcnt lgkmcnt(2)
	v_fma_f64 v[10:11], v[109:110], v[99:100], v[10:11]
	s_waitcnt vmcnt(2)
	s_delay_alu instid0(VALU_DEP_1) | instskip(SKIP_1) | instid1(VALU_DEP_1)
	v_fma_f64 v[6:7], v[6:7], v[101:102], v[10:11]
	s_waitcnt lgkmcnt(1)
	v_fma_f64 v[1:2], v[8:9], v[91:92], v[6:7]
	s_waitcnt vmcnt(1)
	s_delay_alu instid0(VALU_DEP_1) | instskip(SKIP_1) | instid1(VALU_DEP_1)
	v_fma_f64 v[1:2], v[87:88], v[93:94], v[1:2]
	s_waitcnt lgkmcnt(0)
	v_fma_f64 v[1:2], v[89:90], v[95:96], v[1:2]
	s_waitcnt vmcnt(0)
	s_delay_alu instid0(VALU_DEP_1) | instskip(NEXT) | instid1(VALU_DEP_1)
	v_fma_f64 v[1:2], v[103:104], v[97:98], v[1:2]
	v_add_f64 v[1:2], v[4:5], -v[1:2]
	scratch_store_b64 off, v[1:2], off offset:160
	v_cmpx_lt_u32_e32 19, v0
	s_cbranch_execz .LBB100_193
; %bb.192:
	scratch_load_b64 v[1:2], off, off offset:152
	v_mov_b32_e32 v4, 0
	s_delay_alu instid0(VALU_DEP_1)
	v_mov_b32_e32 v5, v4
	scratch_store_b64 off, v[4:5], off offset:152
	s_waitcnt vmcnt(0)
	ds_store_b64 v3, v[1:2]
.LBB100_193:
	s_or_b32 exec_lo, exec_lo, s0
	s_waitcnt lgkmcnt(0)
	s_waitcnt_vscnt null, 0x0
	s_barrier
	buffer_gl0_inv
	s_clause 0x4
	scratch_load_b128 v[4:7], off, off offset:152
	scratch_load_b128 v[8:11], off, off offset:168
	scratch_load_b128 v[87:90], off, off offset:184
	scratch_load_b128 v[91:94], off, off offset:200
	scratch_load_b128 v[95:98], off, off offset:216
	v_mov_b32_e32 v1, 0
	ds_load_b128 v[99:102], v1 offset:464
	ds_load_b128 v[103:106], v1 offset:480
	scratch_load_b128 v[107:110], off, off offset:232
	s_mov_b32 s0, exec_lo
	s_waitcnt vmcnt(5) lgkmcnt(1)
	v_fma_f64 v[6:7], v[6:7], v[99:100], 0
	s_waitcnt vmcnt(4)
	s_delay_alu instid0(VALU_DEP_1) | instskip(SKIP_1) | instid1(VALU_DEP_1)
	v_fma_f64 v[6:7], v[8:9], v[101:102], v[6:7]
	s_waitcnt lgkmcnt(0)
	v_fma_f64 v[10:11], v[10:11], v[103:104], v[6:7]
	scratch_load_b128 v[6:9], off, off offset:248
	s_waitcnt vmcnt(4)
	v_fma_f64 v[10:11], v[87:88], v[105:106], v[10:11]
	ds_load_b128 v[99:102], v1 offset:496
	ds_load_b128 v[103:106], v1 offset:512
	s_waitcnt lgkmcnt(1)
	v_fma_f64 v[10:11], v[89:90], v[99:100], v[10:11]
	scratch_load_b128 v[87:90], off, off offset:264
	s_waitcnt vmcnt(4)
	v_fma_f64 v[10:11], v[91:92], v[101:102], v[10:11]
	s_waitcnt lgkmcnt(0)
	s_delay_alu instid0(VALU_DEP_1)
	v_fma_f64 v[10:11], v[93:94], v[103:104], v[10:11]
	scratch_load_b128 v[91:94], off, off offset:280
	s_waitcnt vmcnt(4)
	v_fma_f64 v[10:11], v[95:96], v[105:106], v[10:11]
	ds_load_b128 v[99:102], v1 offset:528
	ds_load_b128 v[103:106], v1 offset:544
	s_waitcnt lgkmcnt(1)
	v_fma_f64 v[10:11], v[97:98], v[99:100], v[10:11]
	s_waitcnt vmcnt(3)
	s_delay_alu instid0(VALU_DEP_1)
	v_fma_f64 v[10:11], v[107:108], v[101:102], v[10:11]
	ds_load_b128 v[95:98], v1 offset:560
	ds_load_b128 v[99:102], v1 offset:576
	s_waitcnt lgkmcnt(2)
	v_fma_f64 v[10:11], v[109:110], v[103:104], v[10:11]
	s_waitcnt vmcnt(2)
	s_delay_alu instid0(VALU_DEP_1) | instskip(SKIP_1) | instid1(VALU_DEP_1)
	v_fma_f64 v[6:7], v[6:7], v[105:106], v[10:11]
	s_waitcnt lgkmcnt(1)
	v_fma_f64 v[6:7], v[8:9], v[95:96], v[6:7]
	ds_load_b64 v[8:9], v1 offset:592
	s_waitcnt vmcnt(1)
	v_fma_f64 v[6:7], v[87:88], v[97:98], v[6:7]
	s_waitcnt lgkmcnt(1)
	s_delay_alu instid0(VALU_DEP_1) | instskip(SKIP_1) | instid1(VALU_DEP_1)
	v_fma_f64 v[6:7], v[89:90], v[99:100], v[6:7]
	s_waitcnt vmcnt(0)
	v_fma_f64 v[6:7], v[91:92], v[101:102], v[6:7]
	s_waitcnt lgkmcnt(0)
	s_delay_alu instid0(VALU_DEP_1) | instskip(NEXT) | instid1(VALU_DEP_1)
	v_fma_f64 v[6:7], v[93:94], v[8:9], v[6:7]
	v_add_f64 v[4:5], v[4:5], -v[6:7]
	scratch_store_b64 off, v[4:5], off offset:152
	v_cmpx_lt_u32_e32 18, v0
	s_cbranch_execz .LBB100_195
; %bb.194:
	scratch_load_b64 v[4:5], off, off offset:144
	v_mov_b32_e32 v2, v1
	scratch_store_b64 off, v[1:2], off offset:144
	s_waitcnt vmcnt(0)
	ds_store_b64 v3, v[4:5]
.LBB100_195:
	s_or_b32 exec_lo, exec_lo, s0
	s_waitcnt lgkmcnt(0)
	s_waitcnt_vscnt null, 0x0
	s_barrier
	buffer_gl0_inv
	s_clause 0x4
	scratch_load_b128 v[4:7], off, off offset:144
	scratch_load_b128 v[8:11], off, off offset:160
	;; [unrolled: 1-line block ×5, first 2 shown]
	ds_load_2addr_b64 v[99:102], v1 offset0:57 offset1:58
	ds_load_2addr_b64 v[103:106], v1 offset0:59 offset1:60
	scratch_load_b128 v[107:110], off, off offset:224
	s_mov_b32 s0, exec_lo
	s_waitcnt vmcnt(5) lgkmcnt(1)
	v_fma_f64 v[6:7], v[6:7], v[99:100], 0
	s_waitcnt vmcnt(4)
	s_delay_alu instid0(VALU_DEP_1) | instskip(SKIP_1) | instid1(VALU_DEP_1)
	v_fma_f64 v[6:7], v[8:9], v[101:102], v[6:7]
	s_waitcnt lgkmcnt(0)
	v_fma_f64 v[10:11], v[10:11], v[103:104], v[6:7]
	scratch_load_b128 v[6:9], off, off offset:240
	s_waitcnt vmcnt(4)
	v_fma_f64 v[10:11], v[87:88], v[105:106], v[10:11]
	ds_load_2addr_b64 v[99:102], v1 offset0:61 offset1:62
	ds_load_2addr_b64 v[103:106], v1 offset0:63 offset1:64
	s_waitcnt lgkmcnt(1)
	v_fma_f64 v[10:11], v[89:90], v[99:100], v[10:11]
	scratch_load_b128 v[87:90], off, off offset:256
	s_waitcnt vmcnt(4)
	v_fma_f64 v[10:11], v[91:92], v[101:102], v[10:11]
	s_waitcnt lgkmcnt(0)
	s_delay_alu instid0(VALU_DEP_1)
	v_fma_f64 v[10:11], v[93:94], v[103:104], v[10:11]
	scratch_load_b128 v[91:94], off, off offset:272
	s_waitcnt vmcnt(4)
	v_fma_f64 v[10:11], v[95:96], v[105:106], v[10:11]
	ds_load_2addr_b64 v[99:102], v1 offset0:65 offset1:66
	ds_load_2addr_b64 v[103:106], v1 offset0:67 offset1:68
	scratch_load_b64 v[111:112], off, off offset:288
	s_waitcnt lgkmcnt(1)
	v_fma_f64 v[10:11], v[97:98], v[99:100], v[10:11]
	s_waitcnt vmcnt(4)
	s_delay_alu instid0(VALU_DEP_1)
	v_fma_f64 v[10:11], v[107:108], v[101:102], v[10:11]
	ds_load_2addr_b64 v[95:98], v1 offset0:69 offset1:70
	ds_load_2addr_b64 v[99:102], v1 offset0:71 offset1:72
	s_waitcnt lgkmcnt(2)
	v_fma_f64 v[10:11], v[109:110], v[103:104], v[10:11]
	s_waitcnt vmcnt(3)
	s_delay_alu instid0(VALU_DEP_1) | instskip(SKIP_1) | instid1(VALU_DEP_1)
	v_fma_f64 v[6:7], v[6:7], v[105:106], v[10:11]
	s_waitcnt lgkmcnt(1)
	v_fma_f64 v[6:7], v[8:9], v[95:96], v[6:7]
	s_waitcnt vmcnt(2)
	s_delay_alu instid0(VALU_DEP_1) | instskip(SKIP_1) | instid1(VALU_DEP_1)
	v_fma_f64 v[6:7], v[87:88], v[97:98], v[6:7]
	s_waitcnt lgkmcnt(0)
	v_fma_f64 v[6:7], v[89:90], v[99:100], v[6:7]
	s_waitcnt vmcnt(1)
	s_delay_alu instid0(VALU_DEP_1) | instskip(SKIP_4) | instid1(VALU_DEP_1)
	v_fma_f64 v[10:11], v[91:92], v[101:102], v[6:7]
	ds_load_2addr_b64 v[6:9], v1 offset0:73 offset1:74
	s_waitcnt lgkmcnt(0)
	v_fma_f64 v[1:2], v[93:94], v[6:7], v[10:11]
	s_waitcnt vmcnt(0)
	v_fma_f64 v[1:2], v[111:112], v[8:9], v[1:2]
	s_delay_alu instid0(VALU_DEP_1)
	v_add_f64 v[1:2], v[4:5], -v[1:2]
	scratch_store_b64 off, v[1:2], off offset:144
	v_cmpx_lt_u32_e32 17, v0
	s_cbranch_execz .LBB100_197
; %bb.196:
	scratch_load_b64 v[1:2], off, off offset:136
	v_mov_b32_e32 v4, 0
	s_delay_alu instid0(VALU_DEP_1)
	v_mov_b32_e32 v5, v4
	scratch_store_b64 off, v[4:5], off offset:136
	s_waitcnt vmcnt(0)
	ds_store_b64 v3, v[1:2]
.LBB100_197:
	s_or_b32 exec_lo, exec_lo, s0
	s_waitcnt lgkmcnt(0)
	s_waitcnt_vscnt null, 0x0
	s_barrier
	buffer_gl0_inv
	s_clause 0x4
	scratch_load_b128 v[4:7], off, off offset:136
	scratch_load_b128 v[8:11], off, off offset:152
	;; [unrolled: 1-line block ×5, first 2 shown]
	v_mov_b32_e32 v1, 0
	ds_load_b128 v[99:102], v1 offset:448
	ds_load_b128 v[103:106], v1 offset:464
	scratch_load_b128 v[107:110], off, off offset:216
	s_mov_b32 s0, exec_lo
	s_waitcnt vmcnt(5) lgkmcnt(1)
	v_fma_f64 v[6:7], v[6:7], v[99:100], 0
	s_waitcnt vmcnt(4)
	s_delay_alu instid0(VALU_DEP_1) | instskip(SKIP_1) | instid1(VALU_DEP_1)
	v_fma_f64 v[6:7], v[8:9], v[101:102], v[6:7]
	s_waitcnt lgkmcnt(0)
	v_fma_f64 v[10:11], v[10:11], v[103:104], v[6:7]
	scratch_load_b128 v[6:9], off, off offset:232
	s_waitcnt vmcnt(4)
	v_fma_f64 v[10:11], v[87:88], v[105:106], v[10:11]
	ds_load_b128 v[99:102], v1 offset:480
	ds_load_b128 v[103:106], v1 offset:496
	s_waitcnt lgkmcnt(1)
	v_fma_f64 v[10:11], v[89:90], v[99:100], v[10:11]
	scratch_load_b128 v[87:90], off, off offset:248
	s_waitcnt vmcnt(4)
	v_fma_f64 v[10:11], v[91:92], v[101:102], v[10:11]
	s_waitcnt lgkmcnt(0)
	s_delay_alu instid0(VALU_DEP_1)
	v_fma_f64 v[10:11], v[93:94], v[103:104], v[10:11]
	scratch_load_b128 v[91:94], off, off offset:264
	s_waitcnt vmcnt(4)
	v_fma_f64 v[10:11], v[95:96], v[105:106], v[10:11]
	ds_load_b128 v[99:102], v1 offset:512
	ds_load_b128 v[103:106], v1 offset:528
	s_waitcnt lgkmcnt(1)
	v_fma_f64 v[10:11], v[97:98], v[99:100], v[10:11]
	scratch_load_b128 v[95:98], off, off offset:280
	s_waitcnt vmcnt(4)
	v_fma_f64 v[10:11], v[107:108], v[101:102], v[10:11]
	s_waitcnt lgkmcnt(0)
	s_delay_alu instid0(VALU_DEP_1) | instskip(SKIP_1) | instid1(VALU_DEP_1)
	v_fma_f64 v[10:11], v[109:110], v[103:104], v[10:11]
	s_waitcnt vmcnt(3)
	v_fma_f64 v[6:7], v[6:7], v[105:106], v[10:11]
	ds_load_b128 v[99:102], v1 offset:544
	ds_load_b128 v[103:106], v1 offset:560
	s_waitcnt lgkmcnt(1)
	v_fma_f64 v[6:7], v[8:9], v[99:100], v[6:7]
	s_waitcnt vmcnt(2)
	s_delay_alu instid0(VALU_DEP_1) | instskip(SKIP_1) | instid1(VALU_DEP_1)
	v_fma_f64 v[6:7], v[87:88], v[101:102], v[6:7]
	s_waitcnt lgkmcnt(0)
	v_fma_f64 v[6:7], v[89:90], v[103:104], v[6:7]
	s_waitcnt vmcnt(1)
	s_delay_alu instid0(VALU_DEP_1)
	v_fma_f64 v[10:11], v[91:92], v[105:106], v[6:7]
	ds_load_b128 v[6:9], v1 offset:576
	ds_load_b64 v[87:88], v1 offset:592
	s_waitcnt lgkmcnt(1)
	v_fma_f64 v[6:7], v[93:94], v[6:7], v[10:11]
	s_waitcnt vmcnt(0)
	s_delay_alu instid0(VALU_DEP_1) | instskip(SKIP_1) | instid1(VALU_DEP_1)
	v_fma_f64 v[6:7], v[95:96], v[8:9], v[6:7]
	s_waitcnt lgkmcnt(0)
	v_fma_f64 v[6:7], v[97:98], v[87:88], v[6:7]
	s_delay_alu instid0(VALU_DEP_1)
	v_add_f64 v[4:5], v[4:5], -v[6:7]
	scratch_store_b64 off, v[4:5], off offset:136
	v_cmpx_lt_u32_e32 16, v0
	s_cbranch_execz .LBB100_199
; %bb.198:
	scratch_load_b64 v[4:5], off, off offset:128
	v_mov_b32_e32 v2, v1
	scratch_store_b64 off, v[1:2], off offset:128
	s_waitcnt vmcnt(0)
	ds_store_b64 v3, v[4:5]
.LBB100_199:
	s_or_b32 exec_lo, exec_lo, s0
	s_waitcnt lgkmcnt(0)
	s_waitcnt_vscnt null, 0x0
	s_barrier
	buffer_gl0_inv
	s_clause 0x4
	scratch_load_b128 v[4:7], off, off offset:128
	scratch_load_b128 v[8:11], off, off offset:144
	;; [unrolled: 1-line block ×5, first 2 shown]
	ds_load_2addr_b64 v[99:102], v1 offset0:55 offset1:56
	ds_load_2addr_b64 v[103:106], v1 offset0:57 offset1:58
	scratch_load_b128 v[107:110], off, off offset:208
	s_mov_b32 s0, exec_lo
	s_waitcnt vmcnt(5) lgkmcnt(1)
	v_fma_f64 v[6:7], v[6:7], v[99:100], 0
	s_waitcnt vmcnt(4)
	s_delay_alu instid0(VALU_DEP_1) | instskip(SKIP_1) | instid1(VALU_DEP_1)
	v_fma_f64 v[6:7], v[8:9], v[101:102], v[6:7]
	s_waitcnt lgkmcnt(0)
	v_fma_f64 v[10:11], v[10:11], v[103:104], v[6:7]
	scratch_load_b128 v[6:9], off, off offset:224
	s_waitcnt vmcnt(4)
	v_fma_f64 v[10:11], v[87:88], v[105:106], v[10:11]
	ds_load_2addr_b64 v[99:102], v1 offset0:59 offset1:60
	ds_load_2addr_b64 v[103:106], v1 offset0:61 offset1:62
	s_waitcnt lgkmcnt(1)
	v_fma_f64 v[10:11], v[89:90], v[99:100], v[10:11]
	scratch_load_b128 v[87:90], off, off offset:240
	s_waitcnt vmcnt(4)
	v_fma_f64 v[10:11], v[91:92], v[101:102], v[10:11]
	s_waitcnt lgkmcnt(0)
	s_delay_alu instid0(VALU_DEP_1)
	v_fma_f64 v[10:11], v[93:94], v[103:104], v[10:11]
	scratch_load_b128 v[91:94], off, off offset:256
	s_waitcnt vmcnt(4)
	v_fma_f64 v[10:11], v[95:96], v[105:106], v[10:11]
	ds_load_2addr_b64 v[99:102], v1 offset0:63 offset1:64
	ds_load_2addr_b64 v[103:106], v1 offset0:65 offset1:66
	s_waitcnt lgkmcnt(1)
	v_fma_f64 v[10:11], v[97:98], v[99:100], v[10:11]
	scratch_load_b128 v[95:98], off, off offset:272
	s_waitcnt vmcnt(4)
	v_fma_f64 v[10:11], v[107:108], v[101:102], v[10:11]
	scratch_load_b64 v[107:108], off, off offset:288
	s_waitcnt lgkmcnt(0)
	v_fma_f64 v[10:11], v[109:110], v[103:104], v[10:11]
	s_waitcnt vmcnt(4)
	s_delay_alu instid0(VALU_DEP_1)
	v_fma_f64 v[6:7], v[6:7], v[105:106], v[10:11]
	ds_load_2addr_b64 v[99:102], v1 offset0:67 offset1:68
	ds_load_2addr_b64 v[103:106], v1 offset0:69 offset1:70
	s_waitcnt lgkmcnt(1)
	v_fma_f64 v[6:7], v[8:9], v[99:100], v[6:7]
	s_waitcnt vmcnt(3)
	s_delay_alu instid0(VALU_DEP_1) | instskip(SKIP_1) | instid1(VALU_DEP_1)
	v_fma_f64 v[6:7], v[87:88], v[101:102], v[6:7]
	s_waitcnt lgkmcnt(0)
	v_fma_f64 v[6:7], v[89:90], v[103:104], v[6:7]
	s_waitcnt vmcnt(2)
	s_delay_alu instid0(VALU_DEP_1)
	v_fma_f64 v[10:11], v[91:92], v[105:106], v[6:7]
	ds_load_2addr_b64 v[6:9], v1 offset0:71 offset1:72
	ds_load_2addr_b64 v[87:90], v1 offset0:73 offset1:74
	s_waitcnt lgkmcnt(1)
	v_fma_f64 v[1:2], v[93:94], v[6:7], v[10:11]
	s_waitcnt vmcnt(1)
	s_delay_alu instid0(VALU_DEP_1) | instskip(SKIP_1) | instid1(VALU_DEP_1)
	v_fma_f64 v[1:2], v[95:96], v[8:9], v[1:2]
	s_waitcnt lgkmcnt(0)
	v_fma_f64 v[1:2], v[97:98], v[87:88], v[1:2]
	s_waitcnt vmcnt(0)
	s_delay_alu instid0(VALU_DEP_1) | instskip(NEXT) | instid1(VALU_DEP_1)
	v_fma_f64 v[1:2], v[107:108], v[89:90], v[1:2]
	v_add_f64 v[1:2], v[4:5], -v[1:2]
	scratch_store_b64 off, v[1:2], off offset:128
	v_cmpx_lt_u32_e32 15, v0
	s_cbranch_execz .LBB100_201
; %bb.200:
	scratch_load_b64 v[1:2], off, off offset:120
	v_mov_b32_e32 v4, 0
	s_delay_alu instid0(VALU_DEP_1)
	v_mov_b32_e32 v5, v4
	scratch_store_b64 off, v[4:5], off offset:120
	s_waitcnt vmcnt(0)
	ds_store_b64 v3, v[1:2]
.LBB100_201:
	s_or_b32 exec_lo, exec_lo, s0
	s_waitcnt lgkmcnt(0)
	s_waitcnt_vscnt null, 0x0
	s_barrier
	buffer_gl0_inv
	s_clause 0x4
	scratch_load_b128 v[4:7], off, off offset:120
	scratch_load_b128 v[8:11], off, off offset:136
	;; [unrolled: 1-line block ×5, first 2 shown]
	v_mov_b32_e32 v1, 0
	ds_load_b128 v[99:102], v1 offset:432
	ds_load_b128 v[103:106], v1 offset:448
	scratch_load_b128 v[107:110], off, off offset:200
	s_mov_b32 s0, exec_lo
	s_waitcnt vmcnt(5) lgkmcnt(1)
	v_fma_f64 v[6:7], v[6:7], v[99:100], 0
	s_waitcnt vmcnt(4)
	s_delay_alu instid0(VALU_DEP_1) | instskip(SKIP_1) | instid1(VALU_DEP_1)
	v_fma_f64 v[6:7], v[8:9], v[101:102], v[6:7]
	s_waitcnt lgkmcnt(0)
	v_fma_f64 v[10:11], v[10:11], v[103:104], v[6:7]
	scratch_load_b128 v[6:9], off, off offset:216
	s_waitcnt vmcnt(4)
	v_fma_f64 v[10:11], v[87:88], v[105:106], v[10:11]
	ds_load_b128 v[99:102], v1 offset:464
	ds_load_b128 v[103:106], v1 offset:480
	s_waitcnt lgkmcnt(1)
	v_fma_f64 v[10:11], v[89:90], v[99:100], v[10:11]
	scratch_load_b128 v[87:90], off, off offset:232
	s_waitcnt vmcnt(4)
	v_fma_f64 v[10:11], v[91:92], v[101:102], v[10:11]
	s_waitcnt lgkmcnt(0)
	s_delay_alu instid0(VALU_DEP_1)
	v_fma_f64 v[10:11], v[93:94], v[103:104], v[10:11]
	scratch_load_b128 v[91:94], off, off offset:248
	s_waitcnt vmcnt(4)
	v_fma_f64 v[10:11], v[95:96], v[105:106], v[10:11]
	ds_load_b128 v[99:102], v1 offset:496
	ds_load_b128 v[103:106], v1 offset:512
	s_waitcnt lgkmcnt(1)
	v_fma_f64 v[10:11], v[97:98], v[99:100], v[10:11]
	scratch_load_b128 v[95:98], off, off offset:264
	s_waitcnt vmcnt(4)
	v_fma_f64 v[10:11], v[107:108], v[101:102], v[10:11]
	scratch_load_b128 v[99:102], off, off offset:280
	s_waitcnt lgkmcnt(0)
	v_fma_f64 v[10:11], v[109:110], v[103:104], v[10:11]
	s_waitcnt vmcnt(4)
	s_delay_alu instid0(VALU_DEP_1)
	v_fma_f64 v[6:7], v[6:7], v[105:106], v[10:11]
	ds_load_b128 v[103:106], v1 offset:528
	ds_load_b128 v[107:110], v1 offset:544
	s_waitcnt lgkmcnt(1)
	v_fma_f64 v[6:7], v[8:9], v[103:104], v[6:7]
	s_waitcnt vmcnt(3)
	s_delay_alu instid0(VALU_DEP_1) | instskip(SKIP_1) | instid1(VALU_DEP_1)
	v_fma_f64 v[6:7], v[87:88], v[105:106], v[6:7]
	s_waitcnt lgkmcnt(0)
	v_fma_f64 v[6:7], v[89:90], v[107:108], v[6:7]
	s_waitcnt vmcnt(2)
	s_delay_alu instid0(VALU_DEP_1)
	v_fma_f64 v[10:11], v[91:92], v[109:110], v[6:7]
	ds_load_b128 v[6:9], v1 offset:560
	ds_load_b128 v[87:90], v1 offset:576
	s_waitcnt lgkmcnt(1)
	v_fma_f64 v[6:7], v[93:94], v[6:7], v[10:11]
	s_waitcnt vmcnt(1)
	s_delay_alu instid0(VALU_DEP_1) | instskip(SKIP_4) | instid1(VALU_DEP_1)
	v_fma_f64 v[6:7], v[95:96], v[8:9], v[6:7]
	ds_load_b64 v[8:9], v1 offset:592
	s_waitcnt lgkmcnt(1)
	v_fma_f64 v[6:7], v[97:98], v[87:88], v[6:7]
	s_waitcnt vmcnt(0)
	v_fma_f64 v[6:7], v[99:100], v[89:90], v[6:7]
	s_waitcnt lgkmcnt(0)
	s_delay_alu instid0(VALU_DEP_1) | instskip(NEXT) | instid1(VALU_DEP_1)
	v_fma_f64 v[6:7], v[101:102], v[8:9], v[6:7]
	v_add_f64 v[4:5], v[4:5], -v[6:7]
	scratch_store_b64 off, v[4:5], off offset:120
	v_cmpx_lt_u32_e32 14, v0
	s_cbranch_execz .LBB100_203
; %bb.202:
	scratch_load_b64 v[4:5], off, off offset:112
	v_mov_b32_e32 v2, v1
	scratch_store_b64 off, v[1:2], off offset:112
	s_waitcnt vmcnt(0)
	ds_store_b64 v3, v[4:5]
.LBB100_203:
	s_or_b32 exec_lo, exec_lo, s0
	s_waitcnt lgkmcnt(0)
	s_waitcnt_vscnt null, 0x0
	s_barrier
	buffer_gl0_inv
	s_clause 0x4
	scratch_load_b128 v[4:7], off, off offset:112
	scratch_load_b128 v[8:11], off, off offset:128
	;; [unrolled: 1-line block ×5, first 2 shown]
	ds_load_2addr_b64 v[99:102], v1 offset0:53 offset1:54
	ds_load_2addr_b64 v[103:106], v1 offset0:55 offset1:56
	scratch_load_b128 v[107:110], off, off offset:192
	s_mov_b32 s0, exec_lo
	s_waitcnt vmcnt(5) lgkmcnt(1)
	v_fma_f64 v[6:7], v[6:7], v[99:100], 0
	s_waitcnt vmcnt(4)
	s_delay_alu instid0(VALU_DEP_1) | instskip(SKIP_1) | instid1(VALU_DEP_1)
	v_fma_f64 v[6:7], v[8:9], v[101:102], v[6:7]
	s_waitcnt lgkmcnt(0)
	v_fma_f64 v[10:11], v[10:11], v[103:104], v[6:7]
	scratch_load_b128 v[6:9], off, off offset:208
	s_waitcnt vmcnt(4)
	v_fma_f64 v[10:11], v[87:88], v[105:106], v[10:11]
	ds_load_2addr_b64 v[99:102], v1 offset0:57 offset1:58
	ds_load_2addr_b64 v[103:106], v1 offset0:59 offset1:60
	s_waitcnt lgkmcnt(1)
	v_fma_f64 v[10:11], v[89:90], v[99:100], v[10:11]
	scratch_load_b128 v[87:90], off, off offset:224
	s_waitcnt vmcnt(4)
	v_fma_f64 v[10:11], v[91:92], v[101:102], v[10:11]
	s_waitcnt lgkmcnt(0)
	s_delay_alu instid0(VALU_DEP_1)
	v_fma_f64 v[10:11], v[93:94], v[103:104], v[10:11]
	scratch_load_b128 v[91:94], off, off offset:240
	s_waitcnt vmcnt(4)
	v_fma_f64 v[10:11], v[95:96], v[105:106], v[10:11]
	ds_load_2addr_b64 v[99:102], v1 offset0:61 offset1:62
	ds_load_2addr_b64 v[103:106], v1 offset0:63 offset1:64
	s_waitcnt lgkmcnt(1)
	v_fma_f64 v[10:11], v[97:98], v[99:100], v[10:11]
	scratch_load_b128 v[95:98], off, off offset:256
	s_waitcnt vmcnt(4)
	v_fma_f64 v[10:11], v[107:108], v[101:102], v[10:11]
	scratch_load_b128 v[99:102], off, off offset:272
	s_waitcnt lgkmcnt(0)
	v_fma_f64 v[10:11], v[109:110], v[103:104], v[10:11]
	s_waitcnt vmcnt(4)
	s_delay_alu instid0(VALU_DEP_1)
	v_fma_f64 v[6:7], v[6:7], v[105:106], v[10:11]
	ds_load_2addr_b64 v[103:106], v1 offset0:65 offset1:66
	ds_load_2addr_b64 v[107:110], v1 offset0:67 offset1:68
	scratch_load_b64 v[10:11], off, off offset:288
	s_waitcnt lgkmcnt(1)
	v_fma_f64 v[6:7], v[8:9], v[103:104], v[6:7]
	s_waitcnt vmcnt(4)
	s_delay_alu instid0(VALU_DEP_1) | instskip(SKIP_1) | instid1(VALU_DEP_1)
	v_fma_f64 v[6:7], v[87:88], v[105:106], v[6:7]
	s_waitcnt lgkmcnt(0)
	v_fma_f64 v[6:7], v[89:90], v[107:108], v[6:7]
	s_waitcnt vmcnt(3)
	s_delay_alu instid0(VALU_DEP_1)
	v_fma_f64 v[91:92], v[91:92], v[109:110], v[6:7]
	ds_load_2addr_b64 v[6:9], v1 offset0:69 offset1:70
	ds_load_2addr_b64 v[87:90], v1 offset0:71 offset1:72
	s_waitcnt lgkmcnt(1)
	v_fma_f64 v[6:7], v[93:94], v[6:7], v[91:92]
	s_waitcnt vmcnt(2)
	s_delay_alu instid0(VALU_DEP_1) | instskip(SKIP_1) | instid1(VALU_DEP_1)
	v_fma_f64 v[6:7], v[95:96], v[8:9], v[6:7]
	s_waitcnt lgkmcnt(0)
	v_fma_f64 v[6:7], v[97:98], v[87:88], v[6:7]
	s_waitcnt vmcnt(1)
	s_delay_alu instid0(VALU_DEP_1) | instskip(SKIP_4) | instid1(VALU_DEP_1)
	v_fma_f64 v[87:88], v[99:100], v[89:90], v[6:7]
	ds_load_2addr_b64 v[6:9], v1 offset0:73 offset1:74
	s_waitcnt lgkmcnt(0)
	v_fma_f64 v[1:2], v[101:102], v[6:7], v[87:88]
	s_waitcnt vmcnt(0)
	v_fma_f64 v[1:2], v[10:11], v[8:9], v[1:2]
	s_delay_alu instid0(VALU_DEP_1)
	v_add_f64 v[1:2], v[4:5], -v[1:2]
	scratch_store_b64 off, v[1:2], off offset:112
	v_cmpx_lt_u32_e32 13, v0
	s_cbranch_execz .LBB100_205
; %bb.204:
	scratch_load_b64 v[1:2], off, off offset:104
	v_mov_b32_e32 v4, 0
	s_delay_alu instid0(VALU_DEP_1)
	v_mov_b32_e32 v5, v4
	scratch_store_b64 off, v[4:5], off offset:104
	s_waitcnt vmcnt(0)
	ds_store_b64 v3, v[1:2]
.LBB100_205:
	s_or_b32 exec_lo, exec_lo, s0
	s_waitcnt lgkmcnt(0)
	s_waitcnt_vscnt null, 0x0
	s_barrier
	buffer_gl0_inv
	s_clause 0x4
	scratch_load_b128 v[4:7], off, off offset:104
	scratch_load_b128 v[8:11], off, off offset:120
	;; [unrolled: 1-line block ×5, first 2 shown]
	v_mov_b32_e32 v1, 0
	ds_load_b128 v[99:102], v1 offset:416
	ds_load_b128 v[103:106], v1 offset:432
	scratch_load_b128 v[107:110], off, off offset:184
	s_mov_b32 s0, exec_lo
	s_waitcnt vmcnt(5) lgkmcnt(1)
	v_fma_f64 v[6:7], v[6:7], v[99:100], 0
	s_waitcnt vmcnt(4)
	s_delay_alu instid0(VALU_DEP_1) | instskip(SKIP_1) | instid1(VALU_DEP_1)
	v_fma_f64 v[6:7], v[8:9], v[101:102], v[6:7]
	s_waitcnt lgkmcnt(0)
	v_fma_f64 v[10:11], v[10:11], v[103:104], v[6:7]
	scratch_load_b128 v[6:9], off, off offset:200
	s_waitcnt vmcnt(4)
	v_fma_f64 v[10:11], v[87:88], v[105:106], v[10:11]
	ds_load_b128 v[99:102], v1 offset:448
	ds_load_b128 v[103:106], v1 offset:464
	s_waitcnt lgkmcnt(1)
	v_fma_f64 v[10:11], v[89:90], v[99:100], v[10:11]
	scratch_load_b128 v[87:90], off, off offset:216
	s_waitcnt vmcnt(4)
	v_fma_f64 v[10:11], v[91:92], v[101:102], v[10:11]
	s_waitcnt lgkmcnt(0)
	s_delay_alu instid0(VALU_DEP_1)
	v_fma_f64 v[10:11], v[93:94], v[103:104], v[10:11]
	scratch_load_b128 v[91:94], off, off offset:232
	s_waitcnt vmcnt(4)
	v_fma_f64 v[10:11], v[95:96], v[105:106], v[10:11]
	ds_load_b128 v[99:102], v1 offset:480
	ds_load_b128 v[103:106], v1 offset:496
	s_waitcnt lgkmcnt(1)
	v_fma_f64 v[10:11], v[97:98], v[99:100], v[10:11]
	scratch_load_b128 v[95:98], off, off offset:248
	s_waitcnt vmcnt(4)
	v_fma_f64 v[10:11], v[107:108], v[101:102], v[10:11]
	scratch_load_b128 v[99:102], off, off offset:264
	s_waitcnt lgkmcnt(0)
	v_fma_f64 v[10:11], v[109:110], v[103:104], v[10:11]
	s_waitcnt vmcnt(4)
	s_delay_alu instid0(VALU_DEP_1)
	v_fma_f64 v[6:7], v[6:7], v[105:106], v[10:11]
	ds_load_b128 v[103:106], v1 offset:512
	ds_load_b128 v[107:110], v1 offset:528
	s_waitcnt lgkmcnt(1)
	v_fma_f64 v[10:11], v[8:9], v[103:104], v[6:7]
	scratch_load_b128 v[6:9], off, off offset:280
	s_waitcnt vmcnt(4)
	v_fma_f64 v[10:11], v[87:88], v[105:106], v[10:11]
	s_waitcnt lgkmcnt(0)
	s_delay_alu instid0(VALU_DEP_1)
	v_fma_f64 v[10:11], v[89:90], v[107:108], v[10:11]
	ds_load_b128 v[87:90], v1 offset:544
	ds_load_b128 v[103:106], v1 offset:560
	s_waitcnt vmcnt(3)
	v_fma_f64 v[10:11], v[91:92], v[109:110], v[10:11]
	s_waitcnt lgkmcnt(1)
	s_delay_alu instid0(VALU_DEP_1) | instskip(SKIP_1) | instid1(VALU_DEP_1)
	v_fma_f64 v[10:11], v[93:94], v[87:88], v[10:11]
	s_waitcnt vmcnt(2)
	v_fma_f64 v[10:11], v[95:96], v[89:90], v[10:11]
	ds_load_b128 v[87:90], v1 offset:576
	ds_load_b64 v[91:92], v1 offset:592
	s_waitcnt lgkmcnt(2)
	v_fma_f64 v[10:11], v[97:98], v[103:104], v[10:11]
	s_waitcnt vmcnt(1)
	s_delay_alu instid0(VALU_DEP_1) | instskip(SKIP_1) | instid1(VALU_DEP_1)
	v_fma_f64 v[10:11], v[99:100], v[105:106], v[10:11]
	s_waitcnt lgkmcnt(1)
	v_fma_f64 v[10:11], v[101:102], v[87:88], v[10:11]
	s_waitcnt vmcnt(0)
	s_delay_alu instid0(VALU_DEP_1) | instskip(SKIP_1) | instid1(VALU_DEP_1)
	v_fma_f64 v[6:7], v[6:7], v[89:90], v[10:11]
	s_waitcnt lgkmcnt(0)
	v_fma_f64 v[6:7], v[8:9], v[91:92], v[6:7]
	s_delay_alu instid0(VALU_DEP_1)
	v_add_f64 v[4:5], v[4:5], -v[6:7]
	scratch_store_b64 off, v[4:5], off offset:104
	v_cmpx_lt_u32_e32 12, v0
	s_cbranch_execz .LBB100_207
; %bb.206:
	scratch_load_b64 v[4:5], off, off offset:96
	v_mov_b32_e32 v2, v1
	scratch_store_b64 off, v[1:2], off offset:96
	s_waitcnt vmcnt(0)
	ds_store_b64 v3, v[4:5]
.LBB100_207:
	s_or_b32 exec_lo, exec_lo, s0
	s_waitcnt lgkmcnt(0)
	s_waitcnt_vscnt null, 0x0
	s_barrier
	buffer_gl0_inv
	s_clause 0x4
	scratch_load_b128 v[4:7], off, off offset:96
	scratch_load_b128 v[8:11], off, off offset:112
	;; [unrolled: 1-line block ×5, first 2 shown]
	ds_load_2addr_b64 v[99:102], v1 offset0:51 offset1:52
	ds_load_2addr_b64 v[103:106], v1 offset0:53 offset1:54
	scratch_load_b128 v[107:110], off, off offset:176
	s_mov_b32 s0, exec_lo
	s_waitcnt vmcnt(5) lgkmcnt(1)
	v_fma_f64 v[6:7], v[6:7], v[99:100], 0
	s_waitcnt vmcnt(4)
	s_delay_alu instid0(VALU_DEP_1) | instskip(SKIP_1) | instid1(VALU_DEP_1)
	v_fma_f64 v[6:7], v[8:9], v[101:102], v[6:7]
	s_waitcnt lgkmcnt(0)
	v_fma_f64 v[10:11], v[10:11], v[103:104], v[6:7]
	scratch_load_b128 v[6:9], off, off offset:192
	s_waitcnt vmcnt(4)
	v_fma_f64 v[10:11], v[87:88], v[105:106], v[10:11]
	ds_load_2addr_b64 v[99:102], v1 offset0:55 offset1:56
	ds_load_2addr_b64 v[103:106], v1 offset0:57 offset1:58
	s_waitcnt lgkmcnt(1)
	v_fma_f64 v[10:11], v[89:90], v[99:100], v[10:11]
	scratch_load_b128 v[87:90], off, off offset:208
	s_waitcnt vmcnt(4)
	v_fma_f64 v[10:11], v[91:92], v[101:102], v[10:11]
	s_waitcnt lgkmcnt(0)
	s_delay_alu instid0(VALU_DEP_1)
	v_fma_f64 v[10:11], v[93:94], v[103:104], v[10:11]
	scratch_load_b128 v[91:94], off, off offset:224
	s_waitcnt vmcnt(4)
	v_fma_f64 v[10:11], v[95:96], v[105:106], v[10:11]
	ds_load_2addr_b64 v[99:102], v1 offset0:59 offset1:60
	ds_load_2addr_b64 v[103:106], v1 offset0:61 offset1:62
	s_waitcnt lgkmcnt(1)
	v_fma_f64 v[10:11], v[97:98], v[99:100], v[10:11]
	scratch_load_b128 v[95:98], off, off offset:240
	s_waitcnt vmcnt(4)
	v_fma_f64 v[10:11], v[107:108], v[101:102], v[10:11]
	scratch_load_b128 v[99:102], off, off offset:256
	s_waitcnt lgkmcnt(0)
	v_fma_f64 v[10:11], v[109:110], v[103:104], v[10:11]
	s_waitcnt vmcnt(4)
	s_delay_alu instid0(VALU_DEP_1)
	v_fma_f64 v[6:7], v[6:7], v[105:106], v[10:11]
	ds_load_2addr_b64 v[103:106], v1 offset0:63 offset1:64
	ds_load_2addr_b64 v[107:110], v1 offset0:65 offset1:66
	s_waitcnt lgkmcnt(1)
	v_fma_f64 v[10:11], v[8:9], v[103:104], v[6:7]
	scratch_load_b128 v[6:9], off, off offset:272
	s_waitcnt vmcnt(4)
	v_fma_f64 v[10:11], v[87:88], v[105:106], v[10:11]
	s_waitcnt lgkmcnt(0)
	s_delay_alu instid0(VALU_DEP_1)
	v_fma_f64 v[10:11], v[89:90], v[107:108], v[10:11]
	scratch_load_b64 v[107:108], off, off offset:288
	ds_load_2addr_b64 v[87:90], v1 offset0:67 offset1:68
	ds_load_2addr_b64 v[103:106], v1 offset0:69 offset1:70
	s_waitcnt vmcnt(4)
	v_fma_f64 v[10:11], v[91:92], v[109:110], v[10:11]
	s_waitcnt lgkmcnt(1)
	s_delay_alu instid0(VALU_DEP_1) | instskip(SKIP_1) | instid1(VALU_DEP_1)
	v_fma_f64 v[10:11], v[93:94], v[87:88], v[10:11]
	s_waitcnt vmcnt(3)
	v_fma_f64 v[10:11], v[95:96], v[89:90], v[10:11]
	ds_load_2addr_b64 v[87:90], v1 offset0:71 offset1:72
	ds_load_2addr_b64 v[91:94], v1 offset0:73 offset1:74
	s_waitcnt lgkmcnt(2)
	v_fma_f64 v[10:11], v[97:98], v[103:104], v[10:11]
	s_waitcnt vmcnt(2)
	s_delay_alu instid0(VALU_DEP_1) | instskip(SKIP_1) | instid1(VALU_DEP_1)
	v_fma_f64 v[10:11], v[99:100], v[105:106], v[10:11]
	s_waitcnt lgkmcnt(1)
	v_fma_f64 v[1:2], v[101:102], v[87:88], v[10:11]
	s_waitcnt vmcnt(1)
	s_delay_alu instid0(VALU_DEP_1) | instskip(SKIP_1) | instid1(VALU_DEP_1)
	v_fma_f64 v[1:2], v[6:7], v[89:90], v[1:2]
	s_waitcnt lgkmcnt(0)
	v_fma_f64 v[1:2], v[8:9], v[91:92], v[1:2]
	s_waitcnt vmcnt(0)
	s_delay_alu instid0(VALU_DEP_1) | instskip(NEXT) | instid1(VALU_DEP_1)
	v_fma_f64 v[1:2], v[107:108], v[93:94], v[1:2]
	v_add_f64 v[1:2], v[4:5], -v[1:2]
	scratch_store_b64 off, v[1:2], off offset:96
	v_cmpx_lt_u32_e32 11, v0
	s_cbranch_execz .LBB100_209
; %bb.208:
	scratch_load_b64 v[1:2], off, off offset:88
	v_mov_b32_e32 v4, 0
	s_delay_alu instid0(VALU_DEP_1)
	v_mov_b32_e32 v5, v4
	scratch_store_b64 off, v[4:5], off offset:88
	s_waitcnt vmcnt(0)
	ds_store_b64 v3, v[1:2]
.LBB100_209:
	s_or_b32 exec_lo, exec_lo, s0
	s_waitcnt lgkmcnt(0)
	s_waitcnt_vscnt null, 0x0
	s_barrier
	buffer_gl0_inv
	s_clause 0x4
	scratch_load_b128 v[4:7], off, off offset:88
	scratch_load_b128 v[8:11], off, off offset:104
	;; [unrolled: 1-line block ×5, first 2 shown]
	v_mov_b32_e32 v1, 0
	ds_load_b128 v[99:102], v1 offset:400
	ds_load_b128 v[103:106], v1 offset:416
	scratch_load_b128 v[107:110], off, off offset:168
	s_mov_b32 s0, exec_lo
	s_waitcnt vmcnt(5) lgkmcnt(1)
	v_fma_f64 v[6:7], v[6:7], v[99:100], 0
	s_waitcnt vmcnt(4)
	s_delay_alu instid0(VALU_DEP_1) | instskip(SKIP_1) | instid1(VALU_DEP_1)
	v_fma_f64 v[6:7], v[8:9], v[101:102], v[6:7]
	s_waitcnt lgkmcnt(0)
	v_fma_f64 v[10:11], v[10:11], v[103:104], v[6:7]
	scratch_load_b128 v[6:9], off, off offset:184
	s_waitcnt vmcnt(4)
	v_fma_f64 v[10:11], v[87:88], v[105:106], v[10:11]
	ds_load_b128 v[99:102], v1 offset:432
	ds_load_b128 v[103:106], v1 offset:448
	s_waitcnt lgkmcnt(1)
	v_fma_f64 v[10:11], v[89:90], v[99:100], v[10:11]
	scratch_load_b128 v[87:90], off, off offset:200
	s_waitcnt vmcnt(4)
	v_fma_f64 v[10:11], v[91:92], v[101:102], v[10:11]
	s_waitcnt lgkmcnt(0)
	s_delay_alu instid0(VALU_DEP_1)
	v_fma_f64 v[10:11], v[93:94], v[103:104], v[10:11]
	scratch_load_b128 v[91:94], off, off offset:216
	s_waitcnt vmcnt(4)
	v_fma_f64 v[10:11], v[95:96], v[105:106], v[10:11]
	ds_load_b128 v[99:102], v1 offset:464
	ds_load_b128 v[103:106], v1 offset:480
	s_waitcnt lgkmcnt(1)
	v_fma_f64 v[10:11], v[97:98], v[99:100], v[10:11]
	scratch_load_b128 v[95:98], off, off offset:232
	s_waitcnt vmcnt(4)
	v_fma_f64 v[10:11], v[107:108], v[101:102], v[10:11]
	scratch_load_b128 v[99:102], off, off offset:248
	s_waitcnt lgkmcnt(0)
	v_fma_f64 v[10:11], v[109:110], v[103:104], v[10:11]
	s_waitcnt vmcnt(4)
	s_delay_alu instid0(VALU_DEP_1)
	v_fma_f64 v[6:7], v[6:7], v[105:106], v[10:11]
	ds_load_b128 v[103:106], v1 offset:496
	ds_load_b128 v[107:110], v1 offset:512
	s_waitcnt lgkmcnt(1)
	v_fma_f64 v[10:11], v[8:9], v[103:104], v[6:7]
	scratch_load_b128 v[6:9], off, off offset:264
	s_waitcnt vmcnt(4)
	v_fma_f64 v[10:11], v[87:88], v[105:106], v[10:11]
	s_waitcnt lgkmcnt(0)
	s_delay_alu instid0(VALU_DEP_1)
	v_fma_f64 v[10:11], v[89:90], v[107:108], v[10:11]
	scratch_load_b128 v[87:90], off, off offset:280
	s_waitcnt vmcnt(4)
	v_fma_f64 v[10:11], v[91:92], v[109:110], v[10:11]
	ds_load_b128 v[103:106], v1 offset:528
	ds_load_b128 v[107:110], v1 offset:544
	s_waitcnt lgkmcnt(1)
	v_fma_f64 v[10:11], v[93:94], v[103:104], v[10:11]
	s_waitcnt vmcnt(3)
	s_delay_alu instid0(VALU_DEP_1) | instskip(SKIP_1) | instid1(VALU_DEP_1)
	v_fma_f64 v[10:11], v[95:96], v[105:106], v[10:11]
	s_waitcnt lgkmcnt(0)
	v_fma_f64 v[10:11], v[97:98], v[107:108], v[10:11]
	ds_load_b128 v[91:94], v1 offset:560
	ds_load_b128 v[95:98], v1 offset:576
	s_waitcnt vmcnt(2)
	v_fma_f64 v[10:11], v[99:100], v[109:110], v[10:11]
	s_waitcnt lgkmcnt(1)
	s_delay_alu instid0(VALU_DEP_1) | instskip(SKIP_1) | instid1(VALU_DEP_1)
	v_fma_f64 v[10:11], v[101:102], v[91:92], v[10:11]
	s_waitcnt vmcnt(1)
	v_fma_f64 v[6:7], v[6:7], v[93:94], v[10:11]
	s_waitcnt lgkmcnt(0)
	s_delay_alu instid0(VALU_DEP_1) | instskip(SKIP_4) | instid1(VALU_DEP_1)
	v_fma_f64 v[6:7], v[8:9], v[95:96], v[6:7]
	ds_load_b64 v[8:9], v1 offset:592
	s_waitcnt vmcnt(0)
	v_fma_f64 v[6:7], v[87:88], v[97:98], v[6:7]
	s_waitcnt lgkmcnt(0)
	v_fma_f64 v[6:7], v[89:90], v[8:9], v[6:7]
	s_delay_alu instid0(VALU_DEP_1)
	v_add_f64 v[4:5], v[4:5], -v[6:7]
	scratch_store_b64 off, v[4:5], off offset:88
	v_cmpx_lt_u32_e32 10, v0
	s_cbranch_execz .LBB100_211
; %bb.210:
	scratch_load_b64 v[4:5], off, off offset:80
	v_mov_b32_e32 v2, v1
	scratch_store_b64 off, v[1:2], off offset:80
	s_waitcnt vmcnt(0)
	ds_store_b64 v3, v[4:5]
.LBB100_211:
	s_or_b32 exec_lo, exec_lo, s0
	s_waitcnt lgkmcnt(0)
	s_waitcnt_vscnt null, 0x0
	s_barrier
	buffer_gl0_inv
	s_clause 0x4
	scratch_load_b128 v[4:7], off, off offset:80
	scratch_load_b128 v[8:11], off, off offset:96
	scratch_load_b128 v[87:90], off, off offset:112
	scratch_load_b128 v[91:94], off, off offset:128
	scratch_load_b128 v[95:98], off, off offset:144
	ds_load_2addr_b64 v[99:102], v1 offset0:49 offset1:50
	ds_load_2addr_b64 v[103:106], v1 offset0:51 offset1:52
	scratch_load_b128 v[107:110], off, off offset:160
	s_mov_b32 s0, exec_lo
	s_waitcnt vmcnt(5) lgkmcnt(1)
	v_fma_f64 v[6:7], v[6:7], v[99:100], 0
	s_waitcnt vmcnt(4)
	s_delay_alu instid0(VALU_DEP_1) | instskip(SKIP_1) | instid1(VALU_DEP_1)
	v_fma_f64 v[6:7], v[8:9], v[101:102], v[6:7]
	s_waitcnt lgkmcnt(0)
	v_fma_f64 v[10:11], v[10:11], v[103:104], v[6:7]
	scratch_load_b128 v[6:9], off, off offset:176
	s_waitcnt vmcnt(4)
	v_fma_f64 v[10:11], v[87:88], v[105:106], v[10:11]
	ds_load_2addr_b64 v[99:102], v1 offset0:53 offset1:54
	ds_load_2addr_b64 v[103:106], v1 offset0:55 offset1:56
	s_waitcnt lgkmcnt(1)
	v_fma_f64 v[10:11], v[89:90], v[99:100], v[10:11]
	scratch_load_b128 v[87:90], off, off offset:192
	s_waitcnt vmcnt(4)
	v_fma_f64 v[10:11], v[91:92], v[101:102], v[10:11]
	s_waitcnt lgkmcnt(0)
	s_delay_alu instid0(VALU_DEP_1)
	v_fma_f64 v[10:11], v[93:94], v[103:104], v[10:11]
	scratch_load_b128 v[91:94], off, off offset:208
	s_waitcnt vmcnt(4)
	v_fma_f64 v[10:11], v[95:96], v[105:106], v[10:11]
	ds_load_2addr_b64 v[99:102], v1 offset0:57 offset1:58
	ds_load_2addr_b64 v[103:106], v1 offset0:59 offset1:60
	s_waitcnt lgkmcnt(1)
	v_fma_f64 v[10:11], v[97:98], v[99:100], v[10:11]
	scratch_load_b128 v[95:98], off, off offset:224
	s_waitcnt vmcnt(4)
	v_fma_f64 v[10:11], v[107:108], v[101:102], v[10:11]
	scratch_load_b128 v[99:102], off, off offset:240
	s_waitcnt lgkmcnt(0)
	v_fma_f64 v[10:11], v[109:110], v[103:104], v[10:11]
	s_waitcnt vmcnt(4)
	s_delay_alu instid0(VALU_DEP_1)
	v_fma_f64 v[6:7], v[6:7], v[105:106], v[10:11]
	ds_load_2addr_b64 v[103:106], v1 offset0:61 offset1:62
	ds_load_2addr_b64 v[107:110], v1 offset0:63 offset1:64
	s_waitcnt lgkmcnt(1)
	v_fma_f64 v[10:11], v[8:9], v[103:104], v[6:7]
	scratch_load_b128 v[6:9], off, off offset:256
	s_waitcnt vmcnt(4)
	v_fma_f64 v[10:11], v[87:88], v[105:106], v[10:11]
	s_waitcnt lgkmcnt(0)
	s_delay_alu instid0(VALU_DEP_1)
	v_fma_f64 v[10:11], v[89:90], v[107:108], v[10:11]
	scratch_load_b128 v[87:90], off, off offset:272
	s_waitcnt vmcnt(4)
	v_fma_f64 v[10:11], v[91:92], v[109:110], v[10:11]
	ds_load_2addr_b64 v[103:106], v1 offset0:65 offset1:66
	ds_load_2addr_b64 v[107:110], v1 offset0:67 offset1:68
	s_waitcnt lgkmcnt(1)
	v_fma_f64 v[10:11], v[93:94], v[103:104], v[10:11]
	scratch_load_b64 v[103:104], off, off offset:288
	s_waitcnt vmcnt(4)
	v_fma_f64 v[10:11], v[95:96], v[105:106], v[10:11]
	s_waitcnt lgkmcnt(0)
	s_delay_alu instid0(VALU_DEP_1)
	v_fma_f64 v[10:11], v[97:98], v[107:108], v[10:11]
	ds_load_2addr_b64 v[91:94], v1 offset0:69 offset1:70
	ds_load_2addr_b64 v[95:98], v1 offset0:71 offset1:72
	s_waitcnt vmcnt(3)
	v_fma_f64 v[10:11], v[99:100], v[109:110], v[10:11]
	s_waitcnt lgkmcnt(1)
	s_delay_alu instid0(VALU_DEP_1) | instskip(SKIP_1) | instid1(VALU_DEP_1)
	v_fma_f64 v[10:11], v[101:102], v[91:92], v[10:11]
	s_waitcnt vmcnt(2)
	v_fma_f64 v[6:7], v[6:7], v[93:94], v[10:11]
	s_waitcnt lgkmcnt(0)
	s_delay_alu instid0(VALU_DEP_1) | instskip(SKIP_1) | instid1(VALU_DEP_1)
	v_fma_f64 v[6:7], v[8:9], v[95:96], v[6:7]
	s_waitcnt vmcnt(1)
	v_fma_f64 v[10:11], v[87:88], v[97:98], v[6:7]
	ds_load_2addr_b64 v[6:9], v1 offset0:73 offset1:74
	s_waitcnt lgkmcnt(0)
	v_fma_f64 v[1:2], v[89:90], v[6:7], v[10:11]
	s_waitcnt vmcnt(0)
	s_delay_alu instid0(VALU_DEP_1) | instskip(NEXT) | instid1(VALU_DEP_1)
	v_fma_f64 v[1:2], v[103:104], v[8:9], v[1:2]
	v_add_f64 v[1:2], v[4:5], -v[1:2]
	scratch_store_b64 off, v[1:2], off offset:80
	v_cmpx_lt_u32_e32 9, v0
	s_cbranch_execz .LBB100_213
; %bb.212:
	scratch_load_b64 v[1:2], off, off offset:72
	v_mov_b32_e32 v4, 0
	s_delay_alu instid0(VALU_DEP_1)
	v_mov_b32_e32 v5, v4
	scratch_store_b64 off, v[4:5], off offset:72
	s_waitcnt vmcnt(0)
	ds_store_b64 v3, v[1:2]
.LBB100_213:
	s_or_b32 exec_lo, exec_lo, s0
	s_waitcnt lgkmcnt(0)
	s_waitcnt_vscnt null, 0x0
	s_barrier
	buffer_gl0_inv
	s_clause 0x4
	scratch_load_b128 v[4:7], off, off offset:72
	scratch_load_b128 v[8:11], off, off offset:88
	;; [unrolled: 1-line block ×5, first 2 shown]
	v_mov_b32_e32 v1, 0
	ds_load_b128 v[99:102], v1 offset:384
	ds_load_b128 v[103:106], v1 offset:400
	scratch_load_b128 v[107:110], off, off offset:152
	s_mov_b32 s0, exec_lo
	s_waitcnt vmcnt(5) lgkmcnt(1)
	v_fma_f64 v[6:7], v[6:7], v[99:100], 0
	s_waitcnt vmcnt(4)
	s_delay_alu instid0(VALU_DEP_1) | instskip(SKIP_1) | instid1(VALU_DEP_1)
	v_fma_f64 v[6:7], v[8:9], v[101:102], v[6:7]
	s_waitcnt lgkmcnt(0)
	v_fma_f64 v[10:11], v[10:11], v[103:104], v[6:7]
	scratch_load_b128 v[6:9], off, off offset:168
	s_waitcnt vmcnt(4)
	v_fma_f64 v[10:11], v[87:88], v[105:106], v[10:11]
	ds_load_b128 v[99:102], v1 offset:416
	ds_load_b128 v[103:106], v1 offset:432
	s_waitcnt lgkmcnt(1)
	v_fma_f64 v[10:11], v[89:90], v[99:100], v[10:11]
	scratch_load_b128 v[87:90], off, off offset:184
	s_waitcnt vmcnt(4)
	v_fma_f64 v[10:11], v[91:92], v[101:102], v[10:11]
	s_waitcnt lgkmcnt(0)
	s_delay_alu instid0(VALU_DEP_1)
	v_fma_f64 v[10:11], v[93:94], v[103:104], v[10:11]
	scratch_load_b128 v[91:94], off, off offset:200
	s_waitcnt vmcnt(4)
	v_fma_f64 v[10:11], v[95:96], v[105:106], v[10:11]
	ds_load_b128 v[99:102], v1 offset:448
	ds_load_b128 v[103:106], v1 offset:464
	s_waitcnt lgkmcnt(1)
	v_fma_f64 v[10:11], v[97:98], v[99:100], v[10:11]
	scratch_load_b128 v[95:98], off, off offset:216
	s_waitcnt vmcnt(4)
	v_fma_f64 v[10:11], v[107:108], v[101:102], v[10:11]
	scratch_load_b128 v[99:102], off, off offset:232
	s_waitcnt lgkmcnt(0)
	v_fma_f64 v[10:11], v[109:110], v[103:104], v[10:11]
	s_waitcnt vmcnt(4)
	s_delay_alu instid0(VALU_DEP_1)
	v_fma_f64 v[6:7], v[6:7], v[105:106], v[10:11]
	ds_load_b128 v[103:106], v1 offset:480
	ds_load_b128 v[107:110], v1 offset:496
	s_waitcnt lgkmcnt(1)
	v_fma_f64 v[10:11], v[8:9], v[103:104], v[6:7]
	scratch_load_b128 v[6:9], off, off offset:248
	s_waitcnt vmcnt(4)
	v_fma_f64 v[10:11], v[87:88], v[105:106], v[10:11]
	s_waitcnt lgkmcnt(0)
	s_delay_alu instid0(VALU_DEP_1)
	v_fma_f64 v[10:11], v[89:90], v[107:108], v[10:11]
	scratch_load_b128 v[87:90], off, off offset:264
	s_waitcnt vmcnt(4)
	v_fma_f64 v[10:11], v[91:92], v[109:110], v[10:11]
	ds_load_b128 v[103:106], v1 offset:512
	ds_load_b128 v[107:110], v1 offset:528
	s_waitcnt lgkmcnt(1)
	v_fma_f64 v[10:11], v[93:94], v[103:104], v[10:11]
	scratch_load_b128 v[91:94], off, off offset:280
	s_waitcnt vmcnt(4)
	v_fma_f64 v[10:11], v[95:96], v[105:106], v[10:11]
	s_waitcnt lgkmcnt(0)
	s_delay_alu instid0(VALU_DEP_1)
	v_fma_f64 v[10:11], v[97:98], v[107:108], v[10:11]
	ds_load_b128 v[95:98], v1 offset:544
	ds_load_b128 v[103:106], v1 offset:560
	s_waitcnt vmcnt(3)
	v_fma_f64 v[10:11], v[99:100], v[109:110], v[10:11]
	s_waitcnt lgkmcnt(1)
	s_delay_alu instid0(VALU_DEP_1) | instskip(SKIP_1) | instid1(VALU_DEP_1)
	v_fma_f64 v[10:11], v[101:102], v[95:96], v[10:11]
	s_waitcnt vmcnt(2)
	v_fma_f64 v[6:7], v[6:7], v[97:98], v[10:11]
	s_waitcnt lgkmcnt(0)
	s_delay_alu instid0(VALU_DEP_1) | instskip(SKIP_1) | instid1(VALU_DEP_1)
	v_fma_f64 v[6:7], v[8:9], v[103:104], v[6:7]
	s_waitcnt vmcnt(1)
	v_fma_f64 v[10:11], v[87:88], v[105:106], v[6:7]
	ds_load_b128 v[6:9], v1 offset:576
	ds_load_b64 v[87:88], v1 offset:592
	s_waitcnt lgkmcnt(1)
	v_fma_f64 v[6:7], v[89:90], v[6:7], v[10:11]
	s_waitcnt vmcnt(0)
	s_delay_alu instid0(VALU_DEP_1) | instskip(SKIP_1) | instid1(VALU_DEP_1)
	v_fma_f64 v[6:7], v[91:92], v[8:9], v[6:7]
	s_waitcnt lgkmcnt(0)
	v_fma_f64 v[6:7], v[93:94], v[87:88], v[6:7]
	s_delay_alu instid0(VALU_DEP_1)
	v_add_f64 v[4:5], v[4:5], -v[6:7]
	scratch_store_b64 off, v[4:5], off offset:72
	v_cmpx_lt_u32_e32 8, v0
	s_cbranch_execz .LBB100_215
; %bb.214:
	scratch_load_b64 v[4:5], off, off offset:64
	v_mov_b32_e32 v2, v1
	scratch_store_b64 off, v[1:2], off offset:64
	s_waitcnt vmcnt(0)
	ds_store_b64 v3, v[4:5]
.LBB100_215:
	s_or_b32 exec_lo, exec_lo, s0
	s_waitcnt lgkmcnt(0)
	s_waitcnt_vscnt null, 0x0
	s_barrier
	buffer_gl0_inv
	s_clause 0x4
	scratch_load_b128 v[4:7], off, off offset:64
	scratch_load_b128 v[8:11], off, off offset:80
	;; [unrolled: 1-line block ×5, first 2 shown]
	ds_load_2addr_b64 v[99:102], v1 offset0:47 offset1:48
	ds_load_2addr_b64 v[103:106], v1 offset0:49 offset1:50
	scratch_load_b128 v[107:110], off, off offset:144
	s_mov_b32 s0, exec_lo
	s_waitcnt vmcnt(5) lgkmcnt(1)
	v_fma_f64 v[6:7], v[6:7], v[99:100], 0
	s_waitcnt vmcnt(4)
	s_delay_alu instid0(VALU_DEP_1) | instskip(SKIP_1) | instid1(VALU_DEP_1)
	v_fma_f64 v[6:7], v[8:9], v[101:102], v[6:7]
	s_waitcnt lgkmcnt(0)
	v_fma_f64 v[10:11], v[10:11], v[103:104], v[6:7]
	scratch_load_b128 v[6:9], off, off offset:160
	s_waitcnt vmcnt(4)
	v_fma_f64 v[10:11], v[87:88], v[105:106], v[10:11]
	ds_load_2addr_b64 v[99:102], v1 offset0:51 offset1:52
	ds_load_2addr_b64 v[103:106], v1 offset0:53 offset1:54
	s_waitcnt lgkmcnt(1)
	v_fma_f64 v[10:11], v[89:90], v[99:100], v[10:11]
	scratch_load_b128 v[87:90], off, off offset:176
	s_waitcnt vmcnt(4)
	v_fma_f64 v[10:11], v[91:92], v[101:102], v[10:11]
	s_waitcnt lgkmcnt(0)
	s_delay_alu instid0(VALU_DEP_1)
	v_fma_f64 v[10:11], v[93:94], v[103:104], v[10:11]
	scratch_load_b128 v[91:94], off, off offset:192
	s_waitcnt vmcnt(4)
	v_fma_f64 v[10:11], v[95:96], v[105:106], v[10:11]
	ds_load_2addr_b64 v[99:102], v1 offset0:55 offset1:56
	ds_load_2addr_b64 v[103:106], v1 offset0:57 offset1:58
	s_waitcnt lgkmcnt(1)
	v_fma_f64 v[10:11], v[97:98], v[99:100], v[10:11]
	scratch_load_b128 v[95:98], off, off offset:208
	s_waitcnt vmcnt(4)
	v_fma_f64 v[10:11], v[107:108], v[101:102], v[10:11]
	scratch_load_b128 v[99:102], off, off offset:224
	s_waitcnt lgkmcnt(0)
	v_fma_f64 v[10:11], v[109:110], v[103:104], v[10:11]
	s_waitcnt vmcnt(4)
	s_delay_alu instid0(VALU_DEP_1)
	v_fma_f64 v[6:7], v[6:7], v[105:106], v[10:11]
	ds_load_2addr_b64 v[103:106], v1 offset0:59 offset1:60
	ds_load_2addr_b64 v[107:110], v1 offset0:61 offset1:62
	s_waitcnt lgkmcnt(1)
	v_fma_f64 v[10:11], v[8:9], v[103:104], v[6:7]
	scratch_load_b128 v[6:9], off, off offset:240
	s_waitcnt vmcnt(4)
	v_fma_f64 v[10:11], v[87:88], v[105:106], v[10:11]
	s_waitcnt lgkmcnt(0)
	s_delay_alu instid0(VALU_DEP_1)
	v_fma_f64 v[10:11], v[89:90], v[107:108], v[10:11]
	scratch_load_b128 v[87:90], off, off offset:256
	s_waitcnt vmcnt(4)
	v_fma_f64 v[10:11], v[91:92], v[109:110], v[10:11]
	ds_load_2addr_b64 v[103:106], v1 offset0:63 offset1:64
	ds_load_2addr_b64 v[107:110], v1 offset0:65 offset1:66
	s_waitcnt lgkmcnt(1)
	v_fma_f64 v[10:11], v[93:94], v[103:104], v[10:11]
	scratch_load_b128 v[91:94], off, off offset:272
	s_waitcnt vmcnt(4)
	v_fma_f64 v[10:11], v[95:96], v[105:106], v[10:11]
	s_waitcnt lgkmcnt(0)
	s_delay_alu instid0(VALU_DEP_1)
	v_fma_f64 v[10:11], v[97:98], v[107:108], v[10:11]
	scratch_load_b64 v[107:108], off, off offset:288
	ds_load_2addr_b64 v[95:98], v1 offset0:67 offset1:68
	ds_load_2addr_b64 v[103:106], v1 offset0:69 offset1:70
	s_waitcnt vmcnt(4)
	v_fma_f64 v[10:11], v[99:100], v[109:110], v[10:11]
	s_waitcnt lgkmcnt(1)
	s_delay_alu instid0(VALU_DEP_1) | instskip(SKIP_1) | instid1(VALU_DEP_1)
	v_fma_f64 v[10:11], v[101:102], v[95:96], v[10:11]
	s_waitcnt vmcnt(3)
	v_fma_f64 v[6:7], v[6:7], v[97:98], v[10:11]
	s_waitcnt lgkmcnt(0)
	s_delay_alu instid0(VALU_DEP_1) | instskip(SKIP_1) | instid1(VALU_DEP_1)
	v_fma_f64 v[6:7], v[8:9], v[103:104], v[6:7]
	s_waitcnt vmcnt(2)
	v_fma_f64 v[10:11], v[87:88], v[105:106], v[6:7]
	ds_load_2addr_b64 v[6:9], v1 offset0:71 offset1:72
	ds_load_2addr_b64 v[95:98], v1 offset0:73 offset1:74
	s_waitcnt lgkmcnt(1)
	v_fma_f64 v[1:2], v[89:90], v[6:7], v[10:11]
	s_waitcnt vmcnt(1)
	s_delay_alu instid0(VALU_DEP_1) | instskip(SKIP_1) | instid1(VALU_DEP_1)
	v_fma_f64 v[1:2], v[91:92], v[8:9], v[1:2]
	s_waitcnt lgkmcnt(0)
	v_fma_f64 v[1:2], v[93:94], v[95:96], v[1:2]
	s_waitcnt vmcnt(0)
	s_delay_alu instid0(VALU_DEP_1) | instskip(NEXT) | instid1(VALU_DEP_1)
	v_fma_f64 v[1:2], v[107:108], v[97:98], v[1:2]
	v_add_f64 v[1:2], v[4:5], -v[1:2]
	scratch_store_b64 off, v[1:2], off offset:64
	v_cmpx_lt_u32_e32 7, v0
	s_cbranch_execz .LBB100_217
; %bb.216:
	scratch_load_b64 v[1:2], off, off offset:56
	v_mov_b32_e32 v4, 0
	s_delay_alu instid0(VALU_DEP_1)
	v_mov_b32_e32 v5, v4
	scratch_store_b64 off, v[4:5], off offset:56
	s_waitcnt vmcnt(0)
	ds_store_b64 v3, v[1:2]
.LBB100_217:
	s_or_b32 exec_lo, exec_lo, s0
	s_waitcnt lgkmcnt(0)
	s_waitcnt_vscnt null, 0x0
	s_barrier
	buffer_gl0_inv
	s_clause 0x4
	scratch_load_b128 v[4:7], off, off offset:56
	scratch_load_b128 v[8:11], off, off offset:72
	;; [unrolled: 1-line block ×5, first 2 shown]
	v_mov_b32_e32 v1, 0
	ds_load_b128 v[99:102], v1 offset:368
	ds_load_b128 v[103:106], v1 offset:384
	scratch_load_b128 v[107:110], off, off offset:136
	s_mov_b32 s0, exec_lo
	s_waitcnt vmcnt(5) lgkmcnt(1)
	v_fma_f64 v[6:7], v[6:7], v[99:100], 0
	s_waitcnt vmcnt(4)
	s_delay_alu instid0(VALU_DEP_1) | instskip(SKIP_1) | instid1(VALU_DEP_1)
	v_fma_f64 v[6:7], v[8:9], v[101:102], v[6:7]
	s_waitcnt lgkmcnt(0)
	v_fma_f64 v[10:11], v[10:11], v[103:104], v[6:7]
	scratch_load_b128 v[6:9], off, off offset:152
	s_waitcnt vmcnt(4)
	v_fma_f64 v[10:11], v[87:88], v[105:106], v[10:11]
	ds_load_b128 v[99:102], v1 offset:400
	ds_load_b128 v[103:106], v1 offset:416
	s_waitcnt lgkmcnt(1)
	v_fma_f64 v[10:11], v[89:90], v[99:100], v[10:11]
	scratch_load_b128 v[87:90], off, off offset:168
	s_waitcnt vmcnt(4)
	v_fma_f64 v[10:11], v[91:92], v[101:102], v[10:11]
	s_waitcnt lgkmcnt(0)
	s_delay_alu instid0(VALU_DEP_1)
	v_fma_f64 v[10:11], v[93:94], v[103:104], v[10:11]
	scratch_load_b128 v[91:94], off, off offset:184
	s_waitcnt vmcnt(4)
	v_fma_f64 v[10:11], v[95:96], v[105:106], v[10:11]
	ds_load_b128 v[99:102], v1 offset:432
	ds_load_b128 v[103:106], v1 offset:448
	s_waitcnt lgkmcnt(1)
	v_fma_f64 v[10:11], v[97:98], v[99:100], v[10:11]
	scratch_load_b128 v[95:98], off, off offset:200
	s_waitcnt vmcnt(4)
	v_fma_f64 v[10:11], v[107:108], v[101:102], v[10:11]
	scratch_load_b128 v[99:102], off, off offset:216
	s_waitcnt lgkmcnt(0)
	v_fma_f64 v[10:11], v[109:110], v[103:104], v[10:11]
	s_waitcnt vmcnt(4)
	s_delay_alu instid0(VALU_DEP_1)
	v_fma_f64 v[6:7], v[6:7], v[105:106], v[10:11]
	ds_load_b128 v[103:106], v1 offset:464
	ds_load_b128 v[107:110], v1 offset:480
	s_waitcnt lgkmcnt(1)
	v_fma_f64 v[10:11], v[8:9], v[103:104], v[6:7]
	scratch_load_b128 v[6:9], off, off offset:232
	s_waitcnt vmcnt(4)
	v_fma_f64 v[10:11], v[87:88], v[105:106], v[10:11]
	s_waitcnt lgkmcnt(0)
	s_delay_alu instid0(VALU_DEP_1)
	v_fma_f64 v[10:11], v[89:90], v[107:108], v[10:11]
	scratch_load_b128 v[87:90], off, off offset:248
	s_waitcnt vmcnt(4)
	v_fma_f64 v[10:11], v[91:92], v[109:110], v[10:11]
	ds_load_b128 v[103:106], v1 offset:496
	ds_load_b128 v[107:110], v1 offset:512
	s_waitcnt lgkmcnt(1)
	v_fma_f64 v[10:11], v[93:94], v[103:104], v[10:11]
	scratch_load_b128 v[91:94], off, off offset:264
	s_waitcnt vmcnt(4)
	v_fma_f64 v[10:11], v[95:96], v[105:106], v[10:11]
	s_waitcnt lgkmcnt(0)
	s_delay_alu instid0(VALU_DEP_1)
	v_fma_f64 v[10:11], v[97:98], v[107:108], v[10:11]
	scratch_load_b128 v[95:98], off, off offset:280
	s_waitcnt vmcnt(4)
	v_fma_f64 v[10:11], v[99:100], v[109:110], v[10:11]
	ds_load_b128 v[103:106], v1 offset:528
	ds_load_b128 v[107:110], v1 offset:544
	s_waitcnt lgkmcnt(1)
	v_fma_f64 v[10:11], v[101:102], v[103:104], v[10:11]
	s_waitcnt vmcnt(3)
	s_delay_alu instid0(VALU_DEP_1) | instskip(SKIP_1) | instid1(VALU_DEP_1)
	v_fma_f64 v[6:7], v[6:7], v[105:106], v[10:11]
	s_waitcnt lgkmcnt(0)
	v_fma_f64 v[6:7], v[8:9], v[107:108], v[6:7]
	s_waitcnt vmcnt(2)
	s_delay_alu instid0(VALU_DEP_1)
	v_fma_f64 v[10:11], v[87:88], v[109:110], v[6:7]
	ds_load_b128 v[6:9], v1 offset:560
	ds_load_b128 v[99:102], v1 offset:576
	s_waitcnt lgkmcnt(1)
	v_fma_f64 v[6:7], v[89:90], v[6:7], v[10:11]
	s_waitcnt vmcnt(1)
	s_delay_alu instid0(VALU_DEP_1) | instskip(SKIP_4) | instid1(VALU_DEP_1)
	v_fma_f64 v[6:7], v[91:92], v[8:9], v[6:7]
	ds_load_b64 v[8:9], v1 offset:592
	s_waitcnt lgkmcnt(1)
	v_fma_f64 v[6:7], v[93:94], v[99:100], v[6:7]
	s_waitcnt vmcnt(0)
	v_fma_f64 v[6:7], v[95:96], v[101:102], v[6:7]
	s_waitcnt lgkmcnt(0)
	s_delay_alu instid0(VALU_DEP_1) | instskip(NEXT) | instid1(VALU_DEP_1)
	v_fma_f64 v[6:7], v[97:98], v[8:9], v[6:7]
	v_add_f64 v[4:5], v[4:5], -v[6:7]
	scratch_store_b64 off, v[4:5], off offset:56
	v_cmpx_lt_u32_e32 6, v0
	s_cbranch_execz .LBB100_219
; %bb.218:
	scratch_load_b64 v[4:5], off, off offset:48
	v_mov_b32_e32 v2, v1
	scratch_store_b64 off, v[1:2], off offset:48
	s_waitcnt vmcnt(0)
	ds_store_b64 v3, v[4:5]
.LBB100_219:
	s_or_b32 exec_lo, exec_lo, s0
	s_waitcnt lgkmcnt(0)
	s_waitcnt_vscnt null, 0x0
	s_barrier
	buffer_gl0_inv
	s_clause 0x4
	scratch_load_b128 v[4:7], off, off offset:48
	scratch_load_b128 v[8:11], off, off offset:64
	;; [unrolled: 1-line block ×5, first 2 shown]
	ds_load_2addr_b64 v[99:102], v1 offset0:45 offset1:46
	ds_load_2addr_b64 v[103:106], v1 offset0:47 offset1:48
	scratch_load_b128 v[107:110], off, off offset:128
	s_mov_b32 s0, exec_lo
	s_waitcnt vmcnt(5) lgkmcnt(1)
	v_fma_f64 v[6:7], v[6:7], v[99:100], 0
	s_waitcnt vmcnt(4)
	s_delay_alu instid0(VALU_DEP_1) | instskip(SKIP_1) | instid1(VALU_DEP_1)
	v_fma_f64 v[6:7], v[8:9], v[101:102], v[6:7]
	s_waitcnt lgkmcnt(0)
	v_fma_f64 v[10:11], v[10:11], v[103:104], v[6:7]
	scratch_load_b128 v[6:9], off, off offset:144
	s_waitcnt vmcnt(4)
	v_fma_f64 v[10:11], v[87:88], v[105:106], v[10:11]
	ds_load_2addr_b64 v[99:102], v1 offset0:49 offset1:50
	ds_load_2addr_b64 v[103:106], v1 offset0:51 offset1:52
	s_waitcnt lgkmcnt(1)
	v_fma_f64 v[10:11], v[89:90], v[99:100], v[10:11]
	scratch_load_b128 v[87:90], off, off offset:160
	s_waitcnt vmcnt(4)
	v_fma_f64 v[10:11], v[91:92], v[101:102], v[10:11]
	s_waitcnt lgkmcnt(0)
	s_delay_alu instid0(VALU_DEP_1)
	v_fma_f64 v[10:11], v[93:94], v[103:104], v[10:11]
	scratch_load_b128 v[91:94], off, off offset:176
	s_waitcnt vmcnt(4)
	v_fma_f64 v[10:11], v[95:96], v[105:106], v[10:11]
	ds_load_2addr_b64 v[99:102], v1 offset0:53 offset1:54
	ds_load_2addr_b64 v[103:106], v1 offset0:55 offset1:56
	s_waitcnt lgkmcnt(1)
	v_fma_f64 v[10:11], v[97:98], v[99:100], v[10:11]
	scratch_load_b128 v[95:98], off, off offset:192
	s_waitcnt vmcnt(4)
	v_fma_f64 v[10:11], v[107:108], v[101:102], v[10:11]
	scratch_load_b128 v[99:102], off, off offset:208
	s_waitcnt lgkmcnt(0)
	v_fma_f64 v[10:11], v[109:110], v[103:104], v[10:11]
	s_waitcnt vmcnt(4)
	s_delay_alu instid0(VALU_DEP_1)
	v_fma_f64 v[6:7], v[6:7], v[105:106], v[10:11]
	ds_load_2addr_b64 v[103:106], v1 offset0:57 offset1:58
	ds_load_2addr_b64 v[107:110], v1 offset0:59 offset1:60
	s_waitcnt lgkmcnt(1)
	v_fma_f64 v[10:11], v[8:9], v[103:104], v[6:7]
	scratch_load_b128 v[6:9], off, off offset:224
	s_waitcnt vmcnt(4)
	v_fma_f64 v[10:11], v[87:88], v[105:106], v[10:11]
	s_waitcnt lgkmcnt(0)
	s_delay_alu instid0(VALU_DEP_1)
	v_fma_f64 v[10:11], v[89:90], v[107:108], v[10:11]
	scratch_load_b128 v[87:90], off, off offset:240
	s_waitcnt vmcnt(4)
	v_fma_f64 v[10:11], v[91:92], v[109:110], v[10:11]
	ds_load_2addr_b64 v[103:106], v1 offset0:61 offset1:62
	ds_load_2addr_b64 v[107:110], v1 offset0:63 offset1:64
	s_waitcnt lgkmcnt(1)
	v_fma_f64 v[10:11], v[93:94], v[103:104], v[10:11]
	scratch_load_b128 v[91:94], off, off offset:256
	s_waitcnt vmcnt(4)
	v_fma_f64 v[10:11], v[95:96], v[105:106], v[10:11]
	s_waitcnt lgkmcnt(0)
	s_delay_alu instid0(VALU_DEP_1)
	v_fma_f64 v[10:11], v[97:98], v[107:108], v[10:11]
	scratch_load_b128 v[95:98], off, off offset:272
	s_waitcnt vmcnt(4)
	v_fma_f64 v[10:11], v[99:100], v[109:110], v[10:11]
	ds_load_2addr_b64 v[103:106], v1 offset0:65 offset1:66
	ds_load_2addr_b64 v[107:110], v1 offset0:67 offset1:68
	s_waitcnt lgkmcnt(1)
	v_fma_f64 v[10:11], v[101:102], v[103:104], v[10:11]
	scratch_load_b64 v[103:104], off, off offset:288
	s_waitcnt vmcnt(4)
	v_fma_f64 v[6:7], v[6:7], v[105:106], v[10:11]
	s_waitcnt lgkmcnt(0)
	s_delay_alu instid0(VALU_DEP_1) | instskip(SKIP_1) | instid1(VALU_DEP_1)
	v_fma_f64 v[6:7], v[8:9], v[107:108], v[6:7]
	s_waitcnt vmcnt(3)
	v_fma_f64 v[10:11], v[87:88], v[109:110], v[6:7]
	ds_load_2addr_b64 v[6:9], v1 offset0:69 offset1:70
	ds_load_2addr_b64 v[99:102], v1 offset0:71 offset1:72
	s_waitcnt lgkmcnt(1)
	v_fma_f64 v[6:7], v[89:90], v[6:7], v[10:11]
	s_waitcnt vmcnt(2)
	s_delay_alu instid0(VALU_DEP_1) | instskip(SKIP_1) | instid1(VALU_DEP_1)
	v_fma_f64 v[6:7], v[91:92], v[8:9], v[6:7]
	s_waitcnt lgkmcnt(0)
	v_fma_f64 v[6:7], v[93:94], v[99:100], v[6:7]
	s_waitcnt vmcnt(1)
	s_delay_alu instid0(VALU_DEP_1) | instskip(SKIP_4) | instid1(VALU_DEP_1)
	v_fma_f64 v[10:11], v[95:96], v[101:102], v[6:7]
	ds_load_2addr_b64 v[6:9], v1 offset0:73 offset1:74
	s_waitcnt lgkmcnt(0)
	v_fma_f64 v[1:2], v[97:98], v[6:7], v[10:11]
	s_waitcnt vmcnt(0)
	v_fma_f64 v[1:2], v[103:104], v[8:9], v[1:2]
	s_delay_alu instid0(VALU_DEP_1)
	v_add_f64 v[1:2], v[4:5], -v[1:2]
	scratch_store_b64 off, v[1:2], off offset:48
	v_cmpx_lt_u32_e32 5, v0
	s_cbranch_execz .LBB100_221
; %bb.220:
	scratch_load_b64 v[1:2], off, off offset:40
	v_mov_b32_e32 v4, 0
	s_delay_alu instid0(VALU_DEP_1)
	v_mov_b32_e32 v5, v4
	scratch_store_b64 off, v[4:5], off offset:40
	s_waitcnt vmcnt(0)
	ds_store_b64 v3, v[1:2]
.LBB100_221:
	s_or_b32 exec_lo, exec_lo, s0
	s_waitcnt lgkmcnt(0)
	s_waitcnt_vscnt null, 0x0
	s_barrier
	buffer_gl0_inv
	s_clause 0x4
	scratch_load_b128 v[4:7], off, off offset:40
	scratch_load_b128 v[8:11], off, off offset:56
	;; [unrolled: 1-line block ×5, first 2 shown]
	v_mov_b32_e32 v1, 0
	ds_load_b128 v[99:102], v1 offset:352
	ds_load_b128 v[103:106], v1 offset:368
	scratch_load_b128 v[107:110], off, off offset:120
	s_mov_b32 s0, exec_lo
	s_waitcnt vmcnt(5) lgkmcnt(1)
	v_fma_f64 v[6:7], v[6:7], v[99:100], 0
	s_waitcnt vmcnt(4)
	s_delay_alu instid0(VALU_DEP_1) | instskip(SKIP_1) | instid1(VALU_DEP_1)
	v_fma_f64 v[6:7], v[8:9], v[101:102], v[6:7]
	s_waitcnt lgkmcnt(0)
	v_fma_f64 v[10:11], v[10:11], v[103:104], v[6:7]
	scratch_load_b128 v[6:9], off, off offset:136
	s_waitcnt vmcnt(4)
	v_fma_f64 v[10:11], v[87:88], v[105:106], v[10:11]
	ds_load_b128 v[99:102], v1 offset:384
	ds_load_b128 v[103:106], v1 offset:400
	s_waitcnt lgkmcnt(1)
	v_fma_f64 v[10:11], v[89:90], v[99:100], v[10:11]
	scratch_load_b128 v[87:90], off, off offset:152
	s_waitcnt vmcnt(4)
	v_fma_f64 v[10:11], v[91:92], v[101:102], v[10:11]
	s_waitcnt lgkmcnt(0)
	s_delay_alu instid0(VALU_DEP_1)
	v_fma_f64 v[10:11], v[93:94], v[103:104], v[10:11]
	scratch_load_b128 v[91:94], off, off offset:168
	s_waitcnt vmcnt(4)
	v_fma_f64 v[10:11], v[95:96], v[105:106], v[10:11]
	ds_load_b128 v[99:102], v1 offset:416
	ds_load_b128 v[103:106], v1 offset:432
	s_waitcnt lgkmcnt(1)
	v_fma_f64 v[10:11], v[97:98], v[99:100], v[10:11]
	scratch_load_b128 v[95:98], off, off offset:184
	s_waitcnt vmcnt(4)
	v_fma_f64 v[10:11], v[107:108], v[101:102], v[10:11]
	scratch_load_b128 v[99:102], off, off offset:200
	s_waitcnt lgkmcnt(0)
	v_fma_f64 v[10:11], v[109:110], v[103:104], v[10:11]
	s_waitcnt vmcnt(4)
	s_delay_alu instid0(VALU_DEP_1)
	v_fma_f64 v[6:7], v[6:7], v[105:106], v[10:11]
	ds_load_b128 v[103:106], v1 offset:448
	ds_load_b128 v[107:110], v1 offset:464
	s_waitcnt lgkmcnt(1)
	v_fma_f64 v[10:11], v[8:9], v[103:104], v[6:7]
	scratch_load_b128 v[6:9], off, off offset:216
	s_waitcnt vmcnt(4)
	v_fma_f64 v[10:11], v[87:88], v[105:106], v[10:11]
	s_waitcnt lgkmcnt(0)
	s_delay_alu instid0(VALU_DEP_1)
	v_fma_f64 v[10:11], v[89:90], v[107:108], v[10:11]
	scratch_load_b128 v[87:90], off, off offset:232
	s_waitcnt vmcnt(4)
	v_fma_f64 v[10:11], v[91:92], v[109:110], v[10:11]
	ds_load_b128 v[103:106], v1 offset:480
	ds_load_b128 v[107:110], v1 offset:496
	s_waitcnt lgkmcnt(1)
	v_fma_f64 v[10:11], v[93:94], v[103:104], v[10:11]
	scratch_load_b128 v[91:94], off, off offset:248
	s_waitcnt vmcnt(4)
	v_fma_f64 v[10:11], v[95:96], v[105:106], v[10:11]
	s_waitcnt lgkmcnt(0)
	s_delay_alu instid0(VALU_DEP_1)
	v_fma_f64 v[10:11], v[97:98], v[107:108], v[10:11]
	scratch_load_b128 v[95:98], off, off offset:264
	s_waitcnt vmcnt(4)
	v_fma_f64 v[10:11], v[99:100], v[109:110], v[10:11]
	ds_load_b128 v[103:106], v1 offset:512
	ds_load_b128 v[107:110], v1 offset:528
	s_waitcnt lgkmcnt(1)
	v_fma_f64 v[10:11], v[101:102], v[103:104], v[10:11]
	scratch_load_b128 v[99:102], off, off offset:280
	s_waitcnt vmcnt(4)
	v_fma_f64 v[6:7], v[6:7], v[105:106], v[10:11]
	s_waitcnt lgkmcnt(0)
	s_delay_alu instid0(VALU_DEP_1) | instskip(SKIP_1) | instid1(VALU_DEP_1)
	v_fma_f64 v[6:7], v[8:9], v[107:108], v[6:7]
	s_waitcnt vmcnt(3)
	v_fma_f64 v[10:11], v[87:88], v[109:110], v[6:7]
	ds_load_b128 v[6:9], v1 offset:544
	ds_load_b128 v[103:106], v1 offset:560
	s_waitcnt lgkmcnt(1)
	v_fma_f64 v[6:7], v[89:90], v[6:7], v[10:11]
	s_waitcnt vmcnt(2)
	s_delay_alu instid0(VALU_DEP_1) | instskip(SKIP_1) | instid1(VALU_DEP_1)
	v_fma_f64 v[6:7], v[91:92], v[8:9], v[6:7]
	s_waitcnt lgkmcnt(0)
	v_fma_f64 v[6:7], v[93:94], v[103:104], v[6:7]
	s_waitcnt vmcnt(1)
	s_delay_alu instid0(VALU_DEP_1)
	v_fma_f64 v[10:11], v[95:96], v[105:106], v[6:7]
	ds_load_b128 v[6:9], v1 offset:576
	ds_load_b64 v[87:88], v1 offset:592
	s_waitcnt lgkmcnt(1)
	v_fma_f64 v[6:7], v[97:98], v[6:7], v[10:11]
	s_waitcnt vmcnt(0)
	s_delay_alu instid0(VALU_DEP_1) | instskip(SKIP_1) | instid1(VALU_DEP_1)
	v_fma_f64 v[6:7], v[99:100], v[8:9], v[6:7]
	s_waitcnt lgkmcnt(0)
	v_fma_f64 v[6:7], v[101:102], v[87:88], v[6:7]
	s_delay_alu instid0(VALU_DEP_1)
	v_add_f64 v[4:5], v[4:5], -v[6:7]
	scratch_store_b64 off, v[4:5], off offset:40
	v_cmpx_lt_u32_e32 4, v0
	s_cbranch_execz .LBB100_223
; %bb.222:
	scratch_load_b64 v[4:5], off, off offset:32
	v_mov_b32_e32 v2, v1
	scratch_store_b64 off, v[1:2], off offset:32
	s_waitcnt vmcnt(0)
	ds_store_b64 v3, v[4:5]
.LBB100_223:
	s_or_b32 exec_lo, exec_lo, s0
	s_waitcnt lgkmcnt(0)
	s_waitcnt_vscnt null, 0x0
	s_barrier
	buffer_gl0_inv
	s_clause 0x4
	scratch_load_b128 v[4:7], off, off offset:32
	scratch_load_b128 v[8:11], off, off offset:48
	;; [unrolled: 1-line block ×5, first 2 shown]
	ds_load_2addr_b64 v[99:102], v1 offset0:43 offset1:44
	ds_load_2addr_b64 v[103:106], v1 offset0:45 offset1:46
	scratch_load_b128 v[107:110], off, off offset:112
	s_mov_b32 s0, exec_lo
	s_waitcnt vmcnt(5) lgkmcnt(1)
	v_fma_f64 v[6:7], v[6:7], v[99:100], 0
	s_waitcnt vmcnt(4)
	s_delay_alu instid0(VALU_DEP_1) | instskip(SKIP_1) | instid1(VALU_DEP_1)
	v_fma_f64 v[6:7], v[8:9], v[101:102], v[6:7]
	s_waitcnt lgkmcnt(0)
	v_fma_f64 v[10:11], v[10:11], v[103:104], v[6:7]
	scratch_load_b128 v[6:9], off, off offset:128
	s_waitcnt vmcnt(4)
	v_fma_f64 v[10:11], v[87:88], v[105:106], v[10:11]
	ds_load_2addr_b64 v[99:102], v1 offset0:47 offset1:48
	ds_load_2addr_b64 v[103:106], v1 offset0:49 offset1:50
	s_waitcnt lgkmcnt(1)
	v_fma_f64 v[10:11], v[89:90], v[99:100], v[10:11]
	scratch_load_b128 v[87:90], off, off offset:144
	s_waitcnt vmcnt(4)
	v_fma_f64 v[10:11], v[91:92], v[101:102], v[10:11]
	s_waitcnt lgkmcnt(0)
	s_delay_alu instid0(VALU_DEP_1)
	v_fma_f64 v[10:11], v[93:94], v[103:104], v[10:11]
	scratch_load_b128 v[91:94], off, off offset:160
	s_waitcnt vmcnt(4)
	v_fma_f64 v[10:11], v[95:96], v[105:106], v[10:11]
	ds_load_2addr_b64 v[99:102], v1 offset0:51 offset1:52
	ds_load_2addr_b64 v[103:106], v1 offset0:53 offset1:54
	s_waitcnt lgkmcnt(1)
	v_fma_f64 v[10:11], v[97:98], v[99:100], v[10:11]
	scratch_load_b128 v[95:98], off, off offset:176
	s_waitcnt vmcnt(4)
	v_fma_f64 v[10:11], v[107:108], v[101:102], v[10:11]
	scratch_load_b128 v[99:102], off, off offset:192
	s_waitcnt lgkmcnt(0)
	v_fma_f64 v[10:11], v[109:110], v[103:104], v[10:11]
	s_waitcnt vmcnt(4)
	s_delay_alu instid0(VALU_DEP_1)
	v_fma_f64 v[6:7], v[6:7], v[105:106], v[10:11]
	ds_load_2addr_b64 v[103:106], v1 offset0:55 offset1:56
	ds_load_2addr_b64 v[107:110], v1 offset0:57 offset1:58
	s_waitcnt lgkmcnt(1)
	v_fma_f64 v[10:11], v[8:9], v[103:104], v[6:7]
	scratch_load_b128 v[6:9], off, off offset:208
	s_waitcnt vmcnt(4)
	v_fma_f64 v[10:11], v[87:88], v[105:106], v[10:11]
	s_waitcnt lgkmcnt(0)
	s_delay_alu instid0(VALU_DEP_1)
	v_fma_f64 v[10:11], v[89:90], v[107:108], v[10:11]
	scratch_load_b128 v[87:90], off, off offset:224
	s_waitcnt vmcnt(4)
	v_fma_f64 v[10:11], v[91:92], v[109:110], v[10:11]
	ds_load_2addr_b64 v[103:106], v1 offset0:59 offset1:60
	ds_load_2addr_b64 v[107:110], v1 offset0:61 offset1:62
	s_waitcnt lgkmcnt(1)
	v_fma_f64 v[10:11], v[93:94], v[103:104], v[10:11]
	scratch_load_b128 v[91:94], off, off offset:240
	s_waitcnt vmcnt(4)
	v_fma_f64 v[10:11], v[95:96], v[105:106], v[10:11]
	s_waitcnt lgkmcnt(0)
	s_delay_alu instid0(VALU_DEP_1)
	v_fma_f64 v[10:11], v[97:98], v[107:108], v[10:11]
	scratch_load_b128 v[95:98], off, off offset:256
	s_waitcnt vmcnt(4)
	v_fma_f64 v[10:11], v[99:100], v[109:110], v[10:11]
	ds_load_2addr_b64 v[103:106], v1 offset0:63 offset1:64
	ds_load_2addr_b64 v[107:110], v1 offset0:65 offset1:66
	s_waitcnt lgkmcnt(1)
	v_fma_f64 v[10:11], v[101:102], v[103:104], v[10:11]
	scratch_load_b128 v[99:102], off, off offset:272
	s_waitcnt vmcnt(4)
	v_fma_f64 v[6:7], v[6:7], v[105:106], v[10:11]
	scratch_load_b64 v[10:11], off, off offset:288
	s_waitcnt lgkmcnt(0)
	v_fma_f64 v[6:7], v[8:9], v[107:108], v[6:7]
	s_waitcnt vmcnt(4)
	s_delay_alu instid0(VALU_DEP_1)
	v_fma_f64 v[87:88], v[87:88], v[109:110], v[6:7]
	ds_load_2addr_b64 v[6:9], v1 offset0:67 offset1:68
	ds_load_2addr_b64 v[103:106], v1 offset0:69 offset1:70
	s_waitcnt lgkmcnt(1)
	v_fma_f64 v[6:7], v[89:90], v[6:7], v[87:88]
	s_waitcnt vmcnt(3)
	s_delay_alu instid0(VALU_DEP_1) | instskip(SKIP_1) | instid1(VALU_DEP_1)
	v_fma_f64 v[6:7], v[91:92], v[8:9], v[6:7]
	s_waitcnt lgkmcnt(0)
	v_fma_f64 v[6:7], v[93:94], v[103:104], v[6:7]
	s_waitcnt vmcnt(2)
	s_delay_alu instid0(VALU_DEP_1)
	v_fma_f64 v[91:92], v[95:96], v[105:106], v[6:7]
	ds_load_2addr_b64 v[6:9], v1 offset0:71 offset1:72
	ds_load_2addr_b64 v[87:90], v1 offset0:73 offset1:74
	s_waitcnt lgkmcnt(1)
	v_fma_f64 v[1:2], v[97:98], v[6:7], v[91:92]
	s_waitcnt vmcnt(1)
	s_delay_alu instid0(VALU_DEP_1) | instskip(SKIP_1) | instid1(VALU_DEP_1)
	v_fma_f64 v[1:2], v[99:100], v[8:9], v[1:2]
	s_waitcnt lgkmcnt(0)
	v_fma_f64 v[1:2], v[101:102], v[87:88], v[1:2]
	s_waitcnt vmcnt(0)
	s_delay_alu instid0(VALU_DEP_1) | instskip(NEXT) | instid1(VALU_DEP_1)
	v_fma_f64 v[1:2], v[10:11], v[89:90], v[1:2]
	v_add_f64 v[1:2], v[4:5], -v[1:2]
	scratch_store_b64 off, v[1:2], off offset:32
	v_cmpx_lt_u32_e32 3, v0
	s_cbranch_execz .LBB100_225
; %bb.224:
	scratch_load_b64 v[1:2], off, off offset:24
	v_mov_b32_e32 v4, 0
	s_delay_alu instid0(VALU_DEP_1)
	v_mov_b32_e32 v5, v4
	scratch_store_b64 off, v[4:5], off offset:24
	s_waitcnt vmcnt(0)
	ds_store_b64 v3, v[1:2]
.LBB100_225:
	s_or_b32 exec_lo, exec_lo, s0
	s_waitcnt lgkmcnt(0)
	s_waitcnt_vscnt null, 0x0
	s_barrier
	buffer_gl0_inv
	s_clause 0x4
	scratch_load_b128 v[4:7], off, off offset:24
	scratch_load_b128 v[8:11], off, off offset:40
	;; [unrolled: 1-line block ×5, first 2 shown]
	v_mov_b32_e32 v1, 0
	ds_load_b128 v[99:102], v1 offset:336
	ds_load_b128 v[103:106], v1 offset:352
	scratch_load_b128 v[107:110], off, off offset:104
	s_mov_b32 s0, exec_lo
	s_waitcnt vmcnt(5) lgkmcnt(1)
	v_fma_f64 v[6:7], v[6:7], v[99:100], 0
	s_waitcnt vmcnt(4)
	s_delay_alu instid0(VALU_DEP_1) | instskip(SKIP_1) | instid1(VALU_DEP_1)
	v_fma_f64 v[6:7], v[8:9], v[101:102], v[6:7]
	s_waitcnt lgkmcnt(0)
	v_fma_f64 v[10:11], v[10:11], v[103:104], v[6:7]
	scratch_load_b128 v[6:9], off, off offset:120
	s_waitcnt vmcnt(4)
	v_fma_f64 v[10:11], v[87:88], v[105:106], v[10:11]
	ds_load_b128 v[99:102], v1 offset:368
	ds_load_b128 v[103:106], v1 offset:384
	s_waitcnt lgkmcnt(1)
	v_fma_f64 v[10:11], v[89:90], v[99:100], v[10:11]
	scratch_load_b128 v[87:90], off, off offset:136
	s_waitcnt vmcnt(4)
	v_fma_f64 v[10:11], v[91:92], v[101:102], v[10:11]
	s_waitcnt lgkmcnt(0)
	s_delay_alu instid0(VALU_DEP_1)
	v_fma_f64 v[10:11], v[93:94], v[103:104], v[10:11]
	scratch_load_b128 v[91:94], off, off offset:152
	s_waitcnt vmcnt(4)
	v_fma_f64 v[10:11], v[95:96], v[105:106], v[10:11]
	ds_load_b128 v[99:102], v1 offset:400
	ds_load_b128 v[103:106], v1 offset:416
	s_waitcnt lgkmcnt(1)
	v_fma_f64 v[10:11], v[97:98], v[99:100], v[10:11]
	scratch_load_b128 v[95:98], off, off offset:168
	s_waitcnt vmcnt(4)
	v_fma_f64 v[10:11], v[107:108], v[101:102], v[10:11]
	scratch_load_b128 v[99:102], off, off offset:184
	s_waitcnt lgkmcnt(0)
	v_fma_f64 v[10:11], v[109:110], v[103:104], v[10:11]
	s_waitcnt vmcnt(4)
	s_delay_alu instid0(VALU_DEP_1)
	v_fma_f64 v[6:7], v[6:7], v[105:106], v[10:11]
	ds_load_b128 v[103:106], v1 offset:432
	ds_load_b128 v[107:110], v1 offset:448
	s_waitcnt lgkmcnt(1)
	v_fma_f64 v[10:11], v[8:9], v[103:104], v[6:7]
	scratch_load_b128 v[6:9], off, off offset:200
	s_waitcnt vmcnt(4)
	v_fma_f64 v[10:11], v[87:88], v[105:106], v[10:11]
	s_waitcnt lgkmcnt(0)
	s_delay_alu instid0(VALU_DEP_1)
	v_fma_f64 v[10:11], v[89:90], v[107:108], v[10:11]
	scratch_load_b128 v[87:90], off, off offset:216
	s_waitcnt vmcnt(4)
	v_fma_f64 v[10:11], v[91:92], v[109:110], v[10:11]
	ds_load_b128 v[103:106], v1 offset:464
	ds_load_b128 v[107:110], v1 offset:480
	s_waitcnt lgkmcnt(1)
	v_fma_f64 v[10:11], v[93:94], v[103:104], v[10:11]
	scratch_load_b128 v[91:94], off, off offset:232
	s_waitcnt vmcnt(4)
	v_fma_f64 v[10:11], v[95:96], v[105:106], v[10:11]
	s_waitcnt lgkmcnt(0)
	s_delay_alu instid0(VALU_DEP_1)
	v_fma_f64 v[10:11], v[97:98], v[107:108], v[10:11]
	scratch_load_b128 v[95:98], off, off offset:248
	s_waitcnt vmcnt(4)
	;; [unrolled: 13-line block ×3, first 2 shown]
	v_fma_f64 v[10:11], v[87:88], v[109:110], v[10:11]
	ds_load_b128 v[103:106], v1 offset:528
	ds_load_b128 v[107:110], v1 offset:544
	s_waitcnt lgkmcnt(1)
	v_fma_f64 v[10:11], v[89:90], v[103:104], v[10:11]
	s_waitcnt vmcnt(3)
	s_delay_alu instid0(VALU_DEP_1) | instskip(SKIP_1) | instid1(VALU_DEP_1)
	v_fma_f64 v[10:11], v[91:92], v[105:106], v[10:11]
	s_waitcnt lgkmcnt(0)
	v_fma_f64 v[10:11], v[93:94], v[107:108], v[10:11]
	ds_load_b128 v[87:90], v1 offset:560
	ds_load_b128 v[91:94], v1 offset:576
	s_waitcnt vmcnt(2)
	v_fma_f64 v[10:11], v[95:96], v[109:110], v[10:11]
	s_waitcnt lgkmcnt(1)
	s_delay_alu instid0(VALU_DEP_1) | instskip(SKIP_1) | instid1(VALU_DEP_1)
	v_fma_f64 v[10:11], v[97:98], v[87:88], v[10:11]
	s_waitcnt vmcnt(1)
	v_fma_f64 v[10:11], v[99:100], v[89:90], v[10:11]
	s_waitcnt lgkmcnt(0)
	s_delay_alu instid0(VALU_DEP_1) | instskip(SKIP_1) | instid1(VALU_DEP_1)
	v_fma_f64 v[10:11], v[101:102], v[91:92], v[10:11]
	s_waitcnt vmcnt(0)
	v_fma_f64 v[6:7], v[6:7], v[93:94], v[10:11]
	ds_load_b64 v[10:11], v1 offset:592
	s_waitcnt lgkmcnt(0)
	v_fma_f64 v[6:7], v[8:9], v[10:11], v[6:7]
	s_delay_alu instid0(VALU_DEP_1)
	v_add_f64 v[4:5], v[4:5], -v[6:7]
	scratch_store_b64 off, v[4:5], off offset:24
	v_cmpx_lt_u32_e32 2, v0
	s_cbranch_execz .LBB100_227
; %bb.226:
	scratch_load_b64 v[4:5], off, off offset:16
	v_mov_b32_e32 v2, v1
	scratch_store_b64 off, v[1:2], off offset:16
	s_waitcnt vmcnt(0)
	ds_store_b64 v3, v[4:5]
.LBB100_227:
	s_or_b32 exec_lo, exec_lo, s0
	s_waitcnt lgkmcnt(0)
	s_waitcnt_vscnt null, 0x0
	s_barrier
	buffer_gl0_inv
	s_clause 0x4
	scratch_load_b128 v[4:7], off, off offset:16
	scratch_load_b128 v[8:11], off, off offset:32
	;; [unrolled: 1-line block ×5, first 2 shown]
	ds_load_2addr_b64 v[99:102], v1 offset0:41 offset1:42
	ds_load_2addr_b64 v[103:106], v1 offset0:43 offset1:44
	scratch_load_b128 v[107:110], off, off offset:96
	s_mov_b32 s0, exec_lo
	s_waitcnt vmcnt(5) lgkmcnt(1)
	v_fma_f64 v[6:7], v[6:7], v[99:100], 0
	s_waitcnt vmcnt(4)
	s_delay_alu instid0(VALU_DEP_1) | instskip(SKIP_1) | instid1(VALU_DEP_1)
	v_fma_f64 v[6:7], v[8:9], v[101:102], v[6:7]
	s_waitcnt lgkmcnt(0)
	v_fma_f64 v[10:11], v[10:11], v[103:104], v[6:7]
	scratch_load_b128 v[6:9], off, off offset:112
	s_waitcnt vmcnt(4)
	v_fma_f64 v[10:11], v[87:88], v[105:106], v[10:11]
	ds_load_2addr_b64 v[99:102], v1 offset0:45 offset1:46
	ds_load_2addr_b64 v[103:106], v1 offset0:47 offset1:48
	s_waitcnt lgkmcnt(1)
	v_fma_f64 v[10:11], v[89:90], v[99:100], v[10:11]
	scratch_load_b128 v[87:90], off, off offset:128
	s_waitcnt vmcnt(4)
	v_fma_f64 v[10:11], v[91:92], v[101:102], v[10:11]
	s_waitcnt lgkmcnt(0)
	s_delay_alu instid0(VALU_DEP_1)
	v_fma_f64 v[10:11], v[93:94], v[103:104], v[10:11]
	scratch_load_b128 v[91:94], off, off offset:144
	s_waitcnt vmcnt(4)
	v_fma_f64 v[10:11], v[95:96], v[105:106], v[10:11]
	ds_load_2addr_b64 v[99:102], v1 offset0:49 offset1:50
	ds_load_2addr_b64 v[103:106], v1 offset0:51 offset1:52
	s_waitcnt lgkmcnt(1)
	v_fma_f64 v[10:11], v[97:98], v[99:100], v[10:11]
	scratch_load_b128 v[95:98], off, off offset:160
	s_waitcnt vmcnt(4)
	v_fma_f64 v[10:11], v[107:108], v[101:102], v[10:11]
	scratch_load_b128 v[99:102], off, off offset:176
	s_waitcnt lgkmcnt(0)
	v_fma_f64 v[10:11], v[109:110], v[103:104], v[10:11]
	s_waitcnt vmcnt(4)
	s_delay_alu instid0(VALU_DEP_1)
	v_fma_f64 v[6:7], v[6:7], v[105:106], v[10:11]
	ds_load_2addr_b64 v[103:106], v1 offset0:53 offset1:54
	ds_load_2addr_b64 v[107:110], v1 offset0:55 offset1:56
	s_waitcnt lgkmcnt(1)
	v_fma_f64 v[10:11], v[8:9], v[103:104], v[6:7]
	scratch_load_b128 v[6:9], off, off offset:192
	s_waitcnt vmcnt(4)
	v_fma_f64 v[10:11], v[87:88], v[105:106], v[10:11]
	s_waitcnt lgkmcnt(0)
	s_delay_alu instid0(VALU_DEP_1)
	v_fma_f64 v[10:11], v[89:90], v[107:108], v[10:11]
	scratch_load_b128 v[87:90], off, off offset:208
	s_waitcnt vmcnt(4)
	v_fma_f64 v[10:11], v[91:92], v[109:110], v[10:11]
	ds_load_2addr_b64 v[103:106], v1 offset0:57 offset1:58
	ds_load_2addr_b64 v[107:110], v1 offset0:59 offset1:60
	s_waitcnt lgkmcnt(1)
	v_fma_f64 v[10:11], v[93:94], v[103:104], v[10:11]
	scratch_load_b128 v[91:94], off, off offset:224
	s_waitcnt vmcnt(4)
	v_fma_f64 v[10:11], v[95:96], v[105:106], v[10:11]
	s_waitcnt lgkmcnt(0)
	s_delay_alu instid0(VALU_DEP_1)
	v_fma_f64 v[10:11], v[97:98], v[107:108], v[10:11]
	scratch_load_b128 v[95:98], off, off offset:240
	s_waitcnt vmcnt(4)
	;; [unrolled: 13-line block ×3, first 2 shown]
	v_fma_f64 v[10:11], v[87:88], v[109:110], v[10:11]
	ds_load_2addr_b64 v[103:106], v1 offset0:65 offset1:66
	ds_load_2addr_b64 v[107:110], v1 offset0:67 offset1:68
	s_waitcnt lgkmcnt(1)
	v_fma_f64 v[10:11], v[89:90], v[103:104], v[10:11]
	scratch_load_b64 v[103:104], off, off offset:288
	s_waitcnt vmcnt(4)
	v_fma_f64 v[10:11], v[91:92], v[105:106], v[10:11]
	s_waitcnt lgkmcnt(0)
	s_delay_alu instid0(VALU_DEP_1)
	v_fma_f64 v[10:11], v[93:94], v[107:108], v[10:11]
	ds_load_2addr_b64 v[87:90], v1 offset0:69 offset1:70
	ds_load_2addr_b64 v[91:94], v1 offset0:71 offset1:72
	s_waitcnt vmcnt(3)
	v_fma_f64 v[10:11], v[95:96], v[109:110], v[10:11]
	s_waitcnt lgkmcnt(1)
	s_delay_alu instid0(VALU_DEP_1) | instskip(SKIP_1) | instid1(VALU_DEP_1)
	v_fma_f64 v[10:11], v[97:98], v[87:88], v[10:11]
	s_waitcnt vmcnt(2)
	v_fma_f64 v[10:11], v[99:100], v[89:90], v[10:11]
	ds_load_2addr_b64 v[87:90], v1 offset0:73 offset1:74
	s_waitcnt lgkmcnt(1)
	v_fma_f64 v[10:11], v[101:102], v[91:92], v[10:11]
	s_waitcnt vmcnt(1)
	s_delay_alu instid0(VALU_DEP_1) | instskip(SKIP_1) | instid1(VALU_DEP_1)
	v_fma_f64 v[6:7], v[6:7], v[93:94], v[10:11]
	s_waitcnt lgkmcnt(0)
	v_fma_f64 v[1:2], v[8:9], v[87:88], v[6:7]
	s_waitcnt vmcnt(0)
	s_delay_alu instid0(VALU_DEP_1) | instskip(NEXT) | instid1(VALU_DEP_1)
	v_fma_f64 v[1:2], v[103:104], v[89:90], v[1:2]
	v_add_f64 v[1:2], v[4:5], -v[1:2]
	scratch_store_b64 off, v[1:2], off offset:16
	v_cmpx_lt_u32_e32 1, v0
	s_cbranch_execz .LBB100_229
; %bb.228:
	scratch_load_b64 v[1:2], off, off offset:8
	v_mov_b32_e32 v4, 0
	s_delay_alu instid0(VALU_DEP_1)
	v_mov_b32_e32 v5, v4
	scratch_store_b64 off, v[4:5], off offset:8
	s_waitcnt vmcnt(0)
	ds_store_b64 v3, v[1:2]
.LBB100_229:
	s_or_b32 exec_lo, exec_lo, s0
	s_waitcnt lgkmcnt(0)
	s_waitcnt_vscnt null, 0x0
	s_barrier
	buffer_gl0_inv
	s_clause 0x4
	scratch_load_b128 v[5:8], off, off offset:8
	scratch_load_b128 v[9:12], off, off offset:24
	;; [unrolled: 1-line block ×5, first 2 shown]
	v_mov_b32_e32 v4, 0
	ds_load_b128 v[99:102], v4 offset:320
	ds_load_b128 v[103:106], v4 offset:336
	scratch_load_b128 v[107:110], off, off offset:88
	s_mov_b32 s0, exec_lo
	s_waitcnt vmcnt(5) lgkmcnt(1)
	v_fma_f64 v[1:2], v[7:8], v[99:100], 0
	s_waitcnt vmcnt(4)
	s_delay_alu instid0(VALU_DEP_1) | instskip(SKIP_4) | instid1(VALU_DEP_1)
	v_fma_f64 v[1:2], v[9:10], v[101:102], v[1:2]
	scratch_load_b128 v[7:10], off, off offset:104
	s_waitcnt lgkmcnt(0)
	v_fma_f64 v[1:2], v[11:12], v[103:104], v[1:2]
	s_waitcnt vmcnt(4)
	v_fma_f64 v[1:2], v[87:88], v[105:106], v[1:2]
	ds_load_b128 v[99:102], v4 offset:352
	ds_load_b128 v[103:106], v4 offset:368
	s_waitcnt lgkmcnt(1)
	v_fma_f64 v[1:2], v[89:90], v[99:100], v[1:2]
	scratch_load_b128 v[87:90], off, off offset:120
	s_waitcnt vmcnt(4)
	v_fma_f64 v[1:2], v[91:92], v[101:102], v[1:2]
	s_waitcnt lgkmcnt(0)
	s_delay_alu instid0(VALU_DEP_1)
	v_fma_f64 v[1:2], v[93:94], v[103:104], v[1:2]
	scratch_load_b128 v[91:94], off, off offset:136
	s_waitcnt vmcnt(4)
	v_fma_f64 v[1:2], v[95:96], v[105:106], v[1:2]
	ds_load_b128 v[99:102], v4 offset:384
	ds_load_b128 v[103:106], v4 offset:400
	s_waitcnt lgkmcnt(1)
	v_fma_f64 v[1:2], v[97:98], v[99:100], v[1:2]
	scratch_load_b128 v[95:98], off, off offset:152
	s_waitcnt vmcnt(4)
	v_fma_f64 v[1:2], v[107:108], v[101:102], v[1:2]
	scratch_load_b128 v[99:102], off, off offset:168
	s_waitcnt lgkmcnt(0)
	v_fma_f64 v[1:2], v[109:110], v[103:104], v[1:2]
	s_waitcnt vmcnt(4)
	s_delay_alu instid0(VALU_DEP_1)
	v_fma_f64 v[1:2], v[7:8], v[105:106], v[1:2]
	ds_load_b128 v[103:106], v4 offset:416
	ds_load_b128 v[107:110], v4 offset:432
	s_waitcnt lgkmcnt(1)
	v_fma_f64 v[1:2], v[9:10], v[103:104], v[1:2]
	scratch_load_b128 v[7:10], off, off offset:184
	s_waitcnt vmcnt(4)
	v_fma_f64 v[1:2], v[87:88], v[105:106], v[1:2]
	s_waitcnt lgkmcnt(0)
	s_delay_alu instid0(VALU_DEP_1)
	v_fma_f64 v[1:2], v[89:90], v[107:108], v[1:2]
	scratch_load_b128 v[87:90], off, off offset:200
	s_waitcnt vmcnt(4)
	v_fma_f64 v[1:2], v[91:92], v[109:110], v[1:2]
	ds_load_b128 v[103:106], v4 offset:448
	ds_load_b128 v[107:110], v4 offset:464
	s_waitcnt lgkmcnt(1)
	v_fma_f64 v[1:2], v[93:94], v[103:104], v[1:2]
	scratch_load_b128 v[91:94], off, off offset:216
	s_waitcnt vmcnt(4)
	v_fma_f64 v[1:2], v[95:96], v[105:106], v[1:2]
	s_waitcnt lgkmcnt(0)
	s_delay_alu instid0(VALU_DEP_1)
	v_fma_f64 v[1:2], v[97:98], v[107:108], v[1:2]
	scratch_load_b128 v[95:98], off, off offset:232
	s_waitcnt vmcnt(4)
	;; [unrolled: 13-line block ×3, first 2 shown]
	v_fma_f64 v[1:2], v[87:88], v[109:110], v[1:2]
	ds_load_b128 v[103:106], v4 offset:512
	ds_load_b128 v[107:110], v4 offset:528
	s_waitcnt lgkmcnt(1)
	v_fma_f64 v[1:2], v[89:90], v[103:104], v[1:2]
	scratch_load_b128 v[87:90], off, off offset:280
	s_waitcnt vmcnt(4)
	v_fma_f64 v[1:2], v[91:92], v[105:106], v[1:2]
	s_waitcnt lgkmcnt(0)
	s_delay_alu instid0(VALU_DEP_1)
	v_fma_f64 v[1:2], v[93:94], v[107:108], v[1:2]
	ds_load_b128 v[91:94], v4 offset:544
	ds_load_b128 v[103:106], v4 offset:560
	s_waitcnt vmcnt(3)
	v_fma_f64 v[1:2], v[95:96], v[109:110], v[1:2]
	s_waitcnt lgkmcnt(1)
	s_delay_alu instid0(VALU_DEP_1) | instskip(SKIP_1) | instid1(VALU_DEP_1)
	v_fma_f64 v[1:2], v[97:98], v[91:92], v[1:2]
	s_waitcnt vmcnt(2)
	v_fma_f64 v[1:2], v[99:100], v[93:94], v[1:2]
	s_waitcnt lgkmcnt(0)
	s_delay_alu instid0(VALU_DEP_1) | instskip(SKIP_1) | instid1(VALU_DEP_1)
	v_fma_f64 v[1:2], v[101:102], v[103:104], v[1:2]
	s_waitcnt vmcnt(1)
	v_fma_f64 v[1:2], v[7:8], v[105:106], v[1:2]
	ds_load_b128 v[91:94], v4 offset:576
	ds_load_b64 v[7:8], v4 offset:592
	s_waitcnt lgkmcnt(1)
	v_fma_f64 v[1:2], v[9:10], v[91:92], v[1:2]
	s_waitcnt vmcnt(0)
	s_delay_alu instid0(VALU_DEP_1) | instskip(SKIP_1) | instid1(VALU_DEP_1)
	v_fma_f64 v[1:2], v[87:88], v[93:94], v[1:2]
	s_waitcnt lgkmcnt(0)
	v_fma_f64 v[1:2], v[89:90], v[7:8], v[1:2]
	s_delay_alu instid0(VALU_DEP_1)
	v_add_f64 v[1:2], v[5:6], -v[1:2]
	scratch_store_b64 off, v[1:2], off offset:8
	v_cmpx_ne_u32_e32 0, v0
	s_cbranch_execz .LBB100_231
; %bb.230:
	scratch_load_b64 v[0:1], off, off
	v_mov_b32_e32 v5, v4
	scratch_store_b64 off, v[4:5], off
	s_waitcnt vmcnt(0)
	ds_store_b64 v3, v[0:1]
.LBB100_231:
	s_or_b32 exec_lo, exec_lo, s0
	s_waitcnt lgkmcnt(0)
	s_waitcnt_vscnt null, 0x0
	s_barrier
	buffer_gl0_inv
	s_clause 0x4
	scratch_load_b128 v[5:8], off, off
	scratch_load_b128 v[0:3], off, off offset:16
	scratch_load_b128 v[9:12], off, off offset:32
	scratch_load_b128 v[87:90], off, off offset:48
	scratch_load_b128 v[91:94], off, off offset:64
	ds_load_2addr_b64 v[95:98], v4 offset0:39 offset1:40
	ds_load_2addr_b64 v[99:102], v4 offset0:41 offset1:42
	scratch_load_b128 v[103:106], off, off offset:80
	s_and_b32 vcc_lo, exec_lo, s12
	s_waitcnt vmcnt(5) lgkmcnt(1)
	v_fma_f64 v[7:8], v[7:8], v[95:96], 0
	s_waitcnt vmcnt(4)
	s_delay_alu instid0(VALU_DEP_1) | instskip(SKIP_1) | instid1(VALU_DEP_1)
	v_fma_f64 v[0:1], v[0:1], v[97:98], v[7:8]
	s_waitcnt lgkmcnt(0)
	v_fma_f64 v[7:8], v[2:3], v[99:100], v[0:1]
	scratch_load_b128 v[0:3], off, off offset:96
	s_waitcnt vmcnt(4)
	v_fma_f64 v[99:100], v[9:10], v[101:102], v[7:8]
	ds_load_2addr_b64 v[7:10], v4 offset0:43 offset1:44
	ds_load_2addr_b64 v[95:98], v4 offset0:45 offset1:46
	s_waitcnt lgkmcnt(1)
	v_fma_f64 v[7:8], v[11:12], v[7:8], v[99:100]
	scratch_load_b128 v[99:102], off, off offset:112
	s_waitcnt vmcnt(4)
	v_fma_f64 v[7:8], v[87:88], v[9:10], v[7:8]
	s_waitcnt lgkmcnt(0)
	s_delay_alu instid0(VALU_DEP_1)
	v_fma_f64 v[11:12], v[89:90], v[95:96], v[7:8]
	scratch_load_b128 v[7:10], off, off offset:128
	s_waitcnt vmcnt(4)
	v_fma_f64 v[11:12], v[91:92], v[97:98], v[11:12]
	ds_load_2addr_b64 v[87:90], v4 offset0:47 offset1:48
	ds_load_2addr_b64 v[95:98], v4 offset0:49 offset1:50
	s_waitcnt lgkmcnt(1)
	v_fma_f64 v[11:12], v[93:94], v[87:88], v[11:12]
	scratch_load_b128 v[91:94], off, off offset:144
	s_waitcnt vmcnt(4)
	v_fma_f64 v[11:12], v[103:104], v[89:90], v[11:12]
	scratch_load_b128 v[87:90], off, off offset:160
	s_waitcnt lgkmcnt(0)
	v_fma_f64 v[11:12], v[105:106], v[95:96], v[11:12]
	s_waitcnt vmcnt(4)
	s_delay_alu instid0(VALU_DEP_1)
	v_fma_f64 v[0:1], v[0:1], v[97:98], v[11:12]
	ds_load_2addr_b64 v[95:98], v4 offset0:51 offset1:52
	ds_load_2addr_b64 v[103:106], v4 offset0:53 offset1:54
	s_waitcnt lgkmcnt(1)
	v_fma_f64 v[11:12], v[2:3], v[95:96], v[0:1]
	scratch_load_b128 v[0:3], off, off offset:176
	s_waitcnt vmcnt(4)
	v_fma_f64 v[11:12], v[99:100], v[97:98], v[11:12]
	scratch_load_b128 v[95:98], off, off offset:192
	s_waitcnt lgkmcnt(0)
	v_fma_f64 v[11:12], v[101:102], v[103:104], v[11:12]
	s_waitcnt vmcnt(4)
	s_delay_alu instid0(VALU_DEP_1)
	v_fma_f64 v[7:8], v[7:8], v[105:106], v[11:12]
	ds_load_2addr_b64 v[99:102], v4 offset0:55 offset1:56
	ds_load_2addr_b64 v[103:106], v4 offset0:57 offset1:58
	s_waitcnt lgkmcnt(1)
	v_fma_f64 v[11:12], v[9:10], v[99:100], v[7:8]
	scratch_load_b128 v[7:10], off, off offset:208
	s_waitcnt vmcnt(4)
	v_fma_f64 v[11:12], v[91:92], v[101:102], v[11:12]
	s_waitcnt lgkmcnt(0)
	s_delay_alu instid0(VALU_DEP_1)
	v_fma_f64 v[11:12], v[93:94], v[103:104], v[11:12]
	scratch_load_b128 v[91:94], off, off offset:224
	s_waitcnt vmcnt(4)
	v_fma_f64 v[11:12], v[87:88], v[105:106], v[11:12]
	ds_load_2addr_b64 v[99:102], v4 offset0:59 offset1:60
	ds_load_2addr_b64 v[103:106], v4 offset0:61 offset1:62
	s_waitcnt lgkmcnt(1)
	v_fma_f64 v[11:12], v[89:90], v[99:100], v[11:12]
	scratch_load_b128 v[87:90], off, off offset:240
	s_waitcnt vmcnt(4)
	v_fma_f64 v[0:1], v[0:1], v[101:102], v[11:12]
	scratch_load_b128 v[99:102], off, off offset:256
	s_waitcnt lgkmcnt(0)
	v_fma_f64 v[0:1], v[2:3], v[103:104], v[0:1]
	s_waitcnt vmcnt(4)
	s_delay_alu instid0(VALU_DEP_1)
	v_fma_f64 v[0:1], v[95:96], v[105:106], v[0:1]
	ds_load_2addr_b64 v[103:106], v4 offset0:63 offset1:64
	ds_load_2addr_b64 v[107:110], v4 offset0:65 offset1:66
	s_waitcnt lgkmcnt(1)
	v_fma_f64 v[11:12], v[97:98], v[103:104], v[0:1]
	scratch_load_b128 v[0:3], off, off offset:272
	s_waitcnt vmcnt(4)
	v_fma_f64 v[7:8], v[7:8], v[105:106], v[11:12]
	scratch_load_b64 v[11:12], off, off offset:288
	s_waitcnt lgkmcnt(0)
	v_fma_f64 v[7:8], v[9:10], v[107:108], v[7:8]
	s_waitcnt vmcnt(4)
	s_delay_alu instid0(VALU_DEP_1)
	v_fma_f64 v[91:92], v[91:92], v[109:110], v[7:8]
	ds_load_2addr_b64 v[7:10], v4 offset0:67 offset1:68
	ds_load_2addr_b64 v[95:98], v4 offset0:69 offset1:70
	s_waitcnt lgkmcnt(1)
	v_fma_f64 v[7:8], v[93:94], v[7:8], v[91:92]
	s_waitcnt vmcnt(3)
	s_delay_alu instid0(VALU_DEP_1) | instskip(SKIP_1) | instid1(VALU_DEP_1)
	v_fma_f64 v[7:8], v[87:88], v[9:10], v[7:8]
	s_waitcnt lgkmcnt(0)
	v_fma_f64 v[7:8], v[89:90], v[95:96], v[7:8]
	s_waitcnt vmcnt(2)
	s_delay_alu instid0(VALU_DEP_1)
	v_fma_f64 v[91:92], v[99:100], v[97:98], v[7:8]
	ds_load_2addr_b64 v[7:10], v4 offset0:71 offset1:72
	ds_load_2addr_b64 v[87:90], v4 offset0:73 offset1:74
	s_waitcnt lgkmcnt(1)
	v_fma_f64 v[7:8], v[101:102], v[7:8], v[91:92]
	s_waitcnt vmcnt(1)
	s_delay_alu instid0(VALU_DEP_1) | instskip(SKIP_1) | instid1(VALU_DEP_1)
	v_fma_f64 v[0:1], v[0:1], v[9:10], v[7:8]
	s_waitcnt lgkmcnt(0)
	v_fma_f64 v[0:1], v[2:3], v[87:88], v[0:1]
	s_waitcnt vmcnt(0)
	s_delay_alu instid0(VALU_DEP_1) | instskip(NEXT) | instid1(VALU_DEP_1)
	v_fma_f64 v[0:1], v[11:12], v[89:90], v[0:1]
	v_add_f64 v[0:1], v[5:6], -v[0:1]
	scratch_store_b64 off, v[0:1], off
	s_cbranch_vccz .LBB100_305
; %bb.232:
	v_dual_mov_b32 v0, s2 :: v_dual_mov_b32 v1, s3
	s_mov_b32 s0, exec_lo
	flat_load_b32 v0, v[0:1] offset:140
	s_waitcnt vmcnt(0) lgkmcnt(0)
	v_cmpx_ne_u32_e32 36, v0
	s_cbranch_execz .LBB100_234
; %bb.233:
	v_lshl_add_u32 v4, v0, 3, 0
	scratch_load_b64 v[0:1], v4, off offset:-8
	s_waitcnt vmcnt(0)
	scratch_store_b64 off, v[0:1], off offset:280
	scratch_store_b64 v4, v[2:3], off offset:-8
.LBB100_234:
	s_or_b32 exec_lo, exec_lo, s0
	v_dual_mov_b32 v0, s2 :: v_dual_mov_b32 v1, s3
	s_mov_b32 s0, exec_lo
	flat_load_b32 v0, v[0:1] offset:136
	s_waitcnt vmcnt(0) lgkmcnt(0)
	v_cmpx_ne_u32_e32 35, v0
	s_cbranch_execz .LBB100_236
; %bb.235:
	v_lshl_add_u32 v4, v0, 3, 0
	scratch_load_b64 v[0:1], v4, off offset:-8
	scratch_load_b64 v[2:3], off, off offset:272
	s_waitcnt vmcnt(1)
	scratch_store_b64 off, v[0:1], off offset:272
	s_waitcnt vmcnt(0)
	scratch_store_b64 v4, v[2:3], off offset:-8
.LBB100_236:
	s_or_b32 exec_lo, exec_lo, s0
	v_dual_mov_b32 v0, s2 :: v_dual_mov_b32 v1, s3
	s_mov_b32 s0, exec_lo
	flat_load_b32 v0, v[0:1] offset:132
	s_waitcnt vmcnt(0) lgkmcnt(0)
	v_cmpx_ne_u32_e32 34, v0
	s_cbranch_execz .LBB100_238
; %bb.237:
	v_lshl_add_u32 v4, v0, 3, 0
	scratch_load_b64 v[0:1], v4, off offset:-8
	scratch_load_b64 v[2:3], off, off offset:264
	s_waitcnt vmcnt(1)
	scratch_store_b64 off, v[0:1], off offset:264
	s_waitcnt vmcnt(0)
	scratch_store_b64 v4, v[2:3], off offset:-8
.LBB100_238:
	;; [unrolled: 16-line block ×34, first 2 shown]
	s_or_b32 exec_lo, exec_lo, s0
	v_dual_mov_b32 v0, s2 :: v_dual_mov_b32 v1, s3
	s_mov_b32 s0, exec_lo
	flat_load_b32 v2, v[0:1]
	scratch_load_b64 v[0:1], off, off
	s_waitcnt vmcnt(1) lgkmcnt(0)
	v_cmpx_ne_u32_e32 1, v2
	s_cbranch_execz .LBB100_304
; %bb.303:
	v_lshl_add_u32 v4, v2, 3, 0
	scratch_load_b64 v[2:3], v4, off offset:-8
	s_waitcnt vmcnt(0)
	scratch_store_b64 off, v[2:3], off
	scratch_store_b64 v4, v[0:1], off offset:-8
	scratch_load_b64 v[0:1], off, off
.LBB100_304:
	s_or_b32 exec_lo, exec_lo, s0
.LBB100_305:
	s_clause 0x8
	scratch_load_b128 v[2:5], off, off offset:8
	scratch_load_b128 v[6:9], off, off offset:24
	;; [unrolled: 1-line block ×9, first 2 shown]
	s_waitcnt vmcnt(9)
	global_store_b64 v[13:14], v[0:1], off
	s_clause 0x1
	scratch_load_b128 v[10:13], off, off offset:152
	scratch_load_b128 v[115:118], off, off offset:232
	s_waitcnt vmcnt(10)
	global_store_b64 v[15:16], v[2:3], off
	scratch_load_b128 v[0:3], off, off offset:168
	global_store_b64 v[17:18], v[4:5], off
	scratch_load_b128 v[14:17], off, off offset:184
	s_waitcnt vmcnt(11)
	global_store_b64 v[19:20], v[6:7], off
	scratch_load_b128 v[4:7], off, off offset:200
	global_store_b64 v[21:22], v[8:9], off
	scratch_load_b128 v[18:21], off, off offset:216
	s_waitcnt vmcnt(12)
	s_clause 0x1
	global_store_b64 v[23:24], v[87:88], off
	global_store_b64 v[25:26], v[89:90], off
	s_clause 0x1
	scratch_load_b128 v[22:25], off, off offset:248
	scratch_load_b128 v[87:90], off, off offset:264
	s_waitcnt vmcnt(13)
	s_clause 0x1
	global_store_b64 v[27:28], v[91:92], off
	global_store_b64 v[29:30], v[93:94], off
	scratch_load_b128 v[26:29], off, off offset:280
	s_waitcnt vmcnt(13)
	s_clause 0x1
	global_store_b64 v[31:32], v[95:96], off
	global_store_b64 v[33:34], v[97:98], off
	s_waitcnt vmcnt(12)
	s_clause 0x1
	global_store_b64 v[35:36], v[99:100], off
	global_store_b64 v[37:38], v[101:102], off
	;; [unrolled: 4-line block ×10, first 2 shown]
	global_store_b64 v[71:72], v[115:116], off
	global_store_b64 v[73:74], v[117:118], off
	s_waitcnt vmcnt(2)
	s_clause 0x1
	global_store_b64 v[75:76], v[22:23], off
	global_store_b64 v[77:78], v[24:25], off
	s_waitcnt vmcnt(1)
	s_clause 0x1
	;; [unrolled: 4-line block ×3, first 2 shown]
	global_store_b64 v[79:80], v[26:27], off
	global_store_b64 v[81:82], v[28:29], off
	s_endpgm
	.section	.rodata,"a",@progbits
	.p2align	6, 0x0
	.amdhsa_kernel _ZN9rocsolver6v33100L18getri_kernel_smallILi37EdPKPdEEvT1_iilPiilS6_bb
		.amdhsa_group_segment_fixed_size 600
		.amdhsa_private_segment_fixed_size 304
		.amdhsa_kernarg_size 60
		.amdhsa_user_sgpr_count 15
		.amdhsa_user_sgpr_dispatch_ptr 0
		.amdhsa_user_sgpr_queue_ptr 0
		.amdhsa_user_sgpr_kernarg_segment_ptr 1
		.amdhsa_user_sgpr_dispatch_id 0
		.amdhsa_user_sgpr_private_segment_size 0
		.amdhsa_wavefront_size32 1
		.amdhsa_uses_dynamic_stack 0
		.amdhsa_enable_private_segment 1
		.amdhsa_system_sgpr_workgroup_id_x 1
		.amdhsa_system_sgpr_workgroup_id_y 0
		.amdhsa_system_sgpr_workgroup_id_z 0
		.amdhsa_system_sgpr_workgroup_info 0
		.amdhsa_system_vgpr_workitem_id 0
		.amdhsa_next_free_vgpr 119
		.amdhsa_next_free_sgpr 17
		.amdhsa_reserve_vcc 1
		.amdhsa_float_round_mode_32 0
		.amdhsa_float_round_mode_16_64 0
		.amdhsa_float_denorm_mode_32 3
		.amdhsa_float_denorm_mode_16_64 3
		.amdhsa_dx10_clamp 1
		.amdhsa_ieee_mode 1
		.amdhsa_fp16_overflow 0
		.amdhsa_workgroup_processor_mode 1
		.amdhsa_memory_ordered 1
		.amdhsa_forward_progress 0
		.amdhsa_shared_vgpr_count 0
		.amdhsa_exception_fp_ieee_invalid_op 0
		.amdhsa_exception_fp_denorm_src 0
		.amdhsa_exception_fp_ieee_div_zero 0
		.amdhsa_exception_fp_ieee_overflow 0
		.amdhsa_exception_fp_ieee_underflow 0
		.amdhsa_exception_fp_ieee_inexact 0
		.amdhsa_exception_int_div_zero 0
	.end_amdhsa_kernel
	.section	.text._ZN9rocsolver6v33100L18getri_kernel_smallILi37EdPKPdEEvT1_iilPiilS6_bb,"axG",@progbits,_ZN9rocsolver6v33100L18getri_kernel_smallILi37EdPKPdEEvT1_iilPiilS6_bb,comdat
.Lfunc_end100:
	.size	_ZN9rocsolver6v33100L18getri_kernel_smallILi37EdPKPdEEvT1_iilPiilS6_bb, .Lfunc_end100-_ZN9rocsolver6v33100L18getri_kernel_smallILi37EdPKPdEEvT1_iilPiilS6_bb
                                        ; -- End function
	.section	.AMDGPU.csdata,"",@progbits
; Kernel info:
; codeLenInByte = 30704
; NumSgprs: 19
; NumVgprs: 119
; ScratchSize: 304
; MemoryBound: 0
; FloatMode: 240
; IeeeMode: 1
; LDSByteSize: 600 bytes/workgroup (compile time only)
; SGPRBlocks: 2
; VGPRBlocks: 14
; NumSGPRsForWavesPerEU: 19
; NumVGPRsForWavesPerEU: 119
; Occupancy: 12
; WaveLimiterHint : 1
; COMPUTE_PGM_RSRC2:SCRATCH_EN: 1
; COMPUTE_PGM_RSRC2:USER_SGPR: 15
; COMPUTE_PGM_RSRC2:TRAP_HANDLER: 0
; COMPUTE_PGM_RSRC2:TGID_X_EN: 1
; COMPUTE_PGM_RSRC2:TGID_Y_EN: 0
; COMPUTE_PGM_RSRC2:TGID_Z_EN: 0
; COMPUTE_PGM_RSRC2:TIDIG_COMP_CNT: 0
	.section	.text._ZN9rocsolver6v33100L18getri_kernel_smallILi38EdPKPdEEvT1_iilPiilS6_bb,"axG",@progbits,_ZN9rocsolver6v33100L18getri_kernel_smallILi38EdPKPdEEvT1_iilPiilS6_bb,comdat
	.globl	_ZN9rocsolver6v33100L18getri_kernel_smallILi38EdPKPdEEvT1_iilPiilS6_bb ; -- Begin function _ZN9rocsolver6v33100L18getri_kernel_smallILi38EdPKPdEEvT1_iilPiilS6_bb
	.p2align	8
	.type	_ZN9rocsolver6v33100L18getri_kernel_smallILi38EdPKPdEEvT1_iilPiilS6_bb,@function
_ZN9rocsolver6v33100L18getri_kernel_smallILi38EdPKPdEEvT1_iilPiilS6_bb: ; @_ZN9rocsolver6v33100L18getri_kernel_smallILi38EdPKPdEEvT1_iilPiilS6_bb
; %bb.0:
	s_mov_b32 s2, exec_lo
	v_cmpx_gt_u32_e32 38, v0
	s_cbranch_execz .LBB101_162
; %bb.1:
	s_clause 0x1
	s_load_b32 s13, s[0:1], 0x38
	s_load_b64 s[2:3], s[0:1], 0x0
	s_mov_b32 s8, s15
	s_load_b128 s[4:7], s[0:1], 0x28
	s_waitcnt lgkmcnt(0)
	s_bitcmp1_b32 s13, 8
	s_cselect_b32 s12, -1, 0
	s_ashr_i32 s9, s15, 31
	s_delay_alu instid0(SALU_CYCLE_1) | instskip(NEXT) | instid1(SALU_CYCLE_1)
	s_lshl_b64 s[10:11], s[8:9], 3
	s_add_u32 s2, s2, s10
	s_addc_u32 s3, s3, s11
	s_load_b64 s[10:11], s[2:3], 0x0
	s_bfe_u32 s2, s13, 0x10008
	s_delay_alu instid0(SALU_CYCLE_1)
	s_cmp_eq_u32 s2, 0
                                        ; implicit-def: $sgpr2_sgpr3
	s_cbranch_scc1 .LBB101_3
; %bb.2:
	s_clause 0x1
	s_load_b32 s2, s[0:1], 0x20
	s_load_b64 s[14:15], s[0:1], 0x18
	s_mul_i32 s3, s8, s5
	s_mul_hi_u32 s5, s8, s4
	s_mul_i32 s16, s9, s4
	s_add_i32 s3, s5, s3
	s_mul_i32 s4, s8, s4
	s_add_i32 s5, s3, s16
	s_delay_alu instid0(SALU_CYCLE_1)
	s_lshl_b64 s[4:5], s[4:5], 2
	s_waitcnt lgkmcnt(0)
	s_ashr_i32 s3, s2, 31
	s_add_u32 s4, s14, s4
	s_addc_u32 s5, s15, s5
	s_lshl_b64 s[2:3], s[2:3], 2
	s_delay_alu instid0(SALU_CYCLE_1)
	s_add_u32 s2, s4, s2
	s_addc_u32 s3, s5, s3
.LBB101_3:
	s_load_b64 s[4:5], s[0:1], 0x8
	v_lshlrev_b32_e32 v81, 3, v0
	s_waitcnt lgkmcnt(0)
	s_ashr_i32 s1, s4, 31
	s_mov_b32 s0, s4
	v_add3_u32 v5, s5, s5, v0
	s_lshl_b64 s[0:1], s[0:1], 3
	s_mov_b32 s14, s5
	s_add_u32 s0, s10, s0
	s_addc_u32 s1, s11, s1
	v_add_co_u32 v11, s4, s0, v81
	s_ashr_i32 s15, s5, 31
	v_add_co_ci_u32_e64 v12, null, s1, 0, s4
	s_lshl_b64 s[10:11], s[14:15], 3
	v_add_nc_u32_e32 v17, s5, v5
	v_add_co_u32 v9, vcc_lo, v11, s10
	v_ashrrev_i32_e32 v6, 31, v5
	v_add_co_ci_u32_e32 v10, vcc_lo, s11, v12, vcc_lo
	s_delay_alu instid0(VALU_DEP_4)
	v_ashrrev_i32_e32 v18, 31, v17
	s_clause 0x1
	global_load_b64 v[1:2], v81, s[0:1]
	global_load_b64 v[3:4], v[9:10], off
	v_lshlrev_b64 v[5:6], 3, v[5:6]
	s_bitcmp0_b32 s13, 0
	v_lshlrev_b64 v[7:8], 3, v[17:18]
	v_add_nc_u32_e32 v17, s5, v17
	s_delay_alu instid0(VALU_DEP_3) | instskip(NEXT) | instid1(VALU_DEP_4)
	v_add_co_u32 v13, vcc_lo, s0, v5
	v_add_co_ci_u32_e32 v14, vcc_lo, s1, v6, vcc_lo
	s_delay_alu instid0(VALU_DEP_4)
	v_add_co_u32 v15, vcc_lo, s0, v7
	v_add_co_ci_u32_e32 v16, vcc_lo, s1, v8, vcc_lo
	s_clause 0x1
	global_load_b64 v[5:6], v[13:14], off
	global_load_b64 v[7:8], v[15:16], off
	v_add_nc_u32_e32 v19, s5, v17
	v_ashrrev_i32_e32 v18, 31, v17
	s_delay_alu instid0(VALU_DEP_2) | instskip(SKIP_1) | instid1(VALU_DEP_3)
	v_add_nc_u32_e32 v21, s5, v19
	v_ashrrev_i32_e32 v20, 31, v19
	v_lshlrev_b64 v[17:18], 3, v[17:18]
	s_delay_alu instid0(VALU_DEP_3) | instskip(NEXT) | instid1(VALU_DEP_3)
	v_add_nc_u32_e32 v25, s5, v21
	v_lshlrev_b64 v[19:20], 3, v[19:20]
	v_ashrrev_i32_e32 v22, 31, v21
	s_delay_alu instid0(VALU_DEP_4) | instskip(NEXT) | instid1(VALU_DEP_4)
	v_add_co_u32 v31, vcc_lo, s0, v17
	v_add_nc_u32_e32 v27, s5, v25
	v_ashrrev_i32_e32 v26, 31, v25
	v_add_co_ci_u32_e32 v32, vcc_lo, s1, v18, vcc_lo
	v_lshlrev_b64 v[17:18], 3, v[21:22]
	s_delay_alu instid0(VALU_DEP_4) | instskip(SKIP_2) | instid1(VALU_DEP_3)
	v_add_nc_u32_e32 v33, s5, v27
	v_add_co_u32 v23, vcc_lo, s0, v19
	v_add_co_ci_u32_e32 v24, vcc_lo, s1, v20, vcc_lo
	v_add_nc_u32_e32 v35, s5, v33
	v_lshlrev_b64 v[19:20], 3, v[25:26]
	v_ashrrev_i32_e32 v28, 31, v27
	v_add_co_u32 v29, vcc_lo, s0, v17
	s_delay_alu instid0(VALU_DEP_4) | instskip(SKIP_3) | instid1(VALU_DEP_4)
	v_add_nc_u32_e32 v37, s5, v35
	v_ashrrev_i32_e32 v34, 31, v33
	v_add_co_ci_u32_e32 v30, vcc_lo, s1, v18, vcc_lo
	v_lshlrev_b64 v[17:18], 3, v[27:28]
	v_add_nc_u32_e32 v39, s5, v37
	v_add_co_u32 v25, vcc_lo, s0, v19
	v_add_co_ci_u32_e32 v26, vcc_lo, s1, v20, vcc_lo
	s_delay_alu instid0(VALU_DEP_3)
	v_add_nc_u32_e32 v41, s5, v39
	v_lshlrev_b64 v[19:20], 3, v[33:34]
	s_clause 0x1
	global_load_b64 v[51:52], v[31:32], off
	global_load_b64 v[53:54], v[23:24], off
	v_ashrrev_i32_e32 v36, 31, v35
	v_add_nc_u32_e32 v43, s5, v41
	v_add_co_u32 v21, vcc_lo, s0, v17
	v_ashrrev_i32_e32 v38, 31, v37
	v_add_co_ci_u32_e32 v22, vcc_lo, s1, v18, vcc_lo
	s_delay_alu instid0(VALU_DEP_4) | instskip(SKIP_3) | instid1(VALU_DEP_4)
	v_add_nc_u32_e32 v45, s5, v43
	v_lshlrev_b64 v[27:28], 3, v[35:36]
	v_add_co_u32 v17, vcc_lo, s0, v19
	v_ashrrev_i32_e32 v40, 31, v39
	v_add_nc_u32_e32 v47, s5, v45
	v_add_co_ci_u32_e32 v18, vcc_lo, s1, v20, vcc_lo
	v_lshlrev_b64 v[33:34], 3, v[37:38]
	v_ashrrev_i32_e32 v42, 31, v41
	s_delay_alu instid0(VALU_DEP_4)
	v_add_nc_u32_e32 v49, s5, v47
	s_clause 0x2
	global_load_b64 v[57:58], v[29:30], off
	global_load_b64 v[59:60], v[25:26], off
	global_load_b64 v[61:62], v[21:22], off
	v_add_co_u32 v19, vcc_lo, s0, v27
	v_lshlrev_b64 v[35:36], 3, v[39:40]
	v_add_nc_u32_e32 v55, s5, v49
	global_load_b64 v[63:64], v[17:18], off
	v_add_co_ci_u32_e32 v20, vcc_lo, s1, v28, vcc_lo
	v_add_co_u32 v27, vcc_lo, s0, v33
	v_add_nc_u32_e32 v82, s5, v55
	v_lshlrev_b64 v[37:38], 3, v[41:42]
	v_ashrrev_i32_e32 v44, 31, v43
	v_add_co_ci_u32_e32 v28, vcc_lo, s1, v34, vcc_lo
	s_delay_alu instid0(VALU_DEP_4) | instskip(SKIP_3) | instid1(VALU_DEP_4)
	v_add_nc_u32_e32 v90, s5, v82
	v_add_co_u32 v33, vcc_lo, s0, v35
	v_ashrrev_i32_e32 v46, 31, v45
	v_add_co_ci_u32_e32 v34, vcc_lo, s1, v36, vcc_lo
	v_add_nc_u32_e32 v92, s5, v90
	v_lshlrev_b64 v[39:40], 3, v[43:44]
	v_add_co_u32 v35, vcc_lo, s0, v37
	v_add_co_ci_u32_e32 v36, vcc_lo, s1, v38, vcc_lo
	s_delay_alu instid0(VALU_DEP_4) | instskip(SKIP_3) | instid1(VALU_DEP_4)
	v_add_nc_u32_e32 v94, s5, v92
	v_lshlrev_b64 v[37:38], 3, v[45:46]
	v_ashrrev_i32_e32 v48, 31, v47
	v_add_co_u32 v39, vcc_lo, s0, v39
	v_add_nc_u32_e32 v96, s5, v94
	s_clause 0x2
	global_load_b64 v[65:66], v[19:20], off
	global_load_b64 v[67:68], v[27:28], off
	;; [unrolled: 1-line block ×3, first 2 shown]
	v_add_co_ci_u32_e32 v40, vcc_lo, s1, v40, vcc_lo
	v_lshlrev_b64 v[45:46], 3, v[47:48]
	v_add_nc_u32_e32 v98, s5, v96
	global_load_b64 v[71:72], v[35:36], off
	v_ashrrev_i32_e32 v50, 31, v49
	v_add_co_u32 v41, vcc_lo, s0, v37
	v_add_nc_u32_e32 v100, s5, v98
	v_add_co_ci_u32_e32 v42, vcc_lo, s1, v38, vcc_lo
	s_delay_alu instid0(VALU_DEP_4) | instskip(SKIP_1) | instid1(VALU_DEP_4)
	v_lshlrev_b64 v[47:48], 3, v[49:50]
	v_ashrrev_i32_e32 v56, 31, v55
	v_add_nc_u32_e32 v102, s5, v100
	v_ashrrev_i32_e32 v83, 31, v82
	v_ashrrev_i32_e32 v91, 31, v90
	;; [unrolled: 1-line block ×4, first 2 shown]
	v_add_nc_u32_e32 v104, s5, v102
	v_ashrrev_i32_e32 v97, 31, v96
	v_ashrrev_i32_e32 v99, 31, v98
	;; [unrolled: 1-line block ×4, first 2 shown]
	v_add_nc_u32_e32 v106, s5, v104
	v_ashrrev_i32_e32 v105, 31, v104
	s_delay_alu instid0(VALU_DEP_2) | instskip(SKIP_1) | instid1(VALU_DEP_2)
	v_add_nc_u32_e32 v108, s5, v106
	v_ashrrev_i32_e32 v107, 31, v106
	v_add_nc_u32_e32 v110, s5, v108
	v_ashrrev_i32_e32 v109, 31, v108
	s_delay_alu instid0(VALU_DEP_2) | instskip(SKIP_1) | instid1(VALU_DEP_2)
	v_add_nc_u32_e32 v112, s5, v110
	v_ashrrev_i32_e32 v111, 31, v110
	;; [unrolled: 5-line block ×5, first 2 shown]
	v_ashrrev_i32_e32 v44, 31, v43
	s_delay_alu instid0(VALU_DEP_1) | instskip(SKIP_2) | instid1(VALU_DEP_3)
	v_lshlrev_b64 v[37:38], 3, v[43:44]
	v_add_co_u32 v43, vcc_lo, s0, v45
	v_add_co_ci_u32_e32 v44, vcc_lo, s1, v46, vcc_lo
	v_add_co_u32 v37, vcc_lo, s0, v37
	s_delay_alu instid0(VALU_DEP_4)
	v_add_co_ci_u32_e32 v38, vcc_lo, s1, v38, vcc_lo
	v_add_co_u32 v45, vcc_lo, s0, v47
	v_add_co_ci_u32_e32 v46, vcc_lo, s1, v48, vcc_lo
	global_load_b64 v[84:85], v[37:38], off
	s_waitcnt vmcnt(13)
	scratch_store_b128 off, v[1:4], off
	v_lshlrev_b64 v[1:2], 3, v[55:56]
	s_clause 0x3
	global_load_b64 v[73:74], v[39:40], off
	global_load_b64 v[75:76], v[41:42], off
	;; [unrolled: 1-line block ×4, first 2 shown]
	v_lshlrev_b64 v[3:4], 3, v[82:83]
	v_lshlrev_b64 v[55:56], 3, v[94:95]
	v_lshlrev_b64 v[82:83], 3, v[102:103]
	v_add_co_u32 v47, vcc_lo, s0, v1
	v_add_co_ci_u32_e32 v48, vcc_lo, s1, v2, vcc_lo
	v_add_co_u32 v49, vcc_lo, s0, v3
	v_add_co_ci_u32_e32 v50, vcc_lo, s1, v4, vcc_lo
	v_lshlrev_b64 v[1:2], 3, v[90:91]
	s_waitcnt vmcnt(15)
	scratch_store_b128 off, v[5:8], off offset:16
	s_clause 0x1
	global_load_b64 v[86:87], v[47:48], off
	global_load_b64 v[88:89], v[49:50], off
	v_add_co_u32 v4, vcc_lo, s0, v1
	v_add_co_ci_u32_e32 v5, vcc_lo, s1, v2, vcc_lo
	v_lshlrev_b64 v[1:2], 3, v[92:93]
	global_load_b64 v[90:91], v[4:5], off
	v_add_co_u32 v6, vcc_lo, s0, v1
	v_add_co_ci_u32_e32 v7, vcc_lo, s1, v2, vcc_lo
	v_lshlrev_b64 v[1:2], 3, v[96:97]
	s_waitcnt vmcnt(16)
	scratch_store_b128 off, v[51:54], off offset:32
	v_add_co_u32 v51, vcc_lo, s0, v55
	v_add_co_ci_u32_e32 v52, vcc_lo, s1, v56, vcc_lo
	v_lshlrev_b64 v[55:56], 3, v[98:99]
	v_add_co_u32 v53, vcc_lo, s0, v1
	v_add_co_ci_u32_e32 v54, vcc_lo, s1, v2, vcc_lo
	v_lshlrev_b64 v[1:2], 3, v[100:101]
	s_delay_alu instid0(VALU_DEP_4)
	v_add_co_u32 v55, vcc_lo, s0, v55
	v_add_co_ci_u32_e32 v56, vcc_lo, s1, v56, vcc_lo
	s_waitcnt vmcnt(14)
	scratch_store_b128 off, v[57:60], off offset:48
	s_waitcnt vmcnt(12)
	scratch_store_b128 off, v[61:64], off offset:64
	v_add_co_u32 v57, vcc_lo, s0, v1
	v_add_co_ci_u32_e32 v58, vcc_lo, s1, v2, vcc_lo
	v_lshlrev_b64 v[1:2], 3, v[104:105]
	v_add_co_u32 v59, vcc_lo, s0, v82
	v_add_co_ci_u32_e32 v60, vcc_lo, s1, v83, vcc_lo
	v_lshlrev_b64 v[63:64], 3, v[106:107]
	s_delay_alu instid0(VALU_DEP_4) | instskip(SKIP_2) | instid1(VALU_DEP_4)
	v_add_co_u32 v61, vcc_lo, s0, v1
	v_add_co_ci_u32_e32 v62, vcc_lo, s1, v2, vcc_lo
	v_lshlrev_b64 v[1:2], 3, v[108:109]
	v_add_co_u32 v63, vcc_lo, s0, v63
	v_add_co_ci_u32_e32 v64, vcc_lo, s1, v64, vcc_lo
	v_lshlrev_b64 v[82:83], 3, v[110:111]
	s_clause 0x3
	global_load_b64 v[92:93], v[6:7], off
	global_load_b64 v[94:95], v[51:52], off
	;; [unrolled: 1-line block ×4, first 2 shown]
	s_waitcnt vmcnt(14)
	scratch_store_b128 off, v[65:68], off offset:80
	s_waitcnt vmcnt(12)
	scratch_store_b128 off, v[69:72], off offset:96
	v_add_co_u32 v65, vcc_lo, s0, v1
	v_add_co_ci_u32_e32 v66, vcc_lo, s1, v2, vcc_lo
	v_lshlrev_b64 v[1:2], 3, v[112:113]
	v_add_co_u32 v67, vcc_lo, s0, v82
	v_add_co_ci_u32_e32 v68, vcc_lo, s1, v83, vcc_lo
	v_lshlrev_b64 v[71:72], 3, v[114:115]
	s_delay_alu instid0(VALU_DEP_4) | instskip(SKIP_2) | instid1(VALU_DEP_4)
	v_add_co_u32 v69, vcc_lo, s0, v1
	v_add_co_ci_u32_e32 v70, vcc_lo, s1, v2, vcc_lo
	v_lshlrev_b64 v[1:2], 3, v[116:117]
	v_add_co_u32 v71, vcc_lo, s0, v71
	v_add_co_ci_u32_e32 v72, vcc_lo, s1, v72, vcc_lo
	v_lshlrev_b64 v[82:83], 3, v[118:119]
	s_clause 0x3
	global_load_b64 v[100:101], v[57:58], off
	global_load_b64 v[102:103], v[59:60], off
	;; [unrolled: 1-line block ×4, first 2 shown]
	s_waitcnt vmcnt(13)
	scratch_store_b128 off, v[73:76], off offset:112
	s_waitcnt vmcnt(11)
	scratch_store_b128 off, v[77:80], off offset:128
	v_add_co_u32 v73, vcc_lo, s0, v1
	v_add_co_ci_u32_e32 v74, vcc_lo, s1, v2, vcc_lo
	v_lshlrev_b64 v[1:2], 3, v[120:121]
	v_add_co_u32 v75, vcc_lo, s0, v82
	v_lshlrev_b64 v[79:80], 3, v[122:123]
	v_add_co_ci_u32_e32 v76, vcc_lo, s1, v83, vcc_lo
	s_delay_alu instid0(VALU_DEP_4) | instskip(SKIP_1) | instid1(VALU_DEP_4)
	v_add_co_u32 v77, vcc_lo, s0, v1
	v_add_co_ci_u32_e32 v78, vcc_lo, s1, v2, vcc_lo
	v_add_co_u32 v79, vcc_lo, s0, v79
	v_add_co_ci_u32_e32 v80, vcc_lo, s1, v80, vcc_lo
	s_clause 0x3
	global_load_b64 v[108:109], v[65:66], off
	global_load_b64 v[110:111], v[67:68], off
	;; [unrolled: 1-line block ×4, first 2 shown]
	s_waitcnt vmcnt(13)
	scratch_store_b128 off, v[86:89], off offset:144
	s_clause 0x3
	global_load_b64 v[116:117], v[73:74], off
	global_load_b64 v[86:87], v[75:76], off
	;; [unrolled: 1-line block ×4, first 2 shown]
	s_mov_b32 s1, -1
	s_waitcnt vmcnt(15)
	scratch_store_b128 off, v[90:93], off offset:160
	s_waitcnt vmcnt(13)
	scratch_store_b128 off, v[94:97], off offset:176
	;; [unrolled: 2-line block ×9, first 2 shown]
	s_cbranch_scc1 .LBB101_160
; %bb.4:
	v_cmp_eq_u32_e64 s0, 0, v0
	s_delay_alu instid0(VALU_DEP_1)
	s_and_saveexec_b32 s1, s0
	s_cbranch_execz .LBB101_6
; %bb.5:
	v_mov_b32_e32 v1, 0
	ds_store_b32 v1, v1 offset:608
.LBB101_6:
	s_or_b32 exec_lo, exec_lo, s1
	s_waitcnt lgkmcnt(0)
	s_waitcnt_vscnt null, 0x0
	s_barrier
	buffer_gl0_inv
	scratch_load_b64 v[1:2], v81, off
	s_mov_b32 s4, exec_lo
	s_waitcnt vmcnt(0)
	v_cmpx_eq_f64_e32 0, v[1:2]
	s_cbranch_execz .LBB101_10
; %bb.7:
	v_mov_b32_e32 v1, 0
	s_mov_b32 s5, 0
	ds_load_b32 v2, v1 offset:608
	s_waitcnt lgkmcnt(0)
	v_readfirstlane_b32 s1, v2
	v_add_nc_u32_e32 v2, 1, v0
	s_delay_alu instid0(VALU_DEP_2) | instskip(NEXT) | instid1(VALU_DEP_1)
	s_cmp_eq_u32 s1, 0
	v_cmp_gt_i32_e32 vcc_lo, s1, v2
	s_cselect_b32 s10, -1, 0
	s_delay_alu instid0(SALU_CYCLE_1) | instskip(NEXT) | instid1(SALU_CYCLE_1)
	s_or_b32 s10, s10, vcc_lo
	s_and_b32 exec_lo, exec_lo, s10
	s_cbranch_execz .LBB101_10
; %bb.8:
	v_mov_b32_e32 v3, s1
.LBB101_9:                              ; =>This Inner Loop Header: Depth=1
	ds_cmpstore_rtn_b32 v3, v1, v2, v3 offset:608
	s_waitcnt lgkmcnt(0)
	v_cmp_ne_u32_e32 vcc_lo, 0, v3
	v_cmp_le_i32_e64 s1, v3, v2
	s_delay_alu instid0(VALU_DEP_1) | instskip(NEXT) | instid1(SALU_CYCLE_1)
	s_and_b32 s1, vcc_lo, s1
	s_and_b32 s1, exec_lo, s1
	s_delay_alu instid0(SALU_CYCLE_1) | instskip(NEXT) | instid1(SALU_CYCLE_1)
	s_or_b32 s5, s1, s5
	s_and_not1_b32 exec_lo, exec_lo, s5
	s_cbranch_execnz .LBB101_9
.LBB101_10:
	s_or_b32 exec_lo, exec_lo, s4
	v_mov_b32_e32 v1, 0
	s_barrier
	buffer_gl0_inv
	ds_load_b32 v2, v1 offset:608
	s_and_saveexec_b32 s1, s0
	s_cbranch_execz .LBB101_12
; %bb.11:
	s_lshl_b64 s[4:5], s[8:9], 2
	s_delay_alu instid0(SALU_CYCLE_1)
	s_add_u32 s4, s6, s4
	s_addc_u32 s5, s7, s5
	s_waitcnt lgkmcnt(0)
	global_store_b32 v1, v2, s[4:5]
.LBB101_12:
	s_or_b32 exec_lo, exec_lo, s1
	s_waitcnt lgkmcnt(0)
	v_cmp_ne_u32_e32 vcc_lo, 0, v2
	s_mov_b32 s1, 0
	s_cbranch_vccnz .LBB101_160
; %bb.13:
	v_add_nc_u32_e32 v3, 0, v81
	v_add_nc_u32_e32 v8, 0x130, v81
	scratch_load_b64 v[1:2], v3, off
	s_waitcnt vmcnt(0)
	v_div_scale_f64 v[82:83], null, v[1:2], v[1:2], 1.0
	v_div_scale_f64 v[88:89], vcc_lo, 1.0, v[1:2], 1.0
	s_delay_alu instid0(VALU_DEP_2) | instskip(SKIP_2) | instid1(VALU_DEP_1)
	v_rcp_f64_e32 v[84:85], v[82:83]
	s_waitcnt_depctr 0xfff
	v_fma_f64 v[86:87], -v[82:83], v[84:85], 1.0
	v_fma_f64 v[84:85], v[84:85], v[86:87], v[84:85]
	s_delay_alu instid0(VALU_DEP_1) | instskip(NEXT) | instid1(VALU_DEP_1)
	v_fma_f64 v[86:87], -v[82:83], v[84:85], 1.0
	v_fma_f64 v[84:85], v[84:85], v[86:87], v[84:85]
	s_delay_alu instid0(VALU_DEP_1) | instskip(NEXT) | instid1(VALU_DEP_1)
	v_mul_f64 v[86:87], v[88:89], v[84:85]
	v_fma_f64 v[82:83], -v[82:83], v[86:87], v[88:89]
	s_delay_alu instid0(VALU_DEP_1) | instskip(NEXT) | instid1(VALU_DEP_1)
	v_div_fmas_f64 v[82:83], v[82:83], v[84:85], v[86:87]
	v_div_fixup_f64 v[1:2], v[82:83], v[1:2], 1.0
	scratch_store_b64 v3, v[1:2], off
	scratch_load_b64 v[82:83], off, off offset:8
	v_xor_b32_e32 v2, 0x80000000, v2
	s_waitcnt vmcnt(0)
	ds_store_2addr_b64 v81, v[1:2], v[82:83] offset1:38
	s_waitcnt lgkmcnt(0)
	s_waitcnt_vscnt null, 0x0
	s_barrier
	buffer_gl0_inv
	s_and_saveexec_b32 s1, s0
	s_cbranch_execz .LBB101_15
; %bb.14:
	scratch_load_b64 v[1:2], v3, off
	ds_load_b64 v[82:83], v8
	s_waitcnt vmcnt(0) lgkmcnt(0)
	v_fma_f64 v[1:2], v[1:2], v[82:83], 0
	v_mov_b32_e32 v82, 0
	ds_load_b64 v[82:83], v82 offset:8
	s_waitcnt lgkmcnt(0)
	v_mul_f64 v[1:2], v[1:2], v[82:83]
	scratch_store_b64 off, v[1:2], off offset:8
.LBB101_15:
	s_or_b32 exec_lo, exec_lo, s1
	s_waitcnt_vscnt null, 0x0
	s_barrier
	buffer_gl0_inv
	scratch_load_b64 v[1:2], off, off offset:16
	s_mov_b32 s1, exec_lo
	s_waitcnt vmcnt(0)
	ds_store_b64 v8, v[1:2]
	s_waitcnt lgkmcnt(0)
	s_barrier
	buffer_gl0_inv
	v_cmpx_gt_u32_e32 2, v0
	s_cbranch_execz .LBB101_19
; %bb.16:
	scratch_load_b64 v[1:2], v3, off
	ds_load_b64 v[82:83], v8
	s_waitcnt vmcnt(0) lgkmcnt(0)
	v_fma_f64 v[1:2], v[1:2], v[82:83], 0
	s_and_saveexec_b32 s4, s0
	s_cbranch_execz .LBB101_18
; %bb.17:
	scratch_load_b64 v[82:83], off, off offset:8
	v_mov_b32_e32 v84, 0
	ds_load_b64 v[84:85], v84 offset:312
	s_waitcnt vmcnt(0) lgkmcnt(0)
	v_fma_f64 v[1:2], v[82:83], v[84:85], v[1:2]
.LBB101_18:
	s_or_b32 exec_lo, exec_lo, s4
	v_mov_b32_e32 v82, 0
	ds_load_b64 v[82:83], v82 offset:16
	s_waitcnt lgkmcnt(0)
	v_mul_f64 v[1:2], v[1:2], v[82:83]
	scratch_store_b64 off, v[1:2], off offset:16
.LBB101_19:
	s_or_b32 exec_lo, exec_lo, s1
	s_waitcnt_vscnt null, 0x0
	s_barrier
	buffer_gl0_inv
	scratch_load_b64 v[1:2], off, off offset:24
	v_add_nc_u32_e32 v82, -1, v0
	s_mov_b32 s0, exec_lo
	s_waitcnt vmcnt(0)
	ds_store_b64 v8, v[1:2]
	s_waitcnt lgkmcnt(0)
	s_barrier
	buffer_gl0_inv
	v_cmpx_gt_u32_e32 3, v0
	s_cbranch_execz .LBB101_23
; %bb.20:
	v_dual_mov_b32 v1, 0 :: v_dual_add_nc_u32 v84, 0x130, v81
	v_dual_mov_b32 v2, 0 :: v_dual_add_nc_u32 v83, -1, v0
	v_add_nc_u32_e32 v85, 0, v81
	s_mov_b32 s1, 0
.LBB101_21:                             ; =>This Inner Loop Header: Depth=1
	scratch_load_b64 v[86:87], v85, off
	ds_load_b64 v[88:89], v84
	v_add_nc_u32_e32 v83, 1, v83
	v_add_nc_u32_e32 v84, 8, v84
	v_add_nc_u32_e32 v85, 8, v85
	s_delay_alu instid0(VALU_DEP_3)
	v_cmp_lt_u32_e32 vcc_lo, 1, v83
	s_or_b32 s1, vcc_lo, s1
	s_waitcnt vmcnt(0) lgkmcnt(0)
	v_fma_f64 v[1:2], v[86:87], v[88:89], v[1:2]
	s_and_not1_b32 exec_lo, exec_lo, s1
	s_cbranch_execnz .LBB101_21
; %bb.22:
	s_or_b32 exec_lo, exec_lo, s1
	v_mov_b32_e32 v83, 0
	ds_load_b64 v[83:84], v83 offset:24
	s_waitcnt lgkmcnt(0)
	v_mul_f64 v[1:2], v[1:2], v[83:84]
	scratch_store_b64 off, v[1:2], off offset:24
.LBB101_23:
	s_or_b32 exec_lo, exec_lo, s0
	s_waitcnt_vscnt null, 0x0
	s_barrier
	buffer_gl0_inv
	scratch_load_b64 v[1:2], off, off offset:32
	s_mov_b32 s0, exec_lo
	s_waitcnt vmcnt(0)
	ds_store_b64 v8, v[1:2]
	s_waitcnt lgkmcnt(0)
	s_barrier
	buffer_gl0_inv
	v_cmpx_gt_u32_e32 4, v0
	s_cbranch_execz .LBB101_27
; %bb.24:
	v_dual_mov_b32 v1, 0 :: v_dual_add_nc_u32 v84, 0x130, v81
	v_dual_mov_b32 v2, 0 :: v_dual_add_nc_u32 v83, -1, v0
	v_add_nc_u32_e32 v85, 0, v81
	s_mov_b32 s1, 0
.LBB101_25:                             ; =>This Inner Loop Header: Depth=1
	scratch_load_b64 v[86:87], v85, off
	ds_load_b64 v[88:89], v84
	v_add_nc_u32_e32 v83, 1, v83
	v_add_nc_u32_e32 v84, 8, v84
	v_add_nc_u32_e32 v85, 8, v85
	s_delay_alu instid0(VALU_DEP_3)
	v_cmp_lt_u32_e32 vcc_lo, 2, v83
	s_or_b32 s1, vcc_lo, s1
	s_waitcnt vmcnt(0) lgkmcnt(0)
	v_fma_f64 v[1:2], v[86:87], v[88:89], v[1:2]
	s_and_not1_b32 exec_lo, exec_lo, s1
	s_cbranch_execnz .LBB101_25
; %bb.26:
	s_or_b32 exec_lo, exec_lo, s1
	v_mov_b32_e32 v83, 0
	ds_load_b64 v[83:84], v83 offset:32
	s_waitcnt lgkmcnt(0)
	v_mul_f64 v[1:2], v[1:2], v[83:84]
	scratch_store_b64 off, v[1:2], off offset:32
.LBB101_27:
	s_or_b32 exec_lo, exec_lo, s0
	s_waitcnt_vscnt null, 0x0
	s_barrier
	buffer_gl0_inv
	scratch_load_b64 v[1:2], off, off offset:40
	;; [unrolled: 39-line block ×20, first 2 shown]
	s_mov_b32 s0, exec_lo
	s_waitcnt vmcnt(0)
	ds_store_b64 v8, v[1:2]
	s_waitcnt lgkmcnt(0)
	s_barrier
	buffer_gl0_inv
	v_cmpx_gt_u32_e32 23, v0
	s_cbranch_execz .LBB101_103
; %bb.100:
	v_dual_mov_b32 v1, 0 :: v_dual_add_nc_u32 v84, 0x130, v81
	v_dual_mov_b32 v2, 0 :: v_dual_add_nc_u32 v83, -1, v0
	v_add_nc_u32_e32 v85, 0, v81
	s_mov_b32 s1, 0
.LBB101_101:                            ; =>This Inner Loop Header: Depth=1
	scratch_load_b64 v[86:87], v85, off
	ds_load_b64 v[88:89], v84
	v_add_nc_u32_e32 v83, 1, v83
	v_add_nc_u32_e32 v84, 8, v84
	v_add_nc_u32_e32 v85, 8, v85
	s_delay_alu instid0(VALU_DEP_3)
	v_cmp_lt_u32_e32 vcc_lo, 21, v83
	s_or_b32 s1, vcc_lo, s1
	s_waitcnt vmcnt(0) lgkmcnt(0)
	v_fma_f64 v[1:2], v[86:87], v[88:89], v[1:2]
	s_and_not1_b32 exec_lo, exec_lo, s1
	s_cbranch_execnz .LBB101_101
; %bb.102:
	s_or_b32 exec_lo, exec_lo, s1
	v_mov_b32_e32 v83, 0
	ds_load_b64 v[83:84], v83 offset:184
	s_waitcnt lgkmcnt(0)
	v_mul_f64 v[1:2], v[1:2], v[83:84]
	scratch_store_b64 off, v[1:2], off offset:184
.LBB101_103:
	s_or_b32 exec_lo, exec_lo, s0
	s_waitcnt_vscnt null, 0x0
	s_barrier
	buffer_gl0_inv
	scratch_load_b64 v[1:2], off, off offset:192
	s_mov_b32 s0, exec_lo
	s_waitcnt vmcnt(0)
	ds_store_b64 v8, v[1:2]
	s_waitcnt lgkmcnt(0)
	s_barrier
	buffer_gl0_inv
	v_cmpx_gt_u32_e32 24, v0
	s_cbranch_execz .LBB101_107
; %bb.104:
	v_dual_mov_b32 v1, 0 :: v_dual_add_nc_u32 v84, 0x130, v81
	v_dual_mov_b32 v2, 0 :: v_dual_add_nc_u32 v83, -1, v0
	v_add_nc_u32_e32 v85, 0, v81
	s_mov_b32 s1, 0
.LBB101_105:                            ; =>This Inner Loop Header: Depth=1
	scratch_load_b64 v[86:87], v85, off
	ds_load_b64 v[88:89], v84
	v_add_nc_u32_e32 v83, 1, v83
	v_add_nc_u32_e32 v84, 8, v84
	v_add_nc_u32_e32 v85, 8, v85
	s_delay_alu instid0(VALU_DEP_3)
	v_cmp_lt_u32_e32 vcc_lo, 22, v83
	s_or_b32 s1, vcc_lo, s1
	s_waitcnt vmcnt(0) lgkmcnt(0)
	v_fma_f64 v[1:2], v[86:87], v[88:89], v[1:2]
	s_and_not1_b32 exec_lo, exec_lo, s1
	s_cbranch_execnz .LBB101_105
; %bb.106:
	s_or_b32 exec_lo, exec_lo, s1
	v_mov_b32_e32 v83, 0
	ds_load_b64 v[83:84], v83 offset:192
	s_waitcnt lgkmcnt(0)
	v_mul_f64 v[1:2], v[1:2], v[83:84]
	scratch_store_b64 off, v[1:2], off offset:192
.LBB101_107:
	s_or_b32 exec_lo, exec_lo, s0
	s_waitcnt_vscnt null, 0x0
	s_barrier
	buffer_gl0_inv
	scratch_load_b64 v[1:2], off, off offset:200
	;; [unrolled: 39-line block ×14, first 2 shown]
	s_mov_b32 s0, exec_lo
	s_waitcnt vmcnt(0)
	ds_store_b64 v8, v[1:2]
	s_waitcnt lgkmcnt(0)
	s_barrier
	buffer_gl0_inv
	v_cmpx_ne_u32_e32 37, v0
	s_cbranch_execz .LBB101_159
; %bb.156:
	v_mov_b32_e32 v1, 0
	v_mov_b32_e32 v2, 0
	s_mov_b32 s1, 0
.LBB101_157:                            ; =>This Inner Loop Header: Depth=1
	scratch_load_b64 v[83:84], v3, off
	ds_load_b64 v[85:86], v8
	v_add_nc_u32_e32 v82, 1, v82
	v_add_nc_u32_e32 v8, 8, v8
	v_add_nc_u32_e32 v3, 8, v3
	s_delay_alu instid0(VALU_DEP_3)
	v_cmp_lt_u32_e32 vcc_lo, 35, v82
	s_or_b32 s1, vcc_lo, s1
	s_waitcnt vmcnt(0) lgkmcnt(0)
	v_fma_f64 v[1:2], v[83:84], v[85:86], v[1:2]
	s_and_not1_b32 exec_lo, exec_lo, s1
	s_cbranch_execnz .LBB101_157
; %bb.158:
	s_or_b32 exec_lo, exec_lo, s1
	v_mov_b32_e32 v3, 0
	ds_load_b64 v[81:82], v3 offset:296
	s_waitcnt lgkmcnt(0)
	v_mul_f64 v[1:2], v[1:2], v[81:82]
	scratch_store_b64 off, v[1:2], off offset:296
.LBB101_159:
	s_or_b32 exec_lo, exec_lo, s0
	s_mov_b32 s1, -1
	s_waitcnt_vscnt null, 0x0
	s_barrier
	buffer_gl0_inv
.LBB101_160:
	s_and_b32 vcc_lo, exec_lo, s1
	s_cbranch_vccz .LBB101_162
; %bb.161:
	s_lshl_b64 s[0:1], s[8:9], 2
	v_mov_b32_e32 v1, 0
	s_add_u32 s0, s6, s0
	s_addc_u32 s1, s7, s1
	global_load_b32 v1, v1, s[0:1]
	s_waitcnt vmcnt(0)
	v_cmp_ne_u32_e32 vcc_lo, 0, v1
	s_cbranch_vccz .LBB101_163
.LBB101_162:
	s_endpgm
.LBB101_163:
	v_lshl_add_u32 v3, v0, 3, 0x130
	s_mov_b32 s0, exec_lo
	v_cmpx_eq_u32_e32 37, v0
	s_cbranch_execz .LBB101_165
; %bb.164:
	scratch_load_b64 v[1:2], off, off offset:288
	v_mov_b32_e32 v81, 0
	s_delay_alu instid0(VALU_DEP_1)
	v_mov_b32_e32 v82, v81
	scratch_store_b64 off, v[81:82], off offset:288
	s_waitcnt vmcnt(0)
	ds_store_b64 v3, v[1:2]
.LBB101_165:
	s_or_b32 exec_lo, exec_lo, s0
	s_waitcnt lgkmcnt(0)
	s_waitcnt_vscnt null, 0x0
	s_barrier
	buffer_gl0_inv
	scratch_load_b128 v[81:84], off, off offset:288
	v_mov_b32_e32 v1, 0
	s_mov_b32 s0, exec_lo
	ds_load_b64 v[85:86], v1 offset:600
	s_waitcnt vmcnt(0) lgkmcnt(0)
	v_fma_f64 v[83:84], v[83:84], v[85:86], 0
	s_delay_alu instid0(VALU_DEP_1)
	v_add_f64 v[81:82], v[81:82], -v[83:84]
	scratch_store_b64 off, v[81:82], off offset:288
	v_cmpx_lt_u32_e32 35, v0
	s_cbranch_execz .LBB101_167
; %bb.166:
	scratch_load_b64 v[81:82], off, off offset:280
	v_mov_b32_e32 v2, v1
	scratch_store_b64 off, v[1:2], off offset:280
	s_waitcnt vmcnt(0)
	ds_store_b64 v3, v[81:82]
.LBB101_167:
	s_or_b32 exec_lo, exec_lo, s0
	s_waitcnt lgkmcnt(0)
	s_waitcnt_vscnt null, 0x0
	s_barrier
	buffer_gl0_inv
	s_clause 0x1
	scratch_load_b128 v[81:84], off, off offset:280
	scratch_load_b64 v[89:90], off, off offset:296
	ds_load_b128 v[85:88], v1 offset:592
	s_mov_b32 s0, exec_lo
	s_waitcnt vmcnt(1) lgkmcnt(0)
	v_fma_f64 v[1:2], v[83:84], v[85:86], 0
	s_waitcnt vmcnt(0)
	s_delay_alu instid0(VALU_DEP_1) | instskip(NEXT) | instid1(VALU_DEP_1)
	v_fma_f64 v[1:2], v[89:90], v[87:88], v[1:2]
	v_add_f64 v[1:2], v[81:82], -v[1:2]
	scratch_store_b64 off, v[1:2], off offset:280
	v_cmpx_lt_u32_e32 34, v0
	s_cbranch_execz .LBB101_169
; %bb.168:
	scratch_load_b64 v[1:2], off, off offset:272
	v_mov_b32_e32 v81, 0
	s_delay_alu instid0(VALU_DEP_1)
	v_mov_b32_e32 v82, v81
	scratch_store_b64 off, v[81:82], off offset:272
	s_waitcnt vmcnt(0)
	ds_store_b64 v3, v[1:2]
.LBB101_169:
	s_or_b32 exec_lo, exec_lo, s0
	s_waitcnt lgkmcnt(0)
	s_waitcnt_vscnt null, 0x0
	s_barrier
	buffer_gl0_inv
	s_clause 0x1
	scratch_load_b128 v[81:84], off, off offset:272
	scratch_load_b128 v[85:88], off, off offset:288
	v_mov_b32_e32 v1, 0
	ds_load_2addr_b64 v[89:92], v1 offset0:73 offset1:74
	ds_load_b64 v[93:94], v1 offset:600
	s_mov_b32 s0, exec_lo
	s_waitcnt vmcnt(1) lgkmcnt(1)
	v_fma_f64 v[83:84], v[83:84], v[89:90], 0
	s_waitcnt vmcnt(0)
	s_delay_alu instid0(VALU_DEP_1) | instskip(SKIP_1) | instid1(VALU_DEP_1)
	v_fma_f64 v[83:84], v[85:86], v[91:92], v[83:84]
	s_waitcnt lgkmcnt(0)
	v_fma_f64 v[83:84], v[87:88], v[93:94], v[83:84]
	s_delay_alu instid0(VALU_DEP_1)
	v_add_f64 v[81:82], v[81:82], -v[83:84]
	scratch_store_b64 off, v[81:82], off offset:272
	v_cmpx_lt_u32_e32 33, v0
	s_cbranch_execz .LBB101_171
; %bb.170:
	scratch_load_b64 v[81:82], off, off offset:264
	v_mov_b32_e32 v2, v1
	scratch_store_b64 off, v[1:2], off offset:264
	s_waitcnt vmcnt(0)
	ds_store_b64 v3, v[81:82]
.LBB101_171:
	s_or_b32 exec_lo, exec_lo, s0
	s_waitcnt lgkmcnt(0)
	s_waitcnt_vscnt null, 0x0
	s_barrier
	buffer_gl0_inv
	s_clause 0x2
	scratch_load_b128 v[81:84], off, off offset:264
	scratch_load_b128 v[85:88], off, off offset:280
	scratch_load_b64 v[93:94], off, off offset:296
	ds_load_b128 v[89:92], v1 offset:576
	s_mov_b32 s0, exec_lo
	s_waitcnt vmcnt(2) lgkmcnt(0)
	v_fma_f64 v[83:84], v[83:84], v[89:90], 0
	s_waitcnt vmcnt(1)
	s_delay_alu instid0(VALU_DEP_1) | instskip(SKIP_4) | instid1(VALU_DEP_1)
	v_fma_f64 v[89:90], v[85:86], v[91:92], v[83:84]
	ds_load_b128 v[83:86], v1 offset:592
	s_waitcnt lgkmcnt(0)
	v_fma_f64 v[1:2], v[87:88], v[83:84], v[89:90]
	s_waitcnt vmcnt(0)
	v_fma_f64 v[1:2], v[93:94], v[85:86], v[1:2]
	s_delay_alu instid0(VALU_DEP_1)
	v_add_f64 v[1:2], v[81:82], -v[1:2]
	scratch_store_b64 off, v[1:2], off offset:264
	v_cmpx_lt_u32_e32 32, v0
	s_cbranch_execz .LBB101_173
; %bb.172:
	scratch_load_b64 v[1:2], off, off offset:256
	v_mov_b32_e32 v81, 0
	s_delay_alu instid0(VALU_DEP_1)
	v_mov_b32_e32 v82, v81
	scratch_store_b64 off, v[81:82], off offset:256
	s_waitcnt vmcnt(0)
	ds_store_b64 v3, v[1:2]
.LBB101_173:
	s_or_b32 exec_lo, exec_lo, s0
	s_waitcnt lgkmcnt(0)
	s_waitcnt_vscnt null, 0x0
	s_barrier
	buffer_gl0_inv
	s_clause 0x2
	scratch_load_b128 v[81:84], off, off offset:256
	scratch_load_b128 v[85:88], off, off offset:272
	;; [unrolled: 1-line block ×3, first 2 shown]
	v_mov_b32_e32 v1, 0
	s_mov_b32 s0, exec_lo
	ds_load_2addr_b64 v[93:96], v1 offset0:71 offset1:72
	s_waitcnt vmcnt(2) lgkmcnt(0)
	v_fma_f64 v[83:84], v[83:84], v[93:94], 0
	s_waitcnt vmcnt(1)
	s_delay_alu instid0(VALU_DEP_1) | instskip(SKIP_4) | instid1(VALU_DEP_1)
	v_fma_f64 v[93:94], v[85:86], v[95:96], v[83:84]
	ds_load_2addr_b64 v[83:86], v1 offset0:73 offset1:74
	s_waitcnt lgkmcnt(0)
	v_fma_f64 v[83:84], v[87:88], v[83:84], v[93:94]
	s_waitcnt vmcnt(0)
	v_fma_f64 v[83:84], v[89:90], v[85:86], v[83:84]
	ds_load_b64 v[85:86], v1 offset:600
	s_waitcnt lgkmcnt(0)
	v_fma_f64 v[83:84], v[91:92], v[85:86], v[83:84]
	s_delay_alu instid0(VALU_DEP_1)
	v_add_f64 v[81:82], v[81:82], -v[83:84]
	scratch_store_b64 off, v[81:82], off offset:256
	v_cmpx_lt_u32_e32 31, v0
	s_cbranch_execz .LBB101_175
; %bb.174:
	scratch_load_b64 v[81:82], off, off offset:248
	v_mov_b32_e32 v2, v1
	scratch_store_b64 off, v[1:2], off offset:248
	s_waitcnt vmcnt(0)
	ds_store_b64 v3, v[81:82]
.LBB101_175:
	s_or_b32 exec_lo, exec_lo, s0
	s_waitcnt lgkmcnt(0)
	s_waitcnt_vscnt null, 0x0
	s_barrier
	buffer_gl0_inv
	s_clause 0x3
	scratch_load_b128 v[81:84], off, off offset:248
	scratch_load_b128 v[85:88], off, off offset:264
	;; [unrolled: 1-line block ×3, first 2 shown]
	scratch_load_b64 v[101:102], off, off offset:296
	ds_load_b128 v[93:96], v1 offset:560
	ds_load_b128 v[97:100], v1 offset:576
	s_mov_b32 s0, exec_lo
	s_waitcnt vmcnt(3) lgkmcnt(1)
	v_fma_f64 v[83:84], v[83:84], v[93:94], 0
	s_waitcnt vmcnt(2)
	s_delay_alu instid0(VALU_DEP_1) | instskip(SKIP_1) | instid1(VALU_DEP_1)
	v_fma_f64 v[83:84], v[85:86], v[95:96], v[83:84]
	s_waitcnt lgkmcnt(0)
	v_fma_f64 v[83:84], v[87:88], v[97:98], v[83:84]
	s_waitcnt vmcnt(1)
	s_delay_alu instid0(VALU_DEP_1) | instskip(SKIP_4) | instid1(VALU_DEP_1)
	v_fma_f64 v[87:88], v[89:90], v[99:100], v[83:84]
	ds_load_b128 v[83:86], v1 offset:592
	s_waitcnt lgkmcnt(0)
	v_fma_f64 v[1:2], v[91:92], v[83:84], v[87:88]
	s_waitcnt vmcnt(0)
	v_fma_f64 v[1:2], v[101:102], v[85:86], v[1:2]
	s_delay_alu instid0(VALU_DEP_1)
	v_add_f64 v[1:2], v[81:82], -v[1:2]
	scratch_store_b64 off, v[1:2], off offset:248
	v_cmpx_lt_u32_e32 30, v0
	s_cbranch_execz .LBB101_177
; %bb.176:
	scratch_load_b64 v[1:2], off, off offset:240
	v_mov_b32_e32 v81, 0
	s_delay_alu instid0(VALU_DEP_1)
	v_mov_b32_e32 v82, v81
	scratch_store_b64 off, v[81:82], off offset:240
	s_waitcnt vmcnt(0)
	ds_store_b64 v3, v[1:2]
.LBB101_177:
	s_or_b32 exec_lo, exec_lo, s0
	s_waitcnt lgkmcnt(0)
	s_waitcnt_vscnt null, 0x0
	s_barrier
	buffer_gl0_inv
	s_clause 0x3
	scratch_load_b128 v[81:84], off, off offset:240
	scratch_load_b128 v[85:88], off, off offset:256
	;; [unrolled: 1-line block ×4, first 2 shown]
	v_mov_b32_e32 v1, 0
	ds_load_2addr_b64 v[97:100], v1 offset0:69 offset1:70
	ds_load_2addr_b64 v[101:104], v1 offset0:71 offset1:72
	s_mov_b32 s0, exec_lo
	s_waitcnt vmcnt(3) lgkmcnt(1)
	v_fma_f64 v[83:84], v[83:84], v[97:98], 0
	s_waitcnt vmcnt(2)
	s_delay_alu instid0(VALU_DEP_1) | instskip(SKIP_1) | instid1(VALU_DEP_1)
	v_fma_f64 v[83:84], v[85:86], v[99:100], v[83:84]
	s_waitcnt lgkmcnt(0)
	v_fma_f64 v[83:84], v[87:88], v[101:102], v[83:84]
	s_waitcnt vmcnt(1)
	s_delay_alu instid0(VALU_DEP_1)
	v_fma_f64 v[87:88], v[89:90], v[103:104], v[83:84]
	ds_load_2addr_b64 v[83:86], v1 offset0:73 offset1:74
	ds_load_b64 v[89:90], v1 offset:600
	s_waitcnt lgkmcnt(1)
	v_fma_f64 v[83:84], v[91:92], v[83:84], v[87:88]
	s_waitcnt vmcnt(0)
	s_delay_alu instid0(VALU_DEP_1) | instskip(SKIP_1) | instid1(VALU_DEP_1)
	v_fma_f64 v[83:84], v[93:94], v[85:86], v[83:84]
	s_waitcnt lgkmcnt(0)
	v_fma_f64 v[83:84], v[95:96], v[89:90], v[83:84]
	s_delay_alu instid0(VALU_DEP_1)
	v_add_f64 v[81:82], v[81:82], -v[83:84]
	scratch_store_b64 off, v[81:82], off offset:240
	v_cmpx_lt_u32_e32 29, v0
	s_cbranch_execz .LBB101_179
; %bb.178:
	scratch_load_b64 v[81:82], off, off offset:232
	v_mov_b32_e32 v2, v1
	scratch_store_b64 off, v[1:2], off offset:232
	s_waitcnt vmcnt(0)
	ds_store_b64 v3, v[81:82]
.LBB101_179:
	s_or_b32 exec_lo, exec_lo, s0
	s_waitcnt lgkmcnt(0)
	s_waitcnt_vscnt null, 0x0
	s_barrier
	buffer_gl0_inv
	s_clause 0x4
	scratch_load_b128 v[81:84], off, off offset:232
	scratch_load_b128 v[85:88], off, off offset:248
	;; [unrolled: 1-line block ×4, first 2 shown]
	scratch_load_b64 v[105:106], off, off offset:296
	ds_load_b128 v[97:100], v1 offset:544
	ds_load_b128 v[101:104], v1 offset:560
	s_mov_b32 s0, exec_lo
	s_waitcnt vmcnt(4) lgkmcnt(1)
	v_fma_f64 v[83:84], v[83:84], v[97:98], 0
	s_waitcnt vmcnt(3)
	s_delay_alu instid0(VALU_DEP_1) | instskip(SKIP_1) | instid1(VALU_DEP_1)
	v_fma_f64 v[83:84], v[85:86], v[99:100], v[83:84]
	s_waitcnt lgkmcnt(0)
	v_fma_f64 v[83:84], v[87:88], v[101:102], v[83:84]
	s_waitcnt vmcnt(2)
	s_delay_alu instid0(VALU_DEP_1)
	v_fma_f64 v[97:98], v[89:90], v[103:104], v[83:84]
	ds_load_b128 v[83:86], v1 offset:576
	ds_load_b128 v[87:90], v1 offset:592
	s_waitcnt lgkmcnt(1)
	v_fma_f64 v[1:2], v[91:92], v[83:84], v[97:98]
	s_waitcnt vmcnt(1)
	s_delay_alu instid0(VALU_DEP_1) | instskip(SKIP_1) | instid1(VALU_DEP_1)
	v_fma_f64 v[1:2], v[93:94], v[85:86], v[1:2]
	s_waitcnt lgkmcnt(0)
	v_fma_f64 v[1:2], v[95:96], v[87:88], v[1:2]
	s_waitcnt vmcnt(0)
	s_delay_alu instid0(VALU_DEP_1) | instskip(NEXT) | instid1(VALU_DEP_1)
	v_fma_f64 v[1:2], v[105:106], v[89:90], v[1:2]
	v_add_f64 v[1:2], v[81:82], -v[1:2]
	scratch_store_b64 off, v[1:2], off offset:232
	v_cmpx_lt_u32_e32 28, v0
	s_cbranch_execz .LBB101_181
; %bb.180:
	scratch_load_b64 v[1:2], off, off offset:224
	v_mov_b32_e32 v81, 0
	s_delay_alu instid0(VALU_DEP_1)
	v_mov_b32_e32 v82, v81
	scratch_store_b64 off, v[81:82], off offset:224
	s_waitcnt vmcnt(0)
	ds_store_b64 v3, v[1:2]
.LBB101_181:
	s_or_b32 exec_lo, exec_lo, s0
	s_waitcnt lgkmcnt(0)
	s_waitcnt_vscnt null, 0x0
	s_barrier
	buffer_gl0_inv
	s_clause 0x4
	scratch_load_b128 v[81:84], off, off offset:224
	scratch_load_b128 v[85:88], off, off offset:240
	;; [unrolled: 1-line block ×5, first 2 shown]
	v_mov_b32_e32 v1, 0
	ds_load_2addr_b64 v[101:104], v1 offset0:67 offset1:68
	ds_load_2addr_b64 v[105:108], v1 offset0:69 offset1:70
	s_mov_b32 s0, exec_lo
	s_waitcnt vmcnt(4) lgkmcnt(1)
	v_fma_f64 v[83:84], v[83:84], v[101:102], 0
	s_waitcnt vmcnt(3)
	s_delay_alu instid0(VALU_DEP_1) | instskip(SKIP_1) | instid1(VALU_DEP_1)
	v_fma_f64 v[83:84], v[85:86], v[103:104], v[83:84]
	s_waitcnt lgkmcnt(0)
	v_fma_f64 v[83:84], v[87:88], v[105:106], v[83:84]
	s_waitcnt vmcnt(2)
	s_delay_alu instid0(VALU_DEP_1)
	v_fma_f64 v[101:102], v[89:90], v[107:108], v[83:84]
	ds_load_2addr_b64 v[83:86], v1 offset0:71 offset1:72
	ds_load_2addr_b64 v[87:90], v1 offset0:73 offset1:74
	s_waitcnt lgkmcnt(1)
	v_fma_f64 v[83:84], v[91:92], v[83:84], v[101:102]
	s_waitcnt vmcnt(1)
	s_delay_alu instid0(VALU_DEP_1) | instskip(SKIP_4) | instid1(VALU_DEP_1)
	v_fma_f64 v[83:84], v[93:94], v[85:86], v[83:84]
	ds_load_b64 v[85:86], v1 offset:600
	s_waitcnt lgkmcnt(1)
	v_fma_f64 v[83:84], v[95:96], v[87:88], v[83:84]
	s_waitcnt vmcnt(0)
	v_fma_f64 v[83:84], v[97:98], v[89:90], v[83:84]
	s_waitcnt lgkmcnt(0)
	s_delay_alu instid0(VALU_DEP_1) | instskip(NEXT) | instid1(VALU_DEP_1)
	v_fma_f64 v[83:84], v[99:100], v[85:86], v[83:84]
	v_add_f64 v[81:82], v[81:82], -v[83:84]
	scratch_store_b64 off, v[81:82], off offset:224
	v_cmpx_lt_u32_e32 27, v0
	s_cbranch_execz .LBB101_183
; %bb.182:
	scratch_load_b64 v[81:82], off, off offset:216
	v_mov_b32_e32 v2, v1
	scratch_store_b64 off, v[1:2], off offset:216
	s_waitcnt vmcnt(0)
	ds_store_b64 v3, v[81:82]
.LBB101_183:
	s_or_b32 exec_lo, exec_lo, s0
	s_waitcnt lgkmcnt(0)
	s_waitcnt_vscnt null, 0x0
	s_barrier
	buffer_gl0_inv
	s_clause 0x4
	scratch_load_b128 v[81:84], off, off offset:216
	scratch_load_b128 v[85:88], off, off offset:232
	;; [unrolled: 1-line block ×5, first 2 shown]
	ds_load_b128 v[101:104], v1 offset:528
	ds_load_b128 v[105:108], v1 offset:544
	s_mov_b32 s0, exec_lo
	s_waitcnt vmcnt(4) lgkmcnt(1)
	v_fma_f64 v[83:84], v[83:84], v[101:102], 0
	scratch_load_b64 v[101:102], off, off offset:296
	s_waitcnt vmcnt(4)
	v_fma_f64 v[83:84], v[85:86], v[103:104], v[83:84]
	s_waitcnt lgkmcnt(0)
	s_delay_alu instid0(VALU_DEP_1) | instskip(SKIP_1) | instid1(VALU_DEP_1)
	v_fma_f64 v[83:84], v[87:88], v[105:106], v[83:84]
	s_waitcnt vmcnt(3)
	v_fma_f64 v[103:104], v[89:90], v[107:108], v[83:84]
	ds_load_b128 v[83:86], v1 offset:560
	ds_load_b128 v[87:90], v1 offset:576
	s_waitcnt lgkmcnt(1)
	v_fma_f64 v[83:84], v[91:92], v[83:84], v[103:104]
	s_waitcnt vmcnt(2)
	s_delay_alu instid0(VALU_DEP_1) | instskip(SKIP_1) | instid1(VALU_DEP_1)
	v_fma_f64 v[83:84], v[93:94], v[85:86], v[83:84]
	s_waitcnt lgkmcnt(0)
	v_fma_f64 v[83:84], v[95:96], v[87:88], v[83:84]
	s_waitcnt vmcnt(1)
	s_delay_alu instid0(VALU_DEP_1) | instskip(SKIP_4) | instid1(VALU_DEP_1)
	v_fma_f64 v[87:88], v[97:98], v[89:90], v[83:84]
	ds_load_b128 v[83:86], v1 offset:592
	s_waitcnt lgkmcnt(0)
	v_fma_f64 v[1:2], v[99:100], v[83:84], v[87:88]
	s_waitcnt vmcnt(0)
	v_fma_f64 v[1:2], v[101:102], v[85:86], v[1:2]
	s_delay_alu instid0(VALU_DEP_1)
	v_add_f64 v[1:2], v[81:82], -v[1:2]
	scratch_store_b64 off, v[1:2], off offset:216
	v_cmpx_lt_u32_e32 26, v0
	s_cbranch_execz .LBB101_185
; %bb.184:
	scratch_load_b64 v[1:2], off, off offset:208
	v_mov_b32_e32 v81, 0
	s_delay_alu instid0(VALU_DEP_1)
	v_mov_b32_e32 v82, v81
	scratch_store_b64 off, v[81:82], off offset:208
	s_waitcnt vmcnt(0)
	ds_store_b64 v3, v[1:2]
.LBB101_185:
	s_or_b32 exec_lo, exec_lo, s0
	s_waitcnt lgkmcnt(0)
	s_waitcnt_vscnt null, 0x0
	s_barrier
	buffer_gl0_inv
	s_clause 0x4
	scratch_load_b128 v[81:84], off, off offset:208
	scratch_load_b128 v[85:88], off, off offset:224
	;; [unrolled: 1-line block ×5, first 2 shown]
	v_mov_b32_e32 v1, 0
	ds_load_2addr_b64 v[101:104], v1 offset0:65 offset1:66
	ds_load_2addr_b64 v[105:108], v1 offset0:67 offset1:68
	scratch_load_b128 v[109:112], off, off offset:288
	s_mov_b32 s0, exec_lo
	s_waitcnt vmcnt(5) lgkmcnt(1)
	v_fma_f64 v[83:84], v[83:84], v[101:102], 0
	s_waitcnt vmcnt(4)
	s_delay_alu instid0(VALU_DEP_1) | instskip(SKIP_1) | instid1(VALU_DEP_1)
	v_fma_f64 v[83:84], v[85:86], v[103:104], v[83:84]
	s_waitcnt lgkmcnt(0)
	v_fma_f64 v[83:84], v[87:88], v[105:106], v[83:84]
	s_waitcnt vmcnt(3)
	s_delay_alu instid0(VALU_DEP_1)
	v_fma_f64 v[101:102], v[89:90], v[107:108], v[83:84]
	ds_load_2addr_b64 v[83:86], v1 offset0:69 offset1:70
	ds_load_2addr_b64 v[87:90], v1 offset0:71 offset1:72
	s_waitcnt lgkmcnt(1)
	v_fma_f64 v[83:84], v[91:92], v[83:84], v[101:102]
	s_waitcnt vmcnt(2)
	s_delay_alu instid0(VALU_DEP_1) | instskip(SKIP_1) | instid1(VALU_DEP_1)
	v_fma_f64 v[83:84], v[93:94], v[85:86], v[83:84]
	s_waitcnt lgkmcnt(0)
	v_fma_f64 v[83:84], v[95:96], v[87:88], v[83:84]
	s_waitcnt vmcnt(1)
	s_delay_alu instid0(VALU_DEP_1)
	v_fma_f64 v[87:88], v[97:98], v[89:90], v[83:84]
	ds_load_2addr_b64 v[83:86], v1 offset0:73 offset1:74
	ds_load_b64 v[89:90], v1 offset:600
	s_waitcnt lgkmcnt(1)
	v_fma_f64 v[83:84], v[99:100], v[83:84], v[87:88]
	s_waitcnt vmcnt(0)
	s_delay_alu instid0(VALU_DEP_1) | instskip(SKIP_1) | instid1(VALU_DEP_1)
	v_fma_f64 v[83:84], v[109:110], v[85:86], v[83:84]
	s_waitcnt lgkmcnt(0)
	v_fma_f64 v[83:84], v[111:112], v[89:90], v[83:84]
	s_delay_alu instid0(VALU_DEP_1)
	v_add_f64 v[81:82], v[81:82], -v[83:84]
	scratch_store_b64 off, v[81:82], off offset:208
	v_cmpx_lt_u32_e32 25, v0
	s_cbranch_execz .LBB101_187
; %bb.186:
	scratch_load_b64 v[81:82], off, off offset:200
	v_mov_b32_e32 v2, v1
	scratch_store_b64 off, v[1:2], off offset:200
	s_waitcnt vmcnt(0)
	ds_store_b64 v3, v[81:82]
.LBB101_187:
	s_or_b32 exec_lo, exec_lo, s0
	s_waitcnt lgkmcnt(0)
	s_waitcnt_vscnt null, 0x0
	s_barrier
	buffer_gl0_inv
	s_clause 0x4
	scratch_load_b128 v[81:84], off, off offset:200
	scratch_load_b128 v[85:88], off, off offset:216
	;; [unrolled: 1-line block ×5, first 2 shown]
	ds_load_b128 v[101:104], v1 offset:512
	ds_load_b128 v[105:108], v1 offset:528
	scratch_load_b128 v[109:112], off, off offset:280
	s_mov_b32 s0, exec_lo
	s_waitcnt vmcnt(5) lgkmcnt(1)
	v_fma_f64 v[83:84], v[83:84], v[101:102], 0
	scratch_load_b64 v[101:102], off, off offset:296
	s_waitcnt vmcnt(5)
	v_fma_f64 v[83:84], v[85:86], v[103:104], v[83:84]
	s_waitcnt lgkmcnt(0)
	s_delay_alu instid0(VALU_DEP_1) | instskip(SKIP_1) | instid1(VALU_DEP_1)
	v_fma_f64 v[83:84], v[87:88], v[105:106], v[83:84]
	s_waitcnt vmcnt(4)
	v_fma_f64 v[103:104], v[89:90], v[107:108], v[83:84]
	ds_load_b128 v[83:86], v1 offset:544
	ds_load_b128 v[87:90], v1 offset:560
	s_waitcnt lgkmcnt(1)
	v_fma_f64 v[83:84], v[91:92], v[83:84], v[103:104]
	s_waitcnt vmcnt(3)
	s_delay_alu instid0(VALU_DEP_1) | instskip(SKIP_1) | instid1(VALU_DEP_1)
	v_fma_f64 v[83:84], v[93:94], v[85:86], v[83:84]
	s_waitcnt lgkmcnt(0)
	v_fma_f64 v[83:84], v[95:96], v[87:88], v[83:84]
	s_waitcnt vmcnt(2)
	s_delay_alu instid0(VALU_DEP_1)
	v_fma_f64 v[91:92], v[97:98], v[89:90], v[83:84]
	ds_load_b128 v[83:86], v1 offset:576
	ds_load_b128 v[87:90], v1 offset:592
	s_waitcnt lgkmcnt(1)
	v_fma_f64 v[1:2], v[99:100], v[83:84], v[91:92]
	s_waitcnt vmcnt(1)
	s_delay_alu instid0(VALU_DEP_1) | instskip(SKIP_1) | instid1(VALU_DEP_1)
	v_fma_f64 v[1:2], v[109:110], v[85:86], v[1:2]
	s_waitcnt lgkmcnt(0)
	v_fma_f64 v[1:2], v[111:112], v[87:88], v[1:2]
	s_waitcnt vmcnt(0)
	s_delay_alu instid0(VALU_DEP_1) | instskip(NEXT) | instid1(VALU_DEP_1)
	v_fma_f64 v[1:2], v[101:102], v[89:90], v[1:2]
	v_add_f64 v[1:2], v[81:82], -v[1:2]
	scratch_store_b64 off, v[1:2], off offset:200
	v_cmpx_lt_u32_e32 24, v0
	s_cbranch_execz .LBB101_189
; %bb.188:
	scratch_load_b64 v[1:2], off, off offset:192
	v_mov_b32_e32 v81, 0
	s_delay_alu instid0(VALU_DEP_1)
	v_mov_b32_e32 v82, v81
	scratch_store_b64 off, v[81:82], off offset:192
	s_waitcnt vmcnt(0)
	ds_store_b64 v3, v[1:2]
.LBB101_189:
	s_or_b32 exec_lo, exec_lo, s0
	s_waitcnt lgkmcnt(0)
	s_waitcnt_vscnt null, 0x0
	s_barrier
	buffer_gl0_inv
	s_clause 0x4
	scratch_load_b128 v[81:84], off, off offset:192
	scratch_load_b128 v[85:88], off, off offset:208
	;; [unrolled: 1-line block ×5, first 2 shown]
	v_mov_b32_e32 v1, 0
	ds_load_2addr_b64 v[101:104], v1 offset0:63 offset1:64
	ds_load_2addr_b64 v[105:108], v1 offset0:65 offset1:66
	scratch_load_b128 v[109:112], off, off offset:272
	s_mov_b32 s0, exec_lo
	s_waitcnt vmcnt(5) lgkmcnt(1)
	v_fma_f64 v[83:84], v[83:84], v[101:102], 0
	s_waitcnt vmcnt(4)
	s_delay_alu instid0(VALU_DEP_1) | instskip(SKIP_1) | instid1(VALU_DEP_1)
	v_fma_f64 v[83:84], v[85:86], v[103:104], v[83:84]
	s_waitcnt lgkmcnt(0)
	v_fma_f64 v[87:88], v[87:88], v[105:106], v[83:84]
	scratch_load_b128 v[83:86], off, off offset:288
	s_waitcnt vmcnt(4)
	v_fma_f64 v[105:106], v[89:90], v[107:108], v[87:88]
	ds_load_2addr_b64 v[87:90], v1 offset0:67 offset1:68
	ds_load_2addr_b64 v[101:104], v1 offset0:69 offset1:70
	s_waitcnt lgkmcnt(1)
	v_fma_f64 v[87:88], v[91:92], v[87:88], v[105:106]
	s_waitcnt vmcnt(3)
	s_delay_alu instid0(VALU_DEP_1) | instskip(SKIP_1) | instid1(VALU_DEP_1)
	v_fma_f64 v[87:88], v[93:94], v[89:90], v[87:88]
	s_waitcnt lgkmcnt(0)
	v_fma_f64 v[87:88], v[95:96], v[101:102], v[87:88]
	s_waitcnt vmcnt(2)
	s_delay_alu instid0(VALU_DEP_1)
	v_fma_f64 v[95:96], v[97:98], v[103:104], v[87:88]
	ds_load_2addr_b64 v[87:90], v1 offset0:71 offset1:72
	ds_load_2addr_b64 v[91:94], v1 offset0:73 offset1:74
	s_waitcnt lgkmcnt(1)
	v_fma_f64 v[87:88], v[99:100], v[87:88], v[95:96]
	s_waitcnt vmcnt(1)
	s_delay_alu instid0(VALU_DEP_1) | instskip(SKIP_1) | instid1(VALU_DEP_1)
	v_fma_f64 v[87:88], v[109:110], v[89:90], v[87:88]
	s_waitcnt lgkmcnt(0)
	v_fma_f64 v[87:88], v[111:112], v[91:92], v[87:88]
	s_waitcnt vmcnt(0)
	s_delay_alu instid0(VALU_DEP_1) | instskip(SKIP_3) | instid1(VALU_DEP_1)
	v_fma_f64 v[83:84], v[83:84], v[93:94], v[87:88]
	ds_load_b64 v[87:88], v1 offset:600
	s_waitcnt lgkmcnt(0)
	v_fma_f64 v[83:84], v[85:86], v[87:88], v[83:84]
	v_add_f64 v[81:82], v[81:82], -v[83:84]
	scratch_store_b64 off, v[81:82], off offset:192
	v_cmpx_lt_u32_e32 23, v0
	s_cbranch_execz .LBB101_191
; %bb.190:
	scratch_load_b64 v[81:82], off, off offset:184
	v_mov_b32_e32 v2, v1
	scratch_store_b64 off, v[1:2], off offset:184
	s_waitcnt vmcnt(0)
	ds_store_b64 v3, v[81:82]
.LBB101_191:
	s_or_b32 exec_lo, exec_lo, s0
	s_waitcnt lgkmcnt(0)
	s_waitcnt_vscnt null, 0x0
	s_barrier
	buffer_gl0_inv
	s_clause 0x4
	scratch_load_b128 v[81:84], off, off offset:184
	scratch_load_b128 v[85:88], off, off offset:200
	;; [unrolled: 1-line block ×5, first 2 shown]
	ds_load_b128 v[101:104], v1 offset:496
	ds_load_b128 v[105:108], v1 offset:512
	scratch_load_b128 v[109:112], off, off offset:264
	s_mov_b32 s0, exec_lo
	s_waitcnt vmcnt(5) lgkmcnt(1)
	v_fma_f64 v[83:84], v[83:84], v[101:102], 0
	s_waitcnt vmcnt(4)
	s_delay_alu instid0(VALU_DEP_1) | instskip(SKIP_1) | instid1(VALU_DEP_1)
	v_fma_f64 v[83:84], v[85:86], v[103:104], v[83:84]
	s_waitcnt lgkmcnt(0)
	v_fma_f64 v[87:88], v[87:88], v[105:106], v[83:84]
	scratch_load_b128 v[83:86], off, off offset:280
	s_waitcnt vmcnt(4)
	v_fma_f64 v[105:106], v[89:90], v[107:108], v[87:88]
	ds_load_b128 v[87:90], v1 offset:528
	ds_load_b128 v[101:104], v1 offset:544
	s_waitcnt lgkmcnt(1)
	v_fma_f64 v[87:88], v[91:92], v[87:88], v[105:106]
	scratch_load_b64 v[105:106], off, off offset:296
	s_waitcnt vmcnt(4)
	v_fma_f64 v[87:88], v[93:94], v[89:90], v[87:88]
	s_waitcnt lgkmcnt(0)
	s_delay_alu instid0(VALU_DEP_1) | instskip(SKIP_1) | instid1(VALU_DEP_1)
	v_fma_f64 v[87:88], v[95:96], v[101:102], v[87:88]
	s_waitcnt vmcnt(3)
	v_fma_f64 v[95:96], v[97:98], v[103:104], v[87:88]
	ds_load_b128 v[87:90], v1 offset:560
	ds_load_b128 v[91:94], v1 offset:576
	s_waitcnt lgkmcnt(1)
	v_fma_f64 v[87:88], v[99:100], v[87:88], v[95:96]
	s_waitcnt vmcnt(2)
	s_delay_alu instid0(VALU_DEP_1) | instskip(SKIP_1) | instid1(VALU_DEP_1)
	v_fma_f64 v[87:88], v[109:110], v[89:90], v[87:88]
	s_waitcnt lgkmcnt(0)
	v_fma_f64 v[87:88], v[111:112], v[91:92], v[87:88]
	s_waitcnt vmcnt(1)
	s_delay_alu instid0(VALU_DEP_1) | instskip(SKIP_4) | instid1(VALU_DEP_1)
	v_fma_f64 v[83:84], v[83:84], v[93:94], v[87:88]
	ds_load_b128 v[87:90], v1 offset:592
	s_waitcnt lgkmcnt(0)
	v_fma_f64 v[1:2], v[85:86], v[87:88], v[83:84]
	s_waitcnt vmcnt(0)
	v_fma_f64 v[1:2], v[105:106], v[89:90], v[1:2]
	s_delay_alu instid0(VALU_DEP_1)
	v_add_f64 v[1:2], v[81:82], -v[1:2]
	scratch_store_b64 off, v[1:2], off offset:184
	v_cmpx_lt_u32_e32 22, v0
	s_cbranch_execz .LBB101_193
; %bb.192:
	scratch_load_b64 v[1:2], off, off offset:176
	v_mov_b32_e32 v81, 0
	s_delay_alu instid0(VALU_DEP_1)
	v_mov_b32_e32 v82, v81
	scratch_store_b64 off, v[81:82], off offset:176
	s_waitcnt vmcnt(0)
	ds_store_b64 v3, v[1:2]
.LBB101_193:
	s_or_b32 exec_lo, exec_lo, s0
	s_waitcnt lgkmcnt(0)
	s_waitcnt_vscnt null, 0x0
	s_barrier
	buffer_gl0_inv
	s_clause 0x4
	scratch_load_b128 v[81:84], off, off offset:176
	scratch_load_b128 v[85:88], off, off offset:192
	;; [unrolled: 1-line block ×5, first 2 shown]
	v_mov_b32_e32 v1, 0
	ds_load_2addr_b64 v[101:104], v1 offset0:61 offset1:62
	ds_load_2addr_b64 v[105:108], v1 offset0:63 offset1:64
	scratch_load_b128 v[109:112], off, off offset:256
	s_mov_b32 s0, exec_lo
	s_waitcnt vmcnt(5) lgkmcnt(1)
	v_fma_f64 v[83:84], v[83:84], v[101:102], 0
	s_waitcnt vmcnt(4)
	s_delay_alu instid0(VALU_DEP_1) | instskip(SKIP_1) | instid1(VALU_DEP_1)
	v_fma_f64 v[83:84], v[85:86], v[103:104], v[83:84]
	s_waitcnt lgkmcnt(0)
	v_fma_f64 v[87:88], v[87:88], v[105:106], v[83:84]
	scratch_load_b128 v[83:86], off, off offset:272
	s_waitcnt vmcnt(4)
	v_fma_f64 v[105:106], v[89:90], v[107:108], v[87:88]
	ds_load_2addr_b64 v[87:90], v1 offset0:65 offset1:66
	ds_load_2addr_b64 v[101:104], v1 offset0:67 offset1:68
	s_waitcnt lgkmcnt(1)
	v_fma_f64 v[87:88], v[91:92], v[87:88], v[105:106]
	scratch_load_b128 v[105:108], off, off offset:288
	s_waitcnt vmcnt(4)
	v_fma_f64 v[87:88], v[93:94], v[89:90], v[87:88]
	s_waitcnt lgkmcnt(0)
	s_delay_alu instid0(VALU_DEP_1) | instskip(SKIP_1) | instid1(VALU_DEP_1)
	v_fma_f64 v[87:88], v[95:96], v[101:102], v[87:88]
	s_waitcnt vmcnt(3)
	v_fma_f64 v[95:96], v[97:98], v[103:104], v[87:88]
	ds_load_2addr_b64 v[87:90], v1 offset0:69 offset1:70
	ds_load_2addr_b64 v[91:94], v1 offset0:71 offset1:72
	s_waitcnt lgkmcnt(1)
	v_fma_f64 v[87:88], v[99:100], v[87:88], v[95:96]
	s_waitcnt vmcnt(2)
	s_delay_alu instid0(VALU_DEP_1) | instskip(SKIP_1) | instid1(VALU_DEP_1)
	v_fma_f64 v[87:88], v[109:110], v[89:90], v[87:88]
	s_waitcnt lgkmcnt(0)
	v_fma_f64 v[87:88], v[111:112], v[91:92], v[87:88]
	s_waitcnt vmcnt(1)
	s_delay_alu instid0(VALU_DEP_1)
	v_fma_f64 v[83:84], v[83:84], v[93:94], v[87:88]
	ds_load_2addr_b64 v[87:90], v1 offset0:73 offset1:74
	ds_load_b64 v[91:92], v1 offset:600
	s_waitcnt lgkmcnt(1)
	v_fma_f64 v[83:84], v[85:86], v[87:88], v[83:84]
	s_waitcnt vmcnt(0)
	s_delay_alu instid0(VALU_DEP_1) | instskip(SKIP_1) | instid1(VALU_DEP_1)
	v_fma_f64 v[83:84], v[105:106], v[89:90], v[83:84]
	s_waitcnt lgkmcnt(0)
	v_fma_f64 v[83:84], v[107:108], v[91:92], v[83:84]
	s_delay_alu instid0(VALU_DEP_1)
	v_add_f64 v[81:82], v[81:82], -v[83:84]
	scratch_store_b64 off, v[81:82], off offset:176
	v_cmpx_lt_u32_e32 21, v0
	s_cbranch_execz .LBB101_195
; %bb.194:
	scratch_load_b64 v[81:82], off, off offset:168
	v_mov_b32_e32 v2, v1
	scratch_store_b64 off, v[1:2], off offset:168
	s_waitcnt vmcnt(0)
	ds_store_b64 v3, v[81:82]
.LBB101_195:
	s_or_b32 exec_lo, exec_lo, s0
	s_waitcnt lgkmcnt(0)
	s_waitcnt_vscnt null, 0x0
	s_barrier
	buffer_gl0_inv
	s_clause 0x4
	scratch_load_b128 v[81:84], off, off offset:168
	scratch_load_b128 v[85:88], off, off offset:184
	;; [unrolled: 1-line block ×5, first 2 shown]
	ds_load_b128 v[101:104], v1 offset:480
	ds_load_b128 v[105:108], v1 offset:496
	scratch_load_b128 v[109:112], off, off offset:248
	s_mov_b32 s0, exec_lo
	s_waitcnt vmcnt(5) lgkmcnt(1)
	v_fma_f64 v[83:84], v[83:84], v[101:102], 0
	s_waitcnt vmcnt(4)
	s_delay_alu instid0(VALU_DEP_1) | instskip(SKIP_1) | instid1(VALU_DEP_1)
	v_fma_f64 v[83:84], v[85:86], v[103:104], v[83:84]
	s_waitcnt lgkmcnt(0)
	v_fma_f64 v[87:88], v[87:88], v[105:106], v[83:84]
	scratch_load_b128 v[83:86], off, off offset:264
	s_waitcnt vmcnt(4)
	v_fma_f64 v[105:106], v[89:90], v[107:108], v[87:88]
	ds_load_b128 v[87:90], v1 offset:512
	ds_load_b128 v[101:104], v1 offset:528
	s_waitcnt lgkmcnt(1)
	v_fma_f64 v[87:88], v[91:92], v[87:88], v[105:106]
	scratch_load_b128 v[105:108], off, off offset:280
	s_waitcnt vmcnt(4)
	v_fma_f64 v[87:88], v[93:94], v[89:90], v[87:88]
	s_waitcnt lgkmcnt(0)
	s_delay_alu instid0(VALU_DEP_1)
	v_fma_f64 v[87:88], v[95:96], v[101:102], v[87:88]
	scratch_load_b64 v[95:96], off, off offset:296
	s_waitcnt vmcnt(4)
	v_fma_f64 v[97:98], v[97:98], v[103:104], v[87:88]
	ds_load_b128 v[87:90], v1 offset:544
	ds_load_b128 v[91:94], v1 offset:560
	s_waitcnt lgkmcnt(1)
	v_fma_f64 v[87:88], v[99:100], v[87:88], v[97:98]
	s_waitcnt vmcnt(3)
	s_delay_alu instid0(VALU_DEP_1) | instskip(SKIP_1) | instid1(VALU_DEP_1)
	v_fma_f64 v[87:88], v[109:110], v[89:90], v[87:88]
	s_waitcnt lgkmcnt(0)
	v_fma_f64 v[87:88], v[111:112], v[91:92], v[87:88]
	s_waitcnt vmcnt(2)
	s_delay_alu instid0(VALU_DEP_1)
	v_fma_f64 v[83:84], v[83:84], v[93:94], v[87:88]
	ds_load_b128 v[87:90], v1 offset:576
	ds_load_b128 v[91:94], v1 offset:592
	s_waitcnt lgkmcnt(1)
	v_fma_f64 v[1:2], v[85:86], v[87:88], v[83:84]
	s_waitcnt vmcnt(1)
	s_delay_alu instid0(VALU_DEP_1) | instskip(SKIP_1) | instid1(VALU_DEP_1)
	v_fma_f64 v[1:2], v[105:106], v[89:90], v[1:2]
	s_waitcnt lgkmcnt(0)
	v_fma_f64 v[1:2], v[107:108], v[91:92], v[1:2]
	s_waitcnt vmcnt(0)
	s_delay_alu instid0(VALU_DEP_1) | instskip(NEXT) | instid1(VALU_DEP_1)
	v_fma_f64 v[1:2], v[95:96], v[93:94], v[1:2]
	v_add_f64 v[1:2], v[81:82], -v[1:2]
	scratch_store_b64 off, v[1:2], off offset:168
	v_cmpx_lt_u32_e32 20, v0
	s_cbranch_execz .LBB101_197
; %bb.196:
	scratch_load_b64 v[1:2], off, off offset:160
	v_mov_b32_e32 v81, 0
	s_delay_alu instid0(VALU_DEP_1)
	v_mov_b32_e32 v82, v81
	scratch_store_b64 off, v[81:82], off offset:160
	s_waitcnt vmcnt(0)
	ds_store_b64 v3, v[1:2]
.LBB101_197:
	s_or_b32 exec_lo, exec_lo, s0
	s_waitcnt lgkmcnt(0)
	s_waitcnt_vscnt null, 0x0
	s_barrier
	buffer_gl0_inv
	s_clause 0x4
	scratch_load_b128 v[81:84], off, off offset:160
	scratch_load_b128 v[85:88], off, off offset:176
	;; [unrolled: 1-line block ×5, first 2 shown]
	v_mov_b32_e32 v1, 0
	ds_load_2addr_b64 v[101:104], v1 offset0:59 offset1:60
	ds_load_2addr_b64 v[105:108], v1 offset0:61 offset1:62
	scratch_load_b128 v[109:112], off, off offset:240
	s_mov_b32 s0, exec_lo
	s_waitcnt vmcnt(5) lgkmcnt(1)
	v_fma_f64 v[83:84], v[83:84], v[101:102], 0
	s_waitcnt vmcnt(4)
	s_delay_alu instid0(VALU_DEP_1) | instskip(SKIP_1) | instid1(VALU_DEP_1)
	v_fma_f64 v[83:84], v[85:86], v[103:104], v[83:84]
	s_waitcnt lgkmcnt(0)
	v_fma_f64 v[87:88], v[87:88], v[105:106], v[83:84]
	scratch_load_b128 v[83:86], off, off offset:256
	s_waitcnt vmcnt(4)
	v_fma_f64 v[105:106], v[89:90], v[107:108], v[87:88]
	ds_load_2addr_b64 v[87:90], v1 offset0:63 offset1:64
	ds_load_2addr_b64 v[101:104], v1 offset0:65 offset1:66
	s_waitcnt lgkmcnt(1)
	v_fma_f64 v[87:88], v[91:92], v[87:88], v[105:106]
	scratch_load_b128 v[105:108], off, off offset:272
	s_waitcnt vmcnt(4)
	v_fma_f64 v[87:88], v[93:94], v[89:90], v[87:88]
	s_waitcnt lgkmcnt(0)
	s_delay_alu instid0(VALU_DEP_1)
	v_fma_f64 v[91:92], v[95:96], v[101:102], v[87:88]
	scratch_load_b128 v[87:90], off, off offset:288
	s_waitcnt vmcnt(4)
	v_fma_f64 v[101:102], v[97:98], v[103:104], v[91:92]
	ds_load_2addr_b64 v[91:94], v1 offset0:67 offset1:68
	ds_load_2addr_b64 v[95:98], v1 offset0:69 offset1:70
	s_waitcnt lgkmcnt(1)
	v_fma_f64 v[91:92], v[99:100], v[91:92], v[101:102]
	s_waitcnt vmcnt(3)
	s_delay_alu instid0(VALU_DEP_1) | instskip(SKIP_1) | instid1(VALU_DEP_1)
	v_fma_f64 v[91:92], v[109:110], v[93:94], v[91:92]
	s_waitcnt lgkmcnt(0)
	v_fma_f64 v[91:92], v[111:112], v[95:96], v[91:92]
	s_waitcnt vmcnt(2)
	s_delay_alu instid0(VALU_DEP_1)
	v_fma_f64 v[83:84], v[83:84], v[97:98], v[91:92]
	ds_load_2addr_b64 v[91:94], v1 offset0:71 offset1:72
	ds_load_2addr_b64 v[95:98], v1 offset0:73 offset1:74
	s_waitcnt lgkmcnt(1)
	v_fma_f64 v[83:84], v[85:86], v[91:92], v[83:84]
	ds_load_b64 v[85:86], v1 offset:600
	s_waitcnt vmcnt(1)
	v_fma_f64 v[83:84], v[105:106], v[93:94], v[83:84]
	s_waitcnt lgkmcnt(1)
	s_delay_alu instid0(VALU_DEP_1) | instskip(SKIP_1) | instid1(VALU_DEP_1)
	v_fma_f64 v[83:84], v[107:108], v[95:96], v[83:84]
	s_waitcnt vmcnt(0)
	v_fma_f64 v[83:84], v[87:88], v[97:98], v[83:84]
	s_waitcnt lgkmcnt(0)
	s_delay_alu instid0(VALU_DEP_1) | instskip(NEXT) | instid1(VALU_DEP_1)
	v_fma_f64 v[83:84], v[89:90], v[85:86], v[83:84]
	v_add_f64 v[81:82], v[81:82], -v[83:84]
	scratch_store_b64 off, v[81:82], off offset:160
	v_cmpx_lt_u32_e32 19, v0
	s_cbranch_execz .LBB101_199
; %bb.198:
	scratch_load_b64 v[81:82], off, off offset:152
	v_mov_b32_e32 v2, v1
	scratch_store_b64 off, v[1:2], off offset:152
	s_waitcnt vmcnt(0)
	ds_store_b64 v3, v[81:82]
.LBB101_199:
	s_or_b32 exec_lo, exec_lo, s0
	s_waitcnt lgkmcnt(0)
	s_waitcnt_vscnt null, 0x0
	s_barrier
	buffer_gl0_inv
	s_clause 0x4
	scratch_load_b128 v[81:84], off, off offset:152
	scratch_load_b128 v[85:88], off, off offset:168
	scratch_load_b128 v[89:92], off, off offset:184
	scratch_load_b128 v[93:96], off, off offset:200
	scratch_load_b128 v[97:100], off, off offset:216
	ds_load_b128 v[101:104], v1 offset:464
	ds_load_b128 v[105:108], v1 offset:480
	scratch_load_b128 v[109:112], off, off offset:232
	s_mov_b32 s0, exec_lo
	s_waitcnt vmcnt(5) lgkmcnt(1)
	v_fma_f64 v[83:84], v[83:84], v[101:102], 0
	s_waitcnt vmcnt(4)
	s_delay_alu instid0(VALU_DEP_1) | instskip(SKIP_1) | instid1(VALU_DEP_1)
	v_fma_f64 v[83:84], v[85:86], v[103:104], v[83:84]
	s_waitcnt lgkmcnt(0)
	v_fma_f64 v[87:88], v[87:88], v[105:106], v[83:84]
	scratch_load_b128 v[83:86], off, off offset:248
	s_waitcnt vmcnt(4)
	v_fma_f64 v[105:106], v[89:90], v[107:108], v[87:88]
	ds_load_b128 v[87:90], v1 offset:496
	ds_load_b128 v[101:104], v1 offset:512
	s_waitcnt lgkmcnt(1)
	v_fma_f64 v[87:88], v[91:92], v[87:88], v[105:106]
	scratch_load_b128 v[105:108], off, off offset:264
	s_waitcnt vmcnt(4)
	v_fma_f64 v[87:88], v[93:94], v[89:90], v[87:88]
	s_waitcnt lgkmcnt(0)
	s_delay_alu instid0(VALU_DEP_1)
	v_fma_f64 v[91:92], v[95:96], v[101:102], v[87:88]
	scratch_load_b128 v[87:90], off, off offset:280
	s_waitcnt vmcnt(4)
	v_fma_f64 v[101:102], v[97:98], v[103:104], v[91:92]
	ds_load_b128 v[91:94], v1 offset:528
	ds_load_b128 v[95:98], v1 offset:544
	s_waitcnt lgkmcnt(1)
	v_fma_f64 v[91:92], v[99:100], v[91:92], v[101:102]
	scratch_load_b64 v[99:100], off, off offset:296
	s_waitcnt vmcnt(4)
	v_fma_f64 v[91:92], v[109:110], v[93:94], v[91:92]
	s_waitcnt lgkmcnt(0)
	s_delay_alu instid0(VALU_DEP_1) | instskip(SKIP_1) | instid1(VALU_DEP_1)
	v_fma_f64 v[91:92], v[111:112], v[95:96], v[91:92]
	s_waitcnt vmcnt(3)
	v_fma_f64 v[83:84], v[83:84], v[97:98], v[91:92]
	ds_load_b128 v[91:94], v1 offset:560
	ds_load_b128 v[95:98], v1 offset:576
	s_waitcnt lgkmcnt(1)
	v_fma_f64 v[83:84], v[85:86], v[91:92], v[83:84]
	s_waitcnt vmcnt(2)
	s_delay_alu instid0(VALU_DEP_1) | instskip(SKIP_1) | instid1(VALU_DEP_1)
	v_fma_f64 v[83:84], v[105:106], v[93:94], v[83:84]
	s_waitcnt lgkmcnt(0)
	v_fma_f64 v[83:84], v[107:108], v[95:96], v[83:84]
	s_waitcnt vmcnt(1)
	s_delay_alu instid0(VALU_DEP_1) | instskip(SKIP_4) | instid1(VALU_DEP_1)
	v_fma_f64 v[87:88], v[87:88], v[97:98], v[83:84]
	ds_load_b128 v[83:86], v1 offset:592
	s_waitcnt lgkmcnt(0)
	v_fma_f64 v[1:2], v[89:90], v[83:84], v[87:88]
	s_waitcnt vmcnt(0)
	v_fma_f64 v[1:2], v[99:100], v[85:86], v[1:2]
	s_delay_alu instid0(VALU_DEP_1)
	v_add_f64 v[1:2], v[81:82], -v[1:2]
	scratch_store_b64 off, v[1:2], off offset:152
	v_cmpx_lt_u32_e32 18, v0
	s_cbranch_execz .LBB101_201
; %bb.200:
	scratch_load_b64 v[1:2], off, off offset:144
	v_mov_b32_e32 v81, 0
	s_delay_alu instid0(VALU_DEP_1)
	v_mov_b32_e32 v82, v81
	scratch_store_b64 off, v[81:82], off offset:144
	s_waitcnt vmcnt(0)
	ds_store_b64 v3, v[1:2]
.LBB101_201:
	s_or_b32 exec_lo, exec_lo, s0
	s_waitcnt lgkmcnt(0)
	s_waitcnt_vscnt null, 0x0
	s_barrier
	buffer_gl0_inv
	s_clause 0x4
	scratch_load_b128 v[81:84], off, off offset:144
	scratch_load_b128 v[85:88], off, off offset:160
	;; [unrolled: 1-line block ×5, first 2 shown]
	v_mov_b32_e32 v1, 0
	ds_load_2addr_b64 v[101:104], v1 offset0:57 offset1:58
	ds_load_2addr_b64 v[105:108], v1 offset0:59 offset1:60
	scratch_load_b128 v[109:112], off, off offset:224
	s_mov_b32 s0, exec_lo
	s_waitcnt vmcnt(5) lgkmcnt(1)
	v_fma_f64 v[83:84], v[83:84], v[101:102], 0
	s_waitcnt vmcnt(4)
	s_delay_alu instid0(VALU_DEP_1) | instskip(SKIP_1) | instid1(VALU_DEP_1)
	v_fma_f64 v[83:84], v[85:86], v[103:104], v[83:84]
	s_waitcnt lgkmcnt(0)
	v_fma_f64 v[87:88], v[87:88], v[105:106], v[83:84]
	scratch_load_b128 v[83:86], off, off offset:240
	s_waitcnt vmcnt(4)
	v_fma_f64 v[105:106], v[89:90], v[107:108], v[87:88]
	ds_load_2addr_b64 v[87:90], v1 offset0:61 offset1:62
	ds_load_2addr_b64 v[101:104], v1 offset0:63 offset1:64
	s_waitcnt lgkmcnt(1)
	v_fma_f64 v[87:88], v[91:92], v[87:88], v[105:106]
	scratch_load_b128 v[105:108], off, off offset:256
	s_waitcnt vmcnt(4)
	v_fma_f64 v[87:88], v[93:94], v[89:90], v[87:88]
	s_waitcnt lgkmcnt(0)
	s_delay_alu instid0(VALU_DEP_1)
	v_fma_f64 v[91:92], v[95:96], v[101:102], v[87:88]
	scratch_load_b128 v[87:90], off, off offset:272
	s_waitcnt vmcnt(4)
	v_fma_f64 v[101:102], v[97:98], v[103:104], v[91:92]
	ds_load_2addr_b64 v[91:94], v1 offset0:65 offset1:66
	ds_load_2addr_b64 v[95:98], v1 offset0:67 offset1:68
	s_waitcnt lgkmcnt(1)
	v_fma_f64 v[91:92], v[99:100], v[91:92], v[101:102]
	scratch_load_b128 v[99:102], off, off offset:288
	s_waitcnt vmcnt(4)
	v_fma_f64 v[91:92], v[109:110], v[93:94], v[91:92]
	s_waitcnt lgkmcnt(0)
	s_delay_alu instid0(VALU_DEP_1) | instskip(SKIP_1) | instid1(VALU_DEP_1)
	v_fma_f64 v[91:92], v[111:112], v[95:96], v[91:92]
	s_waitcnt vmcnt(3)
	v_fma_f64 v[83:84], v[83:84], v[97:98], v[91:92]
	ds_load_2addr_b64 v[91:94], v1 offset0:69 offset1:70
	ds_load_2addr_b64 v[95:98], v1 offset0:71 offset1:72
	s_waitcnt lgkmcnt(1)
	v_fma_f64 v[83:84], v[85:86], v[91:92], v[83:84]
	s_waitcnt vmcnt(2)
	s_delay_alu instid0(VALU_DEP_1) | instskip(SKIP_1) | instid1(VALU_DEP_1)
	v_fma_f64 v[83:84], v[105:106], v[93:94], v[83:84]
	s_waitcnt lgkmcnt(0)
	v_fma_f64 v[83:84], v[107:108], v[95:96], v[83:84]
	s_waitcnt vmcnt(1)
	s_delay_alu instid0(VALU_DEP_1)
	v_fma_f64 v[87:88], v[87:88], v[97:98], v[83:84]
	ds_load_2addr_b64 v[83:86], v1 offset0:73 offset1:74
	ds_load_b64 v[91:92], v1 offset:600
	s_waitcnt lgkmcnt(1)
	v_fma_f64 v[83:84], v[89:90], v[83:84], v[87:88]
	s_waitcnt vmcnt(0)
	s_delay_alu instid0(VALU_DEP_1) | instskip(SKIP_1) | instid1(VALU_DEP_1)
	v_fma_f64 v[83:84], v[99:100], v[85:86], v[83:84]
	s_waitcnt lgkmcnt(0)
	v_fma_f64 v[83:84], v[101:102], v[91:92], v[83:84]
	s_delay_alu instid0(VALU_DEP_1)
	v_add_f64 v[81:82], v[81:82], -v[83:84]
	scratch_store_b64 off, v[81:82], off offset:144
	v_cmpx_lt_u32_e32 17, v0
	s_cbranch_execz .LBB101_203
; %bb.202:
	scratch_load_b64 v[81:82], off, off offset:136
	v_mov_b32_e32 v2, v1
	scratch_store_b64 off, v[1:2], off offset:136
	s_waitcnt vmcnt(0)
	ds_store_b64 v3, v[81:82]
.LBB101_203:
	s_or_b32 exec_lo, exec_lo, s0
	s_waitcnt lgkmcnt(0)
	s_waitcnt_vscnt null, 0x0
	s_barrier
	buffer_gl0_inv
	s_clause 0x4
	scratch_load_b128 v[81:84], off, off offset:136
	scratch_load_b128 v[85:88], off, off offset:152
	scratch_load_b128 v[89:92], off, off offset:168
	scratch_load_b128 v[93:96], off, off offset:184
	scratch_load_b128 v[97:100], off, off offset:200
	ds_load_b128 v[101:104], v1 offset:448
	ds_load_b128 v[105:108], v1 offset:464
	scratch_load_b128 v[109:112], off, off offset:216
	s_mov_b32 s0, exec_lo
	s_waitcnt vmcnt(5) lgkmcnt(1)
	v_fma_f64 v[83:84], v[83:84], v[101:102], 0
	s_waitcnt vmcnt(4)
	s_delay_alu instid0(VALU_DEP_1) | instskip(SKIP_1) | instid1(VALU_DEP_1)
	v_fma_f64 v[83:84], v[85:86], v[103:104], v[83:84]
	s_waitcnt lgkmcnt(0)
	v_fma_f64 v[87:88], v[87:88], v[105:106], v[83:84]
	scratch_load_b128 v[83:86], off, off offset:232
	s_waitcnt vmcnt(4)
	v_fma_f64 v[105:106], v[89:90], v[107:108], v[87:88]
	ds_load_b128 v[87:90], v1 offset:480
	ds_load_b128 v[101:104], v1 offset:496
	s_waitcnt lgkmcnt(1)
	v_fma_f64 v[87:88], v[91:92], v[87:88], v[105:106]
	scratch_load_b128 v[105:108], off, off offset:248
	s_waitcnt vmcnt(4)
	v_fma_f64 v[87:88], v[93:94], v[89:90], v[87:88]
	s_waitcnt lgkmcnt(0)
	s_delay_alu instid0(VALU_DEP_1)
	v_fma_f64 v[91:92], v[95:96], v[101:102], v[87:88]
	scratch_load_b128 v[87:90], off, off offset:264
	s_waitcnt vmcnt(4)
	v_fma_f64 v[101:102], v[97:98], v[103:104], v[91:92]
	ds_load_b128 v[91:94], v1 offset:512
	ds_load_b128 v[95:98], v1 offset:528
	scratch_load_b64 v[103:104], off, off offset:296
	s_waitcnt lgkmcnt(1)
	v_fma_f64 v[91:92], v[99:100], v[91:92], v[101:102]
	scratch_load_b128 v[99:102], off, off offset:280
	s_waitcnt vmcnt(5)
	v_fma_f64 v[91:92], v[109:110], v[93:94], v[91:92]
	s_waitcnt lgkmcnt(0)
	s_delay_alu instid0(VALU_DEP_1) | instskip(SKIP_1) | instid1(VALU_DEP_1)
	v_fma_f64 v[91:92], v[111:112], v[95:96], v[91:92]
	s_waitcnt vmcnt(4)
	v_fma_f64 v[83:84], v[83:84], v[97:98], v[91:92]
	ds_load_b128 v[91:94], v1 offset:544
	ds_load_b128 v[95:98], v1 offset:560
	s_waitcnt lgkmcnt(1)
	v_fma_f64 v[83:84], v[85:86], v[91:92], v[83:84]
	s_waitcnt vmcnt(3)
	s_delay_alu instid0(VALU_DEP_1) | instskip(SKIP_1) | instid1(VALU_DEP_1)
	v_fma_f64 v[83:84], v[105:106], v[93:94], v[83:84]
	s_waitcnt lgkmcnt(0)
	v_fma_f64 v[83:84], v[107:108], v[95:96], v[83:84]
	s_waitcnt vmcnt(2)
	s_delay_alu instid0(VALU_DEP_1)
	v_fma_f64 v[87:88], v[87:88], v[97:98], v[83:84]
	ds_load_b128 v[83:86], v1 offset:576
	ds_load_b128 v[91:94], v1 offset:592
	s_waitcnt lgkmcnt(1)
	v_fma_f64 v[1:2], v[89:90], v[83:84], v[87:88]
	s_waitcnt vmcnt(0)
	s_delay_alu instid0(VALU_DEP_1) | instskip(SKIP_1) | instid1(VALU_DEP_1)
	v_fma_f64 v[1:2], v[99:100], v[85:86], v[1:2]
	s_waitcnt lgkmcnt(0)
	v_fma_f64 v[1:2], v[101:102], v[91:92], v[1:2]
	s_delay_alu instid0(VALU_DEP_1) | instskip(NEXT) | instid1(VALU_DEP_1)
	v_fma_f64 v[1:2], v[103:104], v[93:94], v[1:2]
	v_add_f64 v[1:2], v[81:82], -v[1:2]
	scratch_store_b64 off, v[1:2], off offset:136
	v_cmpx_lt_u32_e32 16, v0
	s_cbranch_execz .LBB101_205
; %bb.204:
	scratch_load_b64 v[1:2], off, off offset:128
	v_mov_b32_e32 v81, 0
	s_delay_alu instid0(VALU_DEP_1)
	v_mov_b32_e32 v82, v81
	scratch_store_b64 off, v[81:82], off offset:128
	s_waitcnt vmcnt(0)
	ds_store_b64 v3, v[1:2]
.LBB101_205:
	s_or_b32 exec_lo, exec_lo, s0
	s_waitcnt lgkmcnt(0)
	s_waitcnt_vscnt null, 0x0
	s_barrier
	buffer_gl0_inv
	s_clause 0x4
	scratch_load_b128 v[81:84], off, off offset:128
	scratch_load_b128 v[85:88], off, off offset:144
	;; [unrolled: 1-line block ×5, first 2 shown]
	v_mov_b32_e32 v1, 0
	ds_load_2addr_b64 v[101:104], v1 offset0:55 offset1:56
	ds_load_2addr_b64 v[105:108], v1 offset0:57 offset1:58
	scratch_load_b128 v[109:112], off, off offset:208
	s_mov_b32 s0, exec_lo
	s_waitcnt vmcnt(5) lgkmcnt(1)
	v_fma_f64 v[83:84], v[83:84], v[101:102], 0
	s_waitcnt vmcnt(4)
	s_delay_alu instid0(VALU_DEP_1) | instskip(SKIP_1) | instid1(VALU_DEP_1)
	v_fma_f64 v[83:84], v[85:86], v[103:104], v[83:84]
	s_waitcnt lgkmcnt(0)
	v_fma_f64 v[87:88], v[87:88], v[105:106], v[83:84]
	scratch_load_b128 v[83:86], off, off offset:224
	s_waitcnt vmcnt(4)
	v_fma_f64 v[105:106], v[89:90], v[107:108], v[87:88]
	ds_load_2addr_b64 v[87:90], v1 offset0:59 offset1:60
	ds_load_2addr_b64 v[101:104], v1 offset0:61 offset1:62
	s_waitcnt lgkmcnt(1)
	v_fma_f64 v[87:88], v[91:92], v[87:88], v[105:106]
	scratch_load_b128 v[105:108], off, off offset:240
	s_waitcnt vmcnt(4)
	v_fma_f64 v[87:88], v[93:94], v[89:90], v[87:88]
	s_waitcnt lgkmcnt(0)
	s_delay_alu instid0(VALU_DEP_1)
	v_fma_f64 v[91:92], v[95:96], v[101:102], v[87:88]
	scratch_load_b128 v[87:90], off, off offset:256
	s_waitcnt vmcnt(4)
	v_fma_f64 v[101:102], v[97:98], v[103:104], v[91:92]
	ds_load_2addr_b64 v[91:94], v1 offset0:63 offset1:64
	ds_load_2addr_b64 v[95:98], v1 offset0:65 offset1:66
	s_waitcnt lgkmcnt(1)
	v_fma_f64 v[91:92], v[99:100], v[91:92], v[101:102]
	scratch_load_b128 v[99:102], off, off offset:272
	s_waitcnt vmcnt(4)
	v_fma_f64 v[91:92], v[109:110], v[93:94], v[91:92]
	s_waitcnt lgkmcnt(0)
	s_delay_alu instid0(VALU_DEP_1)
	v_fma_f64 v[95:96], v[111:112], v[95:96], v[91:92]
	scratch_load_b128 v[91:94], off, off offset:288
	s_waitcnt vmcnt(4)
	v_fma_f64 v[83:84], v[83:84], v[97:98], v[95:96]
	ds_load_2addr_b64 v[95:98], v1 offset0:67 offset1:68
	ds_load_2addr_b64 v[109:112], v1 offset0:69 offset1:70
	s_waitcnt lgkmcnt(1)
	v_fma_f64 v[83:84], v[85:86], v[95:96], v[83:84]
	s_waitcnt vmcnt(3)
	s_delay_alu instid0(VALU_DEP_1) | instskip(SKIP_1) | instid1(VALU_DEP_1)
	v_fma_f64 v[83:84], v[105:106], v[97:98], v[83:84]
	s_waitcnt lgkmcnt(0)
	v_fma_f64 v[83:84], v[107:108], v[109:110], v[83:84]
	s_waitcnt vmcnt(2)
	s_delay_alu instid0(VALU_DEP_1)
	v_fma_f64 v[87:88], v[87:88], v[111:112], v[83:84]
	ds_load_2addr_b64 v[83:86], v1 offset0:71 offset1:72
	ds_load_2addr_b64 v[95:98], v1 offset0:73 offset1:74
	s_waitcnt lgkmcnt(1)
	v_fma_f64 v[83:84], v[89:90], v[83:84], v[87:88]
	s_waitcnt vmcnt(1)
	s_delay_alu instid0(VALU_DEP_1) | instskip(SKIP_4) | instid1(VALU_DEP_1)
	v_fma_f64 v[83:84], v[99:100], v[85:86], v[83:84]
	ds_load_b64 v[85:86], v1 offset:600
	s_waitcnt lgkmcnt(1)
	v_fma_f64 v[83:84], v[101:102], v[95:96], v[83:84]
	s_waitcnt vmcnt(0)
	v_fma_f64 v[83:84], v[91:92], v[97:98], v[83:84]
	s_waitcnt lgkmcnt(0)
	s_delay_alu instid0(VALU_DEP_1) | instskip(NEXT) | instid1(VALU_DEP_1)
	v_fma_f64 v[83:84], v[93:94], v[85:86], v[83:84]
	v_add_f64 v[81:82], v[81:82], -v[83:84]
	scratch_store_b64 off, v[81:82], off offset:128
	v_cmpx_lt_u32_e32 15, v0
	s_cbranch_execz .LBB101_207
; %bb.206:
	scratch_load_b64 v[81:82], off, off offset:120
	v_mov_b32_e32 v2, v1
	scratch_store_b64 off, v[1:2], off offset:120
	s_waitcnt vmcnt(0)
	ds_store_b64 v3, v[81:82]
.LBB101_207:
	s_or_b32 exec_lo, exec_lo, s0
	s_waitcnt lgkmcnt(0)
	s_waitcnt_vscnt null, 0x0
	s_barrier
	buffer_gl0_inv
	s_clause 0x4
	scratch_load_b128 v[81:84], off, off offset:120
	scratch_load_b128 v[85:88], off, off offset:136
	;; [unrolled: 1-line block ×5, first 2 shown]
	ds_load_b128 v[101:104], v1 offset:432
	ds_load_b128 v[105:108], v1 offset:448
	scratch_load_b128 v[109:112], off, off offset:200
	s_mov_b32 s0, exec_lo
	s_waitcnt vmcnt(5) lgkmcnt(1)
	v_fma_f64 v[83:84], v[83:84], v[101:102], 0
	s_waitcnt vmcnt(4)
	s_delay_alu instid0(VALU_DEP_1) | instskip(SKIP_1) | instid1(VALU_DEP_1)
	v_fma_f64 v[83:84], v[85:86], v[103:104], v[83:84]
	s_waitcnt lgkmcnt(0)
	v_fma_f64 v[87:88], v[87:88], v[105:106], v[83:84]
	scratch_load_b128 v[83:86], off, off offset:216
	s_waitcnt vmcnt(4)
	v_fma_f64 v[105:106], v[89:90], v[107:108], v[87:88]
	ds_load_b128 v[87:90], v1 offset:464
	ds_load_b128 v[101:104], v1 offset:480
	s_waitcnt lgkmcnt(1)
	v_fma_f64 v[87:88], v[91:92], v[87:88], v[105:106]
	scratch_load_b128 v[105:108], off, off offset:232
	s_waitcnt vmcnt(4)
	v_fma_f64 v[87:88], v[93:94], v[89:90], v[87:88]
	s_waitcnt lgkmcnt(0)
	s_delay_alu instid0(VALU_DEP_1)
	v_fma_f64 v[91:92], v[95:96], v[101:102], v[87:88]
	scratch_load_b128 v[87:90], off, off offset:248
	s_waitcnt vmcnt(4)
	v_fma_f64 v[101:102], v[97:98], v[103:104], v[91:92]
	ds_load_b128 v[91:94], v1 offset:496
	ds_load_b128 v[95:98], v1 offset:512
	s_waitcnt lgkmcnt(1)
	v_fma_f64 v[91:92], v[99:100], v[91:92], v[101:102]
	scratch_load_b128 v[99:102], off, off offset:264
	s_waitcnt vmcnt(4)
	v_fma_f64 v[91:92], v[109:110], v[93:94], v[91:92]
	s_waitcnt lgkmcnt(0)
	s_delay_alu instid0(VALU_DEP_1)
	v_fma_f64 v[95:96], v[111:112], v[95:96], v[91:92]
	scratch_load_b128 v[91:94], off, off offset:280
	s_waitcnt vmcnt(4)
	v_fma_f64 v[83:84], v[83:84], v[97:98], v[95:96]
	ds_load_b128 v[95:98], v1 offset:528
	ds_load_b128 v[109:112], v1 offset:544
	scratch_load_b64 v[103:104], off, off offset:296
	s_waitcnt lgkmcnt(1)
	v_fma_f64 v[83:84], v[85:86], v[95:96], v[83:84]
	s_waitcnt vmcnt(4)
	s_delay_alu instid0(VALU_DEP_1) | instskip(SKIP_1) | instid1(VALU_DEP_1)
	v_fma_f64 v[83:84], v[105:106], v[97:98], v[83:84]
	s_waitcnt lgkmcnt(0)
	v_fma_f64 v[83:84], v[107:108], v[109:110], v[83:84]
	s_waitcnt vmcnt(3)
	s_delay_alu instid0(VALU_DEP_1)
	v_fma_f64 v[87:88], v[87:88], v[111:112], v[83:84]
	ds_load_b128 v[83:86], v1 offset:560
	ds_load_b128 v[95:98], v1 offset:576
	s_waitcnt lgkmcnt(1)
	v_fma_f64 v[83:84], v[89:90], v[83:84], v[87:88]
	s_waitcnt vmcnt(2)
	s_delay_alu instid0(VALU_DEP_1) | instskip(SKIP_1) | instid1(VALU_DEP_1)
	v_fma_f64 v[83:84], v[99:100], v[85:86], v[83:84]
	s_waitcnt lgkmcnt(0)
	v_fma_f64 v[83:84], v[101:102], v[95:96], v[83:84]
	s_waitcnt vmcnt(1)
	s_delay_alu instid0(VALU_DEP_1) | instskip(SKIP_4) | instid1(VALU_DEP_1)
	v_fma_f64 v[87:88], v[91:92], v[97:98], v[83:84]
	ds_load_b128 v[83:86], v1 offset:592
	s_waitcnt lgkmcnt(0)
	v_fma_f64 v[1:2], v[93:94], v[83:84], v[87:88]
	s_waitcnt vmcnt(0)
	v_fma_f64 v[1:2], v[103:104], v[85:86], v[1:2]
	s_delay_alu instid0(VALU_DEP_1)
	v_add_f64 v[1:2], v[81:82], -v[1:2]
	scratch_store_b64 off, v[1:2], off offset:120
	v_cmpx_lt_u32_e32 14, v0
	s_cbranch_execz .LBB101_209
; %bb.208:
	scratch_load_b64 v[1:2], off, off offset:112
	v_mov_b32_e32 v81, 0
	s_delay_alu instid0(VALU_DEP_1)
	v_mov_b32_e32 v82, v81
	scratch_store_b64 off, v[81:82], off offset:112
	s_waitcnt vmcnt(0)
	ds_store_b64 v3, v[1:2]
.LBB101_209:
	s_or_b32 exec_lo, exec_lo, s0
	s_waitcnt lgkmcnt(0)
	s_waitcnt_vscnt null, 0x0
	s_barrier
	buffer_gl0_inv
	s_clause 0x4
	scratch_load_b128 v[81:84], off, off offset:112
	scratch_load_b128 v[85:88], off, off offset:128
	;; [unrolled: 1-line block ×5, first 2 shown]
	v_mov_b32_e32 v1, 0
	ds_load_2addr_b64 v[101:104], v1 offset0:53 offset1:54
	ds_load_2addr_b64 v[105:108], v1 offset0:55 offset1:56
	scratch_load_b128 v[109:112], off, off offset:192
	s_mov_b32 s0, exec_lo
	s_waitcnt vmcnt(5) lgkmcnt(1)
	v_fma_f64 v[83:84], v[83:84], v[101:102], 0
	s_waitcnt vmcnt(4)
	s_delay_alu instid0(VALU_DEP_1) | instskip(SKIP_1) | instid1(VALU_DEP_1)
	v_fma_f64 v[83:84], v[85:86], v[103:104], v[83:84]
	s_waitcnt lgkmcnt(0)
	v_fma_f64 v[87:88], v[87:88], v[105:106], v[83:84]
	scratch_load_b128 v[83:86], off, off offset:208
	s_waitcnt vmcnt(4)
	v_fma_f64 v[105:106], v[89:90], v[107:108], v[87:88]
	ds_load_2addr_b64 v[87:90], v1 offset0:57 offset1:58
	ds_load_2addr_b64 v[101:104], v1 offset0:59 offset1:60
	s_waitcnt lgkmcnt(1)
	v_fma_f64 v[87:88], v[91:92], v[87:88], v[105:106]
	scratch_load_b128 v[105:108], off, off offset:224
	s_waitcnt vmcnt(4)
	v_fma_f64 v[87:88], v[93:94], v[89:90], v[87:88]
	s_waitcnt lgkmcnt(0)
	s_delay_alu instid0(VALU_DEP_1)
	v_fma_f64 v[91:92], v[95:96], v[101:102], v[87:88]
	scratch_load_b128 v[87:90], off, off offset:240
	s_waitcnt vmcnt(4)
	v_fma_f64 v[101:102], v[97:98], v[103:104], v[91:92]
	ds_load_2addr_b64 v[91:94], v1 offset0:61 offset1:62
	ds_load_2addr_b64 v[95:98], v1 offset0:63 offset1:64
	s_waitcnt lgkmcnt(1)
	v_fma_f64 v[91:92], v[99:100], v[91:92], v[101:102]
	scratch_load_b128 v[99:102], off, off offset:256
	s_waitcnt vmcnt(4)
	v_fma_f64 v[91:92], v[109:110], v[93:94], v[91:92]
	s_waitcnt lgkmcnt(0)
	s_delay_alu instid0(VALU_DEP_1)
	v_fma_f64 v[95:96], v[111:112], v[95:96], v[91:92]
	scratch_load_b128 v[91:94], off, off offset:272
	s_waitcnt vmcnt(4)
	v_fma_f64 v[83:84], v[83:84], v[97:98], v[95:96]
	ds_load_2addr_b64 v[95:98], v1 offset0:65 offset1:66
	ds_load_2addr_b64 v[109:112], v1 offset0:67 offset1:68
	s_waitcnt lgkmcnt(1)
	v_fma_f64 v[95:96], v[85:86], v[95:96], v[83:84]
	scratch_load_b128 v[83:86], off, off offset:288
	s_waitcnt vmcnt(4)
	v_fma_f64 v[95:96], v[105:106], v[97:98], v[95:96]
	s_waitcnt lgkmcnt(0)
	s_delay_alu instid0(VALU_DEP_1) | instskip(SKIP_1) | instid1(VALU_DEP_1)
	v_fma_f64 v[95:96], v[107:108], v[109:110], v[95:96]
	s_waitcnt vmcnt(3)
	v_fma_f64 v[87:88], v[87:88], v[111:112], v[95:96]
	ds_load_2addr_b64 v[95:98], v1 offset0:69 offset1:70
	ds_load_2addr_b64 v[103:106], v1 offset0:71 offset1:72
	s_waitcnt lgkmcnt(1)
	v_fma_f64 v[87:88], v[89:90], v[95:96], v[87:88]
	s_waitcnt vmcnt(2)
	s_delay_alu instid0(VALU_DEP_1) | instskip(SKIP_1) | instid1(VALU_DEP_1)
	v_fma_f64 v[87:88], v[99:100], v[97:98], v[87:88]
	s_waitcnt lgkmcnt(0)
	v_fma_f64 v[87:88], v[101:102], v[103:104], v[87:88]
	s_waitcnt vmcnt(1)
	s_delay_alu instid0(VALU_DEP_1)
	v_fma_f64 v[91:92], v[91:92], v[105:106], v[87:88]
	ds_load_2addr_b64 v[87:90], v1 offset0:73 offset1:74
	ds_load_b64 v[95:96], v1 offset:600
	s_waitcnt lgkmcnt(1)
	v_fma_f64 v[87:88], v[93:94], v[87:88], v[91:92]
	s_waitcnt vmcnt(0)
	s_delay_alu instid0(VALU_DEP_1) | instskip(SKIP_1) | instid1(VALU_DEP_1)
	v_fma_f64 v[83:84], v[83:84], v[89:90], v[87:88]
	s_waitcnt lgkmcnt(0)
	v_fma_f64 v[83:84], v[85:86], v[95:96], v[83:84]
	s_delay_alu instid0(VALU_DEP_1)
	v_add_f64 v[81:82], v[81:82], -v[83:84]
	scratch_store_b64 off, v[81:82], off offset:112
	v_cmpx_lt_u32_e32 13, v0
	s_cbranch_execz .LBB101_211
; %bb.210:
	scratch_load_b64 v[81:82], off, off offset:104
	v_mov_b32_e32 v2, v1
	scratch_store_b64 off, v[1:2], off offset:104
	s_waitcnt vmcnt(0)
	ds_store_b64 v3, v[81:82]
.LBB101_211:
	s_or_b32 exec_lo, exec_lo, s0
	s_waitcnt lgkmcnt(0)
	s_waitcnt_vscnt null, 0x0
	s_barrier
	buffer_gl0_inv
	s_clause 0x4
	scratch_load_b128 v[81:84], off, off offset:104
	scratch_load_b128 v[85:88], off, off offset:120
	;; [unrolled: 1-line block ×5, first 2 shown]
	ds_load_b128 v[101:104], v1 offset:416
	ds_load_b128 v[105:108], v1 offset:432
	scratch_load_b128 v[109:112], off, off offset:184
	s_mov_b32 s0, exec_lo
	s_waitcnt vmcnt(5) lgkmcnt(1)
	v_fma_f64 v[83:84], v[83:84], v[101:102], 0
	s_waitcnt vmcnt(4)
	s_delay_alu instid0(VALU_DEP_1) | instskip(SKIP_1) | instid1(VALU_DEP_1)
	v_fma_f64 v[83:84], v[85:86], v[103:104], v[83:84]
	s_waitcnt lgkmcnt(0)
	v_fma_f64 v[87:88], v[87:88], v[105:106], v[83:84]
	scratch_load_b128 v[83:86], off, off offset:200
	s_waitcnt vmcnt(4)
	v_fma_f64 v[105:106], v[89:90], v[107:108], v[87:88]
	ds_load_b128 v[87:90], v1 offset:448
	ds_load_b128 v[101:104], v1 offset:464
	s_waitcnt lgkmcnt(1)
	v_fma_f64 v[87:88], v[91:92], v[87:88], v[105:106]
	scratch_load_b128 v[105:108], off, off offset:216
	s_waitcnt vmcnt(4)
	v_fma_f64 v[87:88], v[93:94], v[89:90], v[87:88]
	s_waitcnt lgkmcnt(0)
	s_delay_alu instid0(VALU_DEP_1)
	v_fma_f64 v[91:92], v[95:96], v[101:102], v[87:88]
	scratch_load_b128 v[87:90], off, off offset:232
	s_waitcnt vmcnt(4)
	v_fma_f64 v[101:102], v[97:98], v[103:104], v[91:92]
	ds_load_b128 v[91:94], v1 offset:480
	ds_load_b128 v[95:98], v1 offset:496
	s_waitcnt lgkmcnt(1)
	v_fma_f64 v[91:92], v[99:100], v[91:92], v[101:102]
	scratch_load_b128 v[99:102], off, off offset:248
	s_waitcnt vmcnt(4)
	v_fma_f64 v[91:92], v[109:110], v[93:94], v[91:92]
	s_waitcnt lgkmcnt(0)
	s_delay_alu instid0(VALU_DEP_1)
	;; [unrolled: 13-line block ×3, first 2 shown]
	v_fma_f64 v[95:96], v[107:108], v[109:110], v[95:96]
	scratch_load_b64 v[107:108], off, off offset:296
	s_waitcnt vmcnt(4)
	v_fma_f64 v[87:88], v[87:88], v[111:112], v[95:96]
	ds_load_b128 v[95:98], v1 offset:544
	ds_load_b128 v[103:106], v1 offset:560
	s_waitcnt lgkmcnt(1)
	v_fma_f64 v[87:88], v[89:90], v[95:96], v[87:88]
	s_waitcnt vmcnt(3)
	s_delay_alu instid0(VALU_DEP_1) | instskip(SKIP_1) | instid1(VALU_DEP_1)
	v_fma_f64 v[87:88], v[99:100], v[97:98], v[87:88]
	s_waitcnt lgkmcnt(0)
	v_fma_f64 v[87:88], v[101:102], v[103:104], v[87:88]
	s_waitcnt vmcnt(2)
	s_delay_alu instid0(VALU_DEP_1)
	v_fma_f64 v[91:92], v[91:92], v[105:106], v[87:88]
	ds_load_b128 v[87:90], v1 offset:576
	ds_load_b128 v[95:98], v1 offset:592
	s_waitcnt lgkmcnt(1)
	v_fma_f64 v[1:2], v[93:94], v[87:88], v[91:92]
	s_waitcnt vmcnt(1)
	s_delay_alu instid0(VALU_DEP_1) | instskip(SKIP_1) | instid1(VALU_DEP_1)
	v_fma_f64 v[1:2], v[83:84], v[89:90], v[1:2]
	s_waitcnt lgkmcnt(0)
	v_fma_f64 v[1:2], v[85:86], v[95:96], v[1:2]
	s_waitcnt vmcnt(0)
	s_delay_alu instid0(VALU_DEP_1) | instskip(NEXT) | instid1(VALU_DEP_1)
	v_fma_f64 v[1:2], v[107:108], v[97:98], v[1:2]
	v_add_f64 v[1:2], v[81:82], -v[1:2]
	scratch_store_b64 off, v[1:2], off offset:104
	v_cmpx_lt_u32_e32 12, v0
	s_cbranch_execz .LBB101_213
; %bb.212:
	scratch_load_b64 v[1:2], off, off offset:96
	v_mov_b32_e32 v81, 0
	s_delay_alu instid0(VALU_DEP_1)
	v_mov_b32_e32 v82, v81
	scratch_store_b64 off, v[81:82], off offset:96
	s_waitcnt vmcnt(0)
	ds_store_b64 v3, v[1:2]
.LBB101_213:
	s_or_b32 exec_lo, exec_lo, s0
	s_waitcnt lgkmcnt(0)
	s_waitcnt_vscnt null, 0x0
	s_barrier
	buffer_gl0_inv
	s_clause 0x4
	scratch_load_b128 v[81:84], off, off offset:96
	scratch_load_b128 v[85:88], off, off offset:112
	;; [unrolled: 1-line block ×5, first 2 shown]
	v_mov_b32_e32 v1, 0
	ds_load_2addr_b64 v[101:104], v1 offset0:51 offset1:52
	ds_load_2addr_b64 v[105:108], v1 offset0:53 offset1:54
	scratch_load_b128 v[109:112], off, off offset:176
	s_mov_b32 s0, exec_lo
	s_waitcnt vmcnt(5) lgkmcnt(1)
	v_fma_f64 v[83:84], v[83:84], v[101:102], 0
	s_waitcnt vmcnt(4)
	s_delay_alu instid0(VALU_DEP_1) | instskip(SKIP_1) | instid1(VALU_DEP_1)
	v_fma_f64 v[83:84], v[85:86], v[103:104], v[83:84]
	s_waitcnt lgkmcnt(0)
	v_fma_f64 v[87:88], v[87:88], v[105:106], v[83:84]
	scratch_load_b128 v[83:86], off, off offset:192
	s_waitcnt vmcnt(4)
	v_fma_f64 v[105:106], v[89:90], v[107:108], v[87:88]
	ds_load_2addr_b64 v[87:90], v1 offset0:55 offset1:56
	ds_load_2addr_b64 v[101:104], v1 offset0:57 offset1:58
	s_waitcnt lgkmcnt(1)
	v_fma_f64 v[87:88], v[91:92], v[87:88], v[105:106]
	scratch_load_b128 v[105:108], off, off offset:208
	s_waitcnt vmcnt(4)
	v_fma_f64 v[87:88], v[93:94], v[89:90], v[87:88]
	s_waitcnt lgkmcnt(0)
	s_delay_alu instid0(VALU_DEP_1)
	v_fma_f64 v[91:92], v[95:96], v[101:102], v[87:88]
	scratch_load_b128 v[87:90], off, off offset:224
	s_waitcnt vmcnt(4)
	v_fma_f64 v[101:102], v[97:98], v[103:104], v[91:92]
	ds_load_2addr_b64 v[91:94], v1 offset0:59 offset1:60
	ds_load_2addr_b64 v[95:98], v1 offset0:61 offset1:62
	s_waitcnt lgkmcnt(1)
	v_fma_f64 v[91:92], v[99:100], v[91:92], v[101:102]
	scratch_load_b128 v[99:102], off, off offset:240
	s_waitcnt vmcnt(4)
	v_fma_f64 v[91:92], v[109:110], v[93:94], v[91:92]
	s_waitcnt lgkmcnt(0)
	s_delay_alu instid0(VALU_DEP_1)
	;; [unrolled: 13-line block ×3, first 2 shown]
	v_fma_f64 v[103:104], v[107:108], v[109:110], v[95:96]
	scratch_load_b128 v[95:98], off, off offset:288
	s_waitcnt vmcnt(4)
	v_fma_f64 v[87:88], v[87:88], v[111:112], v[103:104]
	ds_load_2addr_b64 v[103:106], v1 offset0:67 offset1:68
	ds_load_2addr_b64 v[107:110], v1 offset0:69 offset1:70
	s_waitcnt lgkmcnt(1)
	v_fma_f64 v[87:88], v[89:90], v[103:104], v[87:88]
	s_waitcnt vmcnt(3)
	s_delay_alu instid0(VALU_DEP_1) | instskip(SKIP_1) | instid1(VALU_DEP_1)
	v_fma_f64 v[87:88], v[99:100], v[105:106], v[87:88]
	s_waitcnt lgkmcnt(0)
	v_fma_f64 v[87:88], v[101:102], v[107:108], v[87:88]
	s_waitcnt vmcnt(2)
	s_delay_alu instid0(VALU_DEP_1)
	v_fma_f64 v[91:92], v[91:92], v[109:110], v[87:88]
	ds_load_2addr_b64 v[87:90], v1 offset0:71 offset1:72
	ds_load_2addr_b64 v[99:102], v1 offset0:73 offset1:74
	s_waitcnt lgkmcnt(1)
	v_fma_f64 v[87:88], v[93:94], v[87:88], v[91:92]
	s_waitcnt vmcnt(1)
	s_delay_alu instid0(VALU_DEP_1) | instskip(SKIP_1) | instid1(VALU_DEP_1)
	v_fma_f64 v[83:84], v[83:84], v[89:90], v[87:88]
	s_waitcnt lgkmcnt(0)
	v_fma_f64 v[83:84], v[85:86], v[99:100], v[83:84]
	ds_load_b64 v[85:86], v1 offset:600
	s_waitcnt vmcnt(0)
	v_fma_f64 v[83:84], v[95:96], v[101:102], v[83:84]
	s_waitcnt lgkmcnt(0)
	s_delay_alu instid0(VALU_DEP_1) | instskip(NEXT) | instid1(VALU_DEP_1)
	v_fma_f64 v[83:84], v[97:98], v[85:86], v[83:84]
	v_add_f64 v[81:82], v[81:82], -v[83:84]
	scratch_store_b64 off, v[81:82], off offset:96
	v_cmpx_lt_u32_e32 11, v0
	s_cbranch_execz .LBB101_215
; %bb.214:
	scratch_load_b64 v[81:82], off, off offset:88
	v_mov_b32_e32 v2, v1
	scratch_store_b64 off, v[1:2], off offset:88
	s_waitcnt vmcnt(0)
	ds_store_b64 v3, v[81:82]
.LBB101_215:
	s_or_b32 exec_lo, exec_lo, s0
	s_waitcnt lgkmcnt(0)
	s_waitcnt_vscnt null, 0x0
	s_barrier
	buffer_gl0_inv
	s_clause 0x4
	scratch_load_b128 v[81:84], off, off offset:88
	scratch_load_b128 v[85:88], off, off offset:104
	;; [unrolled: 1-line block ×5, first 2 shown]
	ds_load_b128 v[101:104], v1 offset:400
	ds_load_b128 v[105:108], v1 offset:416
	scratch_load_b128 v[109:112], off, off offset:168
	s_mov_b32 s0, exec_lo
	s_waitcnt vmcnt(5) lgkmcnt(1)
	v_fma_f64 v[83:84], v[83:84], v[101:102], 0
	s_waitcnt vmcnt(4)
	s_delay_alu instid0(VALU_DEP_1) | instskip(SKIP_1) | instid1(VALU_DEP_1)
	v_fma_f64 v[83:84], v[85:86], v[103:104], v[83:84]
	s_waitcnt lgkmcnt(0)
	v_fma_f64 v[87:88], v[87:88], v[105:106], v[83:84]
	scratch_load_b128 v[83:86], off, off offset:184
	s_waitcnt vmcnt(4)
	v_fma_f64 v[105:106], v[89:90], v[107:108], v[87:88]
	ds_load_b128 v[87:90], v1 offset:432
	ds_load_b128 v[101:104], v1 offset:448
	s_waitcnt lgkmcnt(1)
	v_fma_f64 v[87:88], v[91:92], v[87:88], v[105:106]
	scratch_load_b128 v[105:108], off, off offset:200
	s_waitcnt vmcnt(4)
	v_fma_f64 v[87:88], v[93:94], v[89:90], v[87:88]
	s_waitcnt lgkmcnt(0)
	s_delay_alu instid0(VALU_DEP_1)
	v_fma_f64 v[91:92], v[95:96], v[101:102], v[87:88]
	scratch_load_b128 v[87:90], off, off offset:216
	s_waitcnt vmcnt(4)
	v_fma_f64 v[101:102], v[97:98], v[103:104], v[91:92]
	ds_load_b128 v[91:94], v1 offset:464
	ds_load_b128 v[95:98], v1 offset:480
	s_waitcnt lgkmcnt(1)
	v_fma_f64 v[91:92], v[99:100], v[91:92], v[101:102]
	scratch_load_b128 v[99:102], off, off offset:232
	s_waitcnt vmcnt(4)
	v_fma_f64 v[91:92], v[109:110], v[93:94], v[91:92]
	s_waitcnt lgkmcnt(0)
	s_delay_alu instid0(VALU_DEP_1)
	;; [unrolled: 13-line block ×3, first 2 shown]
	v_fma_f64 v[103:104], v[107:108], v[109:110], v[95:96]
	scratch_load_b128 v[95:98], off, off offset:280
	s_waitcnt vmcnt(4)
	v_fma_f64 v[87:88], v[87:88], v[111:112], v[103:104]
	ds_load_b128 v[103:106], v1 offset:528
	ds_load_b128 v[107:110], v1 offset:544
	s_waitcnt lgkmcnt(1)
	v_fma_f64 v[87:88], v[89:90], v[103:104], v[87:88]
	scratch_load_b64 v[103:104], off, off offset:296
	s_waitcnt vmcnt(4)
	v_fma_f64 v[87:88], v[99:100], v[105:106], v[87:88]
	s_waitcnt lgkmcnt(0)
	s_delay_alu instid0(VALU_DEP_1) | instskip(SKIP_1) | instid1(VALU_DEP_1)
	v_fma_f64 v[87:88], v[101:102], v[107:108], v[87:88]
	s_waitcnt vmcnt(3)
	v_fma_f64 v[91:92], v[91:92], v[109:110], v[87:88]
	ds_load_b128 v[87:90], v1 offset:560
	ds_load_b128 v[99:102], v1 offset:576
	s_waitcnt lgkmcnt(1)
	v_fma_f64 v[87:88], v[93:94], v[87:88], v[91:92]
	s_waitcnt vmcnt(2)
	s_delay_alu instid0(VALU_DEP_1) | instskip(SKIP_1) | instid1(VALU_DEP_1)
	v_fma_f64 v[83:84], v[83:84], v[89:90], v[87:88]
	s_waitcnt lgkmcnt(0)
	v_fma_f64 v[83:84], v[85:86], v[99:100], v[83:84]
	s_waitcnt vmcnt(1)
	s_delay_alu instid0(VALU_DEP_1) | instskip(SKIP_4) | instid1(VALU_DEP_1)
	v_fma_f64 v[87:88], v[95:96], v[101:102], v[83:84]
	ds_load_b128 v[83:86], v1 offset:592
	s_waitcnt lgkmcnt(0)
	v_fma_f64 v[1:2], v[97:98], v[83:84], v[87:88]
	s_waitcnt vmcnt(0)
	v_fma_f64 v[1:2], v[103:104], v[85:86], v[1:2]
	s_delay_alu instid0(VALU_DEP_1)
	v_add_f64 v[1:2], v[81:82], -v[1:2]
	scratch_store_b64 off, v[1:2], off offset:88
	v_cmpx_lt_u32_e32 10, v0
	s_cbranch_execz .LBB101_217
; %bb.216:
	scratch_load_b64 v[1:2], off, off offset:80
	v_mov_b32_e32 v81, 0
	s_delay_alu instid0(VALU_DEP_1)
	v_mov_b32_e32 v82, v81
	scratch_store_b64 off, v[81:82], off offset:80
	s_waitcnt vmcnt(0)
	ds_store_b64 v3, v[1:2]
.LBB101_217:
	s_or_b32 exec_lo, exec_lo, s0
	s_waitcnt lgkmcnt(0)
	s_waitcnt_vscnt null, 0x0
	s_barrier
	buffer_gl0_inv
	s_clause 0x4
	scratch_load_b128 v[81:84], off, off offset:80
	scratch_load_b128 v[85:88], off, off offset:96
	;; [unrolled: 1-line block ×5, first 2 shown]
	v_mov_b32_e32 v1, 0
	ds_load_2addr_b64 v[101:104], v1 offset0:49 offset1:50
	ds_load_2addr_b64 v[105:108], v1 offset0:51 offset1:52
	scratch_load_b128 v[109:112], off, off offset:160
	s_mov_b32 s0, exec_lo
	s_waitcnt vmcnt(5) lgkmcnt(1)
	v_fma_f64 v[83:84], v[83:84], v[101:102], 0
	s_waitcnt vmcnt(4)
	s_delay_alu instid0(VALU_DEP_1) | instskip(SKIP_1) | instid1(VALU_DEP_1)
	v_fma_f64 v[83:84], v[85:86], v[103:104], v[83:84]
	s_waitcnt lgkmcnt(0)
	v_fma_f64 v[87:88], v[87:88], v[105:106], v[83:84]
	scratch_load_b128 v[83:86], off, off offset:176
	s_waitcnt vmcnt(4)
	v_fma_f64 v[105:106], v[89:90], v[107:108], v[87:88]
	ds_load_2addr_b64 v[87:90], v1 offset0:53 offset1:54
	ds_load_2addr_b64 v[101:104], v1 offset0:55 offset1:56
	s_waitcnt lgkmcnt(1)
	v_fma_f64 v[87:88], v[91:92], v[87:88], v[105:106]
	scratch_load_b128 v[105:108], off, off offset:192
	s_waitcnt vmcnt(4)
	v_fma_f64 v[87:88], v[93:94], v[89:90], v[87:88]
	s_waitcnt lgkmcnt(0)
	s_delay_alu instid0(VALU_DEP_1)
	v_fma_f64 v[91:92], v[95:96], v[101:102], v[87:88]
	scratch_load_b128 v[87:90], off, off offset:208
	s_waitcnt vmcnt(4)
	v_fma_f64 v[101:102], v[97:98], v[103:104], v[91:92]
	ds_load_2addr_b64 v[91:94], v1 offset0:57 offset1:58
	ds_load_2addr_b64 v[95:98], v1 offset0:59 offset1:60
	s_waitcnt lgkmcnt(1)
	v_fma_f64 v[91:92], v[99:100], v[91:92], v[101:102]
	scratch_load_b128 v[99:102], off, off offset:224
	s_waitcnt vmcnt(4)
	v_fma_f64 v[91:92], v[109:110], v[93:94], v[91:92]
	s_waitcnt lgkmcnt(0)
	s_delay_alu instid0(VALU_DEP_1)
	;; [unrolled: 13-line block ×3, first 2 shown]
	v_fma_f64 v[103:104], v[107:108], v[109:110], v[95:96]
	scratch_load_b128 v[95:98], off, off offset:272
	s_waitcnt vmcnt(4)
	v_fma_f64 v[87:88], v[87:88], v[111:112], v[103:104]
	ds_load_2addr_b64 v[103:106], v1 offset0:65 offset1:66
	ds_load_2addr_b64 v[107:110], v1 offset0:67 offset1:68
	s_waitcnt lgkmcnt(1)
	v_fma_f64 v[103:104], v[89:90], v[103:104], v[87:88]
	scratch_load_b128 v[87:90], off, off offset:288
	s_waitcnt vmcnt(4)
	v_fma_f64 v[99:100], v[99:100], v[105:106], v[103:104]
	s_waitcnt lgkmcnt(0)
	s_delay_alu instid0(VALU_DEP_1) | instskip(SKIP_1) | instid1(VALU_DEP_1)
	v_fma_f64 v[99:100], v[101:102], v[107:108], v[99:100]
	s_waitcnt vmcnt(3)
	v_fma_f64 v[91:92], v[91:92], v[109:110], v[99:100]
	ds_load_2addr_b64 v[99:102], v1 offset0:69 offset1:70
	ds_load_2addr_b64 v[103:106], v1 offset0:71 offset1:72
	s_waitcnt lgkmcnt(1)
	v_fma_f64 v[91:92], v[93:94], v[99:100], v[91:92]
	s_waitcnt vmcnt(2)
	s_delay_alu instid0(VALU_DEP_1) | instskip(SKIP_1) | instid1(VALU_DEP_1)
	v_fma_f64 v[83:84], v[83:84], v[101:102], v[91:92]
	s_waitcnt lgkmcnt(0)
	v_fma_f64 v[83:84], v[85:86], v[103:104], v[83:84]
	s_waitcnt vmcnt(1)
	s_delay_alu instid0(VALU_DEP_1)
	v_fma_f64 v[91:92], v[95:96], v[105:106], v[83:84]
	ds_load_2addr_b64 v[83:86], v1 offset0:73 offset1:74
	ds_load_b64 v[93:94], v1 offset:600
	s_waitcnt lgkmcnt(1)
	v_fma_f64 v[83:84], v[97:98], v[83:84], v[91:92]
	s_waitcnt vmcnt(0)
	s_delay_alu instid0(VALU_DEP_1) | instskip(SKIP_1) | instid1(VALU_DEP_1)
	v_fma_f64 v[83:84], v[87:88], v[85:86], v[83:84]
	s_waitcnt lgkmcnt(0)
	v_fma_f64 v[83:84], v[89:90], v[93:94], v[83:84]
	s_delay_alu instid0(VALU_DEP_1)
	v_add_f64 v[81:82], v[81:82], -v[83:84]
	scratch_store_b64 off, v[81:82], off offset:80
	v_cmpx_lt_u32_e32 9, v0
	s_cbranch_execz .LBB101_219
; %bb.218:
	scratch_load_b64 v[81:82], off, off offset:72
	v_mov_b32_e32 v2, v1
	scratch_store_b64 off, v[1:2], off offset:72
	s_waitcnt vmcnt(0)
	ds_store_b64 v3, v[81:82]
.LBB101_219:
	s_or_b32 exec_lo, exec_lo, s0
	s_waitcnt lgkmcnt(0)
	s_waitcnt_vscnt null, 0x0
	s_barrier
	buffer_gl0_inv
	s_clause 0x4
	scratch_load_b128 v[81:84], off, off offset:72
	scratch_load_b128 v[85:88], off, off offset:88
	scratch_load_b128 v[89:92], off, off offset:104
	scratch_load_b128 v[93:96], off, off offset:120
	scratch_load_b128 v[97:100], off, off offset:136
	ds_load_b128 v[101:104], v1 offset:384
	ds_load_b128 v[105:108], v1 offset:400
	scratch_load_b128 v[109:112], off, off offset:152
	s_mov_b32 s0, exec_lo
	s_waitcnt vmcnt(5) lgkmcnt(1)
	v_fma_f64 v[83:84], v[83:84], v[101:102], 0
	s_waitcnt vmcnt(4)
	s_delay_alu instid0(VALU_DEP_1) | instskip(SKIP_1) | instid1(VALU_DEP_1)
	v_fma_f64 v[83:84], v[85:86], v[103:104], v[83:84]
	s_waitcnt lgkmcnt(0)
	v_fma_f64 v[87:88], v[87:88], v[105:106], v[83:84]
	scratch_load_b128 v[83:86], off, off offset:168
	s_waitcnt vmcnt(4)
	v_fma_f64 v[105:106], v[89:90], v[107:108], v[87:88]
	ds_load_b128 v[87:90], v1 offset:416
	ds_load_b128 v[101:104], v1 offset:432
	s_waitcnt lgkmcnt(1)
	v_fma_f64 v[87:88], v[91:92], v[87:88], v[105:106]
	scratch_load_b128 v[105:108], off, off offset:184
	s_waitcnt vmcnt(4)
	v_fma_f64 v[87:88], v[93:94], v[89:90], v[87:88]
	s_waitcnt lgkmcnt(0)
	s_delay_alu instid0(VALU_DEP_1)
	v_fma_f64 v[91:92], v[95:96], v[101:102], v[87:88]
	scratch_load_b128 v[87:90], off, off offset:200
	s_waitcnt vmcnt(4)
	v_fma_f64 v[101:102], v[97:98], v[103:104], v[91:92]
	ds_load_b128 v[91:94], v1 offset:448
	ds_load_b128 v[95:98], v1 offset:464
	s_waitcnt lgkmcnt(1)
	v_fma_f64 v[91:92], v[99:100], v[91:92], v[101:102]
	scratch_load_b128 v[99:102], off, off offset:216
	s_waitcnt vmcnt(4)
	v_fma_f64 v[91:92], v[109:110], v[93:94], v[91:92]
	s_waitcnt lgkmcnt(0)
	s_delay_alu instid0(VALU_DEP_1)
	v_fma_f64 v[95:96], v[111:112], v[95:96], v[91:92]
	scratch_load_b128 v[91:94], off, off offset:232
	s_waitcnt vmcnt(4)
	v_fma_f64 v[83:84], v[83:84], v[97:98], v[95:96]
	ds_load_b128 v[95:98], v1 offset:480
	ds_load_b128 v[109:112], v1 offset:496
	s_waitcnt lgkmcnt(1)
	v_fma_f64 v[95:96], v[85:86], v[95:96], v[83:84]
	scratch_load_b128 v[83:86], off, off offset:248
	s_waitcnt vmcnt(4)
	v_fma_f64 v[95:96], v[105:106], v[97:98], v[95:96]
	s_waitcnt lgkmcnt(0)
	s_delay_alu instid0(VALU_DEP_1)
	v_fma_f64 v[103:104], v[107:108], v[109:110], v[95:96]
	scratch_load_b128 v[95:98], off, off offset:264
	s_waitcnt vmcnt(4)
	v_fma_f64 v[87:88], v[87:88], v[111:112], v[103:104]
	ds_load_b128 v[103:106], v1 offset:512
	ds_load_b128 v[107:110], v1 offset:528
	s_waitcnt lgkmcnt(1)
	v_fma_f64 v[103:104], v[89:90], v[103:104], v[87:88]
	scratch_load_b128 v[87:90], off, off offset:280
	s_waitcnt vmcnt(4)
	v_fma_f64 v[99:100], v[99:100], v[105:106], v[103:104]
	s_waitcnt lgkmcnt(0)
	s_delay_alu instid0(VALU_DEP_1)
	v_fma_f64 v[99:100], v[101:102], v[107:108], v[99:100]
	scratch_load_b64 v[107:108], off, off offset:296
	s_waitcnt vmcnt(4)
	v_fma_f64 v[91:92], v[91:92], v[109:110], v[99:100]
	ds_load_b128 v[99:102], v1 offset:544
	ds_load_b128 v[103:106], v1 offset:560
	s_waitcnt lgkmcnt(1)
	v_fma_f64 v[91:92], v[93:94], v[99:100], v[91:92]
	s_waitcnt vmcnt(3)
	s_delay_alu instid0(VALU_DEP_1) | instskip(SKIP_1) | instid1(VALU_DEP_1)
	v_fma_f64 v[83:84], v[83:84], v[101:102], v[91:92]
	s_waitcnt lgkmcnt(0)
	v_fma_f64 v[83:84], v[85:86], v[103:104], v[83:84]
	s_waitcnt vmcnt(2)
	s_delay_alu instid0(VALU_DEP_1)
	v_fma_f64 v[95:96], v[95:96], v[105:106], v[83:84]
	ds_load_b128 v[83:86], v1 offset:576
	ds_load_b128 v[91:94], v1 offset:592
	s_waitcnt lgkmcnt(1)
	v_fma_f64 v[1:2], v[97:98], v[83:84], v[95:96]
	s_waitcnt vmcnt(1)
	s_delay_alu instid0(VALU_DEP_1) | instskip(SKIP_1) | instid1(VALU_DEP_1)
	v_fma_f64 v[1:2], v[87:88], v[85:86], v[1:2]
	s_waitcnt lgkmcnt(0)
	v_fma_f64 v[1:2], v[89:90], v[91:92], v[1:2]
	s_waitcnt vmcnt(0)
	s_delay_alu instid0(VALU_DEP_1) | instskip(NEXT) | instid1(VALU_DEP_1)
	v_fma_f64 v[1:2], v[107:108], v[93:94], v[1:2]
	v_add_f64 v[1:2], v[81:82], -v[1:2]
	scratch_store_b64 off, v[1:2], off offset:72
	v_cmpx_lt_u32_e32 8, v0
	s_cbranch_execz .LBB101_221
; %bb.220:
	scratch_load_b64 v[1:2], off, off offset:64
	v_mov_b32_e32 v81, 0
	s_delay_alu instid0(VALU_DEP_1)
	v_mov_b32_e32 v82, v81
	scratch_store_b64 off, v[81:82], off offset:64
	s_waitcnt vmcnt(0)
	ds_store_b64 v3, v[1:2]
.LBB101_221:
	s_or_b32 exec_lo, exec_lo, s0
	s_waitcnt lgkmcnt(0)
	s_waitcnt_vscnt null, 0x0
	s_barrier
	buffer_gl0_inv
	s_clause 0x4
	scratch_load_b128 v[81:84], off, off offset:64
	scratch_load_b128 v[85:88], off, off offset:80
	;; [unrolled: 1-line block ×5, first 2 shown]
	v_mov_b32_e32 v1, 0
	ds_load_2addr_b64 v[101:104], v1 offset0:47 offset1:48
	ds_load_2addr_b64 v[105:108], v1 offset0:49 offset1:50
	scratch_load_b128 v[109:112], off, off offset:144
	s_mov_b32 s0, exec_lo
	s_waitcnt vmcnt(5) lgkmcnt(1)
	v_fma_f64 v[83:84], v[83:84], v[101:102], 0
	s_waitcnt vmcnt(4)
	s_delay_alu instid0(VALU_DEP_1) | instskip(SKIP_1) | instid1(VALU_DEP_1)
	v_fma_f64 v[83:84], v[85:86], v[103:104], v[83:84]
	s_waitcnt lgkmcnt(0)
	v_fma_f64 v[87:88], v[87:88], v[105:106], v[83:84]
	scratch_load_b128 v[83:86], off, off offset:160
	s_waitcnt vmcnt(4)
	v_fma_f64 v[105:106], v[89:90], v[107:108], v[87:88]
	ds_load_2addr_b64 v[87:90], v1 offset0:51 offset1:52
	ds_load_2addr_b64 v[101:104], v1 offset0:53 offset1:54
	s_waitcnt lgkmcnt(1)
	v_fma_f64 v[87:88], v[91:92], v[87:88], v[105:106]
	scratch_load_b128 v[105:108], off, off offset:176
	s_waitcnt vmcnt(4)
	v_fma_f64 v[87:88], v[93:94], v[89:90], v[87:88]
	s_waitcnt lgkmcnt(0)
	s_delay_alu instid0(VALU_DEP_1)
	v_fma_f64 v[91:92], v[95:96], v[101:102], v[87:88]
	scratch_load_b128 v[87:90], off, off offset:192
	s_waitcnt vmcnt(4)
	v_fma_f64 v[101:102], v[97:98], v[103:104], v[91:92]
	ds_load_2addr_b64 v[91:94], v1 offset0:55 offset1:56
	ds_load_2addr_b64 v[95:98], v1 offset0:57 offset1:58
	s_waitcnt lgkmcnt(1)
	v_fma_f64 v[91:92], v[99:100], v[91:92], v[101:102]
	scratch_load_b128 v[99:102], off, off offset:208
	s_waitcnt vmcnt(4)
	v_fma_f64 v[91:92], v[109:110], v[93:94], v[91:92]
	s_waitcnt lgkmcnt(0)
	s_delay_alu instid0(VALU_DEP_1)
	;; [unrolled: 13-line block ×4, first 2 shown]
	v_fma_f64 v[103:104], v[101:102], v[107:108], v[99:100]
	scratch_load_b128 v[99:102], off, off offset:288
	s_waitcnt vmcnt(4)
	v_fma_f64 v[91:92], v[91:92], v[109:110], v[103:104]
	ds_load_2addr_b64 v[103:106], v1 offset0:67 offset1:68
	ds_load_2addr_b64 v[107:110], v1 offset0:69 offset1:70
	s_waitcnt lgkmcnt(1)
	v_fma_f64 v[91:92], v[93:94], v[103:104], v[91:92]
	s_waitcnt vmcnt(3)
	s_delay_alu instid0(VALU_DEP_1) | instskip(SKIP_1) | instid1(VALU_DEP_1)
	v_fma_f64 v[83:84], v[83:84], v[105:106], v[91:92]
	s_waitcnt lgkmcnt(0)
	v_fma_f64 v[83:84], v[85:86], v[107:108], v[83:84]
	s_waitcnt vmcnt(2)
	s_delay_alu instid0(VALU_DEP_1)
	v_fma_f64 v[95:96], v[95:96], v[109:110], v[83:84]
	ds_load_2addr_b64 v[83:86], v1 offset0:71 offset1:72
	ds_load_2addr_b64 v[91:94], v1 offset0:73 offset1:74
	s_waitcnt lgkmcnt(1)
	v_fma_f64 v[83:84], v[97:98], v[83:84], v[95:96]
	s_waitcnt vmcnt(1)
	s_delay_alu instid0(VALU_DEP_1) | instskip(SKIP_4) | instid1(VALU_DEP_1)
	v_fma_f64 v[83:84], v[87:88], v[85:86], v[83:84]
	ds_load_b64 v[85:86], v1 offset:600
	s_waitcnt lgkmcnt(1)
	v_fma_f64 v[83:84], v[89:90], v[91:92], v[83:84]
	s_waitcnt vmcnt(0)
	v_fma_f64 v[83:84], v[99:100], v[93:94], v[83:84]
	s_waitcnt lgkmcnt(0)
	s_delay_alu instid0(VALU_DEP_1) | instskip(NEXT) | instid1(VALU_DEP_1)
	v_fma_f64 v[83:84], v[101:102], v[85:86], v[83:84]
	v_add_f64 v[81:82], v[81:82], -v[83:84]
	scratch_store_b64 off, v[81:82], off offset:64
	v_cmpx_lt_u32_e32 7, v0
	s_cbranch_execz .LBB101_223
; %bb.222:
	scratch_load_b64 v[81:82], off, off offset:56
	v_mov_b32_e32 v2, v1
	scratch_store_b64 off, v[1:2], off offset:56
	s_waitcnt vmcnt(0)
	ds_store_b64 v3, v[81:82]
.LBB101_223:
	s_or_b32 exec_lo, exec_lo, s0
	s_waitcnt lgkmcnt(0)
	s_waitcnt_vscnt null, 0x0
	s_barrier
	buffer_gl0_inv
	s_clause 0x4
	scratch_load_b128 v[81:84], off, off offset:56
	scratch_load_b128 v[85:88], off, off offset:72
	;; [unrolled: 1-line block ×5, first 2 shown]
	ds_load_b128 v[101:104], v1 offset:368
	ds_load_b128 v[105:108], v1 offset:384
	scratch_load_b128 v[109:112], off, off offset:136
	s_mov_b32 s0, exec_lo
	s_waitcnt vmcnt(5) lgkmcnt(1)
	v_fma_f64 v[83:84], v[83:84], v[101:102], 0
	s_waitcnt vmcnt(4)
	s_delay_alu instid0(VALU_DEP_1) | instskip(SKIP_1) | instid1(VALU_DEP_1)
	v_fma_f64 v[83:84], v[85:86], v[103:104], v[83:84]
	s_waitcnt lgkmcnt(0)
	v_fma_f64 v[87:88], v[87:88], v[105:106], v[83:84]
	scratch_load_b128 v[83:86], off, off offset:152
	s_waitcnt vmcnt(4)
	v_fma_f64 v[105:106], v[89:90], v[107:108], v[87:88]
	ds_load_b128 v[87:90], v1 offset:400
	ds_load_b128 v[101:104], v1 offset:416
	s_waitcnt lgkmcnt(1)
	v_fma_f64 v[87:88], v[91:92], v[87:88], v[105:106]
	scratch_load_b128 v[105:108], off, off offset:168
	s_waitcnt vmcnt(4)
	v_fma_f64 v[87:88], v[93:94], v[89:90], v[87:88]
	s_waitcnt lgkmcnt(0)
	s_delay_alu instid0(VALU_DEP_1)
	v_fma_f64 v[91:92], v[95:96], v[101:102], v[87:88]
	scratch_load_b128 v[87:90], off, off offset:184
	s_waitcnt vmcnt(4)
	v_fma_f64 v[101:102], v[97:98], v[103:104], v[91:92]
	ds_load_b128 v[91:94], v1 offset:432
	ds_load_b128 v[95:98], v1 offset:448
	s_waitcnt lgkmcnt(1)
	v_fma_f64 v[91:92], v[99:100], v[91:92], v[101:102]
	scratch_load_b128 v[99:102], off, off offset:200
	s_waitcnt vmcnt(4)
	v_fma_f64 v[91:92], v[109:110], v[93:94], v[91:92]
	s_waitcnt lgkmcnt(0)
	s_delay_alu instid0(VALU_DEP_1)
	;; [unrolled: 13-line block ×4, first 2 shown]
	v_fma_f64 v[103:104], v[101:102], v[107:108], v[99:100]
	scratch_load_b128 v[99:102], off, off offset:280
	s_waitcnt vmcnt(4)
	v_fma_f64 v[91:92], v[91:92], v[109:110], v[103:104]
	ds_load_b128 v[103:106], v1 offset:528
	ds_load_b128 v[107:110], v1 offset:544
	s_waitcnt lgkmcnt(1)
	v_fma_f64 v[91:92], v[93:94], v[103:104], v[91:92]
	scratch_load_b64 v[103:104], off, off offset:296
	s_waitcnt vmcnt(4)
	v_fma_f64 v[83:84], v[83:84], v[105:106], v[91:92]
	s_waitcnt lgkmcnt(0)
	s_delay_alu instid0(VALU_DEP_1) | instskip(SKIP_1) | instid1(VALU_DEP_1)
	v_fma_f64 v[83:84], v[85:86], v[107:108], v[83:84]
	s_waitcnt vmcnt(3)
	v_fma_f64 v[95:96], v[95:96], v[109:110], v[83:84]
	ds_load_b128 v[83:86], v1 offset:560
	ds_load_b128 v[91:94], v1 offset:576
	s_waitcnt lgkmcnt(1)
	v_fma_f64 v[83:84], v[97:98], v[83:84], v[95:96]
	s_waitcnt vmcnt(2)
	s_delay_alu instid0(VALU_DEP_1) | instskip(SKIP_1) | instid1(VALU_DEP_1)
	v_fma_f64 v[83:84], v[87:88], v[85:86], v[83:84]
	s_waitcnt lgkmcnt(0)
	v_fma_f64 v[83:84], v[89:90], v[91:92], v[83:84]
	s_waitcnt vmcnt(1)
	s_delay_alu instid0(VALU_DEP_1) | instskip(SKIP_4) | instid1(VALU_DEP_1)
	v_fma_f64 v[87:88], v[99:100], v[93:94], v[83:84]
	ds_load_b128 v[83:86], v1 offset:592
	s_waitcnt lgkmcnt(0)
	v_fma_f64 v[1:2], v[101:102], v[83:84], v[87:88]
	s_waitcnt vmcnt(0)
	v_fma_f64 v[1:2], v[103:104], v[85:86], v[1:2]
	s_delay_alu instid0(VALU_DEP_1)
	v_add_f64 v[1:2], v[81:82], -v[1:2]
	scratch_store_b64 off, v[1:2], off offset:56
	v_cmpx_lt_u32_e32 6, v0
	s_cbranch_execz .LBB101_225
; %bb.224:
	scratch_load_b64 v[1:2], off, off offset:48
	v_mov_b32_e32 v81, 0
	s_delay_alu instid0(VALU_DEP_1)
	v_mov_b32_e32 v82, v81
	scratch_store_b64 off, v[81:82], off offset:48
	s_waitcnt vmcnt(0)
	ds_store_b64 v3, v[1:2]
.LBB101_225:
	s_or_b32 exec_lo, exec_lo, s0
	s_waitcnt lgkmcnt(0)
	s_waitcnt_vscnt null, 0x0
	s_barrier
	buffer_gl0_inv
	s_clause 0x4
	scratch_load_b128 v[81:84], off, off offset:48
	scratch_load_b128 v[85:88], off, off offset:64
	;; [unrolled: 1-line block ×5, first 2 shown]
	v_mov_b32_e32 v1, 0
	ds_load_2addr_b64 v[101:104], v1 offset0:45 offset1:46
	ds_load_2addr_b64 v[105:108], v1 offset0:47 offset1:48
	scratch_load_b128 v[109:112], off, off offset:128
	s_mov_b32 s0, exec_lo
	s_waitcnt vmcnt(5) lgkmcnt(1)
	v_fma_f64 v[83:84], v[83:84], v[101:102], 0
	s_waitcnt vmcnt(4)
	s_delay_alu instid0(VALU_DEP_1) | instskip(SKIP_1) | instid1(VALU_DEP_1)
	v_fma_f64 v[83:84], v[85:86], v[103:104], v[83:84]
	s_waitcnt lgkmcnt(0)
	v_fma_f64 v[87:88], v[87:88], v[105:106], v[83:84]
	scratch_load_b128 v[83:86], off, off offset:144
	s_waitcnt vmcnt(4)
	v_fma_f64 v[105:106], v[89:90], v[107:108], v[87:88]
	ds_load_2addr_b64 v[87:90], v1 offset0:49 offset1:50
	ds_load_2addr_b64 v[101:104], v1 offset0:51 offset1:52
	s_waitcnt lgkmcnt(1)
	v_fma_f64 v[87:88], v[91:92], v[87:88], v[105:106]
	scratch_load_b128 v[105:108], off, off offset:160
	s_waitcnt vmcnt(4)
	v_fma_f64 v[87:88], v[93:94], v[89:90], v[87:88]
	s_waitcnt lgkmcnt(0)
	s_delay_alu instid0(VALU_DEP_1)
	v_fma_f64 v[91:92], v[95:96], v[101:102], v[87:88]
	scratch_load_b128 v[87:90], off, off offset:176
	s_waitcnt vmcnt(4)
	v_fma_f64 v[101:102], v[97:98], v[103:104], v[91:92]
	ds_load_2addr_b64 v[91:94], v1 offset0:53 offset1:54
	ds_load_2addr_b64 v[95:98], v1 offset0:55 offset1:56
	s_waitcnt lgkmcnt(1)
	v_fma_f64 v[91:92], v[99:100], v[91:92], v[101:102]
	scratch_load_b128 v[99:102], off, off offset:192
	s_waitcnt vmcnt(4)
	v_fma_f64 v[91:92], v[109:110], v[93:94], v[91:92]
	s_waitcnt lgkmcnt(0)
	s_delay_alu instid0(VALU_DEP_1)
	;; [unrolled: 13-line block ×4, first 2 shown]
	v_fma_f64 v[103:104], v[101:102], v[107:108], v[99:100]
	scratch_load_b128 v[99:102], off, off offset:272
	s_waitcnt vmcnt(4)
	v_fma_f64 v[91:92], v[91:92], v[109:110], v[103:104]
	ds_load_2addr_b64 v[103:106], v1 offset0:65 offset1:66
	ds_load_2addr_b64 v[107:110], v1 offset0:67 offset1:68
	s_waitcnt lgkmcnt(1)
	v_fma_f64 v[103:104], v[93:94], v[103:104], v[91:92]
	scratch_load_b128 v[91:94], off, off offset:288
	s_waitcnt vmcnt(4)
	v_fma_f64 v[83:84], v[83:84], v[105:106], v[103:104]
	s_waitcnt lgkmcnt(0)
	s_delay_alu instid0(VALU_DEP_1) | instskip(SKIP_1) | instid1(VALU_DEP_1)
	v_fma_f64 v[83:84], v[85:86], v[107:108], v[83:84]
	s_waitcnt vmcnt(3)
	v_fma_f64 v[95:96], v[95:96], v[109:110], v[83:84]
	ds_load_2addr_b64 v[83:86], v1 offset0:69 offset1:70
	ds_load_2addr_b64 v[103:106], v1 offset0:71 offset1:72
	s_waitcnt lgkmcnt(1)
	v_fma_f64 v[83:84], v[97:98], v[83:84], v[95:96]
	s_waitcnt vmcnt(2)
	s_delay_alu instid0(VALU_DEP_1) | instskip(SKIP_1) | instid1(VALU_DEP_1)
	v_fma_f64 v[83:84], v[87:88], v[85:86], v[83:84]
	s_waitcnt lgkmcnt(0)
	v_fma_f64 v[83:84], v[89:90], v[103:104], v[83:84]
	s_waitcnt vmcnt(1)
	s_delay_alu instid0(VALU_DEP_1)
	v_fma_f64 v[87:88], v[99:100], v[105:106], v[83:84]
	ds_load_2addr_b64 v[83:86], v1 offset0:73 offset1:74
	ds_load_b64 v[89:90], v1 offset:600
	s_waitcnt lgkmcnt(1)
	v_fma_f64 v[83:84], v[101:102], v[83:84], v[87:88]
	s_waitcnt vmcnt(0)
	s_delay_alu instid0(VALU_DEP_1) | instskip(SKIP_1) | instid1(VALU_DEP_1)
	v_fma_f64 v[83:84], v[91:92], v[85:86], v[83:84]
	s_waitcnt lgkmcnt(0)
	v_fma_f64 v[83:84], v[93:94], v[89:90], v[83:84]
	s_delay_alu instid0(VALU_DEP_1)
	v_add_f64 v[81:82], v[81:82], -v[83:84]
	scratch_store_b64 off, v[81:82], off offset:48
	v_cmpx_lt_u32_e32 5, v0
	s_cbranch_execz .LBB101_227
; %bb.226:
	scratch_load_b64 v[81:82], off, off offset:40
	v_mov_b32_e32 v2, v1
	scratch_store_b64 off, v[1:2], off offset:40
	s_waitcnt vmcnt(0)
	ds_store_b64 v3, v[81:82]
.LBB101_227:
	s_or_b32 exec_lo, exec_lo, s0
	s_waitcnt lgkmcnt(0)
	s_waitcnt_vscnt null, 0x0
	s_barrier
	buffer_gl0_inv
	s_clause 0x4
	scratch_load_b128 v[81:84], off, off offset:40
	scratch_load_b128 v[85:88], off, off offset:56
	;; [unrolled: 1-line block ×5, first 2 shown]
	ds_load_b128 v[101:104], v1 offset:352
	ds_load_b128 v[105:108], v1 offset:368
	scratch_load_b128 v[109:112], off, off offset:120
	s_mov_b32 s0, exec_lo
	s_waitcnt vmcnt(5) lgkmcnt(1)
	v_fma_f64 v[83:84], v[83:84], v[101:102], 0
	s_waitcnt vmcnt(4)
	s_delay_alu instid0(VALU_DEP_1) | instskip(SKIP_1) | instid1(VALU_DEP_1)
	v_fma_f64 v[83:84], v[85:86], v[103:104], v[83:84]
	s_waitcnt lgkmcnt(0)
	v_fma_f64 v[87:88], v[87:88], v[105:106], v[83:84]
	scratch_load_b128 v[83:86], off, off offset:136
	s_waitcnt vmcnt(4)
	v_fma_f64 v[105:106], v[89:90], v[107:108], v[87:88]
	ds_load_b128 v[87:90], v1 offset:384
	ds_load_b128 v[101:104], v1 offset:400
	s_waitcnt lgkmcnt(1)
	v_fma_f64 v[87:88], v[91:92], v[87:88], v[105:106]
	scratch_load_b128 v[105:108], off, off offset:152
	s_waitcnt vmcnt(4)
	v_fma_f64 v[87:88], v[93:94], v[89:90], v[87:88]
	s_waitcnt lgkmcnt(0)
	s_delay_alu instid0(VALU_DEP_1)
	v_fma_f64 v[91:92], v[95:96], v[101:102], v[87:88]
	scratch_load_b128 v[87:90], off, off offset:168
	s_waitcnt vmcnt(4)
	v_fma_f64 v[101:102], v[97:98], v[103:104], v[91:92]
	ds_load_b128 v[91:94], v1 offset:416
	ds_load_b128 v[95:98], v1 offset:432
	s_waitcnt lgkmcnt(1)
	v_fma_f64 v[91:92], v[99:100], v[91:92], v[101:102]
	scratch_load_b128 v[99:102], off, off offset:184
	s_waitcnt vmcnt(4)
	v_fma_f64 v[91:92], v[109:110], v[93:94], v[91:92]
	s_waitcnt lgkmcnt(0)
	s_delay_alu instid0(VALU_DEP_1)
	;; [unrolled: 13-line block ×5, first 2 shown]
	v_fma_f64 v[83:84], v[85:86], v[107:108], v[83:84]
	scratch_load_b64 v[107:108], off, off offset:296
	s_waitcnt vmcnt(4)
	v_fma_f64 v[95:96], v[95:96], v[109:110], v[83:84]
	ds_load_b128 v[83:86], v1 offset:544
	ds_load_b128 v[103:106], v1 offset:560
	s_waitcnt lgkmcnt(1)
	v_fma_f64 v[83:84], v[97:98], v[83:84], v[95:96]
	s_waitcnt vmcnt(3)
	s_delay_alu instid0(VALU_DEP_1) | instskip(SKIP_1) | instid1(VALU_DEP_1)
	v_fma_f64 v[83:84], v[87:88], v[85:86], v[83:84]
	s_waitcnt lgkmcnt(0)
	v_fma_f64 v[83:84], v[89:90], v[103:104], v[83:84]
	s_waitcnt vmcnt(2)
	s_delay_alu instid0(VALU_DEP_1)
	v_fma_f64 v[95:96], v[99:100], v[105:106], v[83:84]
	ds_load_b128 v[83:86], v1 offset:576
	ds_load_b128 v[87:90], v1 offset:592
	s_waitcnt lgkmcnt(1)
	v_fma_f64 v[1:2], v[101:102], v[83:84], v[95:96]
	s_waitcnt vmcnt(1)
	s_delay_alu instid0(VALU_DEP_1) | instskip(SKIP_1) | instid1(VALU_DEP_1)
	v_fma_f64 v[1:2], v[91:92], v[85:86], v[1:2]
	s_waitcnt lgkmcnt(0)
	v_fma_f64 v[1:2], v[93:94], v[87:88], v[1:2]
	s_waitcnt vmcnt(0)
	s_delay_alu instid0(VALU_DEP_1) | instskip(NEXT) | instid1(VALU_DEP_1)
	v_fma_f64 v[1:2], v[107:108], v[89:90], v[1:2]
	v_add_f64 v[1:2], v[81:82], -v[1:2]
	scratch_store_b64 off, v[1:2], off offset:40
	v_cmpx_lt_u32_e32 4, v0
	s_cbranch_execz .LBB101_229
; %bb.228:
	scratch_load_b64 v[1:2], off, off offset:32
	v_mov_b32_e32 v81, 0
	s_delay_alu instid0(VALU_DEP_1)
	v_mov_b32_e32 v82, v81
	scratch_store_b64 off, v[81:82], off offset:32
	s_waitcnt vmcnt(0)
	ds_store_b64 v3, v[1:2]
.LBB101_229:
	s_or_b32 exec_lo, exec_lo, s0
	s_waitcnt lgkmcnt(0)
	s_waitcnt_vscnt null, 0x0
	s_barrier
	buffer_gl0_inv
	s_clause 0x4
	scratch_load_b128 v[81:84], off, off offset:32
	scratch_load_b128 v[85:88], off, off offset:48
	;; [unrolled: 1-line block ×5, first 2 shown]
	v_mov_b32_e32 v1, 0
	ds_load_2addr_b64 v[101:104], v1 offset0:43 offset1:44
	ds_load_2addr_b64 v[105:108], v1 offset0:45 offset1:46
	scratch_load_b128 v[109:112], off, off offset:112
	s_mov_b32 s0, exec_lo
	s_waitcnt vmcnt(5) lgkmcnt(1)
	v_fma_f64 v[83:84], v[83:84], v[101:102], 0
	s_waitcnt vmcnt(4)
	s_delay_alu instid0(VALU_DEP_1) | instskip(SKIP_1) | instid1(VALU_DEP_1)
	v_fma_f64 v[83:84], v[85:86], v[103:104], v[83:84]
	s_waitcnt lgkmcnt(0)
	v_fma_f64 v[87:88], v[87:88], v[105:106], v[83:84]
	scratch_load_b128 v[83:86], off, off offset:128
	s_waitcnt vmcnt(4)
	v_fma_f64 v[105:106], v[89:90], v[107:108], v[87:88]
	ds_load_2addr_b64 v[87:90], v1 offset0:47 offset1:48
	ds_load_2addr_b64 v[101:104], v1 offset0:49 offset1:50
	s_waitcnt lgkmcnt(1)
	v_fma_f64 v[87:88], v[91:92], v[87:88], v[105:106]
	scratch_load_b128 v[105:108], off, off offset:144
	s_waitcnt vmcnt(4)
	v_fma_f64 v[87:88], v[93:94], v[89:90], v[87:88]
	s_waitcnt lgkmcnt(0)
	s_delay_alu instid0(VALU_DEP_1)
	v_fma_f64 v[91:92], v[95:96], v[101:102], v[87:88]
	scratch_load_b128 v[87:90], off, off offset:160
	s_waitcnt vmcnt(4)
	v_fma_f64 v[101:102], v[97:98], v[103:104], v[91:92]
	ds_load_2addr_b64 v[91:94], v1 offset0:51 offset1:52
	ds_load_2addr_b64 v[95:98], v1 offset0:53 offset1:54
	s_waitcnt lgkmcnt(1)
	v_fma_f64 v[91:92], v[99:100], v[91:92], v[101:102]
	scratch_load_b128 v[99:102], off, off offset:176
	s_waitcnt vmcnt(4)
	v_fma_f64 v[91:92], v[109:110], v[93:94], v[91:92]
	s_waitcnt lgkmcnt(0)
	s_delay_alu instid0(VALU_DEP_1)
	;; [unrolled: 13-line block ×5, first 2 shown]
	v_fma_f64 v[103:104], v[85:86], v[107:108], v[83:84]
	scratch_load_b128 v[83:86], off, off offset:288
	s_waitcnt vmcnt(4)
	v_fma_f64 v[95:96], v[95:96], v[109:110], v[103:104]
	ds_load_2addr_b64 v[103:106], v1 offset0:67 offset1:68
	ds_load_2addr_b64 v[107:110], v1 offset0:69 offset1:70
	s_waitcnt lgkmcnt(1)
	v_fma_f64 v[95:96], v[97:98], v[103:104], v[95:96]
	s_waitcnt vmcnt(3)
	s_delay_alu instid0(VALU_DEP_1) | instskip(SKIP_1) | instid1(VALU_DEP_1)
	v_fma_f64 v[87:88], v[87:88], v[105:106], v[95:96]
	s_waitcnt lgkmcnt(0)
	v_fma_f64 v[87:88], v[89:90], v[107:108], v[87:88]
	s_waitcnt vmcnt(2)
	s_delay_alu instid0(VALU_DEP_1)
	v_fma_f64 v[99:100], v[99:100], v[109:110], v[87:88]
	ds_load_2addr_b64 v[87:90], v1 offset0:71 offset1:72
	ds_load_2addr_b64 v[95:98], v1 offset0:73 offset1:74
	s_waitcnt lgkmcnt(1)
	v_fma_f64 v[87:88], v[101:102], v[87:88], v[99:100]
	s_waitcnt vmcnt(1)
	s_delay_alu instid0(VALU_DEP_1) | instskip(SKIP_1) | instid1(VALU_DEP_1)
	v_fma_f64 v[87:88], v[91:92], v[89:90], v[87:88]
	s_waitcnt lgkmcnt(0)
	v_fma_f64 v[87:88], v[93:94], v[95:96], v[87:88]
	s_waitcnt vmcnt(0)
	s_delay_alu instid0(VALU_DEP_1) | instskip(SKIP_3) | instid1(VALU_DEP_1)
	v_fma_f64 v[83:84], v[83:84], v[97:98], v[87:88]
	ds_load_b64 v[87:88], v1 offset:600
	s_waitcnt lgkmcnt(0)
	v_fma_f64 v[83:84], v[85:86], v[87:88], v[83:84]
	v_add_f64 v[81:82], v[81:82], -v[83:84]
	scratch_store_b64 off, v[81:82], off offset:32
	v_cmpx_lt_u32_e32 3, v0
	s_cbranch_execz .LBB101_231
; %bb.230:
	scratch_load_b64 v[81:82], off, off offset:24
	v_mov_b32_e32 v2, v1
	scratch_store_b64 off, v[1:2], off offset:24
	s_waitcnt vmcnt(0)
	ds_store_b64 v3, v[81:82]
.LBB101_231:
	s_or_b32 exec_lo, exec_lo, s0
	s_waitcnt lgkmcnt(0)
	s_waitcnt_vscnt null, 0x0
	s_barrier
	buffer_gl0_inv
	s_clause 0x4
	scratch_load_b128 v[81:84], off, off offset:24
	scratch_load_b128 v[85:88], off, off offset:40
	;; [unrolled: 1-line block ×5, first 2 shown]
	ds_load_b128 v[101:104], v1 offset:336
	ds_load_b128 v[105:108], v1 offset:352
	scratch_load_b128 v[109:112], off, off offset:104
	s_mov_b32 s0, exec_lo
	s_waitcnt vmcnt(5) lgkmcnt(1)
	v_fma_f64 v[83:84], v[83:84], v[101:102], 0
	s_waitcnt vmcnt(4)
	s_delay_alu instid0(VALU_DEP_1) | instskip(SKIP_1) | instid1(VALU_DEP_1)
	v_fma_f64 v[83:84], v[85:86], v[103:104], v[83:84]
	s_waitcnt lgkmcnt(0)
	v_fma_f64 v[87:88], v[87:88], v[105:106], v[83:84]
	scratch_load_b128 v[83:86], off, off offset:120
	s_waitcnt vmcnt(4)
	v_fma_f64 v[105:106], v[89:90], v[107:108], v[87:88]
	ds_load_b128 v[87:90], v1 offset:368
	ds_load_b128 v[101:104], v1 offset:384
	s_waitcnt lgkmcnt(1)
	v_fma_f64 v[87:88], v[91:92], v[87:88], v[105:106]
	scratch_load_b128 v[105:108], off, off offset:136
	s_waitcnt vmcnt(4)
	v_fma_f64 v[87:88], v[93:94], v[89:90], v[87:88]
	s_waitcnt lgkmcnt(0)
	s_delay_alu instid0(VALU_DEP_1)
	v_fma_f64 v[91:92], v[95:96], v[101:102], v[87:88]
	scratch_load_b128 v[87:90], off, off offset:152
	s_waitcnt vmcnt(4)
	v_fma_f64 v[101:102], v[97:98], v[103:104], v[91:92]
	ds_load_b128 v[91:94], v1 offset:400
	ds_load_b128 v[95:98], v1 offset:416
	s_waitcnt lgkmcnt(1)
	v_fma_f64 v[91:92], v[99:100], v[91:92], v[101:102]
	scratch_load_b128 v[99:102], off, off offset:168
	s_waitcnt vmcnt(4)
	v_fma_f64 v[91:92], v[109:110], v[93:94], v[91:92]
	s_waitcnt lgkmcnt(0)
	s_delay_alu instid0(VALU_DEP_1)
	v_fma_f64 v[95:96], v[111:112], v[95:96], v[91:92]
	scratch_load_b128 v[91:94], off, off offset:184
	s_waitcnt vmcnt(4)
	v_fma_f64 v[83:84], v[83:84], v[97:98], v[95:96]
	ds_load_b128 v[95:98], v1 offset:432
	ds_load_b128 v[109:112], v1 offset:448
	s_waitcnt lgkmcnt(1)
	v_fma_f64 v[95:96], v[85:86], v[95:96], v[83:84]
	scratch_load_b128 v[83:86], off, off offset:200
	s_waitcnt vmcnt(4)
	v_fma_f64 v[95:96], v[105:106], v[97:98], v[95:96]
	s_waitcnt lgkmcnt(0)
	s_delay_alu instid0(VALU_DEP_1)
	v_fma_f64 v[103:104], v[107:108], v[109:110], v[95:96]
	scratch_load_b128 v[95:98], off, off offset:216
	s_waitcnt vmcnt(4)
	v_fma_f64 v[87:88], v[87:88], v[111:112], v[103:104]
	ds_load_b128 v[103:106], v1 offset:464
	ds_load_b128 v[107:110], v1 offset:480
	s_waitcnt lgkmcnt(1)
	v_fma_f64 v[103:104], v[89:90], v[103:104], v[87:88]
	scratch_load_b128 v[87:90], off, off offset:232
	s_waitcnt vmcnt(4)
	v_fma_f64 v[99:100], v[99:100], v[105:106], v[103:104]
	s_waitcnt lgkmcnt(0)
	s_delay_alu instid0(VALU_DEP_1)
	v_fma_f64 v[103:104], v[101:102], v[107:108], v[99:100]
	scratch_load_b128 v[99:102], off, off offset:248
	s_waitcnt vmcnt(4)
	v_fma_f64 v[91:92], v[91:92], v[109:110], v[103:104]
	ds_load_b128 v[103:106], v1 offset:496
	ds_load_b128 v[107:110], v1 offset:512
	s_waitcnt lgkmcnt(1)
	v_fma_f64 v[103:104], v[93:94], v[103:104], v[91:92]
	scratch_load_b128 v[91:94], off, off offset:264
	s_waitcnt vmcnt(4)
	v_fma_f64 v[83:84], v[83:84], v[105:106], v[103:104]
	s_waitcnt lgkmcnt(0)
	s_delay_alu instid0(VALU_DEP_1)
	v_fma_f64 v[103:104], v[85:86], v[107:108], v[83:84]
	scratch_load_b128 v[83:86], off, off offset:280
	s_waitcnt vmcnt(4)
	v_fma_f64 v[95:96], v[95:96], v[109:110], v[103:104]
	ds_load_b128 v[103:106], v1 offset:528
	ds_load_b128 v[107:110], v1 offset:544
	s_waitcnt lgkmcnt(1)
	v_fma_f64 v[95:96], v[97:98], v[103:104], v[95:96]
	scratch_load_b64 v[103:104], off, off offset:296
	s_waitcnt vmcnt(4)
	v_fma_f64 v[87:88], v[87:88], v[105:106], v[95:96]
	s_waitcnt lgkmcnt(0)
	s_delay_alu instid0(VALU_DEP_1) | instskip(SKIP_1) | instid1(VALU_DEP_1)
	v_fma_f64 v[87:88], v[89:90], v[107:108], v[87:88]
	s_waitcnt vmcnt(3)
	v_fma_f64 v[99:100], v[99:100], v[109:110], v[87:88]
	ds_load_b128 v[87:90], v1 offset:560
	ds_load_b128 v[95:98], v1 offset:576
	s_waitcnt lgkmcnt(1)
	v_fma_f64 v[87:88], v[101:102], v[87:88], v[99:100]
	s_waitcnt vmcnt(2)
	s_delay_alu instid0(VALU_DEP_1) | instskip(SKIP_1) | instid1(VALU_DEP_1)
	v_fma_f64 v[87:88], v[91:92], v[89:90], v[87:88]
	s_waitcnt lgkmcnt(0)
	v_fma_f64 v[87:88], v[93:94], v[95:96], v[87:88]
	s_waitcnt vmcnt(1)
	s_delay_alu instid0(VALU_DEP_1) | instskip(SKIP_4) | instid1(VALU_DEP_1)
	v_fma_f64 v[83:84], v[83:84], v[97:98], v[87:88]
	ds_load_b128 v[87:90], v1 offset:592
	s_waitcnt lgkmcnt(0)
	v_fma_f64 v[1:2], v[85:86], v[87:88], v[83:84]
	s_waitcnt vmcnt(0)
	v_fma_f64 v[1:2], v[103:104], v[89:90], v[1:2]
	s_delay_alu instid0(VALU_DEP_1)
	v_add_f64 v[1:2], v[81:82], -v[1:2]
	scratch_store_b64 off, v[1:2], off offset:24
	v_cmpx_lt_u32_e32 2, v0
	s_cbranch_execz .LBB101_233
; %bb.232:
	scratch_load_b64 v[1:2], off, off offset:16
	v_mov_b32_e32 v81, 0
	s_delay_alu instid0(VALU_DEP_1)
	v_mov_b32_e32 v82, v81
	scratch_store_b64 off, v[81:82], off offset:16
	s_waitcnt vmcnt(0)
	ds_store_b64 v3, v[1:2]
.LBB101_233:
	s_or_b32 exec_lo, exec_lo, s0
	s_waitcnt lgkmcnt(0)
	s_waitcnt_vscnt null, 0x0
	s_barrier
	buffer_gl0_inv
	s_clause 0x4
	scratch_load_b128 v[81:84], off, off offset:16
	scratch_load_b128 v[85:88], off, off offset:32
	;; [unrolled: 1-line block ×5, first 2 shown]
	v_mov_b32_e32 v1, 0
	ds_load_2addr_b64 v[101:104], v1 offset0:41 offset1:42
	ds_load_2addr_b64 v[105:108], v1 offset0:43 offset1:44
	scratch_load_b128 v[109:112], off, off offset:96
	s_mov_b32 s0, exec_lo
	s_waitcnt vmcnt(5) lgkmcnt(1)
	v_fma_f64 v[83:84], v[83:84], v[101:102], 0
	s_waitcnt vmcnt(4)
	s_delay_alu instid0(VALU_DEP_1) | instskip(SKIP_1) | instid1(VALU_DEP_1)
	v_fma_f64 v[83:84], v[85:86], v[103:104], v[83:84]
	s_waitcnt lgkmcnt(0)
	v_fma_f64 v[87:88], v[87:88], v[105:106], v[83:84]
	scratch_load_b128 v[83:86], off, off offset:112
	s_waitcnt vmcnt(4)
	v_fma_f64 v[105:106], v[89:90], v[107:108], v[87:88]
	ds_load_2addr_b64 v[87:90], v1 offset0:45 offset1:46
	ds_load_2addr_b64 v[101:104], v1 offset0:47 offset1:48
	s_waitcnt lgkmcnt(1)
	v_fma_f64 v[87:88], v[91:92], v[87:88], v[105:106]
	scratch_load_b128 v[105:108], off, off offset:128
	s_waitcnt vmcnt(4)
	v_fma_f64 v[87:88], v[93:94], v[89:90], v[87:88]
	s_waitcnt lgkmcnt(0)
	s_delay_alu instid0(VALU_DEP_1)
	v_fma_f64 v[91:92], v[95:96], v[101:102], v[87:88]
	scratch_load_b128 v[87:90], off, off offset:144
	s_waitcnt vmcnt(4)
	v_fma_f64 v[101:102], v[97:98], v[103:104], v[91:92]
	ds_load_2addr_b64 v[91:94], v1 offset0:49 offset1:50
	ds_load_2addr_b64 v[95:98], v1 offset0:51 offset1:52
	s_waitcnt lgkmcnt(1)
	v_fma_f64 v[91:92], v[99:100], v[91:92], v[101:102]
	scratch_load_b128 v[99:102], off, off offset:160
	s_waitcnt vmcnt(4)
	v_fma_f64 v[91:92], v[109:110], v[93:94], v[91:92]
	s_waitcnt lgkmcnt(0)
	s_delay_alu instid0(VALU_DEP_1)
	;; [unrolled: 13-line block ×5, first 2 shown]
	v_fma_f64 v[103:104], v[85:86], v[107:108], v[83:84]
	scratch_load_b128 v[83:86], off, off offset:272
	s_waitcnt vmcnt(4)
	v_fma_f64 v[95:96], v[95:96], v[109:110], v[103:104]
	ds_load_2addr_b64 v[103:106], v1 offset0:65 offset1:66
	ds_load_2addr_b64 v[107:110], v1 offset0:67 offset1:68
	s_waitcnt lgkmcnt(1)
	v_fma_f64 v[103:104], v[97:98], v[103:104], v[95:96]
	scratch_load_b128 v[95:98], off, off offset:288
	s_waitcnt vmcnt(4)
	v_fma_f64 v[87:88], v[87:88], v[105:106], v[103:104]
	s_waitcnt lgkmcnt(0)
	s_delay_alu instid0(VALU_DEP_1) | instskip(SKIP_1) | instid1(VALU_DEP_1)
	v_fma_f64 v[87:88], v[89:90], v[107:108], v[87:88]
	s_waitcnt vmcnt(3)
	v_fma_f64 v[99:100], v[99:100], v[109:110], v[87:88]
	ds_load_2addr_b64 v[87:90], v1 offset0:69 offset1:70
	ds_load_2addr_b64 v[103:106], v1 offset0:71 offset1:72
	s_waitcnt lgkmcnt(1)
	v_fma_f64 v[87:88], v[101:102], v[87:88], v[99:100]
	s_waitcnt vmcnt(2)
	s_delay_alu instid0(VALU_DEP_1) | instskip(SKIP_1) | instid1(VALU_DEP_1)
	v_fma_f64 v[87:88], v[91:92], v[89:90], v[87:88]
	s_waitcnt lgkmcnt(0)
	v_fma_f64 v[87:88], v[93:94], v[103:104], v[87:88]
	s_waitcnt vmcnt(1)
	s_delay_alu instid0(VALU_DEP_1)
	v_fma_f64 v[83:84], v[83:84], v[105:106], v[87:88]
	ds_load_2addr_b64 v[87:90], v1 offset0:73 offset1:74
	ds_load_b64 v[91:92], v1 offset:600
	s_waitcnt lgkmcnt(1)
	v_fma_f64 v[83:84], v[85:86], v[87:88], v[83:84]
	s_waitcnt vmcnt(0)
	s_delay_alu instid0(VALU_DEP_1) | instskip(SKIP_1) | instid1(VALU_DEP_1)
	v_fma_f64 v[83:84], v[95:96], v[89:90], v[83:84]
	s_waitcnt lgkmcnt(0)
	v_fma_f64 v[83:84], v[97:98], v[91:92], v[83:84]
	s_delay_alu instid0(VALU_DEP_1)
	v_add_f64 v[81:82], v[81:82], -v[83:84]
	scratch_store_b64 off, v[81:82], off offset:16
	v_cmpx_lt_u32_e32 1, v0
	s_cbranch_execz .LBB101_235
; %bb.234:
	scratch_load_b64 v[81:82], off, off offset:8
	v_mov_b32_e32 v2, v1
	scratch_store_b64 off, v[1:2], off offset:8
	s_waitcnt vmcnt(0)
	ds_store_b64 v3, v[81:82]
.LBB101_235:
	s_or_b32 exec_lo, exec_lo, s0
	s_waitcnt lgkmcnt(0)
	s_waitcnt_vscnt null, 0x0
	s_barrier
	buffer_gl0_inv
	s_clause 0x4
	scratch_load_b128 v[81:84], off, off offset:8
	scratch_load_b128 v[85:88], off, off offset:24
	scratch_load_b128 v[89:92], off, off offset:40
	scratch_load_b128 v[93:96], off, off offset:56
	scratch_load_b128 v[97:100], off, off offset:72
	ds_load_b128 v[101:104], v1 offset:320
	ds_load_b128 v[105:108], v1 offset:336
	scratch_load_b128 v[109:112], off, off offset:88
	s_mov_b32 s0, exec_lo
	s_waitcnt vmcnt(5) lgkmcnt(1)
	v_fma_f64 v[83:84], v[83:84], v[101:102], 0
	s_waitcnt vmcnt(4)
	s_delay_alu instid0(VALU_DEP_1) | instskip(SKIP_1) | instid1(VALU_DEP_1)
	v_fma_f64 v[83:84], v[85:86], v[103:104], v[83:84]
	s_waitcnt lgkmcnt(0)
	v_fma_f64 v[87:88], v[87:88], v[105:106], v[83:84]
	scratch_load_b128 v[83:86], off, off offset:104
	s_waitcnt vmcnt(4)
	v_fma_f64 v[105:106], v[89:90], v[107:108], v[87:88]
	ds_load_b128 v[87:90], v1 offset:352
	ds_load_b128 v[101:104], v1 offset:368
	s_waitcnt lgkmcnt(1)
	v_fma_f64 v[87:88], v[91:92], v[87:88], v[105:106]
	scratch_load_b128 v[105:108], off, off offset:120
	s_waitcnt vmcnt(4)
	v_fma_f64 v[87:88], v[93:94], v[89:90], v[87:88]
	s_waitcnt lgkmcnt(0)
	s_delay_alu instid0(VALU_DEP_1)
	v_fma_f64 v[91:92], v[95:96], v[101:102], v[87:88]
	scratch_load_b128 v[87:90], off, off offset:136
	s_waitcnt vmcnt(4)
	v_fma_f64 v[101:102], v[97:98], v[103:104], v[91:92]
	ds_load_b128 v[91:94], v1 offset:384
	ds_load_b128 v[95:98], v1 offset:400
	s_waitcnt lgkmcnt(1)
	v_fma_f64 v[91:92], v[99:100], v[91:92], v[101:102]
	scratch_load_b128 v[99:102], off, off offset:152
	s_waitcnt vmcnt(4)
	v_fma_f64 v[91:92], v[109:110], v[93:94], v[91:92]
	s_waitcnt lgkmcnt(0)
	s_delay_alu instid0(VALU_DEP_1)
	v_fma_f64 v[95:96], v[111:112], v[95:96], v[91:92]
	scratch_load_b128 v[91:94], off, off offset:168
	s_waitcnt vmcnt(4)
	v_fma_f64 v[83:84], v[83:84], v[97:98], v[95:96]
	ds_load_b128 v[95:98], v1 offset:416
	ds_load_b128 v[109:112], v1 offset:432
	s_waitcnt lgkmcnt(1)
	v_fma_f64 v[95:96], v[85:86], v[95:96], v[83:84]
	scratch_load_b128 v[83:86], off, off offset:184
	s_waitcnt vmcnt(4)
	v_fma_f64 v[95:96], v[105:106], v[97:98], v[95:96]
	s_waitcnt lgkmcnt(0)
	s_delay_alu instid0(VALU_DEP_1)
	v_fma_f64 v[103:104], v[107:108], v[109:110], v[95:96]
	scratch_load_b128 v[95:98], off, off offset:200
	s_waitcnt vmcnt(4)
	v_fma_f64 v[87:88], v[87:88], v[111:112], v[103:104]
	ds_load_b128 v[103:106], v1 offset:448
	ds_load_b128 v[107:110], v1 offset:464
	s_waitcnt lgkmcnt(1)
	v_fma_f64 v[103:104], v[89:90], v[103:104], v[87:88]
	scratch_load_b128 v[87:90], off, off offset:216
	s_waitcnt vmcnt(4)
	v_fma_f64 v[99:100], v[99:100], v[105:106], v[103:104]
	s_waitcnt lgkmcnt(0)
	s_delay_alu instid0(VALU_DEP_1)
	v_fma_f64 v[103:104], v[101:102], v[107:108], v[99:100]
	scratch_load_b128 v[99:102], off, off offset:232
	s_waitcnt vmcnt(4)
	v_fma_f64 v[91:92], v[91:92], v[109:110], v[103:104]
	ds_load_b128 v[103:106], v1 offset:480
	ds_load_b128 v[107:110], v1 offset:496
	s_waitcnt lgkmcnt(1)
	v_fma_f64 v[103:104], v[93:94], v[103:104], v[91:92]
	scratch_load_b128 v[91:94], off, off offset:248
	s_waitcnt vmcnt(4)
	v_fma_f64 v[83:84], v[83:84], v[105:106], v[103:104]
	s_waitcnt lgkmcnt(0)
	s_delay_alu instid0(VALU_DEP_1)
	v_fma_f64 v[103:104], v[85:86], v[107:108], v[83:84]
	scratch_load_b128 v[83:86], off, off offset:264
	s_waitcnt vmcnt(4)
	v_fma_f64 v[95:96], v[95:96], v[109:110], v[103:104]
	ds_load_b128 v[103:106], v1 offset:512
	ds_load_b128 v[107:110], v1 offset:528
	s_waitcnt lgkmcnt(1)
	v_fma_f64 v[103:104], v[97:98], v[103:104], v[95:96]
	scratch_load_b128 v[95:98], off, off offset:280
	s_waitcnt vmcnt(4)
	v_fma_f64 v[87:88], v[87:88], v[105:106], v[103:104]
	s_waitcnt lgkmcnt(0)
	s_delay_alu instid0(VALU_DEP_1)
	v_fma_f64 v[87:88], v[89:90], v[107:108], v[87:88]
	scratch_load_b64 v[107:108], off, off offset:296
	s_waitcnt vmcnt(4)
	v_fma_f64 v[99:100], v[99:100], v[109:110], v[87:88]
	ds_load_b128 v[87:90], v1 offset:544
	ds_load_b128 v[103:106], v1 offset:560
	s_waitcnt lgkmcnt(1)
	v_fma_f64 v[87:88], v[101:102], v[87:88], v[99:100]
	s_waitcnt vmcnt(3)
	s_delay_alu instid0(VALU_DEP_1) | instskip(SKIP_1) | instid1(VALU_DEP_1)
	v_fma_f64 v[87:88], v[91:92], v[89:90], v[87:88]
	s_waitcnt lgkmcnt(0)
	v_fma_f64 v[87:88], v[93:94], v[103:104], v[87:88]
	s_waitcnt vmcnt(2)
	s_delay_alu instid0(VALU_DEP_1)
	v_fma_f64 v[83:84], v[83:84], v[105:106], v[87:88]
	ds_load_b128 v[87:90], v1 offset:576
	ds_load_b128 v[91:94], v1 offset:592
	s_waitcnt lgkmcnt(1)
	v_fma_f64 v[1:2], v[85:86], v[87:88], v[83:84]
	s_waitcnt vmcnt(1)
	s_delay_alu instid0(VALU_DEP_1) | instskip(SKIP_1) | instid1(VALU_DEP_1)
	v_fma_f64 v[1:2], v[95:96], v[89:90], v[1:2]
	s_waitcnt lgkmcnt(0)
	v_fma_f64 v[1:2], v[97:98], v[91:92], v[1:2]
	s_waitcnt vmcnt(0)
	s_delay_alu instid0(VALU_DEP_1) | instskip(NEXT) | instid1(VALU_DEP_1)
	v_fma_f64 v[1:2], v[107:108], v[93:94], v[1:2]
	v_add_f64 v[1:2], v[81:82], -v[1:2]
	scratch_store_b64 off, v[1:2], off offset:8
	v_cmpx_ne_u32_e32 0, v0
	s_cbranch_execz .LBB101_237
; %bb.236:
	scratch_load_b64 v[0:1], off, off
	v_mov_b32_e32 v81, 0
	s_delay_alu instid0(VALU_DEP_1)
	v_mov_b32_e32 v82, v81
	scratch_store_b64 off, v[81:82], off
	s_waitcnt vmcnt(0)
	ds_store_b64 v3, v[0:1]
.LBB101_237:
	s_or_b32 exec_lo, exec_lo, s0
	s_waitcnt lgkmcnt(0)
	s_waitcnt_vscnt null, 0x0
	s_barrier
	buffer_gl0_inv
	s_clause 0x4
	scratch_load_b128 v[81:84], off, off
	scratch_load_b128 v[0:3], off, off offset:16
	scratch_load_b128 v[85:88], off, off offset:32
	;; [unrolled: 1-line block ×4, first 2 shown]
	v_mov_b32_e32 v8, 0
	ds_load_2addr_b64 v[97:100], v8 offset0:39 offset1:40
	ds_load_2addr_b64 v[101:104], v8 offset0:41 offset1:42
	scratch_load_b128 v[105:108], off, off offset:80
	s_and_b32 vcc_lo, exec_lo, s12
	s_waitcnt vmcnt(5) lgkmcnt(1)
	v_fma_f64 v[83:84], v[83:84], v[97:98], 0
	s_waitcnt vmcnt(4)
	s_delay_alu instid0(VALU_DEP_1) | instskip(SKIP_1) | instid1(VALU_DEP_1)
	v_fma_f64 v[0:1], v[0:1], v[99:100], v[83:84]
	s_waitcnt lgkmcnt(0)
	v_fma_f64 v[83:84], v[2:3], v[101:102], v[0:1]
	scratch_load_b128 v[0:3], off, off offset:96
	s_waitcnt vmcnt(4)
	v_fma_f64 v[101:102], v[85:86], v[103:104], v[83:84]
	ds_load_2addr_b64 v[83:86], v8 offset0:43 offset1:44
	ds_load_2addr_b64 v[97:100], v8 offset0:45 offset1:46
	s_waitcnt lgkmcnt(1)
	v_fma_f64 v[83:84], v[87:88], v[83:84], v[101:102]
	scratch_load_b128 v[101:104], off, off offset:112
	s_waitcnt vmcnt(4)
	v_fma_f64 v[83:84], v[89:90], v[85:86], v[83:84]
	s_waitcnt lgkmcnt(0)
	s_delay_alu instid0(VALU_DEP_1)
	v_fma_f64 v[87:88], v[91:92], v[97:98], v[83:84]
	scratch_load_b128 v[83:86], off, off offset:128
	s_waitcnt vmcnt(4)
	v_fma_f64 v[97:98], v[93:94], v[99:100], v[87:88]
	ds_load_2addr_b64 v[87:90], v8 offset0:47 offset1:48
	ds_load_2addr_b64 v[91:94], v8 offset0:49 offset1:50
	s_waitcnt lgkmcnt(1)
	v_fma_f64 v[87:88], v[95:96], v[87:88], v[97:98]
	scratch_load_b128 v[95:98], off, off offset:144
	s_waitcnt vmcnt(4)
	v_fma_f64 v[87:88], v[105:106], v[89:90], v[87:88]
	s_waitcnt lgkmcnt(0)
	s_delay_alu instid0(VALU_DEP_1)
	;; [unrolled: 13-line block ×4, first 2 shown]
	v_fma_f64 v[99:100], v[97:98], v[103:104], v[95:96]
	scratch_load_b128 v[95:98], off, off offset:224
	s_waitcnt vmcnt(4)
	v_fma_f64 v[87:88], v[87:88], v[105:106], v[99:100]
	ds_load_2addr_b64 v[99:102], v8 offset0:59 offset1:60
	ds_load_2addr_b64 v[103:106], v8 offset0:61 offset1:62
	s_waitcnt lgkmcnt(1)
	v_fma_f64 v[99:100], v[89:90], v[99:100], v[87:88]
	scratch_load_b128 v[87:90], off, off offset:240
	s_waitcnt vmcnt(4)
	v_fma_f64 v[0:1], v[0:1], v[101:102], v[99:100]
	scratch_load_b128 v[99:102], off, off offset:256
	s_waitcnt lgkmcnt(0)
	v_fma_f64 v[0:1], v[2:3], v[103:104], v[0:1]
	s_waitcnt vmcnt(4)
	s_delay_alu instid0(VALU_DEP_1)
	v_fma_f64 v[91:92], v[91:92], v[105:106], v[0:1]
	ds_load_2addr_b64 v[0:3], v8 offset0:63 offset1:64
	ds_load_2addr_b64 v[103:106], v8 offset0:65 offset1:66
	s_waitcnt lgkmcnt(1)
	v_fma_f64 v[0:1], v[93:94], v[0:1], v[91:92]
	scratch_load_b128 v[91:94], off, off offset:272
	s_waitcnt vmcnt(4)
	v_fma_f64 v[0:1], v[83:84], v[2:3], v[0:1]
	s_waitcnt lgkmcnt(0)
	s_delay_alu instid0(VALU_DEP_1)
	v_fma_f64 v[83:84], v[85:86], v[103:104], v[0:1]
	scratch_load_b128 v[0:3], off, off offset:288
	s_waitcnt vmcnt(4)
	v_fma_f64 v[95:96], v[95:96], v[105:106], v[83:84]
	ds_load_2addr_b64 v[83:86], v8 offset0:67 offset1:68
	ds_load_2addr_b64 v[103:106], v8 offset0:69 offset1:70
	s_waitcnt lgkmcnt(1)
	v_fma_f64 v[83:84], v[97:98], v[83:84], v[95:96]
	s_waitcnt vmcnt(3)
	s_delay_alu instid0(VALU_DEP_1) | instskip(SKIP_1) | instid1(VALU_DEP_1)
	v_fma_f64 v[83:84], v[87:88], v[85:86], v[83:84]
	s_waitcnt lgkmcnt(0)
	v_fma_f64 v[83:84], v[89:90], v[103:104], v[83:84]
	s_waitcnt vmcnt(2)
	s_delay_alu instid0(VALU_DEP_1)
	v_fma_f64 v[95:96], v[99:100], v[105:106], v[83:84]
	ds_load_2addr_b64 v[83:86], v8 offset0:71 offset1:72
	ds_load_2addr_b64 v[87:90], v8 offset0:73 offset1:74
	s_waitcnt lgkmcnt(1)
	v_fma_f64 v[83:84], v[101:102], v[83:84], v[95:96]
	s_waitcnt vmcnt(1)
	s_delay_alu instid0(VALU_DEP_1) | instskip(SKIP_4) | instid1(VALU_DEP_1)
	v_fma_f64 v[83:84], v[91:92], v[85:86], v[83:84]
	ds_load_b64 v[85:86], v8 offset:600
	s_waitcnt lgkmcnt(1)
	v_fma_f64 v[83:84], v[93:94], v[87:88], v[83:84]
	s_waitcnt vmcnt(0)
	v_fma_f64 v[83:84], v[0:1], v[89:90], v[83:84]
	s_waitcnt lgkmcnt(0)
	s_delay_alu instid0(VALU_DEP_1) | instskip(NEXT) | instid1(VALU_DEP_1)
	v_fma_f64 v[2:3], v[2:3], v[85:86], v[83:84]
	v_add_f64 v[2:3], v[81:82], -v[2:3]
	scratch_store_b64 off, v[2:3], off
	s_cbranch_vccz .LBB101_313
; %bb.238:
	v_dual_mov_b32 v2, s2 :: v_dual_mov_b32 v3, s3
	s_mov_b32 s0, exec_lo
	flat_load_b32 v2, v[2:3] offset:144
	s_waitcnt vmcnt(0) lgkmcnt(0)
	v_cmpx_ne_u32_e32 37, v2
	s_cbranch_execz .LBB101_240
; %bb.239:
	v_lshl_add_u32 v8, v2, 3, 0
	scratch_load_b64 v[2:3], v8, off offset:-8
	s_waitcnt vmcnt(0)
	scratch_store_b64 off, v[2:3], off offset:288
	scratch_store_b64 v8, v[0:1], off offset:-8
.LBB101_240:
	s_or_b32 exec_lo, exec_lo, s0
	v_dual_mov_b32 v0, s2 :: v_dual_mov_b32 v1, s3
	s_mov_b32 s0, exec_lo
	flat_load_b32 v0, v[0:1] offset:140
	s_waitcnt vmcnt(0) lgkmcnt(0)
	v_cmpx_ne_u32_e32 36, v0
	s_cbranch_execz .LBB101_242
; %bb.241:
	v_lshl_add_u32 v8, v0, 3, 0
	scratch_load_b64 v[0:1], v8, off offset:-8
	scratch_load_b64 v[2:3], off, off offset:280
	s_waitcnt vmcnt(1)
	scratch_store_b64 off, v[0:1], off offset:280
	s_waitcnt vmcnt(0)
	scratch_store_b64 v8, v[2:3], off offset:-8
.LBB101_242:
	s_or_b32 exec_lo, exec_lo, s0
	v_dual_mov_b32 v0, s2 :: v_dual_mov_b32 v1, s3
	s_mov_b32 s0, exec_lo
	flat_load_b32 v0, v[0:1] offset:136
	s_waitcnt vmcnt(0) lgkmcnt(0)
	v_cmpx_ne_u32_e32 35, v0
	s_cbranch_execz .LBB101_244
; %bb.243:
	v_lshl_add_u32 v8, v0, 3, 0
	scratch_load_b64 v[0:1], v8, off offset:-8
	scratch_load_b64 v[2:3], off, off offset:272
	s_waitcnt vmcnt(1)
	scratch_store_b64 off, v[0:1], off offset:272
	s_waitcnt vmcnt(0)
	scratch_store_b64 v8, v[2:3], off offset:-8
.LBB101_244:
	;; [unrolled: 16-line block ×35, first 2 shown]
	s_or_b32 exec_lo, exec_lo, s0
	v_dual_mov_b32 v0, s2 :: v_dual_mov_b32 v1, s3
	s_mov_b32 s0, exec_lo
	flat_load_b32 v0, v[0:1]
	scratch_load_b64 v[2:3], off, off
	s_waitcnt vmcnt(1) lgkmcnt(0)
	v_cmpx_ne_u32_e32 1, v0
	s_cbranch_execz .LBB101_312
; %bb.311:
	v_lshl_add_u32 v8, v0, 3, 0
	scratch_load_b64 v[0:1], v8, off offset:-8
	s_waitcnt vmcnt(0)
	scratch_store_b64 off, v[0:1], off
	scratch_store_b64 v8, v[2:3], off offset:-8
	scratch_load_b64 v[2:3], off, off
.LBB101_312:
	s_or_b32 exec_lo, exec_lo, s0
.LBB101_313:
	s_clause 0x8
	scratch_load_b128 v[81:84], off, off offset:8
	scratch_load_b128 v[85:88], off, off offset:24
	scratch_load_b128 v[89:92], off, off offset:40
	scratch_load_b128 v[93:96], off, off offset:56
	scratch_load_b128 v[97:100], off, off offset:72
	scratch_load_b128 v[101:104], off, off offset:88
	scratch_load_b128 v[105:108], off, off offset:104
	scratch_load_b128 v[109:112], off, off offset:120
	scratch_load_b128 v[113:116], off, off offset:136
	s_waitcnt vmcnt(9)
	global_store_b64 v[11:12], v[2:3], off
	s_clause 0x1
	scratch_load_b128 v[0:3], off, off offset:152
	scratch_load_b128 v[117:120], off, off offset:232
	s_waitcnt vmcnt(10)
	global_store_b64 v[9:10], v[81:82], off
	scratch_load_b128 v[8:11], off, off offset:168
	global_store_b64 v[13:14], v[83:84], off
	s_waitcnt vmcnt(10)
	s_clause 0x1
	global_store_b64 v[15:16], v[85:86], off
	global_store_b64 v[31:32], v[87:88], off
	s_waitcnt vmcnt(9)
	s_clause 0x1
	global_store_b64 v[23:24], v[89:90], off
	;; [unrolled: 4-line block ×3, first 2 shown]
	global_store_b64 v[21:22], v[95:96], off
	s_clause 0x6
	scratch_load_b128 v[81:84], off, off offset:184
	scratch_load_b128 v[12:15], off, off offset:200
	;; [unrolled: 1-line block ×6, first 2 shown]
	scratch_load_b64 v[21:22], off, off offset:296
	s_waitcnt vmcnt(14)
	s_clause 0x1
	global_store_b64 v[17:18], v[97:98], off
	global_store_b64 v[19:20], v[99:100], off
	s_waitcnt vmcnt(13)
	s_clause 0x1
	global_store_b64 v[27:28], v[101:102], off
	global_store_b64 v[33:34], v[103:104], off
	;; [unrolled: 4-line block ×10, first 2 shown]
	global_store_b64 v[65:66], v[117:118], off
	global_store_b64 v[67:68], v[119:120], off
	s_waitcnt vmcnt(3)
	s_clause 0x1
	global_store_b64 v[69:70], v[29:30], off
	global_store_b64 v[71:72], v[31:32], off
	s_waitcnt vmcnt(2)
	s_clause 0x1
	;; [unrolled: 4-line block ×3, first 2 shown]
	global_store_b64 v[77:78], v[89:90], off
	global_store_b64 v[79:80], v[91:92], off
	s_waitcnt vmcnt(0)
	global_store_b64 v[37:38], v[21:22], off
	s_endpgm
	.section	.rodata,"a",@progbits
	.p2align	6, 0x0
	.amdhsa_kernel _ZN9rocsolver6v33100L18getri_kernel_smallILi38EdPKPdEEvT1_iilPiilS6_bb
		.amdhsa_group_segment_fixed_size 616
		.amdhsa_private_segment_fixed_size 320
		.amdhsa_kernarg_size 60
		.amdhsa_user_sgpr_count 15
		.amdhsa_user_sgpr_dispatch_ptr 0
		.amdhsa_user_sgpr_queue_ptr 0
		.amdhsa_user_sgpr_kernarg_segment_ptr 1
		.amdhsa_user_sgpr_dispatch_id 0
		.amdhsa_user_sgpr_private_segment_size 0
		.amdhsa_wavefront_size32 1
		.amdhsa_uses_dynamic_stack 0
		.amdhsa_enable_private_segment 1
		.amdhsa_system_sgpr_workgroup_id_x 1
		.amdhsa_system_sgpr_workgroup_id_y 0
		.amdhsa_system_sgpr_workgroup_id_z 0
		.amdhsa_system_sgpr_workgroup_info 0
		.amdhsa_system_vgpr_workitem_id 0
		.amdhsa_next_free_vgpr 124
		.amdhsa_next_free_sgpr 17
		.amdhsa_reserve_vcc 1
		.amdhsa_float_round_mode_32 0
		.amdhsa_float_round_mode_16_64 0
		.amdhsa_float_denorm_mode_32 3
		.amdhsa_float_denorm_mode_16_64 3
		.amdhsa_dx10_clamp 1
		.amdhsa_ieee_mode 1
		.amdhsa_fp16_overflow 0
		.amdhsa_workgroup_processor_mode 1
		.amdhsa_memory_ordered 1
		.amdhsa_forward_progress 0
		.amdhsa_shared_vgpr_count 0
		.amdhsa_exception_fp_ieee_invalid_op 0
		.amdhsa_exception_fp_denorm_src 0
		.amdhsa_exception_fp_ieee_div_zero 0
		.amdhsa_exception_fp_ieee_overflow 0
		.amdhsa_exception_fp_ieee_underflow 0
		.amdhsa_exception_fp_ieee_inexact 0
		.amdhsa_exception_int_div_zero 0
	.end_amdhsa_kernel
	.section	.text._ZN9rocsolver6v33100L18getri_kernel_smallILi38EdPKPdEEvT1_iilPiilS6_bb,"axG",@progbits,_ZN9rocsolver6v33100L18getri_kernel_smallILi38EdPKPdEEvT1_iilPiilS6_bb,comdat
.Lfunc_end101:
	.size	_ZN9rocsolver6v33100L18getri_kernel_smallILi38EdPKPdEEvT1_iilPiilS6_bb, .Lfunc_end101-_ZN9rocsolver6v33100L18getri_kernel_smallILi38EdPKPdEEvT1_iilPiilS6_bb
                                        ; -- End function
	.section	.AMDGPU.csdata,"",@progbits
; Kernel info:
; codeLenInByte = 31980
; NumSgprs: 19
; NumVgprs: 124
; ScratchSize: 320
; MemoryBound: 0
; FloatMode: 240
; IeeeMode: 1
; LDSByteSize: 616 bytes/workgroup (compile time only)
; SGPRBlocks: 2
; VGPRBlocks: 15
; NumSGPRsForWavesPerEU: 19
; NumVGPRsForWavesPerEU: 124
; Occupancy: 10
; WaveLimiterHint : 1
; COMPUTE_PGM_RSRC2:SCRATCH_EN: 1
; COMPUTE_PGM_RSRC2:USER_SGPR: 15
; COMPUTE_PGM_RSRC2:TRAP_HANDLER: 0
; COMPUTE_PGM_RSRC2:TGID_X_EN: 1
; COMPUTE_PGM_RSRC2:TGID_Y_EN: 0
; COMPUTE_PGM_RSRC2:TGID_Z_EN: 0
; COMPUTE_PGM_RSRC2:TIDIG_COMP_CNT: 0
	.section	.text._ZN9rocsolver6v33100L18getri_kernel_smallILi39EdPKPdEEvT1_iilPiilS6_bb,"axG",@progbits,_ZN9rocsolver6v33100L18getri_kernel_smallILi39EdPKPdEEvT1_iilPiilS6_bb,comdat
	.globl	_ZN9rocsolver6v33100L18getri_kernel_smallILi39EdPKPdEEvT1_iilPiilS6_bb ; -- Begin function _ZN9rocsolver6v33100L18getri_kernel_smallILi39EdPKPdEEvT1_iilPiilS6_bb
	.p2align	8
	.type	_ZN9rocsolver6v33100L18getri_kernel_smallILi39EdPKPdEEvT1_iilPiilS6_bb,@function
_ZN9rocsolver6v33100L18getri_kernel_smallILi39EdPKPdEEvT1_iilPiilS6_bb: ; @_ZN9rocsolver6v33100L18getri_kernel_smallILi39EdPKPdEEvT1_iilPiilS6_bb
; %bb.0:
	s_mov_b32 s2, exec_lo
	v_cmpx_gt_u32_e32 39, v0
	s_cbranch_execz .LBB102_166
; %bb.1:
	s_clause 0x1
	s_load_b32 s13, s[0:1], 0x38
	s_load_b64 s[2:3], s[0:1], 0x0
	s_mov_b32 s8, s15
	s_load_b128 s[4:7], s[0:1], 0x28
	s_waitcnt lgkmcnt(0)
	s_bitcmp1_b32 s13, 8
	s_cselect_b32 s12, -1, 0
	s_ashr_i32 s9, s15, 31
	s_delay_alu instid0(SALU_CYCLE_1) | instskip(NEXT) | instid1(SALU_CYCLE_1)
	s_lshl_b64 s[10:11], s[8:9], 3
	s_add_u32 s2, s2, s10
	s_addc_u32 s3, s3, s11
	s_load_b64 s[10:11], s[2:3], 0x0
	s_bfe_u32 s2, s13, 0x10008
	s_delay_alu instid0(SALU_CYCLE_1)
	s_cmp_eq_u32 s2, 0
                                        ; implicit-def: $sgpr2_sgpr3
	s_cbranch_scc1 .LBB102_3
; %bb.2:
	s_clause 0x1
	s_load_b32 s2, s[0:1], 0x20
	s_load_b64 s[14:15], s[0:1], 0x18
	s_mul_i32 s3, s8, s5
	s_mul_hi_u32 s5, s8, s4
	s_mul_i32 s16, s9, s4
	s_add_i32 s3, s5, s3
	s_mul_i32 s4, s8, s4
	s_add_i32 s5, s3, s16
	s_delay_alu instid0(SALU_CYCLE_1)
	s_lshl_b64 s[4:5], s[4:5], 2
	s_waitcnt lgkmcnt(0)
	s_ashr_i32 s3, s2, 31
	s_add_u32 s4, s14, s4
	s_addc_u32 s5, s15, s5
	s_lshl_b64 s[2:3], s[2:3], 2
	s_delay_alu instid0(SALU_CYCLE_1)
	s_add_u32 s2, s4, s2
	s_addc_u32 s3, s5, s3
.LBB102_3:
	s_load_b64 s[4:5], s[0:1], 0x8
	v_lshlrev_b32_e32 v3, 3, v0
	s_waitcnt lgkmcnt(0)
	s_ashr_i32 s1, s4, 31
	s_mov_b32 s0, s4
	v_add3_u32 v1, s5, s5, v0
	s_lshl_b64 s[0:1], s[0:1], 3
	s_mov_b32 s14, s5
	s_add_u32 s0, s10, s0
	s_addc_u32 s1, s11, s1
	v_add_nc_u32_e32 v8, s5, v1
	v_add_co_u32 v6, s4, s0, v3
	s_ashr_i32 s15, s5, 31
	v_add_co_ci_u32_e64 v7, null, s1, 0, s4
	s_lshl_b64 s[10:11], s[14:15], 3
	v_ashrrev_i32_e32 v2, 31, v1
	v_add_co_u32 v4, vcc_lo, v6, s10
	v_add_nc_u32_e32 v10, s5, v8
	v_add_co_ci_u32_e32 v5, vcc_lo, s11, v7, vcc_lo
	v_ashrrev_i32_e32 v9, 31, v8
	v_lshlrev_b64 v[1:2], 3, v[1:2]
	s_delay_alu instid0(VALU_DEP_4)
	v_add_nc_u32_e32 v18, s5, v10
	s_clause 0x1
	global_load_b64 v[42:43], v3, s[0:1]
	global_load_b64 v[44:45], v[4:5], off
	v_lshlrev_b64 v[8:9], 3, v[8:9]
	v_ashrrev_i32_e32 v11, 31, v10
	v_add_co_u32 v14, vcc_lo, s0, v1
	v_ashrrev_i32_e32 v19, 31, v18
	v_add_co_ci_u32_e32 v15, vcc_lo, s1, v2, vcc_lo
	s_delay_alu instid0(VALU_DEP_4) | instskip(SKIP_3) | instid1(VALU_DEP_4)
	v_lshlrev_b64 v[1:2], 3, v[10:11]
	v_add_co_u32 v12, vcc_lo, s0, v8
	v_add_co_ci_u32_e32 v13, vcc_lo, s1, v9, vcc_lo
	v_lshlrev_b64 v[8:9], 3, v[18:19]
	v_add_co_u32 v16, vcc_lo, s0, v1
	v_add_co_ci_u32_e32 v17, vcc_lo, s1, v2, vcc_lo
	v_add_nc_u32_e32 v1, s5, v18
	s_delay_alu instid0(VALU_DEP_4)
	v_add_co_u32 v8, vcc_lo, s0, v8
	v_add_co_ci_u32_e32 v9, vcc_lo, s1, v9, vcc_lo
	s_clause 0x3
	global_load_b64 v[50:51], v[14:15], off
	global_load_b64 v[52:53], v[12:13], off
	;; [unrolled: 1-line block ×4, first 2 shown]
	v_add_nc_u32_e32 v10, s5, v1
	v_ashrrev_i32_e32 v2, 31, v1
	s_bitcmp0_b32 s13, 0
	s_delay_alu instid0(VALU_DEP_2) | instskip(SKIP_1) | instid1(VALU_DEP_3)
	v_add_nc_u32_e32 v18, s5, v10
	v_ashrrev_i32_e32 v11, 31, v10
	v_lshlrev_b64 v[1:2], 3, v[1:2]
	s_delay_alu instid0(VALU_DEP_3) | instskip(SKIP_1) | instid1(VALU_DEP_4)
	v_add_nc_u32_e32 v22, s5, v18
	v_ashrrev_i32_e32 v19, 31, v18
	v_lshlrev_b64 v[10:11], 3, v[10:11]
	s_delay_alu instid0(VALU_DEP_4) | instskip(NEXT) | instid1(VALU_DEP_4)
	v_add_co_u32 v28, vcc_lo, s0, v1
	v_add_nc_u32_e32 v26, s5, v22
	v_add_co_ci_u32_e32 v29, vcc_lo, s1, v2, vcc_lo
	v_lshlrev_b64 v[1:2], 3, v[18:19]
	v_ashrrev_i32_e32 v23, 31, v22
	s_delay_alu instid0(VALU_DEP_4) | instskip(SKIP_3) | instid1(VALU_DEP_4)
	v_add_nc_u32_e32 v30, s5, v26
	v_add_co_u32 v20, vcc_lo, s0, v10
	v_ashrrev_i32_e32 v27, 31, v26
	v_add_co_ci_u32_e32 v21, vcc_lo, s1, v11, vcc_lo
	v_add_nc_u32_e32 v32, s5, v30
	v_lshlrev_b64 v[10:11], 3, v[22:23]
	v_add_co_u32 v24, vcc_lo, s0, v1
	v_add_co_ci_u32_e32 v25, vcc_lo, s1, v2, vcc_lo
	s_delay_alu instid0(VALU_DEP_4) | instskip(SKIP_3) | instid1(VALU_DEP_4)
	v_add_nc_u32_e32 v34, s5, v32
	v_ashrrev_i32_e32 v31, 31, v30
	v_lshlrev_b64 v[1:2], 3, v[26:27]
	v_add_co_u32 v10, vcc_lo, s0, v10
	v_add_nc_u32_e32 v36, s5, v34
	v_ashrrev_i32_e32 v33, 31, v32
	v_add_co_ci_u32_e32 v11, vcc_lo, s1, v11, vcc_lo
	v_lshlrev_b64 v[22:23], 3, v[30:31]
	s_delay_alu instid0(VALU_DEP_4) | instskip(SKIP_2) | instid1(VALU_DEP_3)
	v_add_nc_u32_e32 v38, s5, v36
	v_add_co_u32 v18, vcc_lo, s0, v1
	v_add_co_ci_u32_e32 v19, vcc_lo, s1, v2, vcc_lo
	v_add_nc_u32_e32 v40, s5, v38
	v_lshlrev_b64 v[1:2], 3, v[32:33]
	v_ashrrev_i32_e32 v35, 31, v34
	v_add_co_u32 v22, vcc_lo, s0, v22
	s_delay_alu instid0(VALU_DEP_4) | instskip(SKIP_3) | instid1(VALU_DEP_4)
	v_add_nc_u32_e32 v46, s5, v40
	v_ashrrev_i32_e32 v37, 31, v36
	v_ashrrev_i32_e32 v39, 31, v38
	v_add_co_ci_u32_e32 v23, vcc_lo, s1, v23, vcc_lo
	v_add_nc_u32_e32 v48, s5, v46
	v_lshlrev_b64 v[30:31], 3, v[34:35]
	v_add_co_u32 v26, vcc_lo, s0, v1
	s_clause 0x2
	global_load_b64 v[58:59], v[28:29], off
	global_load_b64 v[60:61], v[20:21], off
	;; [unrolled: 1-line block ×3, first 2 shown]
	v_add_nc_u32_e32 v82, s5, v48
	v_add_co_ci_u32_e32 v27, vcc_lo, s1, v2, vcc_lo
	v_lshlrev_b64 v[1:2], 3, v[36:37]
	global_load_b64 v[64:65], v[10:11], off
	v_add_nc_u32_e32 v84, s5, v82
	v_lshlrev_b64 v[32:33], 3, v[38:39]
	v_add_co_u32 v30, vcc_lo, s0, v30
	v_ashrrev_i32_e32 v41, 31, v40
	s_delay_alu instid0(VALU_DEP_4) | instskip(SKIP_2) | instid1(VALU_DEP_3)
	v_add_nc_u32_e32 v86, s5, v84
	v_add_co_ci_u32_e32 v31, vcc_lo, s1, v31, vcc_lo
	v_add_co_u32 v34, vcc_lo, s0, v1
	v_add_nc_u32_e32 v90, s5, v86
	v_add_co_ci_u32_e32 v35, vcc_lo, s1, v2, vcc_lo
	v_lshlrev_b64 v[1:2], 3, v[40:41]
	v_ashrrev_i32_e32 v47, 31, v46
	s_delay_alu instid0(VALU_DEP_4) | instskip(SKIP_2) | instid1(VALU_DEP_3)
	v_add_nc_u32_e32 v92, s5, v90
	v_add_co_u32 v36, vcc_lo, s0, v32
	v_add_co_ci_u32_e32 v37, vcc_lo, s1, v33, vcc_lo
	v_add_nc_u32_e32 v94, s5, v92
	s_clause 0x3
	global_load_b64 v[66:67], v[18:19], off
	global_load_b64 v[68:69], v[22:23], off
	;; [unrolled: 1-line block ×4, first 2 shown]
	v_lshlrev_b64 v[40:41], 3, v[46:47]
	v_ashrrev_i32_e32 v49, 31, v48
	v_add_nc_u32_e32 v96, s5, v94
	v_ashrrev_i32_e32 v83, 31, v82
	v_ashrrev_i32_e32 v85, 31, v84
	;; [unrolled: 1-line block ×4, first 2 shown]
	v_add_nc_u32_e32 v98, s5, v96
	v_ashrrev_i32_e32 v93, 31, v92
	v_lshlrev_b64 v[46:47], 3, v[84:85]
	v_ashrrev_i32_e32 v95, 31, v94
	v_ashrrev_i32_e32 v97, 31, v96
	v_add_nc_u32_e32 v100, s5, v98
	v_ashrrev_i32_e32 v99, 31, v98
	s_delay_alu instid0(VALU_DEP_2) | instskip(SKIP_1) | instid1(VALU_DEP_2)
	v_add_nc_u32_e32 v102, s5, v100
	v_ashrrev_i32_e32 v101, 31, v100
	v_add_nc_u32_e32 v104, s5, v102
	v_ashrrev_i32_e32 v103, 31, v102
	s_delay_alu instid0(VALU_DEP_2) | instskip(SKIP_1) | instid1(VALU_DEP_2)
	v_add_nc_u32_e32 v106, s5, v104
	;; [unrolled: 5-line block ×6, first 2 shown]
	v_ashrrev_i32_e32 v121, 31, v120
	v_ashrrev_i32_e32 v39, 31, v38
	s_delay_alu instid0(VALU_DEP_1) | instskip(SKIP_2) | instid1(VALU_DEP_3)
	v_lshlrev_b64 v[32:33], 3, v[38:39]
	v_add_co_u32 v38, vcc_lo, s0, v1
	v_add_co_ci_u32_e32 v39, vcc_lo, s1, v2, vcc_lo
	v_add_co_u32 v32, vcc_lo, s0, v32
	s_delay_alu instid0(VALU_DEP_4)
	v_add_co_ci_u32_e32 v33, vcc_lo, s1, v33, vcc_lo
	v_add_co_u32 v40, vcc_lo, s0, v40
	v_add_co_ci_u32_e32 v41, vcc_lo, s1, v41, vcc_lo
	global_load_b64 v[1:2], v[32:33], off
	s_waitcnt vmcnt(13)
	scratch_store_b128 off, v[42:45], off
	v_lshlrev_b64 v[42:43], 3, v[48:49]
	s_clause 0x3
	global_load_b64 v[74:75], v[34:35], off
	global_load_b64 v[76:77], v[36:37], off
	;; [unrolled: 1-line block ×4, first 2 shown]
	v_lshlrev_b64 v[44:45], 3, v[82:83]
	v_lshlrev_b64 v[48:49], 3, v[86:87]
	s_waitcnt vmcnt(15)
	scratch_store_b128 off, v[50:53], off offset:16
	s_waitcnt vmcnt(13)
	scratch_store_b128 off, v[54:57], off offset:32
	v_add_co_u32 v42, vcc_lo, s0, v42
	v_add_co_ci_u32_e32 v43, vcc_lo, s1, v43, vcc_lo
	v_add_co_u32 v44, vcc_lo, s0, v44
	v_add_co_ci_u32_e32 v45, vcc_lo, s1, v45, vcc_lo
	;; [unrolled: 2-line block ×4, first 2 shown]
	s_clause 0x3
	global_load_b64 v[82:83], v[42:43], off
	global_load_b64 v[84:85], v[44:45], off
	;; [unrolled: 1-line block ×4, first 2 shown]
	v_lshlrev_b64 v[50:51], 3, v[90:91]
	v_lshlrev_b64 v[52:53], 3, v[92:93]
	;; [unrolled: 1-line block ×5, first 2 shown]
	s_waitcnt vmcnt(15)
	scratch_store_b128 off, v[58:61], off offset:48
	s_waitcnt vmcnt(13)
	scratch_store_b128 off, v[62:65], off offset:64
	v_add_co_u32 v50, vcc_lo, s0, v50
	v_add_co_ci_u32_e32 v51, vcc_lo, s1, v51, vcc_lo
	v_add_co_u32 v52, vcc_lo, s0, v52
	v_add_co_ci_u32_e32 v53, vcc_lo, s1, v53, vcc_lo
	v_add_co_u32 v54, vcc_lo, s0, v54
	v_add_co_ci_u32_e32 v55, vcc_lo, s1, v55, vcc_lo
	v_add_co_u32 v56, vcc_lo, s0, v56
	v_lshlrev_b64 v[60:61], 3, v[100:101]
	v_add_co_ci_u32_e32 v57, vcc_lo, s1, v57, vcc_lo
	v_add_co_u32 v58, vcc_lo, s0, v96
	v_lshlrev_b64 v[62:63], 3, v[102:103]
	v_add_co_ci_u32_e32 v59, vcc_lo, s1, v97, vcc_lo
	;; [unrolled: 3-line block ×4, first 2 shown]
	s_clause 0x2
	global_load_b64 v[90:91], v[50:51], off
	global_load_b64 v[92:93], v[52:53], off
	;; [unrolled: 1-line block ×3, first 2 shown]
	s_waitcnt vmcnt(14)
	scratch_store_b128 off, v[66:69], off offset:80
	s_waitcnt vmcnt(12)
	scratch_store_b128 off, v[70:73], off offset:96
	v_add_co_u32 v64, vcc_lo, s0, v64
	v_lshlrev_b64 v[68:69], 3, v[108:109]
	v_add_co_ci_u32_e32 v65, vcc_lo, s1, v65, vcc_lo
	v_add_co_u32 v66, vcc_lo, s0, v104
	v_lshlrev_b64 v[70:71], 3, v[110:111]
	v_add_co_ci_u32_e32 v67, vcc_lo, s1, v105, vcc_lo
	;; [unrolled: 3-line block ×4, first 2 shown]
	s_clause 0x3
	global_load_b64 v[96:97], v[56:57], off
	global_load_b64 v[98:99], v[58:59], off
	;; [unrolled: 1-line block ×4, first 2 shown]
	v_add_co_u32 v72, vcc_lo, s0, v72
	v_add_co_ci_u32_e32 v73, vcc_lo, s1, v73, vcc_lo
	s_waitcnt vmcnt(13)
	scratch_store_b128 off, v[74:77], off offset:112
	s_waitcnt vmcnt(11)
	scratch_store_b128 off, v[78:81], off offset:128
	v_lshlrev_b64 v[76:77], 3, v[116:117]
	v_add_co_u32 v74, vcc_lo, s0, v112
	v_add_co_ci_u32_e32 v75, vcc_lo, s1, v113, vcc_lo
	v_lshlrev_b64 v[80:81], 3, v[118:119]
	s_delay_alu instid0(VALU_DEP_4) | instskip(SKIP_2) | instid1(VALU_DEP_4)
	v_add_co_u32 v78, vcc_lo, s0, v76
	v_add_co_ci_u32_e32 v79, vcc_lo, s1, v77, vcc_lo
	v_lshlrev_b64 v[76:77], 3, v[120:121]
	v_add_co_u32 v80, vcc_lo, s0, v80
	v_add_co_ci_u32_e32 v81, vcc_lo, s1, v81, vcc_lo
	s_clause 0x3
	global_load_b64 v[104:105], v[64:65], off
	global_load_b64 v[106:107], v[66:67], off
	;; [unrolled: 1-line block ×4, first 2 shown]
	v_add_co_u32 v76, vcc_lo, s0, v76
	v_add_co_ci_u32_e32 v77, vcc_lo, s1, v77, vcc_lo
	s_waitcnt vmcnt(13)
	scratch_store_b128 off, v[82:85], off offset:144
	s_waitcnt vmcnt(11)
	scratch_store_b128 off, v[86:89], off offset:160
	s_clause 0x4
	global_load_b64 v[112:113], v[72:73], off
	global_load_b64 v[82:83], v[74:75], off
	;; [unrolled: 1-line block ×5, first 2 shown]
	s_mov_b32 s1, -1
	s_waitcnt vmcnt(14)
	scratch_store_b128 off, v[90:93], off offset:176
	s_waitcnt vmcnt(12)
	scratch_store_b128 off, v[94:97], off offset:192
	s_waitcnt vmcnt(10)
	scratch_store_b128 off, v[98:101], off offset:208
	s_waitcnt vmcnt(8)
	scratch_store_b128 off, v[102:105], off offset:224
	s_waitcnt vmcnt(6)
	scratch_store_b128 off, v[106:109], off offset:240
	s_waitcnt vmcnt(4)
	scratch_store_b128 off, v[110:113], off offset:256
	s_waitcnt vmcnt(2)
	scratch_store_b128 off, v[82:85], off offset:272
	s_waitcnt vmcnt(0)
	s_clause 0x1
	scratch_store_b128 off, v[86:89], off offset:288
	scratch_store_b64 off, v[1:2], off offset:304
	s_cbranch_scc1 .LBB102_164
; %bb.4:
	v_cmp_eq_u32_e64 s0, 0, v0
	s_delay_alu instid0(VALU_DEP_1)
	s_and_saveexec_b32 s1, s0
	s_cbranch_execz .LBB102_6
; %bb.5:
	v_mov_b32_e32 v1, 0
	ds_store_b32 v1, v1 offset:312
.LBB102_6:
	s_or_b32 exec_lo, exec_lo, s1
	s_waitcnt lgkmcnt(0)
	s_waitcnt_vscnt null, 0x0
	s_barrier
	buffer_gl0_inv
	scratch_load_b64 v[1:2], v3, off
	s_mov_b32 s4, exec_lo
	s_waitcnt vmcnt(0)
	v_cmpx_eq_f64_e32 0, v[1:2]
	s_cbranch_execz .LBB102_10
; %bb.7:
	v_mov_b32_e32 v1, 0
	s_mov_b32 s5, 0
	ds_load_b32 v2, v1 offset:312
	s_waitcnt lgkmcnt(0)
	v_readfirstlane_b32 s1, v2
	v_add_nc_u32_e32 v2, 1, v0
	s_delay_alu instid0(VALU_DEP_2) | instskip(NEXT) | instid1(VALU_DEP_1)
	s_cmp_eq_u32 s1, 0
	v_cmp_gt_i32_e32 vcc_lo, s1, v2
	s_cselect_b32 s10, -1, 0
	s_delay_alu instid0(SALU_CYCLE_1) | instskip(NEXT) | instid1(SALU_CYCLE_1)
	s_or_b32 s10, s10, vcc_lo
	s_and_b32 exec_lo, exec_lo, s10
	s_cbranch_execz .LBB102_10
; %bb.8:
	v_mov_b32_e32 v82, s1
.LBB102_9:                              ; =>This Inner Loop Header: Depth=1
	ds_cmpstore_rtn_b32 v82, v1, v2, v82 offset:312
	s_waitcnt lgkmcnt(0)
	v_cmp_ne_u32_e32 vcc_lo, 0, v82
	v_cmp_le_i32_e64 s1, v82, v2
	s_delay_alu instid0(VALU_DEP_1) | instskip(NEXT) | instid1(SALU_CYCLE_1)
	s_and_b32 s1, vcc_lo, s1
	s_and_b32 s1, exec_lo, s1
	s_delay_alu instid0(SALU_CYCLE_1) | instskip(NEXT) | instid1(SALU_CYCLE_1)
	s_or_b32 s5, s1, s5
	s_and_not1_b32 exec_lo, exec_lo, s5
	s_cbranch_execnz .LBB102_9
.LBB102_10:
	s_or_b32 exec_lo, exec_lo, s4
	v_mov_b32_e32 v1, 0
	s_barrier
	buffer_gl0_inv
	ds_load_b32 v2, v1 offset:312
	s_and_saveexec_b32 s1, s0
	s_cbranch_execz .LBB102_12
; %bb.11:
	s_lshl_b64 s[4:5], s[8:9], 2
	s_delay_alu instid0(SALU_CYCLE_1)
	s_add_u32 s4, s6, s4
	s_addc_u32 s5, s7, s5
	s_waitcnt lgkmcnt(0)
	global_store_b32 v1, v2, s[4:5]
.LBB102_12:
	s_or_b32 exec_lo, exec_lo, s1
	s_waitcnt lgkmcnt(0)
	v_cmp_ne_u32_e32 vcc_lo, 0, v2
	s_mov_b32 s1, 0
	s_cbranch_vccnz .LBB102_164
; %bb.13:
	v_add_nc_u32_e32 v82, 0, v3
	scratch_load_b64 v[1:2], v82, off
	s_waitcnt vmcnt(0)
	v_div_scale_f64 v[83:84], null, v[1:2], v[1:2], 1.0
	v_div_scale_f64 v[89:90], vcc_lo, 1.0, v[1:2], 1.0
	s_delay_alu instid0(VALU_DEP_2) | instskip(SKIP_2) | instid1(VALU_DEP_1)
	v_rcp_f64_e32 v[85:86], v[83:84]
	s_waitcnt_depctr 0xfff
	v_fma_f64 v[87:88], -v[83:84], v[85:86], 1.0
	v_fma_f64 v[85:86], v[85:86], v[87:88], v[85:86]
	s_delay_alu instid0(VALU_DEP_1) | instskip(NEXT) | instid1(VALU_DEP_1)
	v_fma_f64 v[87:88], -v[83:84], v[85:86], 1.0
	v_fma_f64 v[85:86], v[85:86], v[87:88], v[85:86]
	s_delay_alu instid0(VALU_DEP_1) | instskip(NEXT) | instid1(VALU_DEP_1)
	v_mul_f64 v[87:88], v[89:90], v[85:86]
	v_fma_f64 v[83:84], -v[83:84], v[87:88], v[89:90]
	s_delay_alu instid0(VALU_DEP_1) | instskip(NEXT) | instid1(VALU_DEP_1)
	v_div_fmas_f64 v[83:84], v[83:84], v[85:86], v[87:88]
	v_div_fixup_f64 v[1:2], v[83:84], v[1:2], 1.0
	v_add_nc_u32_e32 v83, 0x140, v3
	scratch_store_b64 v82, v[1:2], off
	scratch_load_b64 v[84:85], off, off offset:8
	v_xor_b32_e32 v2, 0x80000000, v2
	s_waitcnt vmcnt(0)
	ds_store_2addr_b64 v3, v[1:2], v[84:85] offset1:40
	s_waitcnt lgkmcnt(0)
	s_waitcnt_vscnt null, 0x0
	s_barrier
	buffer_gl0_inv
	s_and_saveexec_b32 s1, s0
	s_cbranch_execz .LBB102_15
; %bb.14:
	scratch_load_b64 v[1:2], v82, off
	ds_load_b64 v[84:85], v83
	s_waitcnt vmcnt(0) lgkmcnt(0)
	v_fma_f64 v[1:2], v[1:2], v[84:85], 0
	v_mov_b32_e32 v84, 0
	ds_load_b64 v[84:85], v84 offset:8
	s_waitcnt lgkmcnt(0)
	v_mul_f64 v[1:2], v[1:2], v[84:85]
	scratch_store_b64 off, v[1:2], off offset:8
.LBB102_15:
	s_or_b32 exec_lo, exec_lo, s1
	s_waitcnt_vscnt null, 0x0
	s_barrier
	buffer_gl0_inv
	scratch_load_b64 v[1:2], off, off offset:16
	s_mov_b32 s1, exec_lo
	s_waitcnt vmcnt(0)
	ds_store_b64 v83, v[1:2]
	s_waitcnt lgkmcnt(0)
	s_barrier
	buffer_gl0_inv
	v_cmpx_gt_u32_e32 2, v0
	s_cbranch_execz .LBB102_19
; %bb.16:
	scratch_load_b64 v[1:2], v82, off
	ds_load_b64 v[84:85], v83
	s_waitcnt vmcnt(0) lgkmcnt(0)
	v_fma_f64 v[1:2], v[1:2], v[84:85], 0
	s_and_saveexec_b32 s4, s0
	s_cbranch_execz .LBB102_18
; %bb.17:
	scratch_load_b64 v[84:85], off, off offset:8
	v_mov_b32_e32 v86, 0
	ds_load_b64 v[86:87], v86 offset:328
	s_waitcnt vmcnt(0) lgkmcnt(0)
	v_fma_f64 v[1:2], v[84:85], v[86:87], v[1:2]
.LBB102_18:
	s_or_b32 exec_lo, exec_lo, s4
	v_mov_b32_e32 v84, 0
	ds_load_b64 v[84:85], v84 offset:16
	s_waitcnt lgkmcnt(0)
	v_mul_f64 v[1:2], v[1:2], v[84:85]
	scratch_store_b64 off, v[1:2], off offset:16
.LBB102_19:
	s_or_b32 exec_lo, exec_lo, s1
	s_waitcnt_vscnt null, 0x0
	s_barrier
	buffer_gl0_inv
	scratch_load_b64 v[1:2], off, off offset:24
	v_add_nc_u32_e32 v84, -1, v0
	s_mov_b32 s0, exec_lo
	s_waitcnt vmcnt(0)
	ds_store_b64 v83, v[1:2]
	s_waitcnt lgkmcnt(0)
	s_barrier
	buffer_gl0_inv
	v_cmpx_gt_u32_e32 3, v0
	s_cbranch_execz .LBB102_23
; %bb.20:
	v_dual_mov_b32 v1, 0 :: v_dual_add_nc_u32 v86, 0x140, v3
	v_dual_mov_b32 v2, 0 :: v_dual_add_nc_u32 v85, -1, v0
	v_add_nc_u32_e32 v87, 0, v3
	s_mov_b32 s1, 0
.LBB102_21:                             ; =>This Inner Loop Header: Depth=1
	scratch_load_b64 v[88:89], v87, off
	ds_load_b64 v[90:91], v86
	v_add_nc_u32_e32 v85, 1, v85
	v_add_nc_u32_e32 v86, 8, v86
	v_add_nc_u32_e32 v87, 8, v87
	s_delay_alu instid0(VALU_DEP_3)
	v_cmp_lt_u32_e32 vcc_lo, 1, v85
	s_or_b32 s1, vcc_lo, s1
	s_waitcnt vmcnt(0) lgkmcnt(0)
	v_fma_f64 v[1:2], v[88:89], v[90:91], v[1:2]
	s_and_not1_b32 exec_lo, exec_lo, s1
	s_cbranch_execnz .LBB102_21
; %bb.22:
	s_or_b32 exec_lo, exec_lo, s1
	v_mov_b32_e32 v85, 0
	ds_load_b64 v[85:86], v85 offset:24
	s_waitcnt lgkmcnt(0)
	v_mul_f64 v[1:2], v[1:2], v[85:86]
	scratch_store_b64 off, v[1:2], off offset:24
.LBB102_23:
	s_or_b32 exec_lo, exec_lo, s0
	s_waitcnt_vscnt null, 0x0
	s_barrier
	buffer_gl0_inv
	scratch_load_b64 v[1:2], off, off offset:32
	s_mov_b32 s0, exec_lo
	s_waitcnt vmcnt(0)
	ds_store_b64 v83, v[1:2]
	s_waitcnt lgkmcnt(0)
	s_barrier
	buffer_gl0_inv
	v_cmpx_gt_u32_e32 4, v0
	s_cbranch_execz .LBB102_27
; %bb.24:
	v_dual_mov_b32 v1, 0 :: v_dual_add_nc_u32 v86, 0x140, v3
	v_dual_mov_b32 v2, 0 :: v_dual_add_nc_u32 v85, -1, v0
	v_add_nc_u32_e32 v87, 0, v3
	s_mov_b32 s1, 0
.LBB102_25:                             ; =>This Inner Loop Header: Depth=1
	scratch_load_b64 v[88:89], v87, off
	ds_load_b64 v[90:91], v86
	v_add_nc_u32_e32 v85, 1, v85
	v_add_nc_u32_e32 v86, 8, v86
	v_add_nc_u32_e32 v87, 8, v87
	s_delay_alu instid0(VALU_DEP_3)
	v_cmp_lt_u32_e32 vcc_lo, 2, v85
	s_or_b32 s1, vcc_lo, s1
	s_waitcnt vmcnt(0) lgkmcnt(0)
	v_fma_f64 v[1:2], v[88:89], v[90:91], v[1:2]
	s_and_not1_b32 exec_lo, exec_lo, s1
	s_cbranch_execnz .LBB102_25
; %bb.26:
	s_or_b32 exec_lo, exec_lo, s1
	v_mov_b32_e32 v85, 0
	ds_load_b64 v[85:86], v85 offset:32
	s_waitcnt lgkmcnt(0)
	v_mul_f64 v[1:2], v[1:2], v[85:86]
	scratch_store_b64 off, v[1:2], off offset:32
.LBB102_27:
	s_or_b32 exec_lo, exec_lo, s0
	s_waitcnt_vscnt null, 0x0
	s_barrier
	buffer_gl0_inv
	scratch_load_b64 v[1:2], off, off offset:40
	;; [unrolled: 39-line block ×20, first 2 shown]
	s_mov_b32 s0, exec_lo
	s_waitcnt vmcnt(0)
	ds_store_b64 v83, v[1:2]
	s_waitcnt lgkmcnt(0)
	s_barrier
	buffer_gl0_inv
	v_cmpx_gt_u32_e32 23, v0
	s_cbranch_execz .LBB102_103
; %bb.100:
	v_dual_mov_b32 v1, 0 :: v_dual_add_nc_u32 v86, 0x140, v3
	v_dual_mov_b32 v2, 0 :: v_dual_add_nc_u32 v85, -1, v0
	v_add_nc_u32_e32 v87, 0, v3
	s_mov_b32 s1, 0
.LBB102_101:                            ; =>This Inner Loop Header: Depth=1
	scratch_load_b64 v[88:89], v87, off
	ds_load_b64 v[90:91], v86
	v_add_nc_u32_e32 v85, 1, v85
	v_add_nc_u32_e32 v86, 8, v86
	v_add_nc_u32_e32 v87, 8, v87
	s_delay_alu instid0(VALU_DEP_3)
	v_cmp_lt_u32_e32 vcc_lo, 21, v85
	s_or_b32 s1, vcc_lo, s1
	s_waitcnt vmcnt(0) lgkmcnt(0)
	v_fma_f64 v[1:2], v[88:89], v[90:91], v[1:2]
	s_and_not1_b32 exec_lo, exec_lo, s1
	s_cbranch_execnz .LBB102_101
; %bb.102:
	s_or_b32 exec_lo, exec_lo, s1
	v_mov_b32_e32 v85, 0
	ds_load_b64 v[85:86], v85 offset:184
	s_waitcnt lgkmcnt(0)
	v_mul_f64 v[1:2], v[1:2], v[85:86]
	scratch_store_b64 off, v[1:2], off offset:184
.LBB102_103:
	s_or_b32 exec_lo, exec_lo, s0
	s_waitcnt_vscnt null, 0x0
	s_barrier
	buffer_gl0_inv
	scratch_load_b64 v[1:2], off, off offset:192
	s_mov_b32 s0, exec_lo
	s_waitcnt vmcnt(0)
	ds_store_b64 v83, v[1:2]
	s_waitcnt lgkmcnt(0)
	s_barrier
	buffer_gl0_inv
	v_cmpx_gt_u32_e32 24, v0
	s_cbranch_execz .LBB102_107
; %bb.104:
	v_dual_mov_b32 v1, 0 :: v_dual_add_nc_u32 v86, 0x140, v3
	v_dual_mov_b32 v2, 0 :: v_dual_add_nc_u32 v85, -1, v0
	v_add_nc_u32_e32 v87, 0, v3
	s_mov_b32 s1, 0
.LBB102_105:                            ; =>This Inner Loop Header: Depth=1
	scratch_load_b64 v[88:89], v87, off
	ds_load_b64 v[90:91], v86
	v_add_nc_u32_e32 v85, 1, v85
	v_add_nc_u32_e32 v86, 8, v86
	v_add_nc_u32_e32 v87, 8, v87
	s_delay_alu instid0(VALU_DEP_3)
	v_cmp_lt_u32_e32 vcc_lo, 22, v85
	s_or_b32 s1, vcc_lo, s1
	s_waitcnt vmcnt(0) lgkmcnt(0)
	v_fma_f64 v[1:2], v[88:89], v[90:91], v[1:2]
	s_and_not1_b32 exec_lo, exec_lo, s1
	s_cbranch_execnz .LBB102_105
; %bb.106:
	s_or_b32 exec_lo, exec_lo, s1
	v_mov_b32_e32 v85, 0
	ds_load_b64 v[85:86], v85 offset:192
	s_waitcnt lgkmcnt(0)
	v_mul_f64 v[1:2], v[1:2], v[85:86]
	scratch_store_b64 off, v[1:2], off offset:192
.LBB102_107:
	s_or_b32 exec_lo, exec_lo, s0
	s_waitcnt_vscnt null, 0x0
	s_barrier
	buffer_gl0_inv
	scratch_load_b64 v[1:2], off, off offset:200
	;; [unrolled: 39-line block ×15, first 2 shown]
	s_mov_b32 s0, exec_lo
	s_waitcnt vmcnt(0)
	ds_store_b64 v83, v[1:2]
	s_waitcnt lgkmcnt(0)
	s_barrier
	buffer_gl0_inv
	v_cmpx_ne_u32_e32 38, v0
	s_cbranch_execz .LBB102_163
; %bb.160:
	v_mov_b32_e32 v1, 0
	v_mov_b32_e32 v2, 0
	s_mov_b32 s1, 0
.LBB102_161:                            ; =>This Inner Loop Header: Depth=1
	scratch_load_b64 v[85:86], v82, off
	ds_load_b64 v[87:88], v83
	v_add_nc_u32_e32 v84, 1, v84
	v_add_nc_u32_e32 v83, 8, v83
	;; [unrolled: 1-line block ×3, first 2 shown]
	s_delay_alu instid0(VALU_DEP_3)
	v_cmp_lt_u32_e32 vcc_lo, 36, v84
	s_or_b32 s1, vcc_lo, s1
	s_waitcnt vmcnt(0) lgkmcnt(0)
	v_fma_f64 v[1:2], v[85:86], v[87:88], v[1:2]
	s_and_not1_b32 exec_lo, exec_lo, s1
	s_cbranch_execnz .LBB102_161
; %bb.162:
	s_or_b32 exec_lo, exec_lo, s1
	v_mov_b32_e32 v3, 0
	ds_load_b64 v[82:83], v3 offset:304
	s_waitcnt lgkmcnt(0)
	v_mul_f64 v[1:2], v[1:2], v[82:83]
	scratch_store_b64 off, v[1:2], off offset:304
.LBB102_163:
	s_or_b32 exec_lo, exec_lo, s0
	s_mov_b32 s1, -1
	s_waitcnt_vscnt null, 0x0
	s_barrier
	buffer_gl0_inv
.LBB102_164:
	s_and_b32 vcc_lo, exec_lo, s1
	s_cbranch_vccz .LBB102_166
; %bb.165:
	s_lshl_b64 s[0:1], s[8:9], 2
	v_mov_b32_e32 v1, 0
	s_add_u32 s0, s6, s0
	s_addc_u32 s1, s7, s1
	global_load_b32 v1, v1, s[0:1]
	s_waitcnt vmcnt(0)
	v_cmp_ne_u32_e32 vcc_lo, 0, v1
	s_cbranch_vccz .LBB102_167
.LBB102_166:
	s_endpgm
.LBB102_167:
	v_lshl_add_u32 v3, v0, 3, 0x140
	s_mov_b32 s0, exec_lo
	v_cmpx_eq_u32_e32 38, v0
	s_cbranch_execz .LBB102_169
; %bb.168:
	scratch_load_b64 v[1:2], off, off offset:296
	v_mov_b32_e32 v82, 0
	s_delay_alu instid0(VALU_DEP_1)
	v_mov_b32_e32 v83, v82
	scratch_store_b64 off, v[82:83], off offset:296
	s_waitcnt vmcnt(0)
	ds_store_b64 v3, v[1:2]
.LBB102_169:
	s_or_b32 exec_lo, exec_lo, s0
	s_waitcnt lgkmcnt(0)
	s_waitcnt_vscnt null, 0x0
	s_barrier
	buffer_gl0_inv
	scratch_load_b128 v[82:85], off, off offset:296
	v_mov_b32_e32 v1, 0
	s_mov_b32 s0, exec_lo
	ds_load_b64 v[86:87], v1 offset:624
	s_waitcnt vmcnt(0) lgkmcnt(0)
	v_fma_f64 v[84:85], v[84:85], v[86:87], 0
	s_delay_alu instid0(VALU_DEP_1)
	v_add_f64 v[82:83], v[82:83], -v[84:85]
	scratch_store_b64 off, v[82:83], off offset:296
	v_cmpx_lt_u32_e32 36, v0
	s_cbranch_execz .LBB102_171
; %bb.170:
	scratch_load_b64 v[82:83], off, off offset:288
	v_mov_b32_e32 v2, v1
	scratch_store_b64 off, v[1:2], off offset:288
	s_waitcnt vmcnt(0)
	ds_store_b64 v3, v[82:83]
.LBB102_171:
	s_or_b32 exec_lo, exec_lo, s0
	s_waitcnt lgkmcnt(0)
	s_waitcnt_vscnt null, 0x0
	s_barrier
	buffer_gl0_inv
	s_clause 0x1
	scratch_load_b128 v[82:85], off, off offset:288
	scratch_load_b64 v[90:91], off, off offset:304
	ds_load_2addr_b64 v[86:89], v1 offset0:77 offset1:78
	s_mov_b32 s0, exec_lo
	s_waitcnt vmcnt(1) lgkmcnt(0)
	v_fma_f64 v[1:2], v[84:85], v[86:87], 0
	s_waitcnt vmcnt(0)
	s_delay_alu instid0(VALU_DEP_1) | instskip(NEXT) | instid1(VALU_DEP_1)
	v_fma_f64 v[1:2], v[90:91], v[88:89], v[1:2]
	v_add_f64 v[1:2], v[82:83], -v[1:2]
	scratch_store_b64 off, v[1:2], off offset:288
	v_cmpx_lt_u32_e32 35, v0
	s_cbranch_execz .LBB102_173
; %bb.172:
	scratch_load_b64 v[1:2], off, off offset:280
	v_mov_b32_e32 v82, 0
	s_delay_alu instid0(VALU_DEP_1)
	v_mov_b32_e32 v83, v82
	scratch_store_b64 off, v[82:83], off offset:280
	s_waitcnt vmcnt(0)
	ds_store_b64 v3, v[1:2]
.LBB102_173:
	s_or_b32 exec_lo, exec_lo, s0
	s_waitcnt lgkmcnt(0)
	s_waitcnt_vscnt null, 0x0
	s_barrier
	buffer_gl0_inv
	s_clause 0x1
	scratch_load_b128 v[82:85], off, off offset:280
	scratch_load_b128 v[86:89], off, off offset:296
	v_mov_b32_e32 v1, 0
	s_mov_b32 s0, exec_lo
	ds_load_b128 v[90:93], v1 offset:608
	s_waitcnt vmcnt(1) lgkmcnt(0)
	v_fma_f64 v[84:85], v[84:85], v[90:91], 0
	s_waitcnt vmcnt(0)
	s_delay_alu instid0(VALU_DEP_1) | instskip(SKIP_3) | instid1(VALU_DEP_1)
	v_fma_f64 v[84:85], v[86:87], v[92:93], v[84:85]
	ds_load_b64 v[86:87], v1 offset:624
	s_waitcnt lgkmcnt(0)
	v_fma_f64 v[84:85], v[88:89], v[86:87], v[84:85]
	v_add_f64 v[82:83], v[82:83], -v[84:85]
	scratch_store_b64 off, v[82:83], off offset:280
	v_cmpx_lt_u32_e32 34, v0
	s_cbranch_execz .LBB102_175
; %bb.174:
	scratch_load_b64 v[82:83], off, off offset:272
	v_mov_b32_e32 v2, v1
	scratch_store_b64 off, v[1:2], off offset:272
	s_waitcnt vmcnt(0)
	ds_store_b64 v3, v[82:83]
.LBB102_175:
	s_or_b32 exec_lo, exec_lo, s0
	s_waitcnt lgkmcnt(0)
	s_waitcnt_vscnt null, 0x0
	s_barrier
	buffer_gl0_inv
	s_clause 0x2
	scratch_load_b128 v[82:85], off, off offset:272
	scratch_load_b128 v[86:89], off, off offset:288
	scratch_load_b64 v[94:95], off, off offset:304
	ds_load_2addr_b64 v[90:93], v1 offset0:75 offset1:76
	s_mov_b32 s0, exec_lo
	s_waitcnt vmcnt(2) lgkmcnt(0)
	v_fma_f64 v[84:85], v[84:85], v[90:91], 0
	s_waitcnt vmcnt(1)
	s_delay_alu instid0(VALU_DEP_1) | instskip(SKIP_4) | instid1(VALU_DEP_1)
	v_fma_f64 v[90:91], v[86:87], v[92:93], v[84:85]
	ds_load_2addr_b64 v[84:87], v1 offset0:77 offset1:78
	s_waitcnt lgkmcnt(0)
	v_fma_f64 v[1:2], v[88:89], v[84:85], v[90:91]
	s_waitcnt vmcnt(0)
	v_fma_f64 v[1:2], v[94:95], v[86:87], v[1:2]
	s_delay_alu instid0(VALU_DEP_1)
	v_add_f64 v[1:2], v[82:83], -v[1:2]
	scratch_store_b64 off, v[1:2], off offset:272
	v_cmpx_lt_u32_e32 33, v0
	s_cbranch_execz .LBB102_177
; %bb.176:
	scratch_load_b64 v[1:2], off, off offset:264
	v_mov_b32_e32 v82, 0
	s_delay_alu instid0(VALU_DEP_1)
	v_mov_b32_e32 v83, v82
	scratch_store_b64 off, v[82:83], off offset:264
	s_waitcnt vmcnt(0)
	ds_store_b64 v3, v[1:2]
.LBB102_177:
	s_or_b32 exec_lo, exec_lo, s0
	s_waitcnt lgkmcnt(0)
	s_waitcnt_vscnt null, 0x0
	s_barrier
	buffer_gl0_inv
	s_clause 0x2
	scratch_load_b128 v[82:85], off, off offset:264
	scratch_load_b128 v[86:89], off, off offset:280
	;; [unrolled: 1-line block ×3, first 2 shown]
	v_mov_b32_e32 v1, 0
	ds_load_b128 v[94:97], v1 offset:592
	ds_load_b128 v[98:101], v1 offset:608
	s_mov_b32 s0, exec_lo
	s_waitcnt vmcnt(2) lgkmcnt(1)
	v_fma_f64 v[84:85], v[84:85], v[94:95], 0
	s_waitcnt vmcnt(1)
	s_delay_alu instid0(VALU_DEP_1) | instskip(SKIP_4) | instid1(VALU_DEP_1)
	v_fma_f64 v[84:85], v[86:87], v[96:97], v[84:85]
	ds_load_b64 v[86:87], v1 offset:624
	s_waitcnt lgkmcnt(1)
	v_fma_f64 v[84:85], v[88:89], v[98:99], v[84:85]
	s_waitcnt vmcnt(0)
	v_fma_f64 v[84:85], v[90:91], v[100:101], v[84:85]
	s_waitcnt lgkmcnt(0)
	s_delay_alu instid0(VALU_DEP_1) | instskip(NEXT) | instid1(VALU_DEP_1)
	v_fma_f64 v[84:85], v[92:93], v[86:87], v[84:85]
	v_add_f64 v[82:83], v[82:83], -v[84:85]
	scratch_store_b64 off, v[82:83], off offset:264
	v_cmpx_lt_u32_e32 32, v0
	s_cbranch_execz .LBB102_179
; %bb.178:
	scratch_load_b64 v[82:83], off, off offset:256
	v_mov_b32_e32 v2, v1
	scratch_store_b64 off, v[1:2], off offset:256
	s_waitcnt vmcnt(0)
	ds_store_b64 v3, v[82:83]
.LBB102_179:
	s_or_b32 exec_lo, exec_lo, s0
	s_waitcnt lgkmcnt(0)
	s_waitcnt_vscnt null, 0x0
	s_barrier
	buffer_gl0_inv
	s_clause 0x3
	scratch_load_b128 v[82:85], off, off offset:256
	scratch_load_b128 v[86:89], off, off offset:272
	;; [unrolled: 1-line block ×3, first 2 shown]
	scratch_load_b64 v[102:103], off, off offset:304
	ds_load_2addr_b64 v[94:97], v1 offset0:73 offset1:74
	ds_load_2addr_b64 v[98:101], v1 offset0:75 offset1:76
	s_mov_b32 s0, exec_lo
	s_waitcnt vmcnt(3) lgkmcnt(1)
	v_fma_f64 v[84:85], v[84:85], v[94:95], 0
	s_waitcnt vmcnt(2)
	s_delay_alu instid0(VALU_DEP_1) | instskip(SKIP_1) | instid1(VALU_DEP_1)
	v_fma_f64 v[84:85], v[86:87], v[96:97], v[84:85]
	s_waitcnt lgkmcnt(0)
	v_fma_f64 v[84:85], v[88:89], v[98:99], v[84:85]
	s_waitcnt vmcnt(1)
	s_delay_alu instid0(VALU_DEP_1) | instskip(SKIP_4) | instid1(VALU_DEP_1)
	v_fma_f64 v[88:89], v[90:91], v[100:101], v[84:85]
	ds_load_2addr_b64 v[84:87], v1 offset0:77 offset1:78
	s_waitcnt lgkmcnt(0)
	v_fma_f64 v[1:2], v[92:93], v[84:85], v[88:89]
	s_waitcnt vmcnt(0)
	v_fma_f64 v[1:2], v[102:103], v[86:87], v[1:2]
	s_delay_alu instid0(VALU_DEP_1)
	v_add_f64 v[1:2], v[82:83], -v[1:2]
	scratch_store_b64 off, v[1:2], off offset:256
	v_cmpx_lt_u32_e32 31, v0
	s_cbranch_execz .LBB102_181
; %bb.180:
	scratch_load_b64 v[1:2], off, off offset:248
	v_mov_b32_e32 v82, 0
	s_delay_alu instid0(VALU_DEP_1)
	v_mov_b32_e32 v83, v82
	scratch_store_b64 off, v[82:83], off offset:248
	s_waitcnt vmcnt(0)
	ds_store_b64 v3, v[1:2]
.LBB102_181:
	s_or_b32 exec_lo, exec_lo, s0
	s_waitcnt lgkmcnt(0)
	s_waitcnt_vscnt null, 0x0
	s_barrier
	buffer_gl0_inv
	s_clause 0x3
	scratch_load_b128 v[82:85], off, off offset:248
	scratch_load_b128 v[86:89], off, off offset:264
	;; [unrolled: 1-line block ×4, first 2 shown]
	v_mov_b32_e32 v1, 0
	ds_load_b128 v[98:101], v1 offset:576
	ds_load_b128 v[102:105], v1 offset:592
	s_mov_b32 s0, exec_lo
	s_waitcnt vmcnt(3) lgkmcnt(1)
	v_fma_f64 v[84:85], v[84:85], v[98:99], 0
	s_waitcnt vmcnt(2)
	s_delay_alu instid0(VALU_DEP_1) | instskip(SKIP_1) | instid1(VALU_DEP_1)
	v_fma_f64 v[84:85], v[86:87], v[100:101], v[84:85]
	s_waitcnt lgkmcnt(0)
	v_fma_f64 v[84:85], v[88:89], v[102:103], v[84:85]
	s_waitcnt vmcnt(1)
	s_delay_alu instid0(VALU_DEP_1)
	v_fma_f64 v[88:89], v[90:91], v[104:105], v[84:85]
	ds_load_b128 v[84:87], v1 offset:608
	ds_load_b64 v[90:91], v1 offset:624
	s_waitcnt lgkmcnt(1)
	v_fma_f64 v[84:85], v[92:93], v[84:85], v[88:89]
	s_waitcnt vmcnt(0)
	s_delay_alu instid0(VALU_DEP_1) | instskip(SKIP_1) | instid1(VALU_DEP_1)
	v_fma_f64 v[84:85], v[94:95], v[86:87], v[84:85]
	s_waitcnt lgkmcnt(0)
	v_fma_f64 v[84:85], v[96:97], v[90:91], v[84:85]
	s_delay_alu instid0(VALU_DEP_1)
	v_add_f64 v[82:83], v[82:83], -v[84:85]
	scratch_store_b64 off, v[82:83], off offset:248
	v_cmpx_lt_u32_e32 30, v0
	s_cbranch_execz .LBB102_183
; %bb.182:
	scratch_load_b64 v[82:83], off, off offset:240
	v_mov_b32_e32 v2, v1
	scratch_store_b64 off, v[1:2], off offset:240
	s_waitcnt vmcnt(0)
	ds_store_b64 v3, v[82:83]
.LBB102_183:
	s_or_b32 exec_lo, exec_lo, s0
	s_waitcnt lgkmcnt(0)
	s_waitcnt_vscnt null, 0x0
	s_barrier
	buffer_gl0_inv
	s_clause 0x4
	scratch_load_b128 v[82:85], off, off offset:240
	scratch_load_b128 v[86:89], off, off offset:256
	;; [unrolled: 1-line block ×4, first 2 shown]
	scratch_load_b64 v[106:107], off, off offset:304
	ds_load_2addr_b64 v[98:101], v1 offset0:71 offset1:72
	ds_load_2addr_b64 v[102:105], v1 offset0:73 offset1:74
	s_mov_b32 s0, exec_lo
	s_waitcnt vmcnt(4) lgkmcnt(1)
	v_fma_f64 v[84:85], v[84:85], v[98:99], 0
	s_waitcnt vmcnt(3)
	s_delay_alu instid0(VALU_DEP_1) | instskip(SKIP_1) | instid1(VALU_DEP_1)
	v_fma_f64 v[84:85], v[86:87], v[100:101], v[84:85]
	s_waitcnt lgkmcnt(0)
	v_fma_f64 v[84:85], v[88:89], v[102:103], v[84:85]
	s_waitcnt vmcnt(2)
	s_delay_alu instid0(VALU_DEP_1)
	v_fma_f64 v[98:99], v[90:91], v[104:105], v[84:85]
	ds_load_2addr_b64 v[84:87], v1 offset0:75 offset1:76
	ds_load_2addr_b64 v[88:91], v1 offset0:77 offset1:78
	s_waitcnt lgkmcnt(1)
	v_fma_f64 v[1:2], v[92:93], v[84:85], v[98:99]
	s_waitcnt vmcnt(1)
	s_delay_alu instid0(VALU_DEP_1) | instskip(SKIP_1) | instid1(VALU_DEP_1)
	v_fma_f64 v[1:2], v[94:95], v[86:87], v[1:2]
	s_waitcnt lgkmcnt(0)
	v_fma_f64 v[1:2], v[96:97], v[88:89], v[1:2]
	s_waitcnt vmcnt(0)
	s_delay_alu instid0(VALU_DEP_1) | instskip(NEXT) | instid1(VALU_DEP_1)
	v_fma_f64 v[1:2], v[106:107], v[90:91], v[1:2]
	v_add_f64 v[1:2], v[82:83], -v[1:2]
	scratch_store_b64 off, v[1:2], off offset:240
	v_cmpx_lt_u32_e32 29, v0
	s_cbranch_execz .LBB102_185
; %bb.184:
	scratch_load_b64 v[1:2], off, off offset:232
	v_mov_b32_e32 v82, 0
	s_delay_alu instid0(VALU_DEP_1)
	v_mov_b32_e32 v83, v82
	scratch_store_b64 off, v[82:83], off offset:232
	s_waitcnt vmcnt(0)
	ds_store_b64 v3, v[1:2]
.LBB102_185:
	s_or_b32 exec_lo, exec_lo, s0
	s_waitcnt lgkmcnt(0)
	s_waitcnt_vscnt null, 0x0
	s_barrier
	buffer_gl0_inv
	s_clause 0x4
	scratch_load_b128 v[82:85], off, off offset:232
	scratch_load_b128 v[86:89], off, off offset:248
	;; [unrolled: 1-line block ×5, first 2 shown]
	v_mov_b32_e32 v1, 0
	ds_load_b128 v[102:105], v1 offset:560
	ds_load_b128 v[106:109], v1 offset:576
	s_mov_b32 s0, exec_lo
	s_waitcnt vmcnt(4) lgkmcnt(1)
	v_fma_f64 v[84:85], v[84:85], v[102:103], 0
	s_waitcnt vmcnt(3)
	s_delay_alu instid0(VALU_DEP_1) | instskip(SKIP_1) | instid1(VALU_DEP_1)
	v_fma_f64 v[84:85], v[86:87], v[104:105], v[84:85]
	s_waitcnt lgkmcnt(0)
	v_fma_f64 v[84:85], v[88:89], v[106:107], v[84:85]
	s_waitcnt vmcnt(2)
	s_delay_alu instid0(VALU_DEP_1)
	v_fma_f64 v[102:103], v[90:91], v[108:109], v[84:85]
	ds_load_b128 v[84:87], v1 offset:592
	ds_load_b128 v[88:91], v1 offset:608
	s_waitcnt lgkmcnt(1)
	v_fma_f64 v[84:85], v[92:93], v[84:85], v[102:103]
	s_waitcnt vmcnt(1)
	s_delay_alu instid0(VALU_DEP_1) | instskip(SKIP_4) | instid1(VALU_DEP_1)
	v_fma_f64 v[84:85], v[94:95], v[86:87], v[84:85]
	ds_load_b64 v[86:87], v1 offset:624
	s_waitcnt lgkmcnt(1)
	v_fma_f64 v[84:85], v[96:97], v[88:89], v[84:85]
	s_waitcnt vmcnt(0)
	v_fma_f64 v[84:85], v[98:99], v[90:91], v[84:85]
	s_waitcnt lgkmcnt(0)
	s_delay_alu instid0(VALU_DEP_1) | instskip(NEXT) | instid1(VALU_DEP_1)
	v_fma_f64 v[84:85], v[100:101], v[86:87], v[84:85]
	v_add_f64 v[82:83], v[82:83], -v[84:85]
	scratch_store_b64 off, v[82:83], off offset:232
	v_cmpx_lt_u32_e32 28, v0
	s_cbranch_execz .LBB102_187
; %bb.186:
	scratch_load_b64 v[82:83], off, off offset:224
	v_mov_b32_e32 v2, v1
	scratch_store_b64 off, v[1:2], off offset:224
	s_waitcnt vmcnt(0)
	ds_store_b64 v3, v[82:83]
.LBB102_187:
	s_or_b32 exec_lo, exec_lo, s0
	s_waitcnt lgkmcnt(0)
	s_waitcnt_vscnt null, 0x0
	s_barrier
	buffer_gl0_inv
	s_clause 0x4
	scratch_load_b128 v[82:85], off, off offset:224
	scratch_load_b128 v[86:89], off, off offset:240
	;; [unrolled: 1-line block ×5, first 2 shown]
	ds_load_2addr_b64 v[102:105], v1 offset0:69 offset1:70
	ds_load_2addr_b64 v[106:109], v1 offset0:71 offset1:72
	s_mov_b32 s0, exec_lo
	s_waitcnt vmcnt(4) lgkmcnt(1)
	v_fma_f64 v[84:85], v[84:85], v[102:103], 0
	scratch_load_b64 v[102:103], off, off offset:304
	s_waitcnt vmcnt(4)
	v_fma_f64 v[84:85], v[86:87], v[104:105], v[84:85]
	s_waitcnt lgkmcnt(0)
	s_delay_alu instid0(VALU_DEP_1) | instskip(SKIP_1) | instid1(VALU_DEP_1)
	v_fma_f64 v[84:85], v[88:89], v[106:107], v[84:85]
	s_waitcnt vmcnt(3)
	v_fma_f64 v[104:105], v[90:91], v[108:109], v[84:85]
	ds_load_2addr_b64 v[84:87], v1 offset0:73 offset1:74
	ds_load_2addr_b64 v[88:91], v1 offset0:75 offset1:76
	s_waitcnt lgkmcnt(1)
	v_fma_f64 v[84:85], v[92:93], v[84:85], v[104:105]
	s_waitcnt vmcnt(2)
	s_delay_alu instid0(VALU_DEP_1) | instskip(SKIP_1) | instid1(VALU_DEP_1)
	v_fma_f64 v[84:85], v[94:95], v[86:87], v[84:85]
	s_waitcnt lgkmcnt(0)
	v_fma_f64 v[84:85], v[96:97], v[88:89], v[84:85]
	s_waitcnt vmcnt(1)
	s_delay_alu instid0(VALU_DEP_1) | instskip(SKIP_4) | instid1(VALU_DEP_1)
	v_fma_f64 v[88:89], v[98:99], v[90:91], v[84:85]
	ds_load_2addr_b64 v[84:87], v1 offset0:77 offset1:78
	s_waitcnt lgkmcnt(0)
	v_fma_f64 v[1:2], v[100:101], v[84:85], v[88:89]
	s_waitcnt vmcnt(0)
	v_fma_f64 v[1:2], v[102:103], v[86:87], v[1:2]
	s_delay_alu instid0(VALU_DEP_1)
	v_add_f64 v[1:2], v[82:83], -v[1:2]
	scratch_store_b64 off, v[1:2], off offset:224
	v_cmpx_lt_u32_e32 27, v0
	s_cbranch_execz .LBB102_189
; %bb.188:
	scratch_load_b64 v[1:2], off, off offset:216
	v_mov_b32_e32 v82, 0
	s_delay_alu instid0(VALU_DEP_1)
	v_mov_b32_e32 v83, v82
	scratch_store_b64 off, v[82:83], off offset:216
	s_waitcnt vmcnt(0)
	ds_store_b64 v3, v[1:2]
.LBB102_189:
	s_or_b32 exec_lo, exec_lo, s0
	s_waitcnt lgkmcnt(0)
	s_waitcnt_vscnt null, 0x0
	s_barrier
	buffer_gl0_inv
	s_clause 0x4
	scratch_load_b128 v[82:85], off, off offset:216
	scratch_load_b128 v[86:89], off, off offset:232
	;; [unrolled: 1-line block ×5, first 2 shown]
	v_mov_b32_e32 v1, 0
	ds_load_b128 v[102:105], v1 offset:544
	ds_load_b128 v[106:109], v1 offset:560
	scratch_load_b128 v[110:113], off, off offset:296
	s_mov_b32 s0, exec_lo
	s_waitcnt vmcnt(5) lgkmcnt(1)
	v_fma_f64 v[84:85], v[84:85], v[102:103], 0
	s_waitcnt vmcnt(4)
	s_delay_alu instid0(VALU_DEP_1) | instskip(SKIP_1) | instid1(VALU_DEP_1)
	v_fma_f64 v[84:85], v[86:87], v[104:105], v[84:85]
	s_waitcnt lgkmcnt(0)
	v_fma_f64 v[84:85], v[88:89], v[106:107], v[84:85]
	s_waitcnt vmcnt(3)
	s_delay_alu instid0(VALU_DEP_1)
	v_fma_f64 v[102:103], v[90:91], v[108:109], v[84:85]
	ds_load_b128 v[84:87], v1 offset:576
	ds_load_b128 v[88:91], v1 offset:592
	s_waitcnt lgkmcnt(1)
	v_fma_f64 v[84:85], v[92:93], v[84:85], v[102:103]
	s_waitcnt vmcnt(2)
	s_delay_alu instid0(VALU_DEP_1) | instskip(SKIP_1) | instid1(VALU_DEP_1)
	v_fma_f64 v[84:85], v[94:95], v[86:87], v[84:85]
	s_waitcnt lgkmcnt(0)
	v_fma_f64 v[84:85], v[96:97], v[88:89], v[84:85]
	s_waitcnt vmcnt(1)
	s_delay_alu instid0(VALU_DEP_1)
	v_fma_f64 v[88:89], v[98:99], v[90:91], v[84:85]
	ds_load_b128 v[84:87], v1 offset:608
	ds_load_b64 v[90:91], v1 offset:624
	s_waitcnt lgkmcnt(1)
	v_fma_f64 v[84:85], v[100:101], v[84:85], v[88:89]
	s_waitcnt vmcnt(0)
	s_delay_alu instid0(VALU_DEP_1) | instskip(SKIP_1) | instid1(VALU_DEP_1)
	v_fma_f64 v[84:85], v[110:111], v[86:87], v[84:85]
	s_waitcnt lgkmcnt(0)
	v_fma_f64 v[84:85], v[112:113], v[90:91], v[84:85]
	s_delay_alu instid0(VALU_DEP_1)
	v_add_f64 v[82:83], v[82:83], -v[84:85]
	scratch_store_b64 off, v[82:83], off offset:216
	v_cmpx_lt_u32_e32 26, v0
	s_cbranch_execz .LBB102_191
; %bb.190:
	scratch_load_b64 v[82:83], off, off offset:208
	v_mov_b32_e32 v2, v1
	scratch_store_b64 off, v[1:2], off offset:208
	s_waitcnt vmcnt(0)
	ds_store_b64 v3, v[82:83]
.LBB102_191:
	s_or_b32 exec_lo, exec_lo, s0
	s_waitcnt lgkmcnt(0)
	s_waitcnt_vscnt null, 0x0
	s_barrier
	buffer_gl0_inv
	s_clause 0x4
	scratch_load_b128 v[82:85], off, off offset:208
	scratch_load_b128 v[86:89], off, off offset:224
	scratch_load_b128 v[90:93], off, off offset:240
	scratch_load_b128 v[94:97], off, off offset:256
	scratch_load_b128 v[98:101], off, off offset:272
	ds_load_2addr_b64 v[102:105], v1 offset0:67 offset1:68
	ds_load_2addr_b64 v[106:109], v1 offset0:69 offset1:70
	scratch_load_b128 v[110:113], off, off offset:288
	s_mov_b32 s0, exec_lo
	s_waitcnt vmcnt(5) lgkmcnt(1)
	v_fma_f64 v[84:85], v[84:85], v[102:103], 0
	scratch_load_b64 v[102:103], off, off offset:304
	s_waitcnt vmcnt(5)
	v_fma_f64 v[84:85], v[86:87], v[104:105], v[84:85]
	s_waitcnt lgkmcnt(0)
	s_delay_alu instid0(VALU_DEP_1) | instskip(SKIP_1) | instid1(VALU_DEP_1)
	v_fma_f64 v[84:85], v[88:89], v[106:107], v[84:85]
	s_waitcnt vmcnt(4)
	v_fma_f64 v[104:105], v[90:91], v[108:109], v[84:85]
	ds_load_2addr_b64 v[84:87], v1 offset0:71 offset1:72
	ds_load_2addr_b64 v[88:91], v1 offset0:73 offset1:74
	s_waitcnt lgkmcnt(1)
	v_fma_f64 v[84:85], v[92:93], v[84:85], v[104:105]
	s_waitcnt vmcnt(3)
	s_delay_alu instid0(VALU_DEP_1) | instskip(SKIP_1) | instid1(VALU_DEP_1)
	v_fma_f64 v[84:85], v[94:95], v[86:87], v[84:85]
	s_waitcnt lgkmcnt(0)
	v_fma_f64 v[84:85], v[96:97], v[88:89], v[84:85]
	s_waitcnt vmcnt(2)
	s_delay_alu instid0(VALU_DEP_1)
	v_fma_f64 v[92:93], v[98:99], v[90:91], v[84:85]
	ds_load_2addr_b64 v[84:87], v1 offset0:75 offset1:76
	ds_load_2addr_b64 v[88:91], v1 offset0:77 offset1:78
	s_waitcnt lgkmcnt(1)
	v_fma_f64 v[1:2], v[100:101], v[84:85], v[92:93]
	s_waitcnt vmcnt(1)
	s_delay_alu instid0(VALU_DEP_1) | instskip(SKIP_1) | instid1(VALU_DEP_1)
	v_fma_f64 v[1:2], v[110:111], v[86:87], v[1:2]
	s_waitcnt lgkmcnt(0)
	v_fma_f64 v[1:2], v[112:113], v[88:89], v[1:2]
	s_waitcnt vmcnt(0)
	s_delay_alu instid0(VALU_DEP_1) | instskip(NEXT) | instid1(VALU_DEP_1)
	v_fma_f64 v[1:2], v[102:103], v[90:91], v[1:2]
	v_add_f64 v[1:2], v[82:83], -v[1:2]
	scratch_store_b64 off, v[1:2], off offset:208
	v_cmpx_lt_u32_e32 25, v0
	s_cbranch_execz .LBB102_193
; %bb.192:
	scratch_load_b64 v[1:2], off, off offset:200
	v_mov_b32_e32 v82, 0
	s_delay_alu instid0(VALU_DEP_1)
	v_mov_b32_e32 v83, v82
	scratch_store_b64 off, v[82:83], off offset:200
	s_waitcnt vmcnt(0)
	ds_store_b64 v3, v[1:2]
.LBB102_193:
	s_or_b32 exec_lo, exec_lo, s0
	s_waitcnt lgkmcnt(0)
	s_waitcnt_vscnt null, 0x0
	s_barrier
	buffer_gl0_inv
	s_clause 0x4
	scratch_load_b128 v[82:85], off, off offset:200
	scratch_load_b128 v[86:89], off, off offset:216
	;; [unrolled: 1-line block ×5, first 2 shown]
	v_mov_b32_e32 v1, 0
	ds_load_b128 v[102:105], v1 offset:528
	ds_load_b128 v[106:109], v1 offset:544
	scratch_load_b128 v[110:113], off, off offset:280
	s_mov_b32 s0, exec_lo
	s_waitcnt vmcnt(5) lgkmcnt(1)
	v_fma_f64 v[84:85], v[84:85], v[102:103], 0
	s_waitcnt vmcnt(4)
	s_delay_alu instid0(VALU_DEP_1) | instskip(SKIP_1) | instid1(VALU_DEP_1)
	v_fma_f64 v[84:85], v[86:87], v[104:105], v[84:85]
	s_waitcnt lgkmcnt(0)
	v_fma_f64 v[88:89], v[88:89], v[106:107], v[84:85]
	scratch_load_b128 v[84:87], off, off offset:296
	s_waitcnt vmcnt(4)
	v_fma_f64 v[106:107], v[90:91], v[108:109], v[88:89]
	ds_load_b128 v[88:91], v1 offset:560
	ds_load_b128 v[102:105], v1 offset:576
	s_waitcnt lgkmcnt(1)
	v_fma_f64 v[88:89], v[92:93], v[88:89], v[106:107]
	s_waitcnt vmcnt(3)
	s_delay_alu instid0(VALU_DEP_1) | instskip(SKIP_1) | instid1(VALU_DEP_1)
	v_fma_f64 v[88:89], v[94:95], v[90:91], v[88:89]
	s_waitcnt lgkmcnt(0)
	v_fma_f64 v[88:89], v[96:97], v[102:103], v[88:89]
	s_waitcnt vmcnt(2)
	s_delay_alu instid0(VALU_DEP_1)
	v_fma_f64 v[96:97], v[98:99], v[104:105], v[88:89]
	ds_load_b128 v[88:91], v1 offset:592
	ds_load_b128 v[92:95], v1 offset:608
	s_waitcnt lgkmcnt(1)
	v_fma_f64 v[88:89], v[100:101], v[88:89], v[96:97]
	s_waitcnt vmcnt(1)
	s_delay_alu instid0(VALU_DEP_1) | instskip(SKIP_1) | instid1(VALU_DEP_1)
	v_fma_f64 v[88:89], v[110:111], v[90:91], v[88:89]
	s_waitcnt lgkmcnt(0)
	v_fma_f64 v[88:89], v[112:113], v[92:93], v[88:89]
	s_waitcnt vmcnt(0)
	s_delay_alu instid0(VALU_DEP_1) | instskip(SKIP_3) | instid1(VALU_DEP_1)
	v_fma_f64 v[84:85], v[84:85], v[94:95], v[88:89]
	ds_load_b64 v[88:89], v1 offset:624
	s_waitcnt lgkmcnt(0)
	v_fma_f64 v[84:85], v[86:87], v[88:89], v[84:85]
	v_add_f64 v[82:83], v[82:83], -v[84:85]
	scratch_store_b64 off, v[82:83], off offset:200
	v_cmpx_lt_u32_e32 24, v0
	s_cbranch_execz .LBB102_195
; %bb.194:
	scratch_load_b64 v[82:83], off, off offset:192
	v_mov_b32_e32 v2, v1
	scratch_store_b64 off, v[1:2], off offset:192
	s_waitcnt vmcnt(0)
	ds_store_b64 v3, v[82:83]
.LBB102_195:
	s_or_b32 exec_lo, exec_lo, s0
	s_waitcnt lgkmcnt(0)
	s_waitcnt_vscnt null, 0x0
	s_barrier
	buffer_gl0_inv
	s_clause 0x4
	scratch_load_b128 v[82:85], off, off offset:192
	scratch_load_b128 v[86:89], off, off offset:208
	;; [unrolled: 1-line block ×5, first 2 shown]
	ds_load_2addr_b64 v[102:105], v1 offset0:65 offset1:66
	ds_load_2addr_b64 v[106:109], v1 offset0:67 offset1:68
	scratch_load_b128 v[110:113], off, off offset:272
	s_mov_b32 s0, exec_lo
	s_waitcnt vmcnt(5) lgkmcnt(1)
	v_fma_f64 v[84:85], v[84:85], v[102:103], 0
	s_waitcnt vmcnt(4)
	s_delay_alu instid0(VALU_DEP_1) | instskip(SKIP_1) | instid1(VALU_DEP_1)
	v_fma_f64 v[84:85], v[86:87], v[104:105], v[84:85]
	s_waitcnt lgkmcnt(0)
	v_fma_f64 v[88:89], v[88:89], v[106:107], v[84:85]
	scratch_load_b128 v[84:87], off, off offset:288
	s_waitcnt vmcnt(4)
	v_fma_f64 v[106:107], v[90:91], v[108:109], v[88:89]
	ds_load_2addr_b64 v[88:91], v1 offset0:69 offset1:70
	ds_load_2addr_b64 v[102:105], v1 offset0:71 offset1:72
	s_waitcnt lgkmcnt(1)
	v_fma_f64 v[88:89], v[92:93], v[88:89], v[106:107]
	scratch_load_b64 v[106:107], off, off offset:304
	s_waitcnt vmcnt(4)
	v_fma_f64 v[88:89], v[94:95], v[90:91], v[88:89]
	s_waitcnt lgkmcnt(0)
	s_delay_alu instid0(VALU_DEP_1) | instskip(SKIP_1) | instid1(VALU_DEP_1)
	v_fma_f64 v[88:89], v[96:97], v[102:103], v[88:89]
	s_waitcnt vmcnt(3)
	v_fma_f64 v[96:97], v[98:99], v[104:105], v[88:89]
	ds_load_2addr_b64 v[88:91], v1 offset0:73 offset1:74
	ds_load_2addr_b64 v[92:95], v1 offset0:75 offset1:76
	s_waitcnt lgkmcnt(1)
	v_fma_f64 v[88:89], v[100:101], v[88:89], v[96:97]
	s_waitcnt vmcnt(2)
	s_delay_alu instid0(VALU_DEP_1) | instskip(SKIP_1) | instid1(VALU_DEP_1)
	v_fma_f64 v[88:89], v[110:111], v[90:91], v[88:89]
	s_waitcnt lgkmcnt(0)
	v_fma_f64 v[88:89], v[112:113], v[92:93], v[88:89]
	s_waitcnt vmcnt(1)
	s_delay_alu instid0(VALU_DEP_1) | instskip(SKIP_4) | instid1(VALU_DEP_1)
	v_fma_f64 v[84:85], v[84:85], v[94:95], v[88:89]
	ds_load_2addr_b64 v[88:91], v1 offset0:77 offset1:78
	s_waitcnt lgkmcnt(0)
	v_fma_f64 v[1:2], v[86:87], v[88:89], v[84:85]
	s_waitcnt vmcnt(0)
	v_fma_f64 v[1:2], v[106:107], v[90:91], v[1:2]
	s_delay_alu instid0(VALU_DEP_1)
	v_add_f64 v[1:2], v[82:83], -v[1:2]
	scratch_store_b64 off, v[1:2], off offset:192
	v_cmpx_lt_u32_e32 23, v0
	s_cbranch_execz .LBB102_197
; %bb.196:
	scratch_load_b64 v[1:2], off, off offset:184
	v_mov_b32_e32 v82, 0
	s_delay_alu instid0(VALU_DEP_1)
	v_mov_b32_e32 v83, v82
	scratch_store_b64 off, v[82:83], off offset:184
	s_waitcnt vmcnt(0)
	ds_store_b64 v3, v[1:2]
.LBB102_197:
	s_or_b32 exec_lo, exec_lo, s0
	s_waitcnt lgkmcnt(0)
	s_waitcnt_vscnt null, 0x0
	s_barrier
	buffer_gl0_inv
	s_clause 0x4
	scratch_load_b128 v[82:85], off, off offset:184
	scratch_load_b128 v[86:89], off, off offset:200
	scratch_load_b128 v[90:93], off, off offset:216
	scratch_load_b128 v[94:97], off, off offset:232
	scratch_load_b128 v[98:101], off, off offset:248
	v_mov_b32_e32 v1, 0
	ds_load_b128 v[102:105], v1 offset:512
	ds_load_b128 v[106:109], v1 offset:528
	scratch_load_b128 v[110:113], off, off offset:264
	s_mov_b32 s0, exec_lo
	s_waitcnt vmcnt(5) lgkmcnt(1)
	v_fma_f64 v[84:85], v[84:85], v[102:103], 0
	s_waitcnt vmcnt(4)
	s_delay_alu instid0(VALU_DEP_1) | instskip(SKIP_1) | instid1(VALU_DEP_1)
	v_fma_f64 v[84:85], v[86:87], v[104:105], v[84:85]
	s_waitcnt lgkmcnt(0)
	v_fma_f64 v[88:89], v[88:89], v[106:107], v[84:85]
	scratch_load_b128 v[84:87], off, off offset:280
	s_waitcnt vmcnt(4)
	v_fma_f64 v[106:107], v[90:91], v[108:109], v[88:89]
	ds_load_b128 v[88:91], v1 offset:544
	ds_load_b128 v[102:105], v1 offset:560
	s_waitcnt lgkmcnt(1)
	v_fma_f64 v[88:89], v[92:93], v[88:89], v[106:107]
	scratch_load_b128 v[106:109], off, off offset:296
	s_waitcnt vmcnt(4)
	v_fma_f64 v[88:89], v[94:95], v[90:91], v[88:89]
	s_waitcnt lgkmcnt(0)
	s_delay_alu instid0(VALU_DEP_1) | instskip(SKIP_1) | instid1(VALU_DEP_1)
	v_fma_f64 v[88:89], v[96:97], v[102:103], v[88:89]
	s_waitcnt vmcnt(3)
	v_fma_f64 v[96:97], v[98:99], v[104:105], v[88:89]
	ds_load_b128 v[88:91], v1 offset:576
	ds_load_b128 v[92:95], v1 offset:592
	s_waitcnt lgkmcnt(1)
	v_fma_f64 v[88:89], v[100:101], v[88:89], v[96:97]
	s_waitcnt vmcnt(2)
	s_delay_alu instid0(VALU_DEP_1) | instskip(SKIP_1) | instid1(VALU_DEP_1)
	v_fma_f64 v[88:89], v[110:111], v[90:91], v[88:89]
	s_waitcnt lgkmcnt(0)
	v_fma_f64 v[88:89], v[112:113], v[92:93], v[88:89]
	s_waitcnt vmcnt(1)
	s_delay_alu instid0(VALU_DEP_1)
	v_fma_f64 v[84:85], v[84:85], v[94:95], v[88:89]
	ds_load_b128 v[88:91], v1 offset:608
	ds_load_b64 v[92:93], v1 offset:624
	s_waitcnt lgkmcnt(1)
	v_fma_f64 v[84:85], v[86:87], v[88:89], v[84:85]
	s_waitcnt vmcnt(0)
	s_delay_alu instid0(VALU_DEP_1) | instskip(SKIP_1) | instid1(VALU_DEP_1)
	v_fma_f64 v[84:85], v[106:107], v[90:91], v[84:85]
	s_waitcnt lgkmcnt(0)
	v_fma_f64 v[84:85], v[108:109], v[92:93], v[84:85]
	s_delay_alu instid0(VALU_DEP_1)
	v_add_f64 v[82:83], v[82:83], -v[84:85]
	scratch_store_b64 off, v[82:83], off offset:184
	v_cmpx_lt_u32_e32 22, v0
	s_cbranch_execz .LBB102_199
; %bb.198:
	scratch_load_b64 v[82:83], off, off offset:176
	v_mov_b32_e32 v2, v1
	scratch_store_b64 off, v[1:2], off offset:176
	s_waitcnt vmcnt(0)
	ds_store_b64 v3, v[82:83]
.LBB102_199:
	s_or_b32 exec_lo, exec_lo, s0
	s_waitcnt lgkmcnt(0)
	s_waitcnt_vscnt null, 0x0
	s_barrier
	buffer_gl0_inv
	s_clause 0x4
	scratch_load_b128 v[82:85], off, off offset:176
	scratch_load_b128 v[86:89], off, off offset:192
	;; [unrolled: 1-line block ×5, first 2 shown]
	ds_load_2addr_b64 v[102:105], v1 offset0:63 offset1:64
	ds_load_2addr_b64 v[106:109], v1 offset0:65 offset1:66
	scratch_load_b128 v[110:113], off, off offset:256
	s_mov_b32 s0, exec_lo
	s_waitcnt vmcnt(5) lgkmcnt(1)
	v_fma_f64 v[84:85], v[84:85], v[102:103], 0
	s_waitcnt vmcnt(4)
	s_delay_alu instid0(VALU_DEP_1) | instskip(SKIP_1) | instid1(VALU_DEP_1)
	v_fma_f64 v[84:85], v[86:87], v[104:105], v[84:85]
	s_waitcnt lgkmcnt(0)
	v_fma_f64 v[88:89], v[88:89], v[106:107], v[84:85]
	scratch_load_b128 v[84:87], off, off offset:272
	s_waitcnt vmcnt(4)
	v_fma_f64 v[106:107], v[90:91], v[108:109], v[88:89]
	ds_load_2addr_b64 v[88:91], v1 offset0:67 offset1:68
	ds_load_2addr_b64 v[102:105], v1 offset0:69 offset1:70
	s_waitcnt lgkmcnt(1)
	v_fma_f64 v[88:89], v[92:93], v[88:89], v[106:107]
	scratch_load_b128 v[106:109], off, off offset:288
	s_waitcnt vmcnt(4)
	v_fma_f64 v[88:89], v[94:95], v[90:91], v[88:89]
	s_waitcnt lgkmcnt(0)
	s_delay_alu instid0(VALU_DEP_1)
	v_fma_f64 v[88:89], v[96:97], v[102:103], v[88:89]
	scratch_load_b64 v[96:97], off, off offset:304
	s_waitcnt vmcnt(4)
	v_fma_f64 v[98:99], v[98:99], v[104:105], v[88:89]
	ds_load_2addr_b64 v[88:91], v1 offset0:71 offset1:72
	ds_load_2addr_b64 v[92:95], v1 offset0:73 offset1:74
	s_waitcnt lgkmcnt(1)
	v_fma_f64 v[88:89], v[100:101], v[88:89], v[98:99]
	s_waitcnt vmcnt(3)
	s_delay_alu instid0(VALU_DEP_1) | instskip(SKIP_1) | instid1(VALU_DEP_1)
	v_fma_f64 v[88:89], v[110:111], v[90:91], v[88:89]
	s_waitcnt lgkmcnt(0)
	v_fma_f64 v[88:89], v[112:113], v[92:93], v[88:89]
	s_waitcnt vmcnt(2)
	s_delay_alu instid0(VALU_DEP_1)
	v_fma_f64 v[84:85], v[84:85], v[94:95], v[88:89]
	ds_load_2addr_b64 v[88:91], v1 offset0:75 offset1:76
	ds_load_2addr_b64 v[92:95], v1 offset0:77 offset1:78
	s_waitcnt lgkmcnt(1)
	v_fma_f64 v[1:2], v[86:87], v[88:89], v[84:85]
	s_waitcnt vmcnt(1)
	s_delay_alu instid0(VALU_DEP_1) | instskip(SKIP_1) | instid1(VALU_DEP_1)
	v_fma_f64 v[1:2], v[106:107], v[90:91], v[1:2]
	s_waitcnt lgkmcnt(0)
	v_fma_f64 v[1:2], v[108:109], v[92:93], v[1:2]
	s_waitcnt vmcnt(0)
	s_delay_alu instid0(VALU_DEP_1) | instskip(NEXT) | instid1(VALU_DEP_1)
	v_fma_f64 v[1:2], v[96:97], v[94:95], v[1:2]
	v_add_f64 v[1:2], v[82:83], -v[1:2]
	scratch_store_b64 off, v[1:2], off offset:176
	v_cmpx_lt_u32_e32 21, v0
	s_cbranch_execz .LBB102_201
; %bb.200:
	scratch_load_b64 v[1:2], off, off offset:168
	v_mov_b32_e32 v82, 0
	s_delay_alu instid0(VALU_DEP_1)
	v_mov_b32_e32 v83, v82
	scratch_store_b64 off, v[82:83], off offset:168
	s_waitcnt vmcnt(0)
	ds_store_b64 v3, v[1:2]
.LBB102_201:
	s_or_b32 exec_lo, exec_lo, s0
	s_waitcnt lgkmcnt(0)
	s_waitcnt_vscnt null, 0x0
	s_barrier
	buffer_gl0_inv
	s_clause 0x4
	scratch_load_b128 v[82:85], off, off offset:168
	scratch_load_b128 v[86:89], off, off offset:184
	;; [unrolled: 1-line block ×5, first 2 shown]
	v_mov_b32_e32 v1, 0
	ds_load_b128 v[102:105], v1 offset:496
	ds_load_b128 v[106:109], v1 offset:512
	scratch_load_b128 v[110:113], off, off offset:248
	s_mov_b32 s0, exec_lo
	s_waitcnt vmcnt(5) lgkmcnt(1)
	v_fma_f64 v[84:85], v[84:85], v[102:103], 0
	s_waitcnt vmcnt(4)
	s_delay_alu instid0(VALU_DEP_1) | instskip(SKIP_1) | instid1(VALU_DEP_1)
	v_fma_f64 v[84:85], v[86:87], v[104:105], v[84:85]
	s_waitcnt lgkmcnt(0)
	v_fma_f64 v[88:89], v[88:89], v[106:107], v[84:85]
	scratch_load_b128 v[84:87], off, off offset:264
	s_waitcnt vmcnt(4)
	v_fma_f64 v[106:107], v[90:91], v[108:109], v[88:89]
	ds_load_b128 v[88:91], v1 offset:528
	ds_load_b128 v[102:105], v1 offset:544
	s_waitcnt lgkmcnt(1)
	v_fma_f64 v[88:89], v[92:93], v[88:89], v[106:107]
	scratch_load_b128 v[106:109], off, off offset:280
	s_waitcnt vmcnt(4)
	v_fma_f64 v[88:89], v[94:95], v[90:91], v[88:89]
	s_waitcnt lgkmcnt(0)
	s_delay_alu instid0(VALU_DEP_1)
	v_fma_f64 v[92:93], v[96:97], v[102:103], v[88:89]
	scratch_load_b128 v[88:91], off, off offset:296
	s_waitcnt vmcnt(4)
	v_fma_f64 v[102:103], v[98:99], v[104:105], v[92:93]
	ds_load_b128 v[92:95], v1 offset:560
	ds_load_b128 v[96:99], v1 offset:576
	s_waitcnt lgkmcnt(1)
	v_fma_f64 v[92:93], v[100:101], v[92:93], v[102:103]
	s_waitcnt vmcnt(3)
	s_delay_alu instid0(VALU_DEP_1) | instskip(SKIP_1) | instid1(VALU_DEP_1)
	v_fma_f64 v[92:93], v[110:111], v[94:95], v[92:93]
	s_waitcnt lgkmcnt(0)
	v_fma_f64 v[92:93], v[112:113], v[96:97], v[92:93]
	s_waitcnt vmcnt(2)
	s_delay_alu instid0(VALU_DEP_1)
	v_fma_f64 v[84:85], v[84:85], v[98:99], v[92:93]
	ds_load_b128 v[92:95], v1 offset:592
	ds_load_b128 v[96:99], v1 offset:608
	s_waitcnt lgkmcnt(1)
	v_fma_f64 v[84:85], v[86:87], v[92:93], v[84:85]
	ds_load_b64 v[86:87], v1 offset:624
	s_waitcnt vmcnt(1)
	v_fma_f64 v[84:85], v[106:107], v[94:95], v[84:85]
	s_waitcnt lgkmcnt(1)
	s_delay_alu instid0(VALU_DEP_1) | instskip(SKIP_1) | instid1(VALU_DEP_1)
	v_fma_f64 v[84:85], v[108:109], v[96:97], v[84:85]
	s_waitcnt vmcnt(0)
	v_fma_f64 v[84:85], v[88:89], v[98:99], v[84:85]
	s_waitcnt lgkmcnt(0)
	s_delay_alu instid0(VALU_DEP_1) | instskip(NEXT) | instid1(VALU_DEP_1)
	v_fma_f64 v[84:85], v[90:91], v[86:87], v[84:85]
	v_add_f64 v[82:83], v[82:83], -v[84:85]
	scratch_store_b64 off, v[82:83], off offset:168
	v_cmpx_lt_u32_e32 20, v0
	s_cbranch_execz .LBB102_203
; %bb.202:
	scratch_load_b64 v[82:83], off, off offset:160
	v_mov_b32_e32 v2, v1
	scratch_store_b64 off, v[1:2], off offset:160
	s_waitcnt vmcnt(0)
	ds_store_b64 v3, v[82:83]
.LBB102_203:
	s_or_b32 exec_lo, exec_lo, s0
	s_waitcnt lgkmcnt(0)
	s_waitcnt_vscnt null, 0x0
	s_barrier
	buffer_gl0_inv
	s_clause 0x4
	scratch_load_b128 v[82:85], off, off offset:160
	scratch_load_b128 v[86:89], off, off offset:176
	;; [unrolled: 1-line block ×5, first 2 shown]
	ds_load_2addr_b64 v[102:105], v1 offset0:61 offset1:62
	ds_load_2addr_b64 v[106:109], v1 offset0:63 offset1:64
	scratch_load_b128 v[110:113], off, off offset:240
	s_mov_b32 s0, exec_lo
	s_waitcnt vmcnt(5) lgkmcnt(1)
	v_fma_f64 v[84:85], v[84:85], v[102:103], 0
	s_waitcnt vmcnt(4)
	s_delay_alu instid0(VALU_DEP_1) | instskip(SKIP_1) | instid1(VALU_DEP_1)
	v_fma_f64 v[84:85], v[86:87], v[104:105], v[84:85]
	s_waitcnt lgkmcnt(0)
	v_fma_f64 v[88:89], v[88:89], v[106:107], v[84:85]
	scratch_load_b128 v[84:87], off, off offset:256
	s_waitcnt vmcnt(4)
	v_fma_f64 v[106:107], v[90:91], v[108:109], v[88:89]
	ds_load_2addr_b64 v[88:91], v1 offset0:65 offset1:66
	ds_load_2addr_b64 v[102:105], v1 offset0:67 offset1:68
	s_waitcnt lgkmcnt(1)
	v_fma_f64 v[88:89], v[92:93], v[88:89], v[106:107]
	scratch_load_b128 v[106:109], off, off offset:272
	s_waitcnt vmcnt(4)
	v_fma_f64 v[88:89], v[94:95], v[90:91], v[88:89]
	s_waitcnt lgkmcnt(0)
	s_delay_alu instid0(VALU_DEP_1)
	v_fma_f64 v[92:93], v[96:97], v[102:103], v[88:89]
	scratch_load_b128 v[88:91], off, off offset:288
	s_waitcnt vmcnt(4)
	v_fma_f64 v[102:103], v[98:99], v[104:105], v[92:93]
	ds_load_2addr_b64 v[92:95], v1 offset0:69 offset1:70
	ds_load_2addr_b64 v[96:99], v1 offset0:71 offset1:72
	s_waitcnt lgkmcnt(1)
	v_fma_f64 v[92:93], v[100:101], v[92:93], v[102:103]
	scratch_load_b64 v[100:101], off, off offset:304
	s_waitcnt vmcnt(4)
	v_fma_f64 v[92:93], v[110:111], v[94:95], v[92:93]
	s_waitcnt lgkmcnt(0)
	s_delay_alu instid0(VALU_DEP_1) | instskip(SKIP_1) | instid1(VALU_DEP_1)
	v_fma_f64 v[92:93], v[112:113], v[96:97], v[92:93]
	s_waitcnt vmcnt(3)
	v_fma_f64 v[84:85], v[84:85], v[98:99], v[92:93]
	ds_load_2addr_b64 v[92:95], v1 offset0:73 offset1:74
	ds_load_2addr_b64 v[96:99], v1 offset0:75 offset1:76
	s_waitcnt lgkmcnt(1)
	v_fma_f64 v[84:85], v[86:87], v[92:93], v[84:85]
	s_waitcnt vmcnt(2)
	s_delay_alu instid0(VALU_DEP_1) | instskip(SKIP_1) | instid1(VALU_DEP_1)
	v_fma_f64 v[84:85], v[106:107], v[94:95], v[84:85]
	s_waitcnt lgkmcnt(0)
	v_fma_f64 v[84:85], v[108:109], v[96:97], v[84:85]
	s_waitcnt vmcnt(1)
	s_delay_alu instid0(VALU_DEP_1) | instskip(SKIP_4) | instid1(VALU_DEP_1)
	v_fma_f64 v[88:89], v[88:89], v[98:99], v[84:85]
	ds_load_2addr_b64 v[84:87], v1 offset0:77 offset1:78
	s_waitcnt lgkmcnt(0)
	v_fma_f64 v[1:2], v[90:91], v[84:85], v[88:89]
	s_waitcnt vmcnt(0)
	v_fma_f64 v[1:2], v[100:101], v[86:87], v[1:2]
	s_delay_alu instid0(VALU_DEP_1)
	v_add_f64 v[1:2], v[82:83], -v[1:2]
	scratch_store_b64 off, v[1:2], off offset:160
	v_cmpx_lt_u32_e32 19, v0
	s_cbranch_execz .LBB102_205
; %bb.204:
	scratch_load_b64 v[1:2], off, off offset:152
	v_mov_b32_e32 v82, 0
	s_delay_alu instid0(VALU_DEP_1)
	v_mov_b32_e32 v83, v82
	scratch_store_b64 off, v[82:83], off offset:152
	s_waitcnt vmcnt(0)
	ds_store_b64 v3, v[1:2]
.LBB102_205:
	s_or_b32 exec_lo, exec_lo, s0
	s_waitcnt lgkmcnt(0)
	s_waitcnt_vscnt null, 0x0
	s_barrier
	buffer_gl0_inv
	s_clause 0x4
	scratch_load_b128 v[82:85], off, off offset:152
	scratch_load_b128 v[86:89], off, off offset:168
	;; [unrolled: 1-line block ×5, first 2 shown]
	v_mov_b32_e32 v1, 0
	ds_load_b128 v[102:105], v1 offset:480
	ds_load_b128 v[106:109], v1 offset:496
	scratch_load_b128 v[110:113], off, off offset:232
	s_mov_b32 s0, exec_lo
	s_waitcnt vmcnt(5) lgkmcnt(1)
	v_fma_f64 v[84:85], v[84:85], v[102:103], 0
	s_waitcnt vmcnt(4)
	s_delay_alu instid0(VALU_DEP_1) | instskip(SKIP_1) | instid1(VALU_DEP_1)
	v_fma_f64 v[84:85], v[86:87], v[104:105], v[84:85]
	s_waitcnt lgkmcnt(0)
	v_fma_f64 v[88:89], v[88:89], v[106:107], v[84:85]
	scratch_load_b128 v[84:87], off, off offset:248
	s_waitcnt vmcnt(4)
	v_fma_f64 v[106:107], v[90:91], v[108:109], v[88:89]
	ds_load_b128 v[88:91], v1 offset:512
	ds_load_b128 v[102:105], v1 offset:528
	s_waitcnt lgkmcnt(1)
	v_fma_f64 v[88:89], v[92:93], v[88:89], v[106:107]
	scratch_load_b128 v[106:109], off, off offset:264
	s_waitcnt vmcnt(4)
	v_fma_f64 v[88:89], v[94:95], v[90:91], v[88:89]
	s_waitcnt lgkmcnt(0)
	s_delay_alu instid0(VALU_DEP_1)
	v_fma_f64 v[92:93], v[96:97], v[102:103], v[88:89]
	scratch_load_b128 v[88:91], off, off offset:280
	s_waitcnt vmcnt(4)
	v_fma_f64 v[102:103], v[98:99], v[104:105], v[92:93]
	ds_load_b128 v[92:95], v1 offset:544
	ds_load_b128 v[96:99], v1 offset:560
	s_waitcnt lgkmcnt(1)
	v_fma_f64 v[92:93], v[100:101], v[92:93], v[102:103]
	scratch_load_b128 v[100:103], off, off offset:296
	s_waitcnt vmcnt(4)
	v_fma_f64 v[92:93], v[110:111], v[94:95], v[92:93]
	s_waitcnt lgkmcnt(0)
	s_delay_alu instid0(VALU_DEP_1) | instskip(SKIP_1) | instid1(VALU_DEP_1)
	v_fma_f64 v[92:93], v[112:113], v[96:97], v[92:93]
	s_waitcnt vmcnt(3)
	v_fma_f64 v[84:85], v[84:85], v[98:99], v[92:93]
	ds_load_b128 v[92:95], v1 offset:576
	ds_load_b128 v[96:99], v1 offset:592
	s_waitcnt lgkmcnt(1)
	v_fma_f64 v[84:85], v[86:87], v[92:93], v[84:85]
	s_waitcnt vmcnt(2)
	s_delay_alu instid0(VALU_DEP_1) | instskip(SKIP_1) | instid1(VALU_DEP_1)
	v_fma_f64 v[84:85], v[106:107], v[94:95], v[84:85]
	s_waitcnt lgkmcnt(0)
	v_fma_f64 v[84:85], v[108:109], v[96:97], v[84:85]
	s_waitcnt vmcnt(1)
	s_delay_alu instid0(VALU_DEP_1)
	v_fma_f64 v[88:89], v[88:89], v[98:99], v[84:85]
	ds_load_b128 v[84:87], v1 offset:608
	ds_load_b64 v[92:93], v1 offset:624
	s_waitcnt lgkmcnt(1)
	v_fma_f64 v[84:85], v[90:91], v[84:85], v[88:89]
	s_waitcnt vmcnt(0)
	s_delay_alu instid0(VALU_DEP_1) | instskip(SKIP_1) | instid1(VALU_DEP_1)
	v_fma_f64 v[84:85], v[100:101], v[86:87], v[84:85]
	s_waitcnt lgkmcnt(0)
	v_fma_f64 v[84:85], v[102:103], v[92:93], v[84:85]
	s_delay_alu instid0(VALU_DEP_1)
	v_add_f64 v[82:83], v[82:83], -v[84:85]
	scratch_store_b64 off, v[82:83], off offset:152
	v_cmpx_lt_u32_e32 18, v0
	s_cbranch_execz .LBB102_207
; %bb.206:
	scratch_load_b64 v[82:83], off, off offset:144
	v_mov_b32_e32 v2, v1
	scratch_store_b64 off, v[1:2], off offset:144
	s_waitcnt vmcnt(0)
	ds_store_b64 v3, v[82:83]
.LBB102_207:
	s_or_b32 exec_lo, exec_lo, s0
	s_waitcnt lgkmcnt(0)
	s_waitcnt_vscnt null, 0x0
	s_barrier
	buffer_gl0_inv
	s_clause 0x4
	scratch_load_b128 v[82:85], off, off offset:144
	scratch_load_b128 v[86:89], off, off offset:160
	;; [unrolled: 1-line block ×5, first 2 shown]
	ds_load_2addr_b64 v[102:105], v1 offset0:59 offset1:60
	ds_load_2addr_b64 v[106:109], v1 offset0:61 offset1:62
	scratch_load_b128 v[110:113], off, off offset:224
	s_mov_b32 s0, exec_lo
	s_waitcnt vmcnt(5) lgkmcnt(1)
	v_fma_f64 v[84:85], v[84:85], v[102:103], 0
	s_waitcnt vmcnt(4)
	s_delay_alu instid0(VALU_DEP_1) | instskip(SKIP_1) | instid1(VALU_DEP_1)
	v_fma_f64 v[84:85], v[86:87], v[104:105], v[84:85]
	s_waitcnt lgkmcnt(0)
	v_fma_f64 v[88:89], v[88:89], v[106:107], v[84:85]
	scratch_load_b128 v[84:87], off, off offset:240
	s_waitcnt vmcnt(4)
	v_fma_f64 v[106:107], v[90:91], v[108:109], v[88:89]
	ds_load_2addr_b64 v[88:91], v1 offset0:63 offset1:64
	ds_load_2addr_b64 v[102:105], v1 offset0:65 offset1:66
	s_waitcnt lgkmcnt(1)
	v_fma_f64 v[88:89], v[92:93], v[88:89], v[106:107]
	scratch_load_b128 v[106:109], off, off offset:256
	s_waitcnt vmcnt(4)
	v_fma_f64 v[88:89], v[94:95], v[90:91], v[88:89]
	s_waitcnt lgkmcnt(0)
	s_delay_alu instid0(VALU_DEP_1)
	v_fma_f64 v[92:93], v[96:97], v[102:103], v[88:89]
	scratch_load_b128 v[88:91], off, off offset:272
	s_waitcnt vmcnt(4)
	v_fma_f64 v[102:103], v[98:99], v[104:105], v[92:93]
	ds_load_2addr_b64 v[92:95], v1 offset0:67 offset1:68
	ds_load_2addr_b64 v[96:99], v1 offset0:69 offset1:70
	scratch_load_b64 v[104:105], off, off offset:304
	s_waitcnt lgkmcnt(1)
	v_fma_f64 v[92:93], v[100:101], v[92:93], v[102:103]
	scratch_load_b128 v[100:103], off, off offset:288
	s_waitcnt vmcnt(5)
	v_fma_f64 v[92:93], v[110:111], v[94:95], v[92:93]
	s_waitcnt lgkmcnt(0)
	s_delay_alu instid0(VALU_DEP_1) | instskip(SKIP_1) | instid1(VALU_DEP_1)
	v_fma_f64 v[92:93], v[112:113], v[96:97], v[92:93]
	s_waitcnt vmcnt(4)
	v_fma_f64 v[84:85], v[84:85], v[98:99], v[92:93]
	ds_load_2addr_b64 v[92:95], v1 offset0:71 offset1:72
	ds_load_2addr_b64 v[96:99], v1 offset0:73 offset1:74
	s_waitcnt lgkmcnt(1)
	v_fma_f64 v[84:85], v[86:87], v[92:93], v[84:85]
	s_waitcnt vmcnt(3)
	s_delay_alu instid0(VALU_DEP_1) | instskip(SKIP_1) | instid1(VALU_DEP_1)
	v_fma_f64 v[84:85], v[106:107], v[94:95], v[84:85]
	s_waitcnt lgkmcnt(0)
	v_fma_f64 v[84:85], v[108:109], v[96:97], v[84:85]
	s_waitcnt vmcnt(2)
	s_delay_alu instid0(VALU_DEP_1)
	v_fma_f64 v[88:89], v[88:89], v[98:99], v[84:85]
	ds_load_2addr_b64 v[84:87], v1 offset0:75 offset1:76
	ds_load_2addr_b64 v[92:95], v1 offset0:77 offset1:78
	s_waitcnt lgkmcnt(1)
	v_fma_f64 v[1:2], v[90:91], v[84:85], v[88:89]
	s_waitcnt vmcnt(0)
	s_delay_alu instid0(VALU_DEP_1) | instskip(SKIP_1) | instid1(VALU_DEP_1)
	v_fma_f64 v[1:2], v[100:101], v[86:87], v[1:2]
	s_waitcnt lgkmcnt(0)
	v_fma_f64 v[1:2], v[102:103], v[92:93], v[1:2]
	s_delay_alu instid0(VALU_DEP_1) | instskip(NEXT) | instid1(VALU_DEP_1)
	v_fma_f64 v[1:2], v[104:105], v[94:95], v[1:2]
	v_add_f64 v[1:2], v[82:83], -v[1:2]
	scratch_store_b64 off, v[1:2], off offset:144
	v_cmpx_lt_u32_e32 17, v0
	s_cbranch_execz .LBB102_209
; %bb.208:
	scratch_load_b64 v[1:2], off, off offset:136
	v_mov_b32_e32 v82, 0
	s_delay_alu instid0(VALU_DEP_1)
	v_mov_b32_e32 v83, v82
	scratch_store_b64 off, v[82:83], off offset:136
	s_waitcnt vmcnt(0)
	ds_store_b64 v3, v[1:2]
.LBB102_209:
	s_or_b32 exec_lo, exec_lo, s0
	s_waitcnt lgkmcnt(0)
	s_waitcnt_vscnt null, 0x0
	s_barrier
	buffer_gl0_inv
	s_clause 0x4
	scratch_load_b128 v[82:85], off, off offset:136
	scratch_load_b128 v[86:89], off, off offset:152
	;; [unrolled: 1-line block ×5, first 2 shown]
	v_mov_b32_e32 v1, 0
	ds_load_b128 v[102:105], v1 offset:464
	ds_load_b128 v[106:109], v1 offset:480
	scratch_load_b128 v[110:113], off, off offset:216
	s_mov_b32 s0, exec_lo
	s_waitcnt vmcnt(5) lgkmcnt(1)
	v_fma_f64 v[84:85], v[84:85], v[102:103], 0
	s_waitcnt vmcnt(4)
	s_delay_alu instid0(VALU_DEP_1) | instskip(SKIP_1) | instid1(VALU_DEP_1)
	v_fma_f64 v[84:85], v[86:87], v[104:105], v[84:85]
	s_waitcnt lgkmcnt(0)
	v_fma_f64 v[88:89], v[88:89], v[106:107], v[84:85]
	scratch_load_b128 v[84:87], off, off offset:232
	s_waitcnt vmcnt(4)
	v_fma_f64 v[106:107], v[90:91], v[108:109], v[88:89]
	ds_load_b128 v[88:91], v1 offset:496
	ds_load_b128 v[102:105], v1 offset:512
	s_waitcnt lgkmcnt(1)
	v_fma_f64 v[88:89], v[92:93], v[88:89], v[106:107]
	scratch_load_b128 v[106:109], off, off offset:248
	s_waitcnt vmcnt(4)
	v_fma_f64 v[88:89], v[94:95], v[90:91], v[88:89]
	s_waitcnt lgkmcnt(0)
	s_delay_alu instid0(VALU_DEP_1)
	v_fma_f64 v[92:93], v[96:97], v[102:103], v[88:89]
	scratch_load_b128 v[88:91], off, off offset:264
	s_waitcnt vmcnt(4)
	v_fma_f64 v[102:103], v[98:99], v[104:105], v[92:93]
	ds_load_b128 v[92:95], v1 offset:528
	ds_load_b128 v[96:99], v1 offset:544
	s_waitcnt lgkmcnt(1)
	v_fma_f64 v[92:93], v[100:101], v[92:93], v[102:103]
	scratch_load_b128 v[100:103], off, off offset:280
	s_waitcnt vmcnt(4)
	v_fma_f64 v[92:93], v[110:111], v[94:95], v[92:93]
	s_waitcnt lgkmcnt(0)
	s_delay_alu instid0(VALU_DEP_1)
	v_fma_f64 v[96:97], v[112:113], v[96:97], v[92:93]
	scratch_load_b128 v[92:95], off, off offset:296
	s_waitcnt vmcnt(4)
	v_fma_f64 v[84:85], v[84:85], v[98:99], v[96:97]
	ds_load_b128 v[96:99], v1 offset:560
	ds_load_b128 v[110:113], v1 offset:576
	s_waitcnt lgkmcnt(1)
	v_fma_f64 v[84:85], v[86:87], v[96:97], v[84:85]
	s_waitcnt vmcnt(3)
	s_delay_alu instid0(VALU_DEP_1) | instskip(SKIP_1) | instid1(VALU_DEP_1)
	v_fma_f64 v[84:85], v[106:107], v[98:99], v[84:85]
	s_waitcnt lgkmcnt(0)
	v_fma_f64 v[84:85], v[108:109], v[110:111], v[84:85]
	s_waitcnt vmcnt(2)
	s_delay_alu instid0(VALU_DEP_1)
	v_fma_f64 v[88:89], v[88:89], v[112:113], v[84:85]
	ds_load_b128 v[84:87], v1 offset:592
	ds_load_b128 v[96:99], v1 offset:608
	s_waitcnt lgkmcnt(1)
	v_fma_f64 v[84:85], v[90:91], v[84:85], v[88:89]
	s_waitcnt vmcnt(1)
	s_delay_alu instid0(VALU_DEP_1) | instskip(SKIP_4) | instid1(VALU_DEP_1)
	v_fma_f64 v[84:85], v[100:101], v[86:87], v[84:85]
	ds_load_b64 v[86:87], v1 offset:624
	s_waitcnt lgkmcnt(1)
	v_fma_f64 v[84:85], v[102:103], v[96:97], v[84:85]
	s_waitcnt vmcnt(0)
	v_fma_f64 v[84:85], v[92:93], v[98:99], v[84:85]
	s_waitcnt lgkmcnt(0)
	s_delay_alu instid0(VALU_DEP_1) | instskip(NEXT) | instid1(VALU_DEP_1)
	v_fma_f64 v[84:85], v[94:95], v[86:87], v[84:85]
	v_add_f64 v[82:83], v[82:83], -v[84:85]
	scratch_store_b64 off, v[82:83], off offset:136
	v_cmpx_lt_u32_e32 16, v0
	s_cbranch_execz .LBB102_211
; %bb.210:
	scratch_load_b64 v[82:83], off, off offset:128
	v_mov_b32_e32 v2, v1
	scratch_store_b64 off, v[1:2], off offset:128
	s_waitcnt vmcnt(0)
	ds_store_b64 v3, v[82:83]
.LBB102_211:
	s_or_b32 exec_lo, exec_lo, s0
	s_waitcnt lgkmcnt(0)
	s_waitcnt_vscnt null, 0x0
	s_barrier
	buffer_gl0_inv
	s_clause 0x4
	scratch_load_b128 v[82:85], off, off offset:128
	scratch_load_b128 v[86:89], off, off offset:144
	;; [unrolled: 1-line block ×5, first 2 shown]
	ds_load_2addr_b64 v[102:105], v1 offset0:57 offset1:58
	ds_load_2addr_b64 v[106:109], v1 offset0:59 offset1:60
	scratch_load_b128 v[110:113], off, off offset:208
	s_mov_b32 s0, exec_lo
	s_waitcnt vmcnt(5) lgkmcnt(1)
	v_fma_f64 v[84:85], v[84:85], v[102:103], 0
	s_waitcnt vmcnt(4)
	s_delay_alu instid0(VALU_DEP_1) | instskip(SKIP_1) | instid1(VALU_DEP_1)
	v_fma_f64 v[84:85], v[86:87], v[104:105], v[84:85]
	s_waitcnt lgkmcnt(0)
	v_fma_f64 v[88:89], v[88:89], v[106:107], v[84:85]
	scratch_load_b128 v[84:87], off, off offset:224
	s_waitcnt vmcnt(4)
	v_fma_f64 v[106:107], v[90:91], v[108:109], v[88:89]
	ds_load_2addr_b64 v[88:91], v1 offset0:61 offset1:62
	ds_load_2addr_b64 v[102:105], v1 offset0:63 offset1:64
	s_waitcnt lgkmcnt(1)
	v_fma_f64 v[88:89], v[92:93], v[88:89], v[106:107]
	scratch_load_b128 v[106:109], off, off offset:240
	s_waitcnt vmcnt(4)
	v_fma_f64 v[88:89], v[94:95], v[90:91], v[88:89]
	s_waitcnt lgkmcnt(0)
	s_delay_alu instid0(VALU_DEP_1)
	v_fma_f64 v[92:93], v[96:97], v[102:103], v[88:89]
	scratch_load_b128 v[88:91], off, off offset:256
	s_waitcnt vmcnt(4)
	v_fma_f64 v[102:103], v[98:99], v[104:105], v[92:93]
	ds_load_2addr_b64 v[92:95], v1 offset0:65 offset1:66
	ds_load_2addr_b64 v[96:99], v1 offset0:67 offset1:68
	s_waitcnt lgkmcnt(1)
	v_fma_f64 v[92:93], v[100:101], v[92:93], v[102:103]
	scratch_load_b128 v[100:103], off, off offset:272
	s_waitcnt vmcnt(4)
	v_fma_f64 v[92:93], v[110:111], v[94:95], v[92:93]
	s_waitcnt lgkmcnt(0)
	s_delay_alu instid0(VALU_DEP_1)
	v_fma_f64 v[96:97], v[112:113], v[96:97], v[92:93]
	scratch_load_b128 v[92:95], off, off offset:288
	s_waitcnt vmcnt(4)
	v_fma_f64 v[84:85], v[84:85], v[98:99], v[96:97]
	ds_load_2addr_b64 v[96:99], v1 offset0:69 offset1:70
	ds_load_2addr_b64 v[110:113], v1 offset0:71 offset1:72
	scratch_load_b64 v[104:105], off, off offset:304
	s_waitcnt lgkmcnt(1)
	v_fma_f64 v[84:85], v[86:87], v[96:97], v[84:85]
	s_waitcnt vmcnt(4)
	s_delay_alu instid0(VALU_DEP_1) | instskip(SKIP_1) | instid1(VALU_DEP_1)
	v_fma_f64 v[84:85], v[106:107], v[98:99], v[84:85]
	s_waitcnt lgkmcnt(0)
	v_fma_f64 v[84:85], v[108:109], v[110:111], v[84:85]
	s_waitcnt vmcnt(3)
	s_delay_alu instid0(VALU_DEP_1)
	v_fma_f64 v[88:89], v[88:89], v[112:113], v[84:85]
	ds_load_2addr_b64 v[84:87], v1 offset0:73 offset1:74
	ds_load_2addr_b64 v[96:99], v1 offset0:75 offset1:76
	s_waitcnt lgkmcnt(1)
	v_fma_f64 v[84:85], v[90:91], v[84:85], v[88:89]
	s_waitcnt vmcnt(2)
	s_delay_alu instid0(VALU_DEP_1) | instskip(SKIP_1) | instid1(VALU_DEP_1)
	v_fma_f64 v[84:85], v[100:101], v[86:87], v[84:85]
	s_waitcnt lgkmcnt(0)
	v_fma_f64 v[84:85], v[102:103], v[96:97], v[84:85]
	s_waitcnt vmcnt(1)
	s_delay_alu instid0(VALU_DEP_1) | instskip(SKIP_4) | instid1(VALU_DEP_1)
	v_fma_f64 v[88:89], v[92:93], v[98:99], v[84:85]
	ds_load_2addr_b64 v[84:87], v1 offset0:77 offset1:78
	s_waitcnt lgkmcnt(0)
	v_fma_f64 v[1:2], v[94:95], v[84:85], v[88:89]
	s_waitcnt vmcnt(0)
	v_fma_f64 v[1:2], v[104:105], v[86:87], v[1:2]
	s_delay_alu instid0(VALU_DEP_1)
	v_add_f64 v[1:2], v[82:83], -v[1:2]
	scratch_store_b64 off, v[1:2], off offset:128
	v_cmpx_lt_u32_e32 15, v0
	s_cbranch_execz .LBB102_213
; %bb.212:
	scratch_load_b64 v[1:2], off, off offset:120
	v_mov_b32_e32 v82, 0
	s_delay_alu instid0(VALU_DEP_1)
	v_mov_b32_e32 v83, v82
	scratch_store_b64 off, v[82:83], off offset:120
	s_waitcnt vmcnt(0)
	ds_store_b64 v3, v[1:2]
.LBB102_213:
	s_or_b32 exec_lo, exec_lo, s0
	s_waitcnt lgkmcnt(0)
	s_waitcnt_vscnt null, 0x0
	s_barrier
	buffer_gl0_inv
	s_clause 0x4
	scratch_load_b128 v[82:85], off, off offset:120
	scratch_load_b128 v[86:89], off, off offset:136
	;; [unrolled: 1-line block ×5, first 2 shown]
	v_mov_b32_e32 v1, 0
	ds_load_b128 v[102:105], v1 offset:448
	ds_load_b128 v[106:109], v1 offset:464
	scratch_load_b128 v[110:113], off, off offset:200
	s_mov_b32 s0, exec_lo
	s_waitcnt vmcnt(5) lgkmcnt(1)
	v_fma_f64 v[84:85], v[84:85], v[102:103], 0
	s_waitcnt vmcnt(4)
	s_delay_alu instid0(VALU_DEP_1) | instskip(SKIP_1) | instid1(VALU_DEP_1)
	v_fma_f64 v[84:85], v[86:87], v[104:105], v[84:85]
	s_waitcnt lgkmcnt(0)
	v_fma_f64 v[88:89], v[88:89], v[106:107], v[84:85]
	scratch_load_b128 v[84:87], off, off offset:216
	s_waitcnt vmcnt(4)
	v_fma_f64 v[106:107], v[90:91], v[108:109], v[88:89]
	ds_load_b128 v[88:91], v1 offset:480
	ds_load_b128 v[102:105], v1 offset:496
	s_waitcnt lgkmcnt(1)
	v_fma_f64 v[88:89], v[92:93], v[88:89], v[106:107]
	scratch_load_b128 v[106:109], off, off offset:232
	s_waitcnt vmcnt(4)
	v_fma_f64 v[88:89], v[94:95], v[90:91], v[88:89]
	s_waitcnt lgkmcnt(0)
	s_delay_alu instid0(VALU_DEP_1)
	v_fma_f64 v[92:93], v[96:97], v[102:103], v[88:89]
	scratch_load_b128 v[88:91], off, off offset:248
	s_waitcnt vmcnt(4)
	v_fma_f64 v[102:103], v[98:99], v[104:105], v[92:93]
	ds_load_b128 v[92:95], v1 offset:512
	ds_load_b128 v[96:99], v1 offset:528
	s_waitcnt lgkmcnt(1)
	v_fma_f64 v[92:93], v[100:101], v[92:93], v[102:103]
	scratch_load_b128 v[100:103], off, off offset:264
	s_waitcnt vmcnt(4)
	v_fma_f64 v[92:93], v[110:111], v[94:95], v[92:93]
	s_waitcnt lgkmcnt(0)
	s_delay_alu instid0(VALU_DEP_1)
	v_fma_f64 v[96:97], v[112:113], v[96:97], v[92:93]
	scratch_load_b128 v[92:95], off, off offset:280
	s_waitcnt vmcnt(4)
	v_fma_f64 v[84:85], v[84:85], v[98:99], v[96:97]
	ds_load_b128 v[96:99], v1 offset:544
	ds_load_b128 v[110:113], v1 offset:560
	s_waitcnt lgkmcnt(1)
	v_fma_f64 v[96:97], v[86:87], v[96:97], v[84:85]
	scratch_load_b128 v[84:87], off, off offset:296
	s_waitcnt vmcnt(4)
	v_fma_f64 v[96:97], v[106:107], v[98:99], v[96:97]
	s_waitcnt lgkmcnt(0)
	s_delay_alu instid0(VALU_DEP_1) | instskip(SKIP_1) | instid1(VALU_DEP_1)
	v_fma_f64 v[96:97], v[108:109], v[110:111], v[96:97]
	s_waitcnt vmcnt(3)
	v_fma_f64 v[88:89], v[88:89], v[112:113], v[96:97]
	ds_load_b128 v[96:99], v1 offset:576
	ds_load_b128 v[104:107], v1 offset:592
	s_waitcnt lgkmcnt(1)
	v_fma_f64 v[88:89], v[90:91], v[96:97], v[88:89]
	s_waitcnt vmcnt(2)
	s_delay_alu instid0(VALU_DEP_1) | instskip(SKIP_1) | instid1(VALU_DEP_1)
	v_fma_f64 v[88:89], v[100:101], v[98:99], v[88:89]
	s_waitcnt lgkmcnt(0)
	v_fma_f64 v[88:89], v[102:103], v[104:105], v[88:89]
	s_waitcnt vmcnt(1)
	s_delay_alu instid0(VALU_DEP_1)
	v_fma_f64 v[92:93], v[92:93], v[106:107], v[88:89]
	ds_load_b128 v[88:91], v1 offset:608
	ds_load_b64 v[96:97], v1 offset:624
	s_waitcnt lgkmcnt(1)
	v_fma_f64 v[88:89], v[94:95], v[88:89], v[92:93]
	s_waitcnt vmcnt(0)
	s_delay_alu instid0(VALU_DEP_1) | instskip(SKIP_1) | instid1(VALU_DEP_1)
	v_fma_f64 v[84:85], v[84:85], v[90:91], v[88:89]
	s_waitcnt lgkmcnt(0)
	v_fma_f64 v[84:85], v[86:87], v[96:97], v[84:85]
	s_delay_alu instid0(VALU_DEP_1)
	v_add_f64 v[82:83], v[82:83], -v[84:85]
	scratch_store_b64 off, v[82:83], off offset:120
	v_cmpx_lt_u32_e32 14, v0
	s_cbranch_execz .LBB102_215
; %bb.214:
	scratch_load_b64 v[82:83], off, off offset:112
	v_mov_b32_e32 v2, v1
	scratch_store_b64 off, v[1:2], off offset:112
	s_waitcnt vmcnt(0)
	ds_store_b64 v3, v[82:83]
.LBB102_215:
	s_or_b32 exec_lo, exec_lo, s0
	s_waitcnt lgkmcnt(0)
	s_waitcnt_vscnt null, 0x0
	s_barrier
	buffer_gl0_inv
	s_clause 0x4
	scratch_load_b128 v[82:85], off, off offset:112
	scratch_load_b128 v[86:89], off, off offset:128
	;; [unrolled: 1-line block ×5, first 2 shown]
	ds_load_2addr_b64 v[102:105], v1 offset0:55 offset1:56
	ds_load_2addr_b64 v[106:109], v1 offset0:57 offset1:58
	scratch_load_b128 v[110:113], off, off offset:192
	s_mov_b32 s0, exec_lo
	s_waitcnt vmcnt(5) lgkmcnt(1)
	v_fma_f64 v[84:85], v[84:85], v[102:103], 0
	s_waitcnt vmcnt(4)
	s_delay_alu instid0(VALU_DEP_1) | instskip(SKIP_1) | instid1(VALU_DEP_1)
	v_fma_f64 v[84:85], v[86:87], v[104:105], v[84:85]
	s_waitcnt lgkmcnt(0)
	v_fma_f64 v[88:89], v[88:89], v[106:107], v[84:85]
	scratch_load_b128 v[84:87], off, off offset:208
	s_waitcnt vmcnt(4)
	v_fma_f64 v[106:107], v[90:91], v[108:109], v[88:89]
	ds_load_2addr_b64 v[88:91], v1 offset0:59 offset1:60
	ds_load_2addr_b64 v[102:105], v1 offset0:61 offset1:62
	s_waitcnt lgkmcnt(1)
	v_fma_f64 v[88:89], v[92:93], v[88:89], v[106:107]
	scratch_load_b128 v[106:109], off, off offset:224
	s_waitcnt vmcnt(4)
	v_fma_f64 v[88:89], v[94:95], v[90:91], v[88:89]
	s_waitcnt lgkmcnt(0)
	s_delay_alu instid0(VALU_DEP_1)
	v_fma_f64 v[92:93], v[96:97], v[102:103], v[88:89]
	scratch_load_b128 v[88:91], off, off offset:240
	s_waitcnt vmcnt(4)
	v_fma_f64 v[102:103], v[98:99], v[104:105], v[92:93]
	ds_load_2addr_b64 v[92:95], v1 offset0:63 offset1:64
	ds_load_2addr_b64 v[96:99], v1 offset0:65 offset1:66
	s_waitcnt lgkmcnt(1)
	v_fma_f64 v[92:93], v[100:101], v[92:93], v[102:103]
	scratch_load_b128 v[100:103], off, off offset:256
	s_waitcnt vmcnt(4)
	v_fma_f64 v[92:93], v[110:111], v[94:95], v[92:93]
	s_waitcnt lgkmcnt(0)
	s_delay_alu instid0(VALU_DEP_1)
	;; [unrolled: 13-line block ×3, first 2 shown]
	v_fma_f64 v[96:97], v[108:109], v[110:111], v[96:97]
	scratch_load_b64 v[108:109], off, off offset:304
	s_waitcnt vmcnt(4)
	v_fma_f64 v[88:89], v[88:89], v[112:113], v[96:97]
	ds_load_2addr_b64 v[96:99], v1 offset0:71 offset1:72
	ds_load_2addr_b64 v[104:107], v1 offset0:73 offset1:74
	s_waitcnt lgkmcnt(1)
	v_fma_f64 v[88:89], v[90:91], v[96:97], v[88:89]
	s_waitcnt vmcnt(3)
	s_delay_alu instid0(VALU_DEP_1) | instskip(SKIP_1) | instid1(VALU_DEP_1)
	v_fma_f64 v[88:89], v[100:101], v[98:99], v[88:89]
	s_waitcnt lgkmcnt(0)
	v_fma_f64 v[88:89], v[102:103], v[104:105], v[88:89]
	s_waitcnt vmcnt(2)
	s_delay_alu instid0(VALU_DEP_1)
	v_fma_f64 v[92:93], v[92:93], v[106:107], v[88:89]
	ds_load_2addr_b64 v[88:91], v1 offset0:75 offset1:76
	ds_load_2addr_b64 v[96:99], v1 offset0:77 offset1:78
	s_waitcnt lgkmcnt(1)
	v_fma_f64 v[1:2], v[94:95], v[88:89], v[92:93]
	s_waitcnt vmcnt(1)
	s_delay_alu instid0(VALU_DEP_1) | instskip(SKIP_1) | instid1(VALU_DEP_1)
	v_fma_f64 v[1:2], v[84:85], v[90:91], v[1:2]
	s_waitcnt lgkmcnt(0)
	v_fma_f64 v[1:2], v[86:87], v[96:97], v[1:2]
	s_waitcnt vmcnt(0)
	s_delay_alu instid0(VALU_DEP_1) | instskip(NEXT) | instid1(VALU_DEP_1)
	v_fma_f64 v[1:2], v[108:109], v[98:99], v[1:2]
	v_add_f64 v[1:2], v[82:83], -v[1:2]
	scratch_store_b64 off, v[1:2], off offset:112
	v_cmpx_lt_u32_e32 13, v0
	s_cbranch_execz .LBB102_217
; %bb.216:
	scratch_load_b64 v[1:2], off, off offset:104
	v_mov_b32_e32 v82, 0
	s_delay_alu instid0(VALU_DEP_1)
	v_mov_b32_e32 v83, v82
	scratch_store_b64 off, v[82:83], off offset:104
	s_waitcnt vmcnt(0)
	ds_store_b64 v3, v[1:2]
.LBB102_217:
	s_or_b32 exec_lo, exec_lo, s0
	s_waitcnt lgkmcnt(0)
	s_waitcnt_vscnt null, 0x0
	s_barrier
	buffer_gl0_inv
	s_clause 0x4
	scratch_load_b128 v[82:85], off, off offset:104
	scratch_load_b128 v[86:89], off, off offset:120
	;; [unrolled: 1-line block ×5, first 2 shown]
	v_mov_b32_e32 v1, 0
	ds_load_b128 v[102:105], v1 offset:432
	ds_load_b128 v[106:109], v1 offset:448
	scratch_load_b128 v[110:113], off, off offset:184
	s_mov_b32 s0, exec_lo
	s_waitcnt vmcnt(5) lgkmcnt(1)
	v_fma_f64 v[84:85], v[84:85], v[102:103], 0
	s_waitcnt vmcnt(4)
	s_delay_alu instid0(VALU_DEP_1) | instskip(SKIP_1) | instid1(VALU_DEP_1)
	v_fma_f64 v[84:85], v[86:87], v[104:105], v[84:85]
	s_waitcnt lgkmcnt(0)
	v_fma_f64 v[88:89], v[88:89], v[106:107], v[84:85]
	scratch_load_b128 v[84:87], off, off offset:200
	s_waitcnt vmcnt(4)
	v_fma_f64 v[106:107], v[90:91], v[108:109], v[88:89]
	ds_load_b128 v[88:91], v1 offset:464
	ds_load_b128 v[102:105], v1 offset:480
	s_waitcnt lgkmcnt(1)
	v_fma_f64 v[88:89], v[92:93], v[88:89], v[106:107]
	scratch_load_b128 v[106:109], off, off offset:216
	s_waitcnt vmcnt(4)
	v_fma_f64 v[88:89], v[94:95], v[90:91], v[88:89]
	s_waitcnt lgkmcnt(0)
	s_delay_alu instid0(VALU_DEP_1)
	v_fma_f64 v[92:93], v[96:97], v[102:103], v[88:89]
	scratch_load_b128 v[88:91], off, off offset:232
	s_waitcnt vmcnt(4)
	v_fma_f64 v[102:103], v[98:99], v[104:105], v[92:93]
	ds_load_b128 v[92:95], v1 offset:496
	ds_load_b128 v[96:99], v1 offset:512
	s_waitcnt lgkmcnt(1)
	v_fma_f64 v[92:93], v[100:101], v[92:93], v[102:103]
	scratch_load_b128 v[100:103], off, off offset:248
	s_waitcnt vmcnt(4)
	v_fma_f64 v[92:93], v[110:111], v[94:95], v[92:93]
	s_waitcnt lgkmcnt(0)
	s_delay_alu instid0(VALU_DEP_1)
	;; [unrolled: 13-line block ×3, first 2 shown]
	v_fma_f64 v[104:105], v[108:109], v[110:111], v[96:97]
	scratch_load_b128 v[96:99], off, off offset:296
	s_waitcnt vmcnt(4)
	v_fma_f64 v[88:89], v[88:89], v[112:113], v[104:105]
	ds_load_b128 v[104:107], v1 offset:560
	ds_load_b128 v[108:111], v1 offset:576
	s_waitcnt lgkmcnt(1)
	v_fma_f64 v[88:89], v[90:91], v[104:105], v[88:89]
	s_waitcnt vmcnt(3)
	s_delay_alu instid0(VALU_DEP_1) | instskip(SKIP_1) | instid1(VALU_DEP_1)
	v_fma_f64 v[88:89], v[100:101], v[106:107], v[88:89]
	s_waitcnt lgkmcnt(0)
	v_fma_f64 v[88:89], v[102:103], v[108:109], v[88:89]
	s_waitcnt vmcnt(2)
	s_delay_alu instid0(VALU_DEP_1)
	v_fma_f64 v[92:93], v[92:93], v[110:111], v[88:89]
	ds_load_b128 v[88:91], v1 offset:592
	ds_load_b128 v[100:103], v1 offset:608
	s_waitcnt lgkmcnt(1)
	v_fma_f64 v[88:89], v[94:95], v[88:89], v[92:93]
	s_waitcnt vmcnt(1)
	s_delay_alu instid0(VALU_DEP_1) | instskip(SKIP_1) | instid1(VALU_DEP_1)
	v_fma_f64 v[84:85], v[84:85], v[90:91], v[88:89]
	s_waitcnt lgkmcnt(0)
	v_fma_f64 v[84:85], v[86:87], v[100:101], v[84:85]
	ds_load_b64 v[86:87], v1 offset:624
	s_waitcnt vmcnt(0)
	v_fma_f64 v[84:85], v[96:97], v[102:103], v[84:85]
	s_waitcnt lgkmcnt(0)
	s_delay_alu instid0(VALU_DEP_1) | instskip(NEXT) | instid1(VALU_DEP_1)
	v_fma_f64 v[84:85], v[98:99], v[86:87], v[84:85]
	v_add_f64 v[82:83], v[82:83], -v[84:85]
	scratch_store_b64 off, v[82:83], off offset:104
	v_cmpx_lt_u32_e32 12, v0
	s_cbranch_execz .LBB102_219
; %bb.218:
	scratch_load_b64 v[82:83], off, off offset:96
	v_mov_b32_e32 v2, v1
	scratch_store_b64 off, v[1:2], off offset:96
	s_waitcnt vmcnt(0)
	ds_store_b64 v3, v[82:83]
.LBB102_219:
	s_or_b32 exec_lo, exec_lo, s0
	s_waitcnt lgkmcnt(0)
	s_waitcnt_vscnt null, 0x0
	s_barrier
	buffer_gl0_inv
	s_clause 0x4
	scratch_load_b128 v[82:85], off, off offset:96
	scratch_load_b128 v[86:89], off, off offset:112
	;; [unrolled: 1-line block ×5, first 2 shown]
	ds_load_2addr_b64 v[102:105], v1 offset0:53 offset1:54
	ds_load_2addr_b64 v[106:109], v1 offset0:55 offset1:56
	scratch_load_b128 v[110:113], off, off offset:176
	s_mov_b32 s0, exec_lo
	s_waitcnt vmcnt(5) lgkmcnt(1)
	v_fma_f64 v[84:85], v[84:85], v[102:103], 0
	s_waitcnt vmcnt(4)
	s_delay_alu instid0(VALU_DEP_1) | instskip(SKIP_1) | instid1(VALU_DEP_1)
	v_fma_f64 v[84:85], v[86:87], v[104:105], v[84:85]
	s_waitcnt lgkmcnt(0)
	v_fma_f64 v[88:89], v[88:89], v[106:107], v[84:85]
	scratch_load_b128 v[84:87], off, off offset:192
	s_waitcnt vmcnt(4)
	v_fma_f64 v[106:107], v[90:91], v[108:109], v[88:89]
	ds_load_2addr_b64 v[88:91], v1 offset0:57 offset1:58
	ds_load_2addr_b64 v[102:105], v1 offset0:59 offset1:60
	s_waitcnt lgkmcnt(1)
	v_fma_f64 v[88:89], v[92:93], v[88:89], v[106:107]
	scratch_load_b128 v[106:109], off, off offset:208
	s_waitcnt vmcnt(4)
	v_fma_f64 v[88:89], v[94:95], v[90:91], v[88:89]
	s_waitcnt lgkmcnt(0)
	s_delay_alu instid0(VALU_DEP_1)
	v_fma_f64 v[92:93], v[96:97], v[102:103], v[88:89]
	scratch_load_b128 v[88:91], off, off offset:224
	s_waitcnt vmcnt(4)
	v_fma_f64 v[102:103], v[98:99], v[104:105], v[92:93]
	ds_load_2addr_b64 v[92:95], v1 offset0:61 offset1:62
	ds_load_2addr_b64 v[96:99], v1 offset0:63 offset1:64
	s_waitcnt lgkmcnt(1)
	v_fma_f64 v[92:93], v[100:101], v[92:93], v[102:103]
	scratch_load_b128 v[100:103], off, off offset:240
	s_waitcnt vmcnt(4)
	v_fma_f64 v[92:93], v[110:111], v[94:95], v[92:93]
	s_waitcnt lgkmcnt(0)
	s_delay_alu instid0(VALU_DEP_1)
	;; [unrolled: 13-line block ×3, first 2 shown]
	v_fma_f64 v[104:105], v[108:109], v[110:111], v[96:97]
	scratch_load_b128 v[96:99], off, off offset:288
	s_waitcnt vmcnt(4)
	v_fma_f64 v[88:89], v[88:89], v[112:113], v[104:105]
	ds_load_2addr_b64 v[104:107], v1 offset0:69 offset1:70
	ds_load_2addr_b64 v[108:111], v1 offset0:71 offset1:72
	s_waitcnt lgkmcnt(1)
	v_fma_f64 v[88:89], v[90:91], v[104:105], v[88:89]
	scratch_load_b64 v[104:105], off, off offset:304
	s_waitcnt vmcnt(4)
	v_fma_f64 v[88:89], v[100:101], v[106:107], v[88:89]
	s_waitcnt lgkmcnt(0)
	s_delay_alu instid0(VALU_DEP_1) | instskip(SKIP_1) | instid1(VALU_DEP_1)
	v_fma_f64 v[88:89], v[102:103], v[108:109], v[88:89]
	s_waitcnt vmcnt(3)
	v_fma_f64 v[92:93], v[92:93], v[110:111], v[88:89]
	ds_load_2addr_b64 v[88:91], v1 offset0:73 offset1:74
	ds_load_2addr_b64 v[100:103], v1 offset0:75 offset1:76
	s_waitcnt lgkmcnt(1)
	v_fma_f64 v[88:89], v[94:95], v[88:89], v[92:93]
	s_waitcnt vmcnt(2)
	s_delay_alu instid0(VALU_DEP_1) | instskip(SKIP_1) | instid1(VALU_DEP_1)
	v_fma_f64 v[84:85], v[84:85], v[90:91], v[88:89]
	s_waitcnt lgkmcnt(0)
	v_fma_f64 v[84:85], v[86:87], v[100:101], v[84:85]
	s_waitcnt vmcnt(1)
	s_delay_alu instid0(VALU_DEP_1) | instskip(SKIP_4) | instid1(VALU_DEP_1)
	v_fma_f64 v[88:89], v[96:97], v[102:103], v[84:85]
	ds_load_2addr_b64 v[84:87], v1 offset0:77 offset1:78
	s_waitcnt lgkmcnt(0)
	v_fma_f64 v[1:2], v[98:99], v[84:85], v[88:89]
	s_waitcnt vmcnt(0)
	v_fma_f64 v[1:2], v[104:105], v[86:87], v[1:2]
	s_delay_alu instid0(VALU_DEP_1)
	v_add_f64 v[1:2], v[82:83], -v[1:2]
	scratch_store_b64 off, v[1:2], off offset:96
	v_cmpx_lt_u32_e32 11, v0
	s_cbranch_execz .LBB102_221
; %bb.220:
	scratch_load_b64 v[1:2], off, off offset:88
	v_mov_b32_e32 v82, 0
	s_delay_alu instid0(VALU_DEP_1)
	v_mov_b32_e32 v83, v82
	scratch_store_b64 off, v[82:83], off offset:88
	s_waitcnt vmcnt(0)
	ds_store_b64 v3, v[1:2]
.LBB102_221:
	s_or_b32 exec_lo, exec_lo, s0
	s_waitcnt lgkmcnt(0)
	s_waitcnt_vscnt null, 0x0
	s_barrier
	buffer_gl0_inv
	s_clause 0x4
	scratch_load_b128 v[82:85], off, off offset:88
	scratch_load_b128 v[86:89], off, off offset:104
	;; [unrolled: 1-line block ×5, first 2 shown]
	v_mov_b32_e32 v1, 0
	ds_load_b128 v[102:105], v1 offset:416
	ds_load_b128 v[106:109], v1 offset:432
	scratch_load_b128 v[110:113], off, off offset:168
	s_mov_b32 s0, exec_lo
	s_waitcnt vmcnt(5) lgkmcnt(1)
	v_fma_f64 v[84:85], v[84:85], v[102:103], 0
	s_waitcnt vmcnt(4)
	s_delay_alu instid0(VALU_DEP_1) | instskip(SKIP_1) | instid1(VALU_DEP_1)
	v_fma_f64 v[84:85], v[86:87], v[104:105], v[84:85]
	s_waitcnt lgkmcnt(0)
	v_fma_f64 v[88:89], v[88:89], v[106:107], v[84:85]
	scratch_load_b128 v[84:87], off, off offset:184
	s_waitcnt vmcnt(4)
	v_fma_f64 v[106:107], v[90:91], v[108:109], v[88:89]
	ds_load_b128 v[88:91], v1 offset:448
	ds_load_b128 v[102:105], v1 offset:464
	s_waitcnt lgkmcnt(1)
	v_fma_f64 v[88:89], v[92:93], v[88:89], v[106:107]
	scratch_load_b128 v[106:109], off, off offset:200
	s_waitcnt vmcnt(4)
	v_fma_f64 v[88:89], v[94:95], v[90:91], v[88:89]
	s_waitcnt lgkmcnt(0)
	s_delay_alu instid0(VALU_DEP_1)
	v_fma_f64 v[92:93], v[96:97], v[102:103], v[88:89]
	scratch_load_b128 v[88:91], off, off offset:216
	s_waitcnt vmcnt(4)
	v_fma_f64 v[102:103], v[98:99], v[104:105], v[92:93]
	ds_load_b128 v[92:95], v1 offset:480
	ds_load_b128 v[96:99], v1 offset:496
	s_waitcnt lgkmcnt(1)
	v_fma_f64 v[92:93], v[100:101], v[92:93], v[102:103]
	scratch_load_b128 v[100:103], off, off offset:232
	s_waitcnt vmcnt(4)
	v_fma_f64 v[92:93], v[110:111], v[94:95], v[92:93]
	s_waitcnt lgkmcnt(0)
	s_delay_alu instid0(VALU_DEP_1)
	;; [unrolled: 13-line block ×3, first 2 shown]
	v_fma_f64 v[104:105], v[108:109], v[110:111], v[96:97]
	scratch_load_b128 v[96:99], off, off offset:280
	s_waitcnt vmcnt(4)
	v_fma_f64 v[88:89], v[88:89], v[112:113], v[104:105]
	ds_load_b128 v[104:107], v1 offset:544
	ds_load_b128 v[108:111], v1 offset:560
	s_waitcnt lgkmcnt(1)
	v_fma_f64 v[104:105], v[90:91], v[104:105], v[88:89]
	scratch_load_b128 v[88:91], off, off offset:296
	s_waitcnt vmcnt(4)
	v_fma_f64 v[100:101], v[100:101], v[106:107], v[104:105]
	s_waitcnt lgkmcnt(0)
	s_delay_alu instid0(VALU_DEP_1) | instskip(SKIP_1) | instid1(VALU_DEP_1)
	v_fma_f64 v[100:101], v[102:103], v[108:109], v[100:101]
	s_waitcnt vmcnt(3)
	v_fma_f64 v[92:93], v[92:93], v[110:111], v[100:101]
	ds_load_b128 v[100:103], v1 offset:576
	ds_load_b128 v[104:107], v1 offset:592
	s_waitcnt lgkmcnt(1)
	v_fma_f64 v[92:93], v[94:95], v[100:101], v[92:93]
	s_waitcnt vmcnt(2)
	s_delay_alu instid0(VALU_DEP_1) | instskip(SKIP_1) | instid1(VALU_DEP_1)
	v_fma_f64 v[84:85], v[84:85], v[102:103], v[92:93]
	s_waitcnt lgkmcnt(0)
	v_fma_f64 v[84:85], v[86:87], v[104:105], v[84:85]
	s_waitcnt vmcnt(1)
	s_delay_alu instid0(VALU_DEP_1)
	v_fma_f64 v[92:93], v[96:97], v[106:107], v[84:85]
	ds_load_b128 v[84:87], v1 offset:608
	ds_load_b64 v[94:95], v1 offset:624
	s_waitcnt lgkmcnt(1)
	v_fma_f64 v[84:85], v[98:99], v[84:85], v[92:93]
	s_waitcnt vmcnt(0)
	s_delay_alu instid0(VALU_DEP_1) | instskip(SKIP_1) | instid1(VALU_DEP_1)
	v_fma_f64 v[84:85], v[88:89], v[86:87], v[84:85]
	s_waitcnt lgkmcnt(0)
	v_fma_f64 v[84:85], v[90:91], v[94:95], v[84:85]
	s_delay_alu instid0(VALU_DEP_1)
	v_add_f64 v[82:83], v[82:83], -v[84:85]
	scratch_store_b64 off, v[82:83], off offset:88
	v_cmpx_lt_u32_e32 10, v0
	s_cbranch_execz .LBB102_223
; %bb.222:
	scratch_load_b64 v[82:83], off, off offset:80
	v_mov_b32_e32 v2, v1
	scratch_store_b64 off, v[1:2], off offset:80
	s_waitcnt vmcnt(0)
	ds_store_b64 v3, v[82:83]
.LBB102_223:
	s_or_b32 exec_lo, exec_lo, s0
	s_waitcnt lgkmcnt(0)
	s_waitcnt_vscnt null, 0x0
	s_barrier
	buffer_gl0_inv
	s_clause 0x4
	scratch_load_b128 v[82:85], off, off offset:80
	scratch_load_b128 v[86:89], off, off offset:96
	;; [unrolled: 1-line block ×5, first 2 shown]
	ds_load_2addr_b64 v[102:105], v1 offset0:51 offset1:52
	ds_load_2addr_b64 v[106:109], v1 offset0:53 offset1:54
	scratch_load_b128 v[110:113], off, off offset:160
	s_mov_b32 s0, exec_lo
	s_waitcnt vmcnt(5) lgkmcnt(1)
	v_fma_f64 v[84:85], v[84:85], v[102:103], 0
	s_waitcnt vmcnt(4)
	s_delay_alu instid0(VALU_DEP_1) | instskip(SKIP_1) | instid1(VALU_DEP_1)
	v_fma_f64 v[84:85], v[86:87], v[104:105], v[84:85]
	s_waitcnt lgkmcnt(0)
	v_fma_f64 v[88:89], v[88:89], v[106:107], v[84:85]
	scratch_load_b128 v[84:87], off, off offset:176
	s_waitcnt vmcnt(4)
	v_fma_f64 v[106:107], v[90:91], v[108:109], v[88:89]
	ds_load_2addr_b64 v[88:91], v1 offset0:55 offset1:56
	ds_load_2addr_b64 v[102:105], v1 offset0:57 offset1:58
	s_waitcnt lgkmcnt(1)
	v_fma_f64 v[88:89], v[92:93], v[88:89], v[106:107]
	scratch_load_b128 v[106:109], off, off offset:192
	s_waitcnt vmcnt(4)
	v_fma_f64 v[88:89], v[94:95], v[90:91], v[88:89]
	s_waitcnt lgkmcnt(0)
	s_delay_alu instid0(VALU_DEP_1)
	v_fma_f64 v[92:93], v[96:97], v[102:103], v[88:89]
	scratch_load_b128 v[88:91], off, off offset:208
	s_waitcnt vmcnt(4)
	v_fma_f64 v[102:103], v[98:99], v[104:105], v[92:93]
	ds_load_2addr_b64 v[92:95], v1 offset0:59 offset1:60
	ds_load_2addr_b64 v[96:99], v1 offset0:61 offset1:62
	s_waitcnt lgkmcnt(1)
	v_fma_f64 v[92:93], v[100:101], v[92:93], v[102:103]
	scratch_load_b128 v[100:103], off, off offset:224
	s_waitcnt vmcnt(4)
	v_fma_f64 v[92:93], v[110:111], v[94:95], v[92:93]
	s_waitcnt lgkmcnt(0)
	s_delay_alu instid0(VALU_DEP_1)
	;; [unrolled: 13-line block ×4, first 2 shown]
	v_fma_f64 v[100:101], v[102:103], v[108:109], v[100:101]
	scratch_load_b64 v[108:109], off, off offset:304
	s_waitcnt vmcnt(4)
	v_fma_f64 v[92:93], v[92:93], v[110:111], v[100:101]
	ds_load_2addr_b64 v[100:103], v1 offset0:71 offset1:72
	ds_load_2addr_b64 v[104:107], v1 offset0:73 offset1:74
	s_waitcnt lgkmcnt(1)
	v_fma_f64 v[92:93], v[94:95], v[100:101], v[92:93]
	s_waitcnt vmcnt(3)
	s_delay_alu instid0(VALU_DEP_1) | instskip(SKIP_1) | instid1(VALU_DEP_1)
	v_fma_f64 v[84:85], v[84:85], v[102:103], v[92:93]
	s_waitcnt lgkmcnt(0)
	v_fma_f64 v[84:85], v[86:87], v[104:105], v[84:85]
	s_waitcnt vmcnt(2)
	s_delay_alu instid0(VALU_DEP_1)
	v_fma_f64 v[96:97], v[96:97], v[106:107], v[84:85]
	ds_load_2addr_b64 v[84:87], v1 offset0:75 offset1:76
	ds_load_2addr_b64 v[92:95], v1 offset0:77 offset1:78
	s_waitcnt lgkmcnt(1)
	v_fma_f64 v[1:2], v[98:99], v[84:85], v[96:97]
	s_waitcnt vmcnt(1)
	s_delay_alu instid0(VALU_DEP_1) | instskip(SKIP_1) | instid1(VALU_DEP_1)
	v_fma_f64 v[1:2], v[88:89], v[86:87], v[1:2]
	s_waitcnt lgkmcnt(0)
	v_fma_f64 v[1:2], v[90:91], v[92:93], v[1:2]
	s_waitcnt vmcnt(0)
	s_delay_alu instid0(VALU_DEP_1) | instskip(NEXT) | instid1(VALU_DEP_1)
	v_fma_f64 v[1:2], v[108:109], v[94:95], v[1:2]
	v_add_f64 v[1:2], v[82:83], -v[1:2]
	scratch_store_b64 off, v[1:2], off offset:80
	v_cmpx_lt_u32_e32 9, v0
	s_cbranch_execz .LBB102_225
; %bb.224:
	scratch_load_b64 v[1:2], off, off offset:72
	v_mov_b32_e32 v82, 0
	s_delay_alu instid0(VALU_DEP_1)
	v_mov_b32_e32 v83, v82
	scratch_store_b64 off, v[82:83], off offset:72
	s_waitcnt vmcnt(0)
	ds_store_b64 v3, v[1:2]
.LBB102_225:
	s_or_b32 exec_lo, exec_lo, s0
	s_waitcnt lgkmcnt(0)
	s_waitcnt_vscnt null, 0x0
	s_barrier
	buffer_gl0_inv
	s_clause 0x4
	scratch_load_b128 v[82:85], off, off offset:72
	scratch_load_b128 v[86:89], off, off offset:88
	;; [unrolled: 1-line block ×5, first 2 shown]
	v_mov_b32_e32 v1, 0
	ds_load_b128 v[102:105], v1 offset:400
	ds_load_b128 v[106:109], v1 offset:416
	scratch_load_b128 v[110:113], off, off offset:152
	s_mov_b32 s0, exec_lo
	s_waitcnt vmcnt(5) lgkmcnt(1)
	v_fma_f64 v[84:85], v[84:85], v[102:103], 0
	s_waitcnt vmcnt(4)
	s_delay_alu instid0(VALU_DEP_1) | instskip(SKIP_1) | instid1(VALU_DEP_1)
	v_fma_f64 v[84:85], v[86:87], v[104:105], v[84:85]
	s_waitcnt lgkmcnt(0)
	v_fma_f64 v[88:89], v[88:89], v[106:107], v[84:85]
	scratch_load_b128 v[84:87], off, off offset:168
	s_waitcnt vmcnt(4)
	v_fma_f64 v[106:107], v[90:91], v[108:109], v[88:89]
	ds_load_b128 v[88:91], v1 offset:432
	ds_load_b128 v[102:105], v1 offset:448
	s_waitcnt lgkmcnt(1)
	v_fma_f64 v[88:89], v[92:93], v[88:89], v[106:107]
	scratch_load_b128 v[106:109], off, off offset:184
	s_waitcnt vmcnt(4)
	v_fma_f64 v[88:89], v[94:95], v[90:91], v[88:89]
	s_waitcnt lgkmcnt(0)
	s_delay_alu instid0(VALU_DEP_1)
	v_fma_f64 v[92:93], v[96:97], v[102:103], v[88:89]
	scratch_load_b128 v[88:91], off, off offset:200
	s_waitcnt vmcnt(4)
	v_fma_f64 v[102:103], v[98:99], v[104:105], v[92:93]
	ds_load_b128 v[92:95], v1 offset:464
	ds_load_b128 v[96:99], v1 offset:480
	s_waitcnt lgkmcnt(1)
	v_fma_f64 v[92:93], v[100:101], v[92:93], v[102:103]
	scratch_load_b128 v[100:103], off, off offset:216
	s_waitcnt vmcnt(4)
	v_fma_f64 v[92:93], v[110:111], v[94:95], v[92:93]
	s_waitcnt lgkmcnt(0)
	s_delay_alu instid0(VALU_DEP_1)
	;; [unrolled: 13-line block ×4, first 2 shown]
	v_fma_f64 v[104:105], v[102:103], v[108:109], v[100:101]
	scratch_load_b128 v[100:103], off, off offset:296
	s_waitcnt vmcnt(4)
	v_fma_f64 v[92:93], v[92:93], v[110:111], v[104:105]
	ds_load_b128 v[104:107], v1 offset:560
	ds_load_b128 v[108:111], v1 offset:576
	s_waitcnt lgkmcnt(1)
	v_fma_f64 v[92:93], v[94:95], v[104:105], v[92:93]
	s_waitcnt vmcnt(3)
	s_delay_alu instid0(VALU_DEP_1) | instskip(SKIP_1) | instid1(VALU_DEP_1)
	v_fma_f64 v[84:85], v[84:85], v[106:107], v[92:93]
	s_waitcnt lgkmcnt(0)
	v_fma_f64 v[84:85], v[86:87], v[108:109], v[84:85]
	s_waitcnt vmcnt(2)
	s_delay_alu instid0(VALU_DEP_1)
	v_fma_f64 v[96:97], v[96:97], v[110:111], v[84:85]
	ds_load_b128 v[84:87], v1 offset:592
	ds_load_b128 v[92:95], v1 offset:608
	s_waitcnt lgkmcnt(1)
	v_fma_f64 v[84:85], v[98:99], v[84:85], v[96:97]
	s_waitcnt vmcnt(1)
	s_delay_alu instid0(VALU_DEP_1) | instskip(SKIP_4) | instid1(VALU_DEP_1)
	v_fma_f64 v[84:85], v[88:89], v[86:87], v[84:85]
	ds_load_b64 v[86:87], v1 offset:624
	s_waitcnt lgkmcnt(1)
	v_fma_f64 v[84:85], v[90:91], v[92:93], v[84:85]
	s_waitcnt vmcnt(0)
	v_fma_f64 v[84:85], v[100:101], v[94:95], v[84:85]
	s_waitcnt lgkmcnt(0)
	s_delay_alu instid0(VALU_DEP_1) | instskip(NEXT) | instid1(VALU_DEP_1)
	v_fma_f64 v[84:85], v[102:103], v[86:87], v[84:85]
	v_add_f64 v[82:83], v[82:83], -v[84:85]
	scratch_store_b64 off, v[82:83], off offset:72
	v_cmpx_lt_u32_e32 8, v0
	s_cbranch_execz .LBB102_227
; %bb.226:
	scratch_load_b64 v[82:83], off, off offset:64
	v_mov_b32_e32 v2, v1
	scratch_store_b64 off, v[1:2], off offset:64
	s_waitcnt vmcnt(0)
	ds_store_b64 v3, v[82:83]
.LBB102_227:
	s_or_b32 exec_lo, exec_lo, s0
	s_waitcnt lgkmcnt(0)
	s_waitcnt_vscnt null, 0x0
	s_barrier
	buffer_gl0_inv
	s_clause 0x4
	scratch_load_b128 v[82:85], off, off offset:64
	scratch_load_b128 v[86:89], off, off offset:80
	;; [unrolled: 1-line block ×5, first 2 shown]
	ds_load_2addr_b64 v[102:105], v1 offset0:49 offset1:50
	ds_load_2addr_b64 v[106:109], v1 offset0:51 offset1:52
	scratch_load_b128 v[110:113], off, off offset:144
	s_mov_b32 s0, exec_lo
	s_waitcnt vmcnt(5) lgkmcnt(1)
	v_fma_f64 v[84:85], v[84:85], v[102:103], 0
	s_waitcnt vmcnt(4)
	s_delay_alu instid0(VALU_DEP_1) | instskip(SKIP_1) | instid1(VALU_DEP_1)
	v_fma_f64 v[84:85], v[86:87], v[104:105], v[84:85]
	s_waitcnt lgkmcnt(0)
	v_fma_f64 v[88:89], v[88:89], v[106:107], v[84:85]
	scratch_load_b128 v[84:87], off, off offset:160
	s_waitcnt vmcnt(4)
	v_fma_f64 v[106:107], v[90:91], v[108:109], v[88:89]
	ds_load_2addr_b64 v[88:91], v1 offset0:53 offset1:54
	ds_load_2addr_b64 v[102:105], v1 offset0:55 offset1:56
	s_waitcnt lgkmcnt(1)
	v_fma_f64 v[88:89], v[92:93], v[88:89], v[106:107]
	scratch_load_b128 v[106:109], off, off offset:176
	s_waitcnt vmcnt(4)
	v_fma_f64 v[88:89], v[94:95], v[90:91], v[88:89]
	s_waitcnt lgkmcnt(0)
	s_delay_alu instid0(VALU_DEP_1)
	v_fma_f64 v[92:93], v[96:97], v[102:103], v[88:89]
	scratch_load_b128 v[88:91], off, off offset:192
	s_waitcnt vmcnt(4)
	v_fma_f64 v[102:103], v[98:99], v[104:105], v[92:93]
	ds_load_2addr_b64 v[92:95], v1 offset0:57 offset1:58
	ds_load_2addr_b64 v[96:99], v1 offset0:59 offset1:60
	s_waitcnt lgkmcnt(1)
	v_fma_f64 v[92:93], v[100:101], v[92:93], v[102:103]
	scratch_load_b128 v[100:103], off, off offset:208
	s_waitcnt vmcnt(4)
	v_fma_f64 v[92:93], v[110:111], v[94:95], v[92:93]
	s_waitcnt lgkmcnt(0)
	s_delay_alu instid0(VALU_DEP_1)
	;; [unrolled: 13-line block ×4, first 2 shown]
	v_fma_f64 v[104:105], v[102:103], v[108:109], v[100:101]
	scratch_load_b128 v[100:103], off, off offset:288
	s_waitcnt vmcnt(4)
	v_fma_f64 v[92:93], v[92:93], v[110:111], v[104:105]
	ds_load_2addr_b64 v[104:107], v1 offset0:69 offset1:70
	ds_load_2addr_b64 v[108:111], v1 offset0:71 offset1:72
	s_waitcnt lgkmcnt(1)
	v_fma_f64 v[92:93], v[94:95], v[104:105], v[92:93]
	scratch_load_b64 v[104:105], off, off offset:304
	s_waitcnt vmcnt(4)
	v_fma_f64 v[84:85], v[84:85], v[106:107], v[92:93]
	s_waitcnt lgkmcnt(0)
	s_delay_alu instid0(VALU_DEP_1) | instskip(SKIP_1) | instid1(VALU_DEP_1)
	v_fma_f64 v[84:85], v[86:87], v[108:109], v[84:85]
	s_waitcnt vmcnt(3)
	v_fma_f64 v[96:97], v[96:97], v[110:111], v[84:85]
	ds_load_2addr_b64 v[84:87], v1 offset0:73 offset1:74
	ds_load_2addr_b64 v[92:95], v1 offset0:75 offset1:76
	s_waitcnt lgkmcnt(1)
	v_fma_f64 v[84:85], v[98:99], v[84:85], v[96:97]
	s_waitcnt vmcnt(2)
	s_delay_alu instid0(VALU_DEP_1) | instskip(SKIP_1) | instid1(VALU_DEP_1)
	v_fma_f64 v[84:85], v[88:89], v[86:87], v[84:85]
	s_waitcnt lgkmcnt(0)
	v_fma_f64 v[84:85], v[90:91], v[92:93], v[84:85]
	s_waitcnt vmcnt(1)
	s_delay_alu instid0(VALU_DEP_1) | instskip(SKIP_4) | instid1(VALU_DEP_1)
	v_fma_f64 v[88:89], v[100:101], v[94:95], v[84:85]
	ds_load_2addr_b64 v[84:87], v1 offset0:77 offset1:78
	s_waitcnt lgkmcnt(0)
	v_fma_f64 v[1:2], v[102:103], v[84:85], v[88:89]
	s_waitcnt vmcnt(0)
	v_fma_f64 v[1:2], v[104:105], v[86:87], v[1:2]
	s_delay_alu instid0(VALU_DEP_1)
	v_add_f64 v[1:2], v[82:83], -v[1:2]
	scratch_store_b64 off, v[1:2], off offset:64
	v_cmpx_lt_u32_e32 7, v0
	s_cbranch_execz .LBB102_229
; %bb.228:
	scratch_load_b64 v[1:2], off, off offset:56
	v_mov_b32_e32 v82, 0
	s_delay_alu instid0(VALU_DEP_1)
	v_mov_b32_e32 v83, v82
	scratch_store_b64 off, v[82:83], off offset:56
	s_waitcnt vmcnt(0)
	ds_store_b64 v3, v[1:2]
.LBB102_229:
	s_or_b32 exec_lo, exec_lo, s0
	s_waitcnt lgkmcnt(0)
	s_waitcnt_vscnt null, 0x0
	s_barrier
	buffer_gl0_inv
	s_clause 0x4
	scratch_load_b128 v[82:85], off, off offset:56
	scratch_load_b128 v[86:89], off, off offset:72
	;; [unrolled: 1-line block ×5, first 2 shown]
	v_mov_b32_e32 v1, 0
	ds_load_b128 v[102:105], v1 offset:384
	ds_load_b128 v[106:109], v1 offset:400
	scratch_load_b128 v[110:113], off, off offset:136
	s_mov_b32 s0, exec_lo
	s_waitcnt vmcnt(5) lgkmcnt(1)
	v_fma_f64 v[84:85], v[84:85], v[102:103], 0
	s_waitcnt vmcnt(4)
	s_delay_alu instid0(VALU_DEP_1) | instskip(SKIP_1) | instid1(VALU_DEP_1)
	v_fma_f64 v[84:85], v[86:87], v[104:105], v[84:85]
	s_waitcnt lgkmcnt(0)
	v_fma_f64 v[88:89], v[88:89], v[106:107], v[84:85]
	scratch_load_b128 v[84:87], off, off offset:152
	s_waitcnt vmcnt(4)
	v_fma_f64 v[106:107], v[90:91], v[108:109], v[88:89]
	ds_load_b128 v[88:91], v1 offset:416
	ds_load_b128 v[102:105], v1 offset:432
	s_waitcnt lgkmcnt(1)
	v_fma_f64 v[88:89], v[92:93], v[88:89], v[106:107]
	scratch_load_b128 v[106:109], off, off offset:168
	s_waitcnt vmcnt(4)
	v_fma_f64 v[88:89], v[94:95], v[90:91], v[88:89]
	s_waitcnt lgkmcnt(0)
	s_delay_alu instid0(VALU_DEP_1)
	v_fma_f64 v[92:93], v[96:97], v[102:103], v[88:89]
	scratch_load_b128 v[88:91], off, off offset:184
	s_waitcnt vmcnt(4)
	v_fma_f64 v[102:103], v[98:99], v[104:105], v[92:93]
	ds_load_b128 v[92:95], v1 offset:448
	ds_load_b128 v[96:99], v1 offset:464
	s_waitcnt lgkmcnt(1)
	v_fma_f64 v[92:93], v[100:101], v[92:93], v[102:103]
	scratch_load_b128 v[100:103], off, off offset:200
	s_waitcnt vmcnt(4)
	v_fma_f64 v[92:93], v[110:111], v[94:95], v[92:93]
	s_waitcnt lgkmcnt(0)
	s_delay_alu instid0(VALU_DEP_1)
	;; [unrolled: 13-line block ×4, first 2 shown]
	v_fma_f64 v[104:105], v[102:103], v[108:109], v[100:101]
	scratch_load_b128 v[100:103], off, off offset:280
	s_waitcnt vmcnt(4)
	v_fma_f64 v[92:93], v[92:93], v[110:111], v[104:105]
	ds_load_b128 v[104:107], v1 offset:544
	ds_load_b128 v[108:111], v1 offset:560
	s_waitcnt lgkmcnt(1)
	v_fma_f64 v[104:105], v[94:95], v[104:105], v[92:93]
	scratch_load_b128 v[92:95], off, off offset:296
	s_waitcnt vmcnt(4)
	v_fma_f64 v[84:85], v[84:85], v[106:107], v[104:105]
	s_waitcnt lgkmcnt(0)
	s_delay_alu instid0(VALU_DEP_1) | instskip(SKIP_1) | instid1(VALU_DEP_1)
	v_fma_f64 v[84:85], v[86:87], v[108:109], v[84:85]
	s_waitcnt vmcnt(3)
	v_fma_f64 v[96:97], v[96:97], v[110:111], v[84:85]
	ds_load_b128 v[84:87], v1 offset:576
	ds_load_b128 v[104:107], v1 offset:592
	s_waitcnt lgkmcnt(1)
	v_fma_f64 v[84:85], v[98:99], v[84:85], v[96:97]
	s_waitcnt vmcnt(2)
	s_delay_alu instid0(VALU_DEP_1) | instskip(SKIP_1) | instid1(VALU_DEP_1)
	v_fma_f64 v[84:85], v[88:89], v[86:87], v[84:85]
	s_waitcnt lgkmcnt(0)
	v_fma_f64 v[84:85], v[90:91], v[104:105], v[84:85]
	s_waitcnt vmcnt(1)
	s_delay_alu instid0(VALU_DEP_1)
	v_fma_f64 v[88:89], v[100:101], v[106:107], v[84:85]
	ds_load_b128 v[84:87], v1 offset:608
	ds_load_b64 v[90:91], v1 offset:624
	s_waitcnt lgkmcnt(1)
	v_fma_f64 v[84:85], v[102:103], v[84:85], v[88:89]
	s_waitcnt vmcnt(0)
	s_delay_alu instid0(VALU_DEP_1) | instskip(SKIP_1) | instid1(VALU_DEP_1)
	v_fma_f64 v[84:85], v[92:93], v[86:87], v[84:85]
	s_waitcnt lgkmcnt(0)
	v_fma_f64 v[84:85], v[94:95], v[90:91], v[84:85]
	s_delay_alu instid0(VALU_DEP_1)
	v_add_f64 v[82:83], v[82:83], -v[84:85]
	scratch_store_b64 off, v[82:83], off offset:56
	v_cmpx_lt_u32_e32 6, v0
	s_cbranch_execz .LBB102_231
; %bb.230:
	scratch_load_b64 v[82:83], off, off offset:48
	v_mov_b32_e32 v2, v1
	scratch_store_b64 off, v[1:2], off offset:48
	s_waitcnt vmcnt(0)
	ds_store_b64 v3, v[82:83]
.LBB102_231:
	s_or_b32 exec_lo, exec_lo, s0
	s_waitcnt lgkmcnt(0)
	s_waitcnt_vscnt null, 0x0
	s_barrier
	buffer_gl0_inv
	s_clause 0x4
	scratch_load_b128 v[82:85], off, off offset:48
	scratch_load_b128 v[86:89], off, off offset:64
	;; [unrolled: 1-line block ×5, first 2 shown]
	ds_load_2addr_b64 v[102:105], v1 offset0:47 offset1:48
	ds_load_2addr_b64 v[106:109], v1 offset0:49 offset1:50
	scratch_load_b128 v[110:113], off, off offset:128
	s_mov_b32 s0, exec_lo
	s_waitcnt vmcnt(5) lgkmcnt(1)
	v_fma_f64 v[84:85], v[84:85], v[102:103], 0
	s_waitcnt vmcnt(4)
	s_delay_alu instid0(VALU_DEP_1) | instskip(SKIP_1) | instid1(VALU_DEP_1)
	v_fma_f64 v[84:85], v[86:87], v[104:105], v[84:85]
	s_waitcnt lgkmcnt(0)
	v_fma_f64 v[88:89], v[88:89], v[106:107], v[84:85]
	scratch_load_b128 v[84:87], off, off offset:144
	s_waitcnt vmcnt(4)
	v_fma_f64 v[106:107], v[90:91], v[108:109], v[88:89]
	ds_load_2addr_b64 v[88:91], v1 offset0:51 offset1:52
	ds_load_2addr_b64 v[102:105], v1 offset0:53 offset1:54
	s_waitcnt lgkmcnt(1)
	v_fma_f64 v[88:89], v[92:93], v[88:89], v[106:107]
	scratch_load_b128 v[106:109], off, off offset:160
	s_waitcnt vmcnt(4)
	v_fma_f64 v[88:89], v[94:95], v[90:91], v[88:89]
	s_waitcnt lgkmcnt(0)
	s_delay_alu instid0(VALU_DEP_1)
	v_fma_f64 v[92:93], v[96:97], v[102:103], v[88:89]
	scratch_load_b128 v[88:91], off, off offset:176
	s_waitcnt vmcnt(4)
	v_fma_f64 v[102:103], v[98:99], v[104:105], v[92:93]
	ds_load_2addr_b64 v[92:95], v1 offset0:55 offset1:56
	ds_load_2addr_b64 v[96:99], v1 offset0:57 offset1:58
	s_waitcnt lgkmcnt(1)
	v_fma_f64 v[92:93], v[100:101], v[92:93], v[102:103]
	scratch_load_b128 v[100:103], off, off offset:192
	s_waitcnt vmcnt(4)
	v_fma_f64 v[92:93], v[110:111], v[94:95], v[92:93]
	s_waitcnt lgkmcnt(0)
	s_delay_alu instid0(VALU_DEP_1)
	;; [unrolled: 13-line block ×5, first 2 shown]
	v_fma_f64 v[84:85], v[86:87], v[108:109], v[84:85]
	scratch_load_b64 v[108:109], off, off offset:304
	s_waitcnt vmcnt(4)
	v_fma_f64 v[96:97], v[96:97], v[110:111], v[84:85]
	ds_load_2addr_b64 v[84:87], v1 offset0:71 offset1:72
	ds_load_2addr_b64 v[104:107], v1 offset0:73 offset1:74
	s_waitcnt lgkmcnt(1)
	v_fma_f64 v[84:85], v[98:99], v[84:85], v[96:97]
	s_waitcnt vmcnt(3)
	s_delay_alu instid0(VALU_DEP_1) | instskip(SKIP_1) | instid1(VALU_DEP_1)
	v_fma_f64 v[84:85], v[88:89], v[86:87], v[84:85]
	s_waitcnt lgkmcnt(0)
	v_fma_f64 v[84:85], v[90:91], v[104:105], v[84:85]
	s_waitcnt vmcnt(2)
	s_delay_alu instid0(VALU_DEP_1)
	v_fma_f64 v[96:97], v[100:101], v[106:107], v[84:85]
	ds_load_2addr_b64 v[84:87], v1 offset0:75 offset1:76
	ds_load_2addr_b64 v[88:91], v1 offset0:77 offset1:78
	s_waitcnt lgkmcnt(1)
	v_fma_f64 v[1:2], v[102:103], v[84:85], v[96:97]
	s_waitcnt vmcnt(1)
	s_delay_alu instid0(VALU_DEP_1) | instskip(SKIP_1) | instid1(VALU_DEP_1)
	v_fma_f64 v[1:2], v[92:93], v[86:87], v[1:2]
	s_waitcnt lgkmcnt(0)
	v_fma_f64 v[1:2], v[94:95], v[88:89], v[1:2]
	s_waitcnt vmcnt(0)
	s_delay_alu instid0(VALU_DEP_1) | instskip(NEXT) | instid1(VALU_DEP_1)
	v_fma_f64 v[1:2], v[108:109], v[90:91], v[1:2]
	v_add_f64 v[1:2], v[82:83], -v[1:2]
	scratch_store_b64 off, v[1:2], off offset:48
	v_cmpx_lt_u32_e32 5, v0
	s_cbranch_execz .LBB102_233
; %bb.232:
	scratch_load_b64 v[1:2], off, off offset:40
	v_mov_b32_e32 v82, 0
	s_delay_alu instid0(VALU_DEP_1)
	v_mov_b32_e32 v83, v82
	scratch_store_b64 off, v[82:83], off offset:40
	s_waitcnt vmcnt(0)
	ds_store_b64 v3, v[1:2]
.LBB102_233:
	s_or_b32 exec_lo, exec_lo, s0
	s_waitcnt lgkmcnt(0)
	s_waitcnt_vscnt null, 0x0
	s_barrier
	buffer_gl0_inv
	s_clause 0x4
	scratch_load_b128 v[82:85], off, off offset:40
	scratch_load_b128 v[86:89], off, off offset:56
	;; [unrolled: 1-line block ×5, first 2 shown]
	v_mov_b32_e32 v1, 0
	ds_load_b128 v[102:105], v1 offset:368
	ds_load_b128 v[106:109], v1 offset:384
	scratch_load_b128 v[110:113], off, off offset:120
	s_mov_b32 s0, exec_lo
	s_waitcnt vmcnt(5) lgkmcnt(1)
	v_fma_f64 v[84:85], v[84:85], v[102:103], 0
	s_waitcnt vmcnt(4)
	s_delay_alu instid0(VALU_DEP_1) | instskip(SKIP_1) | instid1(VALU_DEP_1)
	v_fma_f64 v[84:85], v[86:87], v[104:105], v[84:85]
	s_waitcnt lgkmcnt(0)
	v_fma_f64 v[88:89], v[88:89], v[106:107], v[84:85]
	scratch_load_b128 v[84:87], off, off offset:136
	s_waitcnt vmcnt(4)
	v_fma_f64 v[106:107], v[90:91], v[108:109], v[88:89]
	ds_load_b128 v[88:91], v1 offset:400
	ds_load_b128 v[102:105], v1 offset:416
	s_waitcnt lgkmcnt(1)
	v_fma_f64 v[88:89], v[92:93], v[88:89], v[106:107]
	scratch_load_b128 v[106:109], off, off offset:152
	s_waitcnt vmcnt(4)
	v_fma_f64 v[88:89], v[94:95], v[90:91], v[88:89]
	s_waitcnt lgkmcnt(0)
	s_delay_alu instid0(VALU_DEP_1)
	v_fma_f64 v[92:93], v[96:97], v[102:103], v[88:89]
	scratch_load_b128 v[88:91], off, off offset:168
	s_waitcnt vmcnt(4)
	v_fma_f64 v[102:103], v[98:99], v[104:105], v[92:93]
	ds_load_b128 v[92:95], v1 offset:432
	ds_load_b128 v[96:99], v1 offset:448
	s_waitcnt lgkmcnt(1)
	v_fma_f64 v[92:93], v[100:101], v[92:93], v[102:103]
	scratch_load_b128 v[100:103], off, off offset:184
	s_waitcnt vmcnt(4)
	v_fma_f64 v[92:93], v[110:111], v[94:95], v[92:93]
	s_waitcnt lgkmcnt(0)
	s_delay_alu instid0(VALU_DEP_1)
	;; [unrolled: 13-line block ×5, first 2 shown]
	v_fma_f64 v[104:105], v[86:87], v[108:109], v[84:85]
	scratch_load_b128 v[84:87], off, off offset:296
	s_waitcnt vmcnt(4)
	v_fma_f64 v[96:97], v[96:97], v[110:111], v[104:105]
	ds_load_b128 v[104:107], v1 offset:560
	ds_load_b128 v[108:111], v1 offset:576
	s_waitcnt lgkmcnt(1)
	v_fma_f64 v[96:97], v[98:99], v[104:105], v[96:97]
	s_waitcnt vmcnt(3)
	s_delay_alu instid0(VALU_DEP_1) | instskip(SKIP_1) | instid1(VALU_DEP_1)
	v_fma_f64 v[88:89], v[88:89], v[106:107], v[96:97]
	s_waitcnt lgkmcnt(0)
	v_fma_f64 v[88:89], v[90:91], v[108:109], v[88:89]
	s_waitcnt vmcnt(2)
	s_delay_alu instid0(VALU_DEP_1)
	v_fma_f64 v[100:101], v[100:101], v[110:111], v[88:89]
	ds_load_b128 v[88:91], v1 offset:592
	ds_load_b128 v[96:99], v1 offset:608
	s_waitcnt lgkmcnt(1)
	v_fma_f64 v[88:89], v[102:103], v[88:89], v[100:101]
	s_waitcnt vmcnt(1)
	s_delay_alu instid0(VALU_DEP_1) | instskip(SKIP_1) | instid1(VALU_DEP_1)
	v_fma_f64 v[88:89], v[92:93], v[90:91], v[88:89]
	s_waitcnt lgkmcnt(0)
	v_fma_f64 v[88:89], v[94:95], v[96:97], v[88:89]
	s_waitcnt vmcnt(0)
	s_delay_alu instid0(VALU_DEP_1) | instskip(SKIP_3) | instid1(VALU_DEP_1)
	v_fma_f64 v[84:85], v[84:85], v[98:99], v[88:89]
	ds_load_b64 v[88:89], v1 offset:624
	s_waitcnt lgkmcnt(0)
	v_fma_f64 v[84:85], v[86:87], v[88:89], v[84:85]
	v_add_f64 v[82:83], v[82:83], -v[84:85]
	scratch_store_b64 off, v[82:83], off offset:40
	v_cmpx_lt_u32_e32 4, v0
	s_cbranch_execz .LBB102_235
; %bb.234:
	scratch_load_b64 v[82:83], off, off offset:32
	v_mov_b32_e32 v2, v1
	scratch_store_b64 off, v[1:2], off offset:32
	s_waitcnt vmcnt(0)
	ds_store_b64 v3, v[82:83]
.LBB102_235:
	s_or_b32 exec_lo, exec_lo, s0
	s_waitcnt lgkmcnt(0)
	s_waitcnt_vscnt null, 0x0
	s_barrier
	buffer_gl0_inv
	s_clause 0x4
	scratch_load_b128 v[82:85], off, off offset:32
	scratch_load_b128 v[86:89], off, off offset:48
	;; [unrolled: 1-line block ×5, first 2 shown]
	ds_load_2addr_b64 v[102:105], v1 offset0:45 offset1:46
	ds_load_2addr_b64 v[106:109], v1 offset0:47 offset1:48
	scratch_load_b128 v[110:113], off, off offset:112
	s_mov_b32 s0, exec_lo
	s_waitcnt vmcnt(5) lgkmcnt(1)
	v_fma_f64 v[84:85], v[84:85], v[102:103], 0
	s_waitcnt vmcnt(4)
	s_delay_alu instid0(VALU_DEP_1) | instskip(SKIP_1) | instid1(VALU_DEP_1)
	v_fma_f64 v[84:85], v[86:87], v[104:105], v[84:85]
	s_waitcnt lgkmcnt(0)
	v_fma_f64 v[88:89], v[88:89], v[106:107], v[84:85]
	scratch_load_b128 v[84:87], off, off offset:128
	s_waitcnt vmcnt(4)
	v_fma_f64 v[106:107], v[90:91], v[108:109], v[88:89]
	ds_load_2addr_b64 v[88:91], v1 offset0:49 offset1:50
	ds_load_2addr_b64 v[102:105], v1 offset0:51 offset1:52
	s_waitcnt lgkmcnt(1)
	v_fma_f64 v[88:89], v[92:93], v[88:89], v[106:107]
	scratch_load_b128 v[106:109], off, off offset:144
	s_waitcnt vmcnt(4)
	v_fma_f64 v[88:89], v[94:95], v[90:91], v[88:89]
	s_waitcnt lgkmcnt(0)
	s_delay_alu instid0(VALU_DEP_1)
	v_fma_f64 v[92:93], v[96:97], v[102:103], v[88:89]
	scratch_load_b128 v[88:91], off, off offset:160
	s_waitcnt vmcnt(4)
	v_fma_f64 v[102:103], v[98:99], v[104:105], v[92:93]
	ds_load_2addr_b64 v[92:95], v1 offset0:53 offset1:54
	ds_load_2addr_b64 v[96:99], v1 offset0:55 offset1:56
	s_waitcnt lgkmcnt(1)
	v_fma_f64 v[92:93], v[100:101], v[92:93], v[102:103]
	scratch_load_b128 v[100:103], off, off offset:176
	s_waitcnt vmcnt(4)
	v_fma_f64 v[92:93], v[110:111], v[94:95], v[92:93]
	s_waitcnt lgkmcnt(0)
	s_delay_alu instid0(VALU_DEP_1)
	;; [unrolled: 13-line block ×5, first 2 shown]
	v_fma_f64 v[104:105], v[86:87], v[108:109], v[84:85]
	scratch_load_b128 v[84:87], off, off offset:288
	s_waitcnt vmcnt(4)
	v_fma_f64 v[96:97], v[96:97], v[110:111], v[104:105]
	ds_load_2addr_b64 v[104:107], v1 offset0:69 offset1:70
	ds_load_2addr_b64 v[108:111], v1 offset0:71 offset1:72
	s_waitcnt lgkmcnt(1)
	v_fma_f64 v[96:97], v[98:99], v[104:105], v[96:97]
	scratch_load_b64 v[104:105], off, off offset:304
	s_waitcnt vmcnt(4)
	v_fma_f64 v[88:89], v[88:89], v[106:107], v[96:97]
	s_waitcnt lgkmcnt(0)
	s_delay_alu instid0(VALU_DEP_1) | instskip(SKIP_1) | instid1(VALU_DEP_1)
	v_fma_f64 v[88:89], v[90:91], v[108:109], v[88:89]
	s_waitcnt vmcnt(3)
	v_fma_f64 v[100:101], v[100:101], v[110:111], v[88:89]
	ds_load_2addr_b64 v[88:91], v1 offset0:73 offset1:74
	ds_load_2addr_b64 v[96:99], v1 offset0:75 offset1:76
	s_waitcnt lgkmcnt(1)
	v_fma_f64 v[88:89], v[102:103], v[88:89], v[100:101]
	s_waitcnt vmcnt(2)
	s_delay_alu instid0(VALU_DEP_1) | instskip(SKIP_1) | instid1(VALU_DEP_1)
	v_fma_f64 v[88:89], v[92:93], v[90:91], v[88:89]
	s_waitcnt lgkmcnt(0)
	v_fma_f64 v[88:89], v[94:95], v[96:97], v[88:89]
	s_waitcnt vmcnt(1)
	s_delay_alu instid0(VALU_DEP_1) | instskip(SKIP_4) | instid1(VALU_DEP_1)
	v_fma_f64 v[84:85], v[84:85], v[98:99], v[88:89]
	ds_load_2addr_b64 v[88:91], v1 offset0:77 offset1:78
	s_waitcnt lgkmcnt(0)
	v_fma_f64 v[1:2], v[86:87], v[88:89], v[84:85]
	s_waitcnt vmcnt(0)
	v_fma_f64 v[1:2], v[104:105], v[90:91], v[1:2]
	s_delay_alu instid0(VALU_DEP_1)
	v_add_f64 v[1:2], v[82:83], -v[1:2]
	scratch_store_b64 off, v[1:2], off offset:32
	v_cmpx_lt_u32_e32 3, v0
	s_cbranch_execz .LBB102_237
; %bb.236:
	scratch_load_b64 v[1:2], off, off offset:24
	v_mov_b32_e32 v82, 0
	s_delay_alu instid0(VALU_DEP_1)
	v_mov_b32_e32 v83, v82
	scratch_store_b64 off, v[82:83], off offset:24
	s_waitcnt vmcnt(0)
	ds_store_b64 v3, v[1:2]
.LBB102_237:
	s_or_b32 exec_lo, exec_lo, s0
	s_waitcnt lgkmcnt(0)
	s_waitcnt_vscnt null, 0x0
	s_barrier
	buffer_gl0_inv
	s_clause 0x4
	scratch_load_b128 v[82:85], off, off offset:24
	scratch_load_b128 v[86:89], off, off offset:40
	;; [unrolled: 1-line block ×5, first 2 shown]
	v_mov_b32_e32 v1, 0
	ds_load_b128 v[102:105], v1 offset:352
	ds_load_b128 v[106:109], v1 offset:368
	scratch_load_b128 v[110:113], off, off offset:104
	s_mov_b32 s0, exec_lo
	s_waitcnt vmcnt(5) lgkmcnt(1)
	v_fma_f64 v[84:85], v[84:85], v[102:103], 0
	s_waitcnt vmcnt(4)
	s_delay_alu instid0(VALU_DEP_1) | instskip(SKIP_1) | instid1(VALU_DEP_1)
	v_fma_f64 v[84:85], v[86:87], v[104:105], v[84:85]
	s_waitcnt lgkmcnt(0)
	v_fma_f64 v[88:89], v[88:89], v[106:107], v[84:85]
	scratch_load_b128 v[84:87], off, off offset:120
	s_waitcnt vmcnt(4)
	v_fma_f64 v[106:107], v[90:91], v[108:109], v[88:89]
	ds_load_b128 v[88:91], v1 offset:384
	ds_load_b128 v[102:105], v1 offset:400
	s_waitcnt lgkmcnt(1)
	v_fma_f64 v[88:89], v[92:93], v[88:89], v[106:107]
	scratch_load_b128 v[106:109], off, off offset:136
	s_waitcnt vmcnt(4)
	v_fma_f64 v[88:89], v[94:95], v[90:91], v[88:89]
	s_waitcnt lgkmcnt(0)
	s_delay_alu instid0(VALU_DEP_1)
	v_fma_f64 v[92:93], v[96:97], v[102:103], v[88:89]
	scratch_load_b128 v[88:91], off, off offset:152
	s_waitcnt vmcnt(4)
	v_fma_f64 v[102:103], v[98:99], v[104:105], v[92:93]
	ds_load_b128 v[92:95], v1 offset:416
	ds_load_b128 v[96:99], v1 offset:432
	s_waitcnt lgkmcnt(1)
	v_fma_f64 v[92:93], v[100:101], v[92:93], v[102:103]
	scratch_load_b128 v[100:103], off, off offset:168
	s_waitcnt vmcnt(4)
	v_fma_f64 v[92:93], v[110:111], v[94:95], v[92:93]
	s_waitcnt lgkmcnt(0)
	s_delay_alu instid0(VALU_DEP_1)
	v_fma_f64 v[96:97], v[112:113], v[96:97], v[92:93]
	scratch_load_b128 v[92:95], off, off offset:184
	s_waitcnt vmcnt(4)
	v_fma_f64 v[84:85], v[84:85], v[98:99], v[96:97]
	ds_load_b128 v[96:99], v1 offset:448
	ds_load_b128 v[110:113], v1 offset:464
	s_waitcnt lgkmcnt(1)
	v_fma_f64 v[96:97], v[86:87], v[96:97], v[84:85]
	scratch_load_b128 v[84:87], off, off offset:200
	s_waitcnt vmcnt(4)
	v_fma_f64 v[96:97], v[106:107], v[98:99], v[96:97]
	s_waitcnt lgkmcnt(0)
	s_delay_alu instid0(VALU_DEP_1)
	v_fma_f64 v[104:105], v[108:109], v[110:111], v[96:97]
	scratch_load_b128 v[96:99], off, off offset:216
	s_waitcnt vmcnt(4)
	v_fma_f64 v[88:89], v[88:89], v[112:113], v[104:105]
	ds_load_b128 v[104:107], v1 offset:480
	ds_load_b128 v[108:111], v1 offset:496
	s_waitcnt lgkmcnt(1)
	v_fma_f64 v[104:105], v[90:91], v[104:105], v[88:89]
	scratch_load_b128 v[88:91], off, off offset:232
	s_waitcnt vmcnt(4)
	v_fma_f64 v[100:101], v[100:101], v[106:107], v[104:105]
	s_waitcnt lgkmcnt(0)
	s_delay_alu instid0(VALU_DEP_1)
	v_fma_f64 v[104:105], v[102:103], v[108:109], v[100:101]
	scratch_load_b128 v[100:103], off, off offset:248
	s_waitcnt vmcnt(4)
	v_fma_f64 v[92:93], v[92:93], v[110:111], v[104:105]
	ds_load_b128 v[104:107], v1 offset:512
	ds_load_b128 v[108:111], v1 offset:528
	s_waitcnt lgkmcnt(1)
	v_fma_f64 v[104:105], v[94:95], v[104:105], v[92:93]
	scratch_load_b128 v[92:95], off, off offset:264
	s_waitcnt vmcnt(4)
	v_fma_f64 v[84:85], v[84:85], v[106:107], v[104:105]
	s_waitcnt lgkmcnt(0)
	s_delay_alu instid0(VALU_DEP_1)
	v_fma_f64 v[104:105], v[86:87], v[108:109], v[84:85]
	scratch_load_b128 v[84:87], off, off offset:280
	s_waitcnt vmcnt(4)
	v_fma_f64 v[96:97], v[96:97], v[110:111], v[104:105]
	ds_load_b128 v[104:107], v1 offset:544
	ds_load_b128 v[108:111], v1 offset:560
	s_waitcnt lgkmcnt(1)
	v_fma_f64 v[104:105], v[98:99], v[104:105], v[96:97]
	scratch_load_b128 v[96:99], off, off offset:296
	s_waitcnt vmcnt(4)
	v_fma_f64 v[88:89], v[88:89], v[106:107], v[104:105]
	s_waitcnt lgkmcnt(0)
	s_delay_alu instid0(VALU_DEP_1) | instskip(SKIP_1) | instid1(VALU_DEP_1)
	v_fma_f64 v[88:89], v[90:91], v[108:109], v[88:89]
	s_waitcnt vmcnt(3)
	v_fma_f64 v[100:101], v[100:101], v[110:111], v[88:89]
	ds_load_b128 v[88:91], v1 offset:576
	ds_load_b128 v[104:107], v1 offset:592
	s_waitcnt lgkmcnt(1)
	v_fma_f64 v[88:89], v[102:103], v[88:89], v[100:101]
	s_waitcnt vmcnt(2)
	s_delay_alu instid0(VALU_DEP_1) | instskip(SKIP_1) | instid1(VALU_DEP_1)
	v_fma_f64 v[88:89], v[92:93], v[90:91], v[88:89]
	s_waitcnt lgkmcnt(0)
	v_fma_f64 v[88:89], v[94:95], v[104:105], v[88:89]
	s_waitcnt vmcnt(1)
	s_delay_alu instid0(VALU_DEP_1)
	v_fma_f64 v[84:85], v[84:85], v[106:107], v[88:89]
	ds_load_b128 v[88:91], v1 offset:608
	ds_load_b64 v[92:93], v1 offset:624
	s_waitcnt lgkmcnt(1)
	v_fma_f64 v[84:85], v[86:87], v[88:89], v[84:85]
	s_waitcnt vmcnt(0)
	s_delay_alu instid0(VALU_DEP_1) | instskip(SKIP_1) | instid1(VALU_DEP_1)
	v_fma_f64 v[84:85], v[96:97], v[90:91], v[84:85]
	s_waitcnt lgkmcnt(0)
	v_fma_f64 v[84:85], v[98:99], v[92:93], v[84:85]
	s_delay_alu instid0(VALU_DEP_1)
	v_add_f64 v[82:83], v[82:83], -v[84:85]
	scratch_store_b64 off, v[82:83], off offset:24
	v_cmpx_lt_u32_e32 2, v0
	s_cbranch_execz .LBB102_239
; %bb.238:
	scratch_load_b64 v[82:83], off, off offset:16
	v_mov_b32_e32 v2, v1
	scratch_store_b64 off, v[1:2], off offset:16
	s_waitcnt vmcnt(0)
	ds_store_b64 v3, v[82:83]
.LBB102_239:
	s_or_b32 exec_lo, exec_lo, s0
	s_waitcnt lgkmcnt(0)
	s_waitcnt_vscnt null, 0x0
	s_barrier
	buffer_gl0_inv
	s_clause 0x4
	scratch_load_b128 v[82:85], off, off offset:16
	scratch_load_b128 v[86:89], off, off offset:32
	;; [unrolled: 1-line block ×5, first 2 shown]
	ds_load_2addr_b64 v[102:105], v1 offset0:43 offset1:44
	ds_load_2addr_b64 v[106:109], v1 offset0:45 offset1:46
	scratch_load_b128 v[110:113], off, off offset:96
	s_mov_b32 s0, exec_lo
	s_waitcnt vmcnt(5) lgkmcnt(1)
	v_fma_f64 v[84:85], v[84:85], v[102:103], 0
	s_waitcnt vmcnt(4)
	s_delay_alu instid0(VALU_DEP_1) | instskip(SKIP_1) | instid1(VALU_DEP_1)
	v_fma_f64 v[84:85], v[86:87], v[104:105], v[84:85]
	s_waitcnt lgkmcnt(0)
	v_fma_f64 v[88:89], v[88:89], v[106:107], v[84:85]
	scratch_load_b128 v[84:87], off, off offset:112
	s_waitcnt vmcnt(4)
	v_fma_f64 v[106:107], v[90:91], v[108:109], v[88:89]
	ds_load_2addr_b64 v[88:91], v1 offset0:47 offset1:48
	ds_load_2addr_b64 v[102:105], v1 offset0:49 offset1:50
	s_waitcnt lgkmcnt(1)
	v_fma_f64 v[88:89], v[92:93], v[88:89], v[106:107]
	scratch_load_b128 v[106:109], off, off offset:128
	s_waitcnt vmcnt(4)
	v_fma_f64 v[88:89], v[94:95], v[90:91], v[88:89]
	s_waitcnt lgkmcnt(0)
	s_delay_alu instid0(VALU_DEP_1)
	v_fma_f64 v[92:93], v[96:97], v[102:103], v[88:89]
	scratch_load_b128 v[88:91], off, off offset:144
	s_waitcnt vmcnt(4)
	v_fma_f64 v[102:103], v[98:99], v[104:105], v[92:93]
	ds_load_2addr_b64 v[92:95], v1 offset0:51 offset1:52
	ds_load_2addr_b64 v[96:99], v1 offset0:53 offset1:54
	s_waitcnt lgkmcnt(1)
	v_fma_f64 v[92:93], v[100:101], v[92:93], v[102:103]
	scratch_load_b128 v[100:103], off, off offset:160
	s_waitcnt vmcnt(4)
	v_fma_f64 v[92:93], v[110:111], v[94:95], v[92:93]
	s_waitcnt lgkmcnt(0)
	s_delay_alu instid0(VALU_DEP_1)
	;; [unrolled: 13-line block ×6, first 2 shown]
	v_fma_f64 v[88:89], v[90:91], v[108:109], v[88:89]
	scratch_load_b64 v[108:109], off, off offset:304
	s_waitcnt vmcnt(4)
	v_fma_f64 v[100:101], v[100:101], v[110:111], v[88:89]
	ds_load_2addr_b64 v[88:91], v1 offset0:71 offset1:72
	ds_load_2addr_b64 v[104:107], v1 offset0:73 offset1:74
	s_waitcnt lgkmcnt(1)
	v_fma_f64 v[88:89], v[102:103], v[88:89], v[100:101]
	s_waitcnt vmcnt(3)
	s_delay_alu instid0(VALU_DEP_1) | instskip(SKIP_1) | instid1(VALU_DEP_1)
	v_fma_f64 v[88:89], v[92:93], v[90:91], v[88:89]
	s_waitcnt lgkmcnt(0)
	v_fma_f64 v[88:89], v[94:95], v[104:105], v[88:89]
	s_waitcnt vmcnt(2)
	s_delay_alu instid0(VALU_DEP_1)
	v_fma_f64 v[84:85], v[84:85], v[106:107], v[88:89]
	ds_load_2addr_b64 v[88:91], v1 offset0:75 offset1:76
	ds_load_2addr_b64 v[92:95], v1 offset0:77 offset1:78
	s_waitcnt lgkmcnt(1)
	v_fma_f64 v[1:2], v[86:87], v[88:89], v[84:85]
	s_waitcnt vmcnt(1)
	s_delay_alu instid0(VALU_DEP_1) | instskip(SKIP_1) | instid1(VALU_DEP_1)
	v_fma_f64 v[1:2], v[96:97], v[90:91], v[1:2]
	s_waitcnt lgkmcnt(0)
	v_fma_f64 v[1:2], v[98:99], v[92:93], v[1:2]
	s_waitcnt vmcnt(0)
	s_delay_alu instid0(VALU_DEP_1) | instskip(NEXT) | instid1(VALU_DEP_1)
	v_fma_f64 v[1:2], v[108:109], v[94:95], v[1:2]
	v_add_f64 v[1:2], v[82:83], -v[1:2]
	scratch_store_b64 off, v[1:2], off offset:16
	v_cmpx_lt_u32_e32 1, v0
	s_cbranch_execz .LBB102_241
; %bb.240:
	scratch_load_b64 v[1:2], off, off offset:8
	v_mov_b32_e32 v82, 0
	s_delay_alu instid0(VALU_DEP_1)
	v_mov_b32_e32 v83, v82
	scratch_store_b64 off, v[82:83], off offset:8
	s_waitcnt vmcnt(0)
	ds_store_b64 v3, v[1:2]
.LBB102_241:
	s_or_b32 exec_lo, exec_lo, s0
	s_waitcnt lgkmcnt(0)
	s_waitcnt_vscnt null, 0x0
	s_barrier
	buffer_gl0_inv
	s_clause 0x4
	scratch_load_b128 v[83:86], off, off offset:8
	scratch_load_b128 v[87:90], off, off offset:24
	;; [unrolled: 1-line block ×5, first 2 shown]
	v_mov_b32_e32 v82, 0
	ds_load_b128 v[103:106], v82 offset:336
	ds_load_b128 v[107:110], v82 offset:352
	scratch_load_b128 v[111:114], off, off offset:88
	s_mov_b32 s0, exec_lo
	s_waitcnt vmcnt(5) lgkmcnt(1)
	v_fma_f64 v[1:2], v[85:86], v[103:104], 0
	s_waitcnt vmcnt(4)
	s_delay_alu instid0(VALU_DEP_1) | instskip(SKIP_4) | instid1(VALU_DEP_1)
	v_fma_f64 v[1:2], v[87:88], v[105:106], v[1:2]
	scratch_load_b128 v[85:88], off, off offset:104
	s_waitcnt lgkmcnt(0)
	v_fma_f64 v[1:2], v[89:90], v[107:108], v[1:2]
	s_waitcnt vmcnt(4)
	v_fma_f64 v[1:2], v[91:92], v[109:110], v[1:2]
	ds_load_b128 v[89:92], v82 offset:368
	ds_load_b128 v[103:106], v82 offset:384
	scratch_load_b128 v[107:110], off, off offset:120
	s_waitcnt lgkmcnt(1)
	v_fma_f64 v[1:2], v[93:94], v[89:90], v[1:2]
	s_waitcnt vmcnt(4)
	s_delay_alu instid0(VALU_DEP_1) | instskip(SKIP_4) | instid1(VALU_DEP_1)
	v_fma_f64 v[1:2], v[95:96], v[91:92], v[1:2]
	scratch_load_b128 v[89:92], off, off offset:136
	s_waitcnt lgkmcnt(0)
	v_fma_f64 v[1:2], v[97:98], v[103:104], v[1:2]
	s_waitcnt vmcnt(4)
	v_fma_f64 v[1:2], v[99:100], v[105:106], v[1:2]
	ds_load_b128 v[93:96], v82 offset:400
	ds_load_b128 v[97:100], v82 offset:416
	s_waitcnt lgkmcnt(1)
	v_fma_f64 v[1:2], v[101:102], v[93:94], v[1:2]
	scratch_load_b128 v[101:104], off, off offset:152
	s_waitcnt vmcnt(4)
	v_fma_f64 v[1:2], v[111:112], v[95:96], v[1:2]
	scratch_load_b128 v[93:96], off, off offset:168
	s_waitcnt lgkmcnt(0)
	v_fma_f64 v[1:2], v[113:114], v[97:98], v[1:2]
	s_waitcnt vmcnt(4)
	s_delay_alu instid0(VALU_DEP_1)
	v_fma_f64 v[1:2], v[85:86], v[99:100], v[1:2]
	ds_load_b128 v[97:100], v82 offset:432
	ds_load_b128 v[111:114], v82 offset:448
	s_waitcnt lgkmcnt(1)
	v_fma_f64 v[1:2], v[87:88], v[97:98], v[1:2]
	scratch_load_b128 v[85:88], off, off offset:184
	s_waitcnt vmcnt(4)
	v_fma_f64 v[1:2], v[107:108], v[99:100], v[1:2]
	scratch_load_b128 v[97:100], off, off offset:200
	s_waitcnt lgkmcnt(0)
	v_fma_f64 v[1:2], v[109:110], v[111:112], v[1:2]
	ds_load_b128 v[105:108], v82 offset:464
	ds_load_b128 v[109:112], v82 offset:480
	s_waitcnt vmcnt(4)
	v_fma_f64 v[1:2], v[89:90], v[113:114], v[1:2]
	s_waitcnt lgkmcnt(1)
	s_delay_alu instid0(VALU_DEP_1) | instskip(SKIP_4) | instid1(VALU_DEP_1)
	v_fma_f64 v[1:2], v[91:92], v[105:106], v[1:2]
	scratch_load_b128 v[89:92], off, off offset:216
	s_waitcnt vmcnt(4)
	v_fma_f64 v[1:2], v[101:102], v[107:108], v[1:2]
	s_waitcnt lgkmcnt(0)
	v_fma_f64 v[1:2], v[103:104], v[109:110], v[1:2]
	scratch_load_b128 v[101:104], off, off offset:232
	s_waitcnt vmcnt(4)
	v_fma_f64 v[1:2], v[93:94], v[111:112], v[1:2]
	ds_load_b128 v[105:108], v82 offset:496
	ds_load_b128 v[109:112], v82 offset:512
	s_waitcnt lgkmcnt(1)
	v_fma_f64 v[1:2], v[95:96], v[105:106], v[1:2]
	scratch_load_b128 v[93:96], off, off offset:248
	s_waitcnt vmcnt(4)
	v_fma_f64 v[1:2], v[85:86], v[107:108], v[1:2]
	s_waitcnt lgkmcnt(0)
	s_delay_alu instid0(VALU_DEP_1)
	v_fma_f64 v[1:2], v[87:88], v[109:110], v[1:2]
	scratch_load_b128 v[85:88], off, off offset:264
	s_waitcnt vmcnt(4)
	v_fma_f64 v[1:2], v[97:98], v[111:112], v[1:2]
	ds_load_b128 v[105:108], v82 offset:528
	ds_load_b128 v[109:112], v82 offset:544
	s_waitcnt lgkmcnt(1)
	v_fma_f64 v[1:2], v[99:100], v[105:106], v[1:2]
	scratch_load_b128 v[97:100], off, off offset:280
	s_waitcnt vmcnt(4)
	v_fma_f64 v[1:2], v[89:90], v[107:108], v[1:2]
	s_waitcnt lgkmcnt(0)
	s_delay_alu instid0(VALU_DEP_1)
	v_fma_f64 v[1:2], v[91:92], v[109:110], v[1:2]
	scratch_load_b128 v[89:92], off, off offset:296
	s_waitcnt vmcnt(4)
	v_fma_f64 v[1:2], v[101:102], v[111:112], v[1:2]
	ds_load_b128 v[105:108], v82 offset:560
	ds_load_b128 v[109:112], v82 offset:576
	s_waitcnt lgkmcnt(1)
	v_fma_f64 v[1:2], v[103:104], v[105:106], v[1:2]
	s_waitcnt vmcnt(3)
	s_delay_alu instid0(VALU_DEP_1) | instskip(SKIP_1) | instid1(VALU_DEP_1)
	v_fma_f64 v[1:2], v[93:94], v[107:108], v[1:2]
	s_waitcnt lgkmcnt(0)
	v_fma_f64 v[1:2], v[95:96], v[109:110], v[1:2]
	ds_load_b128 v[93:96], v82 offset:592
	ds_load_b128 v[101:104], v82 offset:608
	s_waitcnt vmcnt(2)
	v_fma_f64 v[1:2], v[85:86], v[111:112], v[1:2]
	ds_load_b64 v[85:86], v82 offset:624
	s_waitcnt lgkmcnt(2)
	v_fma_f64 v[1:2], v[87:88], v[93:94], v[1:2]
	s_waitcnt vmcnt(1)
	s_delay_alu instid0(VALU_DEP_1) | instskip(SKIP_1) | instid1(VALU_DEP_1)
	v_fma_f64 v[1:2], v[97:98], v[95:96], v[1:2]
	s_waitcnt lgkmcnt(1)
	v_fma_f64 v[1:2], v[99:100], v[101:102], v[1:2]
	s_waitcnt vmcnt(0)
	s_delay_alu instid0(VALU_DEP_1) | instskip(SKIP_1) | instid1(VALU_DEP_1)
	v_fma_f64 v[1:2], v[89:90], v[103:104], v[1:2]
	s_waitcnt lgkmcnt(0)
	v_fma_f64 v[1:2], v[91:92], v[85:86], v[1:2]
	s_delay_alu instid0(VALU_DEP_1)
	v_add_f64 v[1:2], v[83:84], -v[1:2]
	scratch_store_b64 off, v[1:2], off offset:8
	v_cmpx_ne_u32_e32 0, v0
	s_cbranch_execz .LBB102_243
; %bb.242:
	scratch_load_b64 v[0:1], off, off
	v_mov_b32_e32 v83, v82
	scratch_store_b64 off, v[82:83], off
	s_waitcnt vmcnt(0)
	ds_store_b64 v3, v[0:1]
.LBB102_243:
	s_or_b32 exec_lo, exec_lo, s0
	s_waitcnt lgkmcnt(0)
	s_waitcnt_vscnt null, 0x0
	s_barrier
	buffer_gl0_inv
	s_clause 0x4
	scratch_load_b128 v[83:86], off, off
	scratch_load_b128 v[0:3], off, off offset:16
	scratch_load_b128 v[87:90], off, off offset:32
	;; [unrolled: 1-line block ×4, first 2 shown]
	ds_load_2addr_b64 v[99:102], v82 offset0:41 offset1:42
	ds_load_2addr_b64 v[103:106], v82 offset0:43 offset1:44
	scratch_load_b128 v[107:110], off, off offset:80
	s_and_b32 vcc_lo, exec_lo, s12
	s_waitcnt vmcnt(5) lgkmcnt(1)
	v_fma_f64 v[85:86], v[85:86], v[99:100], 0
	s_waitcnt vmcnt(4)
	s_delay_alu instid0(VALU_DEP_1) | instskip(SKIP_1) | instid1(VALU_DEP_1)
	v_fma_f64 v[0:1], v[0:1], v[101:102], v[85:86]
	s_waitcnt lgkmcnt(0)
	v_fma_f64 v[85:86], v[2:3], v[103:104], v[0:1]
	scratch_load_b128 v[0:3], off, off offset:96
	s_waitcnt vmcnt(4)
	v_fma_f64 v[103:104], v[87:88], v[105:106], v[85:86]
	ds_load_2addr_b64 v[85:88], v82 offset0:45 offset1:46
	ds_load_2addr_b64 v[99:102], v82 offset0:47 offset1:48
	s_waitcnt lgkmcnt(1)
	v_fma_f64 v[85:86], v[89:90], v[85:86], v[103:104]
	scratch_load_b128 v[103:106], off, off offset:112
	s_waitcnt vmcnt(4)
	v_fma_f64 v[85:86], v[91:92], v[87:88], v[85:86]
	s_waitcnt lgkmcnt(0)
	s_delay_alu instid0(VALU_DEP_1)
	v_fma_f64 v[89:90], v[93:94], v[99:100], v[85:86]
	scratch_load_b128 v[85:88], off, off offset:128
	s_waitcnt vmcnt(4)
	v_fma_f64 v[99:100], v[95:96], v[101:102], v[89:90]
	ds_load_2addr_b64 v[89:92], v82 offset0:49 offset1:50
	ds_load_2addr_b64 v[93:96], v82 offset0:51 offset1:52
	s_waitcnt lgkmcnt(1)
	v_fma_f64 v[89:90], v[97:98], v[89:90], v[99:100]
	scratch_load_b128 v[97:100], off, off offset:144
	s_waitcnt vmcnt(4)
	v_fma_f64 v[89:90], v[107:108], v[91:92], v[89:90]
	s_waitcnt lgkmcnt(0)
	s_delay_alu instid0(VALU_DEP_1)
	;; [unrolled: 13-line block ×4, first 2 shown]
	v_fma_f64 v[101:102], v[99:100], v[105:106], v[97:98]
	scratch_load_b128 v[97:100], off, off offset:224
	s_waitcnt vmcnt(4)
	v_fma_f64 v[89:90], v[89:90], v[107:108], v[101:102]
	ds_load_2addr_b64 v[101:104], v82 offset0:61 offset1:62
	ds_load_2addr_b64 v[105:108], v82 offset0:63 offset1:64
	s_waitcnt lgkmcnt(1)
	v_fma_f64 v[101:102], v[91:92], v[101:102], v[89:90]
	scratch_load_b128 v[89:92], off, off offset:240
	s_waitcnt vmcnt(4)
	v_fma_f64 v[0:1], v[0:1], v[103:104], v[101:102]
	scratch_load_b128 v[101:104], off, off offset:256
	s_waitcnt lgkmcnt(0)
	v_fma_f64 v[0:1], v[2:3], v[105:106], v[0:1]
	s_waitcnt vmcnt(4)
	s_delay_alu instid0(VALU_DEP_1)
	v_fma_f64 v[93:94], v[93:94], v[107:108], v[0:1]
	ds_load_2addr_b64 v[0:3], v82 offset0:65 offset1:66
	ds_load_2addr_b64 v[105:108], v82 offset0:67 offset1:68
	s_waitcnt lgkmcnt(1)
	v_fma_f64 v[0:1], v[95:96], v[0:1], v[93:94]
	scratch_load_b128 v[93:96], off, off offset:272
	s_waitcnt vmcnt(4)
	v_fma_f64 v[0:1], v[85:86], v[2:3], v[0:1]
	s_waitcnt lgkmcnt(0)
	s_delay_alu instid0(VALU_DEP_1)
	v_fma_f64 v[85:86], v[87:88], v[105:106], v[0:1]
	scratch_load_b128 v[0:3], off, off offset:288
	s_waitcnt vmcnt(4)
	v_fma_f64 v[97:98], v[97:98], v[107:108], v[85:86]
	ds_load_2addr_b64 v[85:88], v82 offset0:69 offset1:70
	ds_load_2addr_b64 v[105:108], v82 offset0:71 offset1:72
	s_waitcnt lgkmcnt(1)
	v_fma_f64 v[85:86], v[99:100], v[85:86], v[97:98]
	scratch_load_b64 v[97:98], off, off offset:304
	s_waitcnt vmcnt(4)
	v_fma_f64 v[85:86], v[89:90], v[87:88], v[85:86]
	s_waitcnt lgkmcnt(0)
	s_delay_alu instid0(VALU_DEP_1) | instskip(SKIP_1) | instid1(VALU_DEP_1)
	v_fma_f64 v[85:86], v[91:92], v[105:106], v[85:86]
	s_waitcnt vmcnt(3)
	v_fma_f64 v[99:100], v[101:102], v[107:108], v[85:86]
	ds_load_2addr_b64 v[85:88], v82 offset0:73 offset1:74
	ds_load_2addr_b64 v[89:92], v82 offset0:75 offset1:76
	s_waitcnt lgkmcnt(1)
	v_fma_f64 v[85:86], v[103:104], v[85:86], v[99:100]
	s_waitcnt vmcnt(2)
	s_delay_alu instid0(VALU_DEP_1) | instskip(SKIP_1) | instid1(VALU_DEP_1)
	v_fma_f64 v[85:86], v[93:94], v[87:88], v[85:86]
	s_waitcnt lgkmcnt(0)
	v_fma_f64 v[85:86], v[95:96], v[89:90], v[85:86]
	s_waitcnt vmcnt(1)
	s_delay_alu instid0(VALU_DEP_1) | instskip(SKIP_4) | instid1(VALU_DEP_1)
	v_fma_f64 v[0:1], v[0:1], v[91:92], v[85:86]
	ds_load_2addr_b64 v[85:88], v82 offset0:77 offset1:78
	s_waitcnt lgkmcnt(0)
	v_fma_f64 v[0:1], v[2:3], v[85:86], v[0:1]
	s_waitcnt vmcnt(0)
	v_fma_f64 v[0:1], v[97:98], v[87:88], v[0:1]
	s_delay_alu instid0(VALU_DEP_1)
	v_add_f64 v[0:1], v[83:84], -v[0:1]
	scratch_store_b64 off, v[0:1], off
	s_cbranch_vccz .LBB102_321
; %bb.244:
	v_dual_mov_b32 v0, s2 :: v_dual_mov_b32 v1, s3
	s_mov_b32 s0, exec_lo
	flat_load_b32 v0, v[0:1] offset:148
	s_waitcnt vmcnt(0) lgkmcnt(0)
	v_cmpx_ne_u32_e32 38, v0
	s_cbranch_execz .LBB102_246
; %bb.245:
	v_lshl_add_u32 v82, v0, 3, 0
	scratch_load_b64 v[0:1], v82, off offset:-8
	s_waitcnt vmcnt(0)
	scratch_store_b64 off, v[0:1], off offset:296
	scratch_store_b64 v82, v[2:3], off offset:-8
.LBB102_246:
	s_or_b32 exec_lo, exec_lo, s0
	v_dual_mov_b32 v0, s2 :: v_dual_mov_b32 v1, s3
	s_mov_b32 s0, exec_lo
	flat_load_b32 v0, v[0:1] offset:144
	s_waitcnt vmcnt(0) lgkmcnt(0)
	v_cmpx_ne_u32_e32 37, v0
	s_cbranch_execz .LBB102_248
; %bb.247:
	v_lshl_add_u32 v82, v0, 3, 0
	scratch_load_b64 v[0:1], v82, off offset:-8
	scratch_load_b64 v[2:3], off, off offset:288
	s_waitcnt vmcnt(1)
	scratch_store_b64 off, v[0:1], off offset:288
	s_waitcnt vmcnt(0)
	scratch_store_b64 v82, v[2:3], off offset:-8
.LBB102_248:
	s_or_b32 exec_lo, exec_lo, s0
	v_dual_mov_b32 v0, s2 :: v_dual_mov_b32 v1, s3
	s_mov_b32 s0, exec_lo
	flat_load_b32 v0, v[0:1] offset:140
	s_waitcnt vmcnt(0) lgkmcnt(0)
	v_cmpx_ne_u32_e32 36, v0
	s_cbranch_execz .LBB102_250
; %bb.249:
	v_lshl_add_u32 v82, v0, 3, 0
	scratch_load_b64 v[0:1], v82, off offset:-8
	scratch_load_b64 v[2:3], off, off offset:280
	s_waitcnt vmcnt(1)
	scratch_store_b64 off, v[0:1], off offset:280
	s_waitcnt vmcnt(0)
	scratch_store_b64 v82, v[2:3], off offset:-8
.LBB102_250:
	;; [unrolled: 16-line block ×36, first 2 shown]
	s_or_b32 exec_lo, exec_lo, s0
	v_dual_mov_b32 v0, s2 :: v_dual_mov_b32 v1, s3
	s_mov_b32 s0, exec_lo
	flat_load_b32 v2, v[0:1]
	scratch_load_b64 v[0:1], off, off
	s_waitcnt vmcnt(1) lgkmcnt(0)
	v_cmpx_ne_u32_e32 1, v2
	s_cbranch_execz .LBB102_320
; %bb.319:
	v_lshl_add_u32 v82, v2, 3, 0
	scratch_load_b64 v[2:3], v82, off offset:-8
	s_waitcnt vmcnt(0)
	scratch_store_b64 off, v[2:3], off
	scratch_store_b64 v82, v[0:1], off offset:-8
	scratch_load_b64 v[0:1], off, off
.LBB102_320:
	s_or_b32 exec_lo, exec_lo, s0
.LBB102_321:
	s_clause 0x7
	scratch_load_b128 v[82:85], off, off offset:8
	scratch_load_b128 v[86:89], off, off offset:24
	;; [unrolled: 1-line block ×8, first 2 shown]
	s_waitcnt vmcnt(8)
	global_store_b64 v[6:7], v[0:1], off
	s_clause 0x1
	scratch_load_b128 v[0:3], off, off offset:136
	scratch_load_b128 v[114:117], off, off offset:152
	s_waitcnt vmcnt(9)
	s_clause 0x1
	global_store_b64 v[4:5], v[82:83], off
	global_store_b64 v[14:15], v[84:85], off
	s_clause 0x1
	scratch_load_b128 v[4:7], off, off offset:168
	scratch_load_b128 v[82:85], off, off offset:184
	s_waitcnt vmcnt(10)
	s_clause 0x1
	global_store_b64 v[12:13], v[86:87], off
	;; [unrolled: 7-line block ×5, first 2 shown]
	global_store_b64 v[18:19], v[100:101], off
	scratch_load_b128 v[8:11], off, off offset:296
	s_waitcnt vmcnt(13)
	s_clause 0x1
	global_store_b64 v[22:23], v[102:103], off
	global_store_b64 v[26:27], v[104:105], off
	s_waitcnt vmcnt(12)
	s_clause 0x1
	global_store_b64 v[30:31], v[106:107], off
	global_store_b64 v[34:35], v[108:109], off
	;; [unrolled: 4-line block ×14, first 2 shown]
	s_endpgm
	.section	.rodata,"a",@progbits
	.p2align	6, 0x0
	.amdhsa_kernel _ZN9rocsolver6v33100L18getri_kernel_smallILi39EdPKPdEEvT1_iilPiilS6_bb
		.amdhsa_group_segment_fixed_size 632
		.amdhsa_private_segment_fixed_size 320
		.amdhsa_kernarg_size 60
		.amdhsa_user_sgpr_count 15
		.amdhsa_user_sgpr_dispatch_ptr 0
		.amdhsa_user_sgpr_queue_ptr 0
		.amdhsa_user_sgpr_kernarg_segment_ptr 1
		.amdhsa_user_sgpr_dispatch_id 0
		.amdhsa_user_sgpr_private_segment_size 0
		.amdhsa_wavefront_size32 1
		.amdhsa_uses_dynamic_stack 0
		.amdhsa_enable_private_segment 1
		.amdhsa_system_sgpr_workgroup_id_x 1
		.amdhsa_system_sgpr_workgroup_id_y 0
		.amdhsa_system_sgpr_workgroup_id_z 0
		.amdhsa_system_sgpr_workgroup_info 0
		.amdhsa_system_vgpr_workitem_id 0
		.amdhsa_next_free_vgpr 126
		.amdhsa_next_free_sgpr 17
		.amdhsa_reserve_vcc 1
		.amdhsa_float_round_mode_32 0
		.amdhsa_float_round_mode_16_64 0
		.amdhsa_float_denorm_mode_32 3
		.amdhsa_float_denorm_mode_16_64 3
		.amdhsa_dx10_clamp 1
		.amdhsa_ieee_mode 1
		.amdhsa_fp16_overflow 0
		.amdhsa_workgroup_processor_mode 1
		.amdhsa_memory_ordered 1
		.amdhsa_forward_progress 0
		.amdhsa_shared_vgpr_count 0
		.amdhsa_exception_fp_ieee_invalid_op 0
		.amdhsa_exception_fp_denorm_src 0
		.amdhsa_exception_fp_ieee_div_zero 0
		.amdhsa_exception_fp_ieee_overflow 0
		.amdhsa_exception_fp_ieee_underflow 0
		.amdhsa_exception_fp_ieee_inexact 0
		.amdhsa_exception_int_div_zero 0
	.end_amdhsa_kernel
	.section	.text._ZN9rocsolver6v33100L18getri_kernel_smallILi39EdPKPdEEvT1_iilPiilS6_bb,"axG",@progbits,_ZN9rocsolver6v33100L18getri_kernel_smallILi39EdPKPdEEvT1_iilPiilS6_bb,comdat
.Lfunc_end102:
	.size	_ZN9rocsolver6v33100L18getri_kernel_smallILi39EdPKPdEEvT1_iilPiilS6_bb, .Lfunc_end102-_ZN9rocsolver6v33100L18getri_kernel_smallILi39EdPKPdEEvT1_iilPiilS6_bb
                                        ; -- End function
	.section	.AMDGPU.csdata,"",@progbits
; Kernel info:
; codeLenInByte = 33212
; NumSgprs: 19
; NumVgprs: 126
; ScratchSize: 320
; MemoryBound: 0
; FloatMode: 240
; IeeeMode: 1
; LDSByteSize: 632 bytes/workgroup (compile time only)
; SGPRBlocks: 2
; VGPRBlocks: 15
; NumSGPRsForWavesPerEU: 19
; NumVGPRsForWavesPerEU: 126
; Occupancy: 10
; WaveLimiterHint : 1
; COMPUTE_PGM_RSRC2:SCRATCH_EN: 1
; COMPUTE_PGM_RSRC2:USER_SGPR: 15
; COMPUTE_PGM_RSRC2:TRAP_HANDLER: 0
; COMPUTE_PGM_RSRC2:TGID_X_EN: 1
; COMPUTE_PGM_RSRC2:TGID_Y_EN: 0
; COMPUTE_PGM_RSRC2:TGID_Z_EN: 0
; COMPUTE_PGM_RSRC2:TIDIG_COMP_CNT: 0
	.section	.text._ZN9rocsolver6v33100L18getri_kernel_smallILi40EdPKPdEEvT1_iilPiilS6_bb,"axG",@progbits,_ZN9rocsolver6v33100L18getri_kernel_smallILi40EdPKPdEEvT1_iilPiilS6_bb,comdat
	.globl	_ZN9rocsolver6v33100L18getri_kernel_smallILi40EdPKPdEEvT1_iilPiilS6_bb ; -- Begin function _ZN9rocsolver6v33100L18getri_kernel_smallILi40EdPKPdEEvT1_iilPiilS6_bb
	.p2align	8
	.type	_ZN9rocsolver6v33100L18getri_kernel_smallILi40EdPKPdEEvT1_iilPiilS6_bb,@function
_ZN9rocsolver6v33100L18getri_kernel_smallILi40EdPKPdEEvT1_iilPiilS6_bb: ; @_ZN9rocsolver6v33100L18getri_kernel_smallILi40EdPKPdEEvT1_iilPiilS6_bb
; %bb.0:
	s_mov_b32 s2, exec_lo
	v_cmpx_gt_u32_e32 40, v0
	s_cbranch_execz .LBB103_170
; %bb.1:
	s_clause 0x1
	s_load_b32 s13, s[0:1], 0x38
	s_load_b64 s[2:3], s[0:1], 0x0
	s_mov_b32 s8, s15
	s_load_b128 s[4:7], s[0:1], 0x28
	s_waitcnt lgkmcnt(0)
	s_bitcmp1_b32 s13, 8
	s_cselect_b32 s12, -1, 0
	s_ashr_i32 s9, s15, 31
	s_delay_alu instid0(SALU_CYCLE_1) | instskip(NEXT) | instid1(SALU_CYCLE_1)
	s_lshl_b64 s[10:11], s[8:9], 3
	s_add_u32 s2, s2, s10
	s_addc_u32 s3, s3, s11
	s_load_b64 s[10:11], s[2:3], 0x0
	s_bfe_u32 s2, s13, 0x10008
	s_delay_alu instid0(SALU_CYCLE_1)
	s_cmp_eq_u32 s2, 0
                                        ; implicit-def: $sgpr2_sgpr3
	s_cbranch_scc1 .LBB103_3
; %bb.2:
	s_clause 0x1
	s_load_b32 s2, s[0:1], 0x20
	s_load_b64 s[14:15], s[0:1], 0x18
	s_mul_i32 s3, s8, s5
	s_mul_hi_u32 s5, s8, s4
	s_mul_i32 s16, s9, s4
	s_add_i32 s3, s5, s3
	s_mul_i32 s4, s8, s4
	s_add_i32 s5, s3, s16
	s_delay_alu instid0(SALU_CYCLE_1)
	s_lshl_b64 s[4:5], s[4:5], 2
	s_waitcnt lgkmcnt(0)
	s_ashr_i32 s3, s2, 31
	s_add_u32 s4, s14, s4
	s_addc_u32 s5, s15, s5
	s_lshl_b64 s[2:3], s[2:3], 2
	s_delay_alu instid0(SALU_CYCLE_1)
	s_add_u32 s2, s4, s2
	s_addc_u32 s3, s5, s3
.LBB103_3:
	s_load_b64 s[4:5], s[0:1], 0x8
	v_lshlrev_b32_e32 v85, 3, v0
	s_waitcnt lgkmcnt(0)
	v_add3_u32 v9, s5, s5, v0
	s_ashr_i32 s1, s4, 31
	s_mov_b32 s0, s4
	s_mov_b32 s14, s5
	s_lshl_b64 s[0:1], s[0:1], 3
	v_add_nc_u32_e32 v13, s5, v9
	v_ashrrev_i32_e32 v10, 31, v9
	s_add_u32 s0, s10, s0
	s_addc_u32 s1, s11, s1
	v_add_co_u32 v7, s4, s0, v85
	v_ashrrev_i32_e32 v14, 31, v13
	v_add_nc_u32_e32 v12, s5, v13
	s_ashr_i32 s15, s5, 31
	v_add_co_ci_u32_e64 v8, null, s1, 0, s4
	v_lshlrev_b64 v[15:16], 3, v[9:10]
	s_lshl_b64 s[10:11], s[14:15], 3
	v_lshlrev_b64 v[9:10], 3, v[13:14]
	v_add_co_u32 v5, vcc_lo, v7, s10
	v_add_nc_u32_e32 v11, s5, v12
	v_ashrrev_i32_e32 v13, 31, v12
	v_add_co_ci_u32_e32 v6, vcc_lo, s11, v8, vcc_lo
	v_add_co_u32 v19, vcc_lo, s0, v15
	v_add_co_ci_u32_e32 v20, vcc_lo, s1, v16, vcc_lo
	s_delay_alu instid0(VALU_DEP_4) | instskip(SKIP_3) | instid1(VALU_DEP_3)
	v_lshlrev_b64 v[15:16], 3, v[12:13]
	v_ashrrev_i32_e32 v12, 31, v11
	v_add_co_u32 v25, vcc_lo, s0, v9
	v_add_co_ci_u32_e32 v26, vcc_lo, s1, v10, vcc_lo
	v_lshlrev_b64 v[9:10], 3, v[11:12]
	v_add_nc_u32_e32 v14, s5, v11
	v_add_co_u32 v17, vcc_lo, s0, v15
	v_add_co_ci_u32_e32 v18, vcc_lo, s1, v16, vcc_lo
	s_delay_alu instid0(VALU_DEP_4) | instskip(NEXT) | instid1(VALU_DEP_4)
	v_add_co_u32 v11, vcc_lo, s0, v9
	v_add_nc_u32_e32 v9, s5, v14
	s_clause 0x1
	global_load_b64 v[1:2], v85, s[0:1]
	global_load_b64 v[3:4], v[5:6], off
	v_ashrrev_i32_e32 v15, 31, v14
	v_add_co_ci_u32_e32 v12, vcc_lo, s1, v10, vcc_lo
	v_ashrrev_i32_e32 v10, 31, v9
	v_add_nc_u32_e32 v23, s5, v9
	s_delay_alu instid0(VALU_DEP_4)
	v_lshlrev_b64 v[13:14], 3, v[14:15]
	s_clause 0x3
	global_load_b64 v[47:48], v[19:20], off
	global_load_b64 v[49:50], v[25:26], off
	;; [unrolled: 1-line block ×4, first 2 shown]
	s_bitcmp0_b32 s13, 0
	v_lshlrev_b64 v[9:10], 3, v[9:10]
	v_add_nc_u32_e32 v27, s5, v23
	v_ashrrev_i32_e32 v24, 31, v23
	v_add_co_u32 v21, vcc_lo, s0, v13
	v_add_co_ci_u32_e32 v22, vcc_lo, s1, v14, vcc_lo
	v_add_co_u32 v13, vcc_lo, s0, v9
	v_ashrrev_i32_e32 v28, 31, v27
	v_add_co_ci_u32_e32 v14, vcc_lo, s1, v10, vcc_lo
	v_lshlrev_b64 v[9:10], 3, v[23:24]
	s_clause 0x1
	global_load_b64 v[55:56], v[21:22], off
	global_load_b64 v[57:58], v[13:14], off
	v_lshlrev_b64 v[23:24], 3, v[27:28]
	v_add_co_u32 v15, vcc_lo, s0, v9
	v_add_co_ci_u32_e32 v16, vcc_lo, s1, v10, vcc_lo
	s_delay_alu instid0(VALU_DEP_3) | instskip(NEXT) | instid1(VALU_DEP_4)
	v_add_co_u32 v9, vcc_lo, s0, v23
	v_add_co_ci_u32_e32 v10, vcc_lo, s1, v24, vcc_lo
	s_clause 0x1
	global_load_b64 v[59:60], v[15:16], off
	global_load_b64 v[61:62], v[9:10], off
	v_add_nc_u32_e32 v23, s5, v27
	s_delay_alu instid0(VALU_DEP_1) | instskip(SKIP_1) | instid1(VALU_DEP_2)
	v_add_nc_u32_e32 v27, s5, v23
	v_ashrrev_i32_e32 v24, 31, v23
	v_add_nc_u32_e32 v29, s5, v27
	v_ashrrev_i32_e32 v28, 31, v27
	s_delay_alu instid0(VALU_DEP_3) | instskip(NEXT) | instid1(VALU_DEP_3)
	v_lshlrev_b64 v[23:24], 3, v[23:24]
	v_add_nc_u32_e32 v31, s5, v29
	v_ashrrev_i32_e32 v30, 31, v29
	s_delay_alu instid0(VALU_DEP_4) | instskip(NEXT) | instid1(VALU_DEP_4)
	v_lshlrev_b64 v[27:28], 3, v[27:28]
	v_add_co_u32 v33, vcc_lo, s0, v23
	s_delay_alu instid0(VALU_DEP_4) | instskip(NEXT) | instid1(VALU_DEP_4)
	v_add_nc_u32_e32 v35, s5, v31
	v_lshlrev_b64 v[29:30], 3, v[29:30]
	v_add_co_ci_u32_e32 v34, vcc_lo, s1, v24, vcc_lo
	v_add_co_u32 v23, vcc_lo, s0, v27
	s_delay_alu instid0(VALU_DEP_4) | instskip(SKIP_3) | instid1(VALU_DEP_4)
	v_add_nc_u32_e32 v37, s5, v35
	v_ashrrev_i32_e32 v36, 31, v35
	v_add_co_ci_u32_e32 v24, vcc_lo, s1, v28, vcc_lo
	v_add_co_u32 v27, vcc_lo, s0, v29
	v_add_nc_u32_e32 v39, s5, v37
	v_ashrrev_i32_e32 v32, 31, v31
	v_add_co_ci_u32_e32 v28, vcc_lo, s1, v30, vcc_lo
	v_lshlrev_b64 v[29:30], 3, v[35:36]
	s_delay_alu instid0(VALU_DEP_4) | instskip(NEXT) | instid1(VALU_DEP_4)
	v_add_nc_u32_e32 v41, s5, v39
	v_lshlrev_b64 v[31:32], 3, v[31:32]
	v_ashrrev_i32_e32 v38, 31, v37
	v_ashrrev_i32_e32 v40, 31, v39
	s_clause 0x2
	global_load_b64 v[63:64], v[33:34], off
	global_load_b64 v[65:66], v[23:24], off
	;; [unrolled: 1-line block ×3, first 2 shown]
	v_add_nc_u32_e32 v43, s5, v41
	v_ashrrev_i32_e32 v42, 31, v41
	v_add_co_u32 v31, vcc_lo, s0, v31
	v_add_co_ci_u32_e32 v32, vcc_lo, s1, v32, vcc_lo
	s_delay_alu instid0(VALU_DEP_4)
	v_add_nc_u32_e32 v45, s5, v43
	v_lshlrev_b64 v[37:38], 3, v[37:38]
	v_lshlrev_b64 v[39:40], 3, v[39:40]
	v_ashrrev_i32_e32 v44, 31, v43
	v_lshlrev_b64 v[41:42], 3, v[41:42]
	v_add_nc_u32_e32 v71, s5, v45
	v_ashrrev_i32_e32 v46, 31, v45
	s_delay_alu instid0(VALU_DEP_4) | instskip(NEXT) | instid1(VALU_DEP_3)
	v_lshlrev_b64 v[43:44], 3, v[43:44]
	v_add_nc_u32_e32 v81, s5, v71
	s_delay_alu instid0(VALU_DEP_3) | instskip(SKIP_1) | instid1(VALU_DEP_3)
	v_lshlrev_b64 v[45:46], 3, v[45:46]
	v_ashrrev_i32_e32 v72, 31, v71
	v_add_nc_u32_e32 v83, s5, v81
	v_ashrrev_i32_e32 v82, 31, v81
	s_delay_alu instid0(VALU_DEP_2) | instskip(SKIP_1) | instid1(VALU_DEP_2)
	v_add_nc_u32_e32 v86, s5, v83
	v_ashrrev_i32_e32 v84, 31, v83
	v_add_nc_u32_e32 v98, s5, v86
	v_ashrrev_i32_e32 v87, 31, v86
	s_delay_alu instid0(VALU_DEP_2) | instskip(SKIP_1) | instid1(VALU_DEP_2)
	v_add_nc_u32_e32 v100, s5, v98
	;; [unrolled: 5-line block ×9, first 2 shown]
	v_ashrrev_i32_e32 v127, 31, v126
	v_ashrrev_i32_e32 v36, 31, v35
	s_delay_alu instid0(VALU_DEP_1) | instskip(SKIP_2) | instid1(VALU_DEP_3)
	v_lshlrev_b64 v[69:70], 3, v[35:36]
	v_add_co_u32 v35, vcc_lo, s0, v29
	v_add_co_ci_u32_e32 v36, vcc_lo, s1, v30, vcc_lo
	v_add_co_u32 v29, vcc_lo, s0, v69
	s_delay_alu instid0(VALU_DEP_4)
	v_add_co_ci_u32_e32 v30, vcc_lo, s1, v70, vcc_lo
	v_add_co_u32 v37, vcc_lo, s0, v37
	v_add_co_ci_u32_e32 v38, vcc_lo, s1, v38, vcc_lo
	v_add_co_u32 v39, vcc_lo, s0, v39
	global_load_b64 v[88:89], v[29:30], off
	v_add_co_ci_u32_e32 v40, vcc_lo, s1, v40, vcc_lo
	v_add_co_u32 v41, vcc_lo, s0, v41
	v_add_co_ci_u32_e32 v42, vcc_lo, s1, v42, vcc_lo
	v_add_co_u32 v43, vcc_lo, s0, v43
	;; [unrolled: 2-line block ×3, first 2 shown]
	v_add_co_ci_u32_e32 v46, vcc_lo, s1, v46, vcc_lo
	s_waitcnt vmcnt(12)
	scratch_store_b128 off, v[1:4], off
	s_clause 0x3
	global_load_b64 v[69:70], v[31:32], off
	global_load_b64 v[1:2], v[35:36], off
	;; [unrolled: 1-line block ×4, first 2 shown]
	s_waitcnt vmcnt(14)
	scratch_store_b128 off, v[47:50], off offset:16
	v_lshlrev_b64 v[47:48], 3, v[71:72]
	s_waitcnt vmcnt(12)
	scratch_store_b128 off, v[51:54], off offset:32
	s_clause 0x2
	global_load_b64 v[75:76], v[41:42], off
	global_load_b64 v[77:78], v[43:44], off
	;; [unrolled: 1-line block ×3, first 2 shown]
	v_lshlrev_b64 v[49:50], 3, v[81:82]
	v_lshlrev_b64 v[51:52], 3, v[83:84]
	;; [unrolled: 1-line block ×3, first 2 shown]
	v_add_co_u32 v47, vcc_lo, s0, v47
	v_add_co_ci_u32_e32 v48, vcc_lo, s1, v48, vcc_lo
	v_add_co_u32 v49, vcc_lo, s0, v49
	v_add_co_ci_u32_e32 v50, vcc_lo, s1, v50, vcc_lo
	;; [unrolled: 2-line block ×4, first 2 shown]
	s_waitcnt vmcnt(13)
	scratch_store_b128 off, v[55:58], off offset:48
	s_clause 0x1
	global_load_b64 v[90:91], v[47:48], off
	global_load_b64 v[92:93], v[49:50], off
	v_lshlrev_b64 v[55:56], 3, v[98:99]
	v_lshlrev_b64 v[57:58], 3, v[100:101]
	;; [unrolled: 1-line block ×5, first 2 shown]
	s_waitcnt vmcnt(13)
	scratch_store_b128 off, v[59:62], off offset:64
	s_clause 0x1
	global_load_b64 v[94:95], v[51:52], off
	global_load_b64 v[96:97], v[53:54], off
	v_add_co_u32 v55, vcc_lo, s0, v55
	v_lshlrev_b64 v[59:60], 3, v[102:103]
	v_add_co_ci_u32_e32 v56, vcc_lo, s1, v56, vcc_lo
	v_add_co_u32 v57, vcc_lo, s0, v57
	v_lshlrev_b64 v[61:62], 3, v[104:105]
	v_add_co_ci_u32_e32 v58, vcc_lo, s1, v58, vcc_lo
	v_add_co_u32 v59, vcc_lo, s0, v59
	v_add_co_ci_u32_e32 v60, vcc_lo, s1, v60, vcc_lo
	s_delay_alu instid0(VALU_DEP_4)
	v_add_co_u32 v61, vcc_lo, s0, v61
	v_add_co_ci_u32_e32 v62, vcc_lo, s1, v62, vcc_lo
	global_load_b64 v[98:99], v[55:56], off
	s_waitcnt vmcnt(14)
	scratch_store_b128 off, v[63:66], off offset:80
	v_lshlrev_b64 v[63:64], 3, v[106:107]
	v_lshlrev_b64 v[65:66], 3, v[108:109]
	s_waitcnt vmcnt(11)
	scratch_store_b128 off, v[67:70], off offset:96
	s_waitcnt vmcnt(9)
	scratch_store_b128 off, v[1:4], off offset:112
	v_add_co_u32 v63, vcc_lo, s0, v63
	v_add_co_ci_u32_e32 v64, vcc_lo, s1, v64, vcc_lo
	v_add_co_u32 v65, vcc_lo, s0, v65
	v_add_co_ci_u32_e32 v66, vcc_lo, s1, v66, vcc_lo
	v_lshlrev_b64 v[69:70], 3, v[112:113]
	v_add_co_u32 v67, vcc_lo, s0, v71
	v_add_co_ci_u32_e32 v68, vcc_lo, s1, v72, vcc_lo
	v_lshlrev_b64 v[71:72], 3, v[114:115]
	s_delay_alu instid0(VALU_DEP_4)
	v_add_co_u32 v69, vcc_lo, s0, v69
	v_add_co_ci_u32_e32 v70, vcc_lo, s1, v70, vcc_lo
	s_clause 0x3
	global_load_b64 v[100:101], v[57:58], off
	global_load_b64 v[1:2], v[59:60], off
	;; [unrolled: 1-line block ×4, first 2 shown]
	v_add_co_u32 v71, vcc_lo, s0, v71
	v_add_co_ci_u32_e32 v72, vcc_lo, s1, v72, vcc_lo
	s_waitcnt vmcnt(11)
	scratch_store_b128 off, v[73:76], off offset:128
	s_waitcnt vmcnt(9)
	scratch_store_b128 off, v[77:80], off offset:144
	v_add_co_u32 v73, vcc_lo, s0, v81
	v_lshlrev_b64 v[77:78], 3, v[120:121]
	v_add_co_ci_u32_e32 v74, vcc_lo, s1, v82, vcc_lo
	v_add_co_u32 v75, vcc_lo, s0, v83
	v_lshlrev_b64 v[79:80], 3, v[122:123]
	v_add_co_ci_u32_e32 v76, vcc_lo, s1, v84, vcc_lo
	;; [unrolled: 3-line block ×4, first 2 shown]
	v_add_co_u32 v81, vcc_lo, s0, v81
	v_add_co_ci_u32_e32 v82, vcc_lo, s1, v82, vcc_lo
	s_delay_alu instid0(VALU_DEP_4)
	v_add_co_u32 v83, vcc_lo, s0, v83
	v_add_co_ci_u32_e32 v84, vcc_lo, s1, v84, vcc_lo
	s_clause 0x3
	global_load_b64 v[104:105], v[65:66], off
	global_load_b64 v[106:107], v[67:68], off
	;; [unrolled: 1-line block ×4, first 2 shown]
	s_waitcnt vmcnt(11)
	scratch_store_b128 off, v[90:93], off offset:160
	s_clause 0x2
	global_load_b64 v[112:113], v[73:74], off
	global_load_b64 v[90:91], v[75:76], off
	;; [unrolled: 1-line block ×3, first 2 shown]
	s_waitcnt vmcnt(12)
	scratch_store_b128 off, v[94:97], off offset:176
	s_clause 0x2
	global_load_b64 v[94:95], v[79:80], off
	global_load_b64 v[96:97], v[81:82], off
	global_load_b64 v[86:87], v[83:84], off
	s_mov_b32 s1, -1
	s_waitcnt vmcnt(13)
	scratch_store_b128 off, v[98:101], off offset:192
	s_waitcnt vmcnt(11)
	scratch_store_b128 off, v[1:4], off offset:208
	;; [unrolled: 2-line block ×8, first 2 shown]
	s_cbranch_scc1 .LBB103_168
; %bb.4:
	v_cmp_eq_u32_e64 s0, 0, v0
	s_delay_alu instid0(VALU_DEP_1)
	s_and_saveexec_b32 s1, s0
	s_cbranch_execz .LBB103_6
; %bb.5:
	v_mov_b32_e32 v1, 0
	ds_store_b32 v1, v1 offset:640
.LBB103_6:
	s_or_b32 exec_lo, exec_lo, s1
	s_waitcnt lgkmcnt(0)
	s_waitcnt_vscnt null, 0x0
	s_barrier
	buffer_gl0_inv
	scratch_load_b64 v[1:2], v85, off
	s_mov_b32 s4, exec_lo
	s_waitcnt vmcnt(0)
	v_cmpx_eq_f64_e32 0, v[1:2]
	s_cbranch_execz .LBB103_10
; %bb.7:
	v_mov_b32_e32 v1, 0
	s_mov_b32 s5, 0
	ds_load_b32 v2, v1 offset:640
	s_waitcnt lgkmcnt(0)
	v_readfirstlane_b32 s1, v2
	v_add_nc_u32_e32 v2, 1, v0
	s_delay_alu instid0(VALU_DEP_2) | instskip(NEXT) | instid1(VALU_DEP_1)
	s_cmp_eq_u32 s1, 0
	v_cmp_gt_i32_e32 vcc_lo, s1, v2
	s_cselect_b32 s10, -1, 0
	s_delay_alu instid0(SALU_CYCLE_1) | instskip(NEXT) | instid1(SALU_CYCLE_1)
	s_or_b32 s10, s10, vcc_lo
	s_and_b32 exec_lo, exec_lo, s10
	s_cbranch_execz .LBB103_10
; %bb.8:
	v_mov_b32_e32 v3, s1
.LBB103_9:                              ; =>This Inner Loop Header: Depth=1
	ds_cmpstore_rtn_b32 v3, v1, v2, v3 offset:640
	s_waitcnt lgkmcnt(0)
	v_cmp_ne_u32_e32 vcc_lo, 0, v3
	v_cmp_le_i32_e64 s1, v3, v2
	s_delay_alu instid0(VALU_DEP_1) | instskip(NEXT) | instid1(SALU_CYCLE_1)
	s_and_b32 s1, vcc_lo, s1
	s_and_b32 s1, exec_lo, s1
	s_delay_alu instid0(SALU_CYCLE_1) | instskip(NEXT) | instid1(SALU_CYCLE_1)
	s_or_b32 s5, s1, s5
	s_and_not1_b32 exec_lo, exec_lo, s5
	s_cbranch_execnz .LBB103_9
.LBB103_10:
	s_or_b32 exec_lo, exec_lo, s4
	v_mov_b32_e32 v1, 0
	s_barrier
	buffer_gl0_inv
	ds_load_b32 v2, v1 offset:640
	s_and_saveexec_b32 s1, s0
	s_cbranch_execz .LBB103_12
; %bb.11:
	s_lshl_b64 s[4:5], s[8:9], 2
	s_delay_alu instid0(SALU_CYCLE_1)
	s_add_u32 s4, s6, s4
	s_addc_u32 s5, s7, s5
	s_waitcnt lgkmcnt(0)
	global_store_b32 v1, v2, s[4:5]
.LBB103_12:
	s_or_b32 exec_lo, exec_lo, s1
	s_waitcnt lgkmcnt(0)
	v_cmp_ne_u32_e32 vcc_lo, 0, v2
	s_mov_b32 s1, 0
	s_cbranch_vccnz .LBB103_168
; %bb.13:
	v_add_nc_u32_e32 v3, 0, v85
	v_add_nc_u32_e32 v4, 0x140, v85
	scratch_load_b64 v[1:2], v3, off
	s_waitcnt vmcnt(0)
	v_div_scale_f64 v[86:87], null, v[1:2], v[1:2], 1.0
	v_div_scale_f64 v[92:93], vcc_lo, 1.0, v[1:2], 1.0
	s_delay_alu instid0(VALU_DEP_2) | instskip(SKIP_2) | instid1(VALU_DEP_1)
	v_rcp_f64_e32 v[88:89], v[86:87]
	s_waitcnt_depctr 0xfff
	v_fma_f64 v[90:91], -v[86:87], v[88:89], 1.0
	v_fma_f64 v[88:89], v[88:89], v[90:91], v[88:89]
	s_delay_alu instid0(VALU_DEP_1) | instskip(NEXT) | instid1(VALU_DEP_1)
	v_fma_f64 v[90:91], -v[86:87], v[88:89], 1.0
	v_fma_f64 v[88:89], v[88:89], v[90:91], v[88:89]
	s_delay_alu instid0(VALU_DEP_1) | instskip(NEXT) | instid1(VALU_DEP_1)
	v_mul_f64 v[90:91], v[92:93], v[88:89]
	v_fma_f64 v[86:87], -v[86:87], v[90:91], v[92:93]
	s_delay_alu instid0(VALU_DEP_1) | instskip(NEXT) | instid1(VALU_DEP_1)
	v_div_fmas_f64 v[86:87], v[86:87], v[88:89], v[90:91]
	v_div_fixup_f64 v[1:2], v[86:87], v[1:2], 1.0
	scratch_store_b64 v3, v[1:2], off
	scratch_load_b64 v[86:87], off, off offset:8
	v_xor_b32_e32 v2, 0x80000000, v2
	s_waitcnt vmcnt(0)
	ds_store_2addr_b64 v85, v[1:2], v[86:87] offset1:40
	s_waitcnt lgkmcnt(0)
	s_waitcnt_vscnt null, 0x0
	s_barrier
	buffer_gl0_inv
	s_and_saveexec_b32 s1, s0
	s_cbranch_execz .LBB103_15
; %bb.14:
	scratch_load_b64 v[1:2], v3, off
	ds_load_b64 v[86:87], v4
	s_waitcnt vmcnt(0) lgkmcnt(0)
	v_fma_f64 v[1:2], v[1:2], v[86:87], 0
	v_mov_b32_e32 v86, 0
	ds_load_b64 v[86:87], v86 offset:8
	s_waitcnt lgkmcnt(0)
	v_mul_f64 v[1:2], v[1:2], v[86:87]
	scratch_store_b64 off, v[1:2], off offset:8
.LBB103_15:
	s_or_b32 exec_lo, exec_lo, s1
	s_waitcnt_vscnt null, 0x0
	s_barrier
	buffer_gl0_inv
	scratch_load_b64 v[1:2], off, off offset:16
	s_mov_b32 s1, exec_lo
	s_waitcnt vmcnt(0)
	ds_store_b64 v4, v[1:2]
	s_waitcnt lgkmcnt(0)
	s_barrier
	buffer_gl0_inv
	v_cmpx_gt_u32_e32 2, v0
	s_cbranch_execz .LBB103_19
; %bb.16:
	scratch_load_b64 v[1:2], v3, off
	ds_load_b64 v[86:87], v4
	s_waitcnt vmcnt(0) lgkmcnt(0)
	v_fma_f64 v[1:2], v[1:2], v[86:87], 0
	s_and_saveexec_b32 s4, s0
	s_cbranch_execz .LBB103_18
; %bb.17:
	scratch_load_b64 v[86:87], off, off offset:8
	v_mov_b32_e32 v88, 0
	ds_load_b64 v[88:89], v88 offset:328
	s_waitcnt vmcnt(0) lgkmcnt(0)
	v_fma_f64 v[1:2], v[86:87], v[88:89], v[1:2]
.LBB103_18:
	s_or_b32 exec_lo, exec_lo, s4
	v_mov_b32_e32 v86, 0
	ds_load_b64 v[86:87], v86 offset:16
	s_waitcnt lgkmcnt(0)
	v_mul_f64 v[1:2], v[1:2], v[86:87]
	scratch_store_b64 off, v[1:2], off offset:16
.LBB103_19:
	s_or_b32 exec_lo, exec_lo, s1
	s_waitcnt_vscnt null, 0x0
	s_barrier
	buffer_gl0_inv
	scratch_load_b64 v[1:2], off, off offset:24
	v_add_nc_u32_e32 v86, -1, v0
	s_mov_b32 s0, exec_lo
	s_waitcnt vmcnt(0)
	ds_store_b64 v4, v[1:2]
	s_waitcnt lgkmcnt(0)
	s_barrier
	buffer_gl0_inv
	v_cmpx_gt_u32_e32 3, v0
	s_cbranch_execz .LBB103_23
; %bb.20:
	v_dual_mov_b32 v1, 0 :: v_dual_add_nc_u32 v88, 0x140, v85
	v_dual_mov_b32 v2, 0 :: v_dual_add_nc_u32 v87, -1, v0
	v_add_nc_u32_e32 v89, 0, v85
	s_mov_b32 s1, 0
.LBB103_21:                             ; =>This Inner Loop Header: Depth=1
	scratch_load_b64 v[90:91], v89, off
	ds_load_b64 v[92:93], v88
	v_add_nc_u32_e32 v87, 1, v87
	v_add_nc_u32_e32 v88, 8, v88
	v_add_nc_u32_e32 v89, 8, v89
	s_delay_alu instid0(VALU_DEP_3)
	v_cmp_lt_u32_e32 vcc_lo, 1, v87
	s_or_b32 s1, vcc_lo, s1
	s_waitcnt vmcnt(0) lgkmcnt(0)
	v_fma_f64 v[1:2], v[90:91], v[92:93], v[1:2]
	s_and_not1_b32 exec_lo, exec_lo, s1
	s_cbranch_execnz .LBB103_21
; %bb.22:
	s_or_b32 exec_lo, exec_lo, s1
	v_mov_b32_e32 v87, 0
	ds_load_b64 v[87:88], v87 offset:24
	s_waitcnt lgkmcnt(0)
	v_mul_f64 v[1:2], v[1:2], v[87:88]
	scratch_store_b64 off, v[1:2], off offset:24
.LBB103_23:
	s_or_b32 exec_lo, exec_lo, s0
	s_waitcnt_vscnt null, 0x0
	s_barrier
	buffer_gl0_inv
	scratch_load_b64 v[1:2], off, off offset:32
	s_mov_b32 s0, exec_lo
	s_waitcnt vmcnt(0)
	ds_store_b64 v4, v[1:2]
	s_waitcnt lgkmcnt(0)
	s_barrier
	buffer_gl0_inv
	v_cmpx_gt_u32_e32 4, v0
	s_cbranch_execz .LBB103_27
; %bb.24:
	v_dual_mov_b32 v1, 0 :: v_dual_add_nc_u32 v88, 0x140, v85
	v_dual_mov_b32 v2, 0 :: v_dual_add_nc_u32 v87, -1, v0
	v_add_nc_u32_e32 v89, 0, v85
	s_mov_b32 s1, 0
.LBB103_25:                             ; =>This Inner Loop Header: Depth=1
	scratch_load_b64 v[90:91], v89, off
	ds_load_b64 v[92:93], v88
	v_add_nc_u32_e32 v87, 1, v87
	v_add_nc_u32_e32 v88, 8, v88
	v_add_nc_u32_e32 v89, 8, v89
	s_delay_alu instid0(VALU_DEP_3)
	v_cmp_lt_u32_e32 vcc_lo, 2, v87
	s_or_b32 s1, vcc_lo, s1
	s_waitcnt vmcnt(0) lgkmcnt(0)
	v_fma_f64 v[1:2], v[90:91], v[92:93], v[1:2]
	s_and_not1_b32 exec_lo, exec_lo, s1
	s_cbranch_execnz .LBB103_25
; %bb.26:
	s_or_b32 exec_lo, exec_lo, s1
	v_mov_b32_e32 v87, 0
	ds_load_b64 v[87:88], v87 offset:32
	s_waitcnt lgkmcnt(0)
	v_mul_f64 v[1:2], v[1:2], v[87:88]
	scratch_store_b64 off, v[1:2], off offset:32
.LBB103_27:
	s_or_b32 exec_lo, exec_lo, s0
	s_waitcnt_vscnt null, 0x0
	s_barrier
	buffer_gl0_inv
	scratch_load_b64 v[1:2], off, off offset:40
	;; [unrolled: 39-line block ×20, first 2 shown]
	s_mov_b32 s0, exec_lo
	s_waitcnt vmcnt(0)
	ds_store_b64 v4, v[1:2]
	s_waitcnt lgkmcnt(0)
	s_barrier
	buffer_gl0_inv
	v_cmpx_gt_u32_e32 23, v0
	s_cbranch_execz .LBB103_103
; %bb.100:
	v_dual_mov_b32 v1, 0 :: v_dual_add_nc_u32 v88, 0x140, v85
	v_dual_mov_b32 v2, 0 :: v_dual_add_nc_u32 v87, -1, v0
	v_add_nc_u32_e32 v89, 0, v85
	s_mov_b32 s1, 0
.LBB103_101:                            ; =>This Inner Loop Header: Depth=1
	scratch_load_b64 v[90:91], v89, off
	ds_load_b64 v[92:93], v88
	v_add_nc_u32_e32 v87, 1, v87
	v_add_nc_u32_e32 v88, 8, v88
	v_add_nc_u32_e32 v89, 8, v89
	s_delay_alu instid0(VALU_DEP_3)
	v_cmp_lt_u32_e32 vcc_lo, 21, v87
	s_or_b32 s1, vcc_lo, s1
	s_waitcnt vmcnt(0) lgkmcnt(0)
	v_fma_f64 v[1:2], v[90:91], v[92:93], v[1:2]
	s_and_not1_b32 exec_lo, exec_lo, s1
	s_cbranch_execnz .LBB103_101
; %bb.102:
	s_or_b32 exec_lo, exec_lo, s1
	v_mov_b32_e32 v87, 0
	ds_load_b64 v[87:88], v87 offset:184
	s_waitcnt lgkmcnt(0)
	v_mul_f64 v[1:2], v[1:2], v[87:88]
	scratch_store_b64 off, v[1:2], off offset:184
.LBB103_103:
	s_or_b32 exec_lo, exec_lo, s0
	s_waitcnt_vscnt null, 0x0
	s_barrier
	buffer_gl0_inv
	scratch_load_b64 v[1:2], off, off offset:192
	s_mov_b32 s0, exec_lo
	s_waitcnt vmcnt(0)
	ds_store_b64 v4, v[1:2]
	s_waitcnt lgkmcnt(0)
	s_barrier
	buffer_gl0_inv
	v_cmpx_gt_u32_e32 24, v0
	s_cbranch_execz .LBB103_107
; %bb.104:
	v_dual_mov_b32 v1, 0 :: v_dual_add_nc_u32 v88, 0x140, v85
	v_dual_mov_b32 v2, 0 :: v_dual_add_nc_u32 v87, -1, v0
	v_add_nc_u32_e32 v89, 0, v85
	s_mov_b32 s1, 0
.LBB103_105:                            ; =>This Inner Loop Header: Depth=1
	scratch_load_b64 v[90:91], v89, off
	ds_load_b64 v[92:93], v88
	v_add_nc_u32_e32 v87, 1, v87
	v_add_nc_u32_e32 v88, 8, v88
	v_add_nc_u32_e32 v89, 8, v89
	s_delay_alu instid0(VALU_DEP_3)
	v_cmp_lt_u32_e32 vcc_lo, 22, v87
	s_or_b32 s1, vcc_lo, s1
	s_waitcnt vmcnt(0) lgkmcnt(0)
	v_fma_f64 v[1:2], v[90:91], v[92:93], v[1:2]
	s_and_not1_b32 exec_lo, exec_lo, s1
	s_cbranch_execnz .LBB103_105
; %bb.106:
	s_or_b32 exec_lo, exec_lo, s1
	v_mov_b32_e32 v87, 0
	ds_load_b64 v[87:88], v87 offset:192
	s_waitcnt lgkmcnt(0)
	v_mul_f64 v[1:2], v[1:2], v[87:88]
	scratch_store_b64 off, v[1:2], off offset:192
.LBB103_107:
	s_or_b32 exec_lo, exec_lo, s0
	s_waitcnt_vscnt null, 0x0
	s_barrier
	buffer_gl0_inv
	scratch_load_b64 v[1:2], off, off offset:200
	;; [unrolled: 39-line block ×16, first 2 shown]
	s_mov_b32 s0, exec_lo
	s_waitcnt vmcnt(0)
	ds_store_b64 v4, v[1:2]
	s_waitcnt lgkmcnt(0)
	s_barrier
	buffer_gl0_inv
	v_cmpx_ne_u32_e32 39, v0
	s_cbranch_execz .LBB103_167
; %bb.164:
	v_mov_b32_e32 v1, 0
	v_mov_b32_e32 v2, 0
	s_mov_b32 s1, 0
.LBB103_165:                            ; =>This Inner Loop Header: Depth=1
	scratch_load_b64 v[87:88], v3, off
	ds_load_b64 v[89:90], v4
	v_add_nc_u32_e32 v86, 1, v86
	v_add_nc_u32_e32 v4, 8, v4
	;; [unrolled: 1-line block ×3, first 2 shown]
	s_delay_alu instid0(VALU_DEP_3)
	v_cmp_lt_u32_e32 vcc_lo, 37, v86
	s_or_b32 s1, vcc_lo, s1
	s_waitcnt vmcnt(0) lgkmcnt(0)
	v_fma_f64 v[1:2], v[87:88], v[89:90], v[1:2]
	s_and_not1_b32 exec_lo, exec_lo, s1
	s_cbranch_execnz .LBB103_165
; %bb.166:
	s_or_b32 exec_lo, exec_lo, s1
	v_mov_b32_e32 v3, 0
	ds_load_b64 v[3:4], v3 offset:312
	s_waitcnt lgkmcnt(0)
	v_mul_f64 v[1:2], v[1:2], v[3:4]
	scratch_store_b64 off, v[1:2], off offset:312
.LBB103_167:
	s_or_b32 exec_lo, exec_lo, s0
	s_mov_b32 s1, -1
	s_waitcnt_vscnt null, 0x0
	s_barrier
	buffer_gl0_inv
.LBB103_168:
	s_and_b32 vcc_lo, exec_lo, s1
	s_cbranch_vccz .LBB103_170
; %bb.169:
	s_lshl_b64 s[0:1], s[8:9], 2
	v_mov_b32_e32 v1, 0
	s_add_u32 s0, s6, s0
	s_addc_u32 s1, s7, s1
	global_load_b32 v1, v1, s[0:1]
	s_waitcnt vmcnt(0)
	v_cmp_ne_u32_e32 vcc_lo, 0, v1
	s_cbranch_vccz .LBB103_171
.LBB103_170:
	s_endpgm
.LBB103_171:
	v_lshl_add_u32 v3, v0, 3, 0x140
	s_mov_b32 s0, exec_lo
	v_cmpx_eq_u32_e32 39, v0
	s_cbranch_execz .LBB103_173
; %bb.172:
	scratch_load_b64 v[1:2], off, off offset:304
	v_mov_b32_e32 v85, 0
	s_delay_alu instid0(VALU_DEP_1)
	v_mov_b32_e32 v86, v85
	scratch_store_b64 off, v[85:86], off offset:304
	s_waitcnt vmcnt(0)
	ds_store_b64 v3, v[1:2]
.LBB103_173:
	s_or_b32 exec_lo, exec_lo, s0
	s_waitcnt lgkmcnt(0)
	s_waitcnt_vscnt null, 0x0
	s_barrier
	buffer_gl0_inv
	scratch_load_b128 v[85:88], off, off offset:304
	v_mov_b32_e32 v1, 0
	s_mov_b32 s0, exec_lo
	ds_load_b64 v[89:90], v1 offset:632
	s_waitcnt vmcnt(0) lgkmcnt(0)
	v_fma_f64 v[87:88], v[87:88], v[89:90], 0
	s_delay_alu instid0(VALU_DEP_1)
	v_add_f64 v[85:86], v[85:86], -v[87:88]
	scratch_store_b64 off, v[85:86], off offset:304
	v_cmpx_lt_u32_e32 37, v0
	s_cbranch_execz .LBB103_175
; %bb.174:
	scratch_load_b64 v[85:86], off, off offset:296
	v_mov_b32_e32 v2, v1
	scratch_store_b64 off, v[1:2], off offset:296
	s_waitcnt vmcnt(0)
	ds_store_b64 v3, v[85:86]
.LBB103_175:
	s_or_b32 exec_lo, exec_lo, s0
	s_waitcnt lgkmcnt(0)
	s_waitcnt_vscnt null, 0x0
	s_barrier
	buffer_gl0_inv
	s_clause 0x1
	scratch_load_b128 v[85:88], off, off offset:296
	scratch_load_b64 v[93:94], off, off offset:312
	ds_load_b128 v[89:92], v1 offset:624
	s_mov_b32 s0, exec_lo
	s_waitcnt vmcnt(1) lgkmcnt(0)
	v_fma_f64 v[1:2], v[87:88], v[89:90], 0
	s_waitcnt vmcnt(0)
	s_delay_alu instid0(VALU_DEP_1) | instskip(NEXT) | instid1(VALU_DEP_1)
	v_fma_f64 v[1:2], v[93:94], v[91:92], v[1:2]
	v_add_f64 v[1:2], v[85:86], -v[1:2]
	scratch_store_b64 off, v[1:2], off offset:296
	v_cmpx_lt_u32_e32 36, v0
	s_cbranch_execz .LBB103_177
; %bb.176:
	scratch_load_b64 v[1:2], off, off offset:288
	v_mov_b32_e32 v85, 0
	s_delay_alu instid0(VALU_DEP_1)
	v_mov_b32_e32 v86, v85
	scratch_store_b64 off, v[85:86], off offset:288
	s_waitcnt vmcnt(0)
	ds_store_b64 v3, v[1:2]
.LBB103_177:
	s_or_b32 exec_lo, exec_lo, s0
	s_waitcnt lgkmcnt(0)
	s_waitcnt_vscnt null, 0x0
	s_barrier
	buffer_gl0_inv
	s_clause 0x1
	scratch_load_b128 v[85:88], off, off offset:288
	scratch_load_b128 v[89:92], off, off offset:304
	v_mov_b32_e32 v1, 0
	s_mov_b32 s0, exec_lo
	ds_load_2addr_b64 v[93:96], v1 offset0:77 offset1:78
	s_waitcnt vmcnt(1) lgkmcnt(0)
	v_fma_f64 v[87:88], v[87:88], v[93:94], 0
	s_waitcnt vmcnt(0)
	s_delay_alu instid0(VALU_DEP_1) | instskip(SKIP_3) | instid1(VALU_DEP_1)
	v_fma_f64 v[87:88], v[89:90], v[95:96], v[87:88]
	ds_load_b64 v[89:90], v1 offset:632
	s_waitcnt lgkmcnt(0)
	v_fma_f64 v[87:88], v[91:92], v[89:90], v[87:88]
	v_add_f64 v[85:86], v[85:86], -v[87:88]
	scratch_store_b64 off, v[85:86], off offset:288
	v_cmpx_lt_u32_e32 35, v0
	s_cbranch_execz .LBB103_179
; %bb.178:
	scratch_load_b64 v[85:86], off, off offset:280
	v_mov_b32_e32 v2, v1
	scratch_store_b64 off, v[1:2], off offset:280
	s_waitcnt vmcnt(0)
	ds_store_b64 v3, v[85:86]
.LBB103_179:
	s_or_b32 exec_lo, exec_lo, s0
	s_waitcnt lgkmcnt(0)
	s_waitcnt_vscnt null, 0x0
	s_barrier
	buffer_gl0_inv
	s_clause 0x2
	scratch_load_b128 v[85:88], off, off offset:280
	scratch_load_b128 v[89:92], off, off offset:296
	scratch_load_b64 v[101:102], off, off offset:312
	ds_load_b128 v[93:96], v1 offset:608
	ds_load_b128 v[97:100], v1 offset:624
	s_mov_b32 s0, exec_lo
	s_waitcnt vmcnt(2) lgkmcnt(1)
	v_fma_f64 v[1:2], v[87:88], v[93:94], 0
	s_waitcnt vmcnt(1)
	s_delay_alu instid0(VALU_DEP_1) | instskip(SKIP_1) | instid1(VALU_DEP_1)
	v_fma_f64 v[1:2], v[89:90], v[95:96], v[1:2]
	s_waitcnt lgkmcnt(0)
	v_fma_f64 v[1:2], v[91:92], v[97:98], v[1:2]
	s_waitcnt vmcnt(0)
	s_delay_alu instid0(VALU_DEP_1) | instskip(NEXT) | instid1(VALU_DEP_1)
	v_fma_f64 v[1:2], v[101:102], v[99:100], v[1:2]
	v_add_f64 v[1:2], v[85:86], -v[1:2]
	scratch_store_b64 off, v[1:2], off offset:280
	v_cmpx_lt_u32_e32 34, v0
	s_cbranch_execz .LBB103_181
; %bb.180:
	scratch_load_b64 v[1:2], off, off offset:272
	v_mov_b32_e32 v85, 0
	s_delay_alu instid0(VALU_DEP_1)
	v_mov_b32_e32 v86, v85
	scratch_store_b64 off, v[85:86], off offset:272
	s_waitcnt vmcnt(0)
	ds_store_b64 v3, v[1:2]
.LBB103_181:
	s_or_b32 exec_lo, exec_lo, s0
	s_waitcnt lgkmcnt(0)
	s_waitcnt_vscnt null, 0x0
	s_barrier
	buffer_gl0_inv
	s_clause 0x2
	scratch_load_b128 v[85:88], off, off offset:272
	scratch_load_b128 v[89:92], off, off offset:288
	;; [unrolled: 1-line block ×3, first 2 shown]
	v_mov_b32_e32 v1, 0
	ds_load_2addr_b64 v[97:100], v1 offset0:75 offset1:76
	ds_load_2addr_b64 v[101:104], v1 offset0:77 offset1:78
	s_mov_b32 s0, exec_lo
	s_waitcnt vmcnt(2) lgkmcnt(1)
	v_fma_f64 v[87:88], v[87:88], v[97:98], 0
	s_waitcnt vmcnt(1)
	s_delay_alu instid0(VALU_DEP_1) | instskip(SKIP_4) | instid1(VALU_DEP_1)
	v_fma_f64 v[87:88], v[89:90], v[99:100], v[87:88]
	ds_load_b64 v[89:90], v1 offset:632
	s_waitcnt lgkmcnt(1)
	v_fma_f64 v[87:88], v[91:92], v[101:102], v[87:88]
	s_waitcnt vmcnt(0)
	v_fma_f64 v[87:88], v[93:94], v[103:104], v[87:88]
	s_waitcnt lgkmcnt(0)
	s_delay_alu instid0(VALU_DEP_1) | instskip(NEXT) | instid1(VALU_DEP_1)
	v_fma_f64 v[87:88], v[95:96], v[89:90], v[87:88]
	v_add_f64 v[85:86], v[85:86], -v[87:88]
	scratch_store_b64 off, v[85:86], off offset:272
	v_cmpx_lt_u32_e32 33, v0
	s_cbranch_execz .LBB103_183
; %bb.182:
	scratch_load_b64 v[85:86], off, off offset:264
	v_mov_b32_e32 v2, v1
	scratch_store_b64 off, v[1:2], off offset:264
	s_waitcnt vmcnt(0)
	ds_store_b64 v3, v[85:86]
.LBB103_183:
	s_or_b32 exec_lo, exec_lo, s0
	s_waitcnt lgkmcnt(0)
	s_waitcnt_vscnt null, 0x0
	s_barrier
	buffer_gl0_inv
	s_clause 0x3
	scratch_load_b128 v[85:88], off, off offset:264
	scratch_load_b128 v[89:92], off, off offset:280
	;; [unrolled: 1-line block ×3, first 2 shown]
	scratch_load_b64 v[105:106], off, off offset:312
	ds_load_b128 v[97:100], v1 offset:592
	ds_load_b128 v[101:104], v1 offset:608
	s_mov_b32 s0, exec_lo
	s_waitcnt vmcnt(3) lgkmcnt(1)
	v_fma_f64 v[87:88], v[87:88], v[97:98], 0
	s_waitcnt vmcnt(2)
	s_delay_alu instid0(VALU_DEP_1) | instskip(SKIP_1) | instid1(VALU_DEP_1)
	v_fma_f64 v[87:88], v[89:90], v[99:100], v[87:88]
	s_waitcnt lgkmcnt(0)
	v_fma_f64 v[87:88], v[91:92], v[101:102], v[87:88]
	s_waitcnt vmcnt(1)
	s_delay_alu instid0(VALU_DEP_1) | instskip(SKIP_4) | instid1(VALU_DEP_1)
	v_fma_f64 v[91:92], v[93:94], v[103:104], v[87:88]
	ds_load_b128 v[87:90], v1 offset:624
	s_waitcnt lgkmcnt(0)
	v_fma_f64 v[1:2], v[95:96], v[87:88], v[91:92]
	s_waitcnt vmcnt(0)
	v_fma_f64 v[1:2], v[105:106], v[89:90], v[1:2]
	s_delay_alu instid0(VALU_DEP_1)
	v_add_f64 v[1:2], v[85:86], -v[1:2]
	scratch_store_b64 off, v[1:2], off offset:264
	v_cmpx_lt_u32_e32 32, v0
	s_cbranch_execz .LBB103_185
; %bb.184:
	scratch_load_b64 v[1:2], off, off offset:256
	v_mov_b32_e32 v85, 0
	s_delay_alu instid0(VALU_DEP_1)
	v_mov_b32_e32 v86, v85
	scratch_store_b64 off, v[85:86], off offset:256
	s_waitcnt vmcnt(0)
	ds_store_b64 v3, v[1:2]
.LBB103_185:
	s_or_b32 exec_lo, exec_lo, s0
	s_waitcnt lgkmcnt(0)
	s_waitcnt_vscnt null, 0x0
	s_barrier
	buffer_gl0_inv
	s_clause 0x3
	scratch_load_b128 v[85:88], off, off offset:256
	scratch_load_b128 v[89:92], off, off offset:272
	;; [unrolled: 1-line block ×4, first 2 shown]
	v_mov_b32_e32 v1, 0
	ds_load_2addr_b64 v[101:104], v1 offset0:73 offset1:74
	ds_load_2addr_b64 v[105:108], v1 offset0:75 offset1:76
	s_mov_b32 s0, exec_lo
	s_waitcnt vmcnt(3) lgkmcnt(1)
	v_fma_f64 v[87:88], v[87:88], v[101:102], 0
	s_waitcnt vmcnt(2)
	s_delay_alu instid0(VALU_DEP_1) | instskip(SKIP_1) | instid1(VALU_DEP_1)
	v_fma_f64 v[87:88], v[89:90], v[103:104], v[87:88]
	s_waitcnt lgkmcnt(0)
	v_fma_f64 v[87:88], v[91:92], v[105:106], v[87:88]
	s_waitcnt vmcnt(1)
	s_delay_alu instid0(VALU_DEP_1)
	v_fma_f64 v[91:92], v[93:94], v[107:108], v[87:88]
	ds_load_2addr_b64 v[87:90], v1 offset0:77 offset1:78
	ds_load_b64 v[93:94], v1 offset:632
	s_waitcnt lgkmcnt(1)
	v_fma_f64 v[87:88], v[95:96], v[87:88], v[91:92]
	s_waitcnt vmcnt(0)
	s_delay_alu instid0(VALU_DEP_1) | instskip(SKIP_1) | instid1(VALU_DEP_1)
	v_fma_f64 v[87:88], v[97:98], v[89:90], v[87:88]
	s_waitcnt lgkmcnt(0)
	v_fma_f64 v[87:88], v[99:100], v[93:94], v[87:88]
	s_delay_alu instid0(VALU_DEP_1)
	v_add_f64 v[85:86], v[85:86], -v[87:88]
	scratch_store_b64 off, v[85:86], off offset:256
	v_cmpx_lt_u32_e32 31, v0
	s_cbranch_execz .LBB103_187
; %bb.186:
	scratch_load_b64 v[85:86], off, off offset:248
	v_mov_b32_e32 v2, v1
	scratch_store_b64 off, v[1:2], off offset:248
	s_waitcnt vmcnt(0)
	ds_store_b64 v3, v[85:86]
.LBB103_187:
	s_or_b32 exec_lo, exec_lo, s0
	s_waitcnt lgkmcnt(0)
	s_waitcnt_vscnt null, 0x0
	s_barrier
	buffer_gl0_inv
	s_clause 0x4
	scratch_load_b128 v[85:88], off, off offset:248
	scratch_load_b128 v[89:92], off, off offset:264
	;; [unrolled: 1-line block ×4, first 2 shown]
	scratch_load_b64 v[109:110], off, off offset:312
	ds_load_b128 v[101:104], v1 offset:576
	ds_load_b128 v[105:108], v1 offset:592
	s_mov_b32 s0, exec_lo
	s_waitcnt vmcnt(4) lgkmcnt(1)
	v_fma_f64 v[87:88], v[87:88], v[101:102], 0
	s_waitcnt vmcnt(3)
	s_delay_alu instid0(VALU_DEP_1) | instskip(SKIP_1) | instid1(VALU_DEP_1)
	v_fma_f64 v[87:88], v[89:90], v[103:104], v[87:88]
	s_waitcnt lgkmcnt(0)
	v_fma_f64 v[87:88], v[91:92], v[105:106], v[87:88]
	s_waitcnt vmcnt(2)
	s_delay_alu instid0(VALU_DEP_1)
	v_fma_f64 v[101:102], v[93:94], v[107:108], v[87:88]
	ds_load_b128 v[87:90], v1 offset:608
	ds_load_b128 v[91:94], v1 offset:624
	s_waitcnt lgkmcnt(1)
	v_fma_f64 v[1:2], v[95:96], v[87:88], v[101:102]
	s_waitcnt vmcnt(1)
	s_delay_alu instid0(VALU_DEP_1) | instskip(SKIP_1) | instid1(VALU_DEP_1)
	v_fma_f64 v[1:2], v[97:98], v[89:90], v[1:2]
	s_waitcnt lgkmcnt(0)
	v_fma_f64 v[1:2], v[99:100], v[91:92], v[1:2]
	s_waitcnt vmcnt(0)
	s_delay_alu instid0(VALU_DEP_1) | instskip(NEXT) | instid1(VALU_DEP_1)
	v_fma_f64 v[1:2], v[109:110], v[93:94], v[1:2]
	v_add_f64 v[1:2], v[85:86], -v[1:2]
	scratch_store_b64 off, v[1:2], off offset:248
	v_cmpx_lt_u32_e32 30, v0
	s_cbranch_execz .LBB103_189
; %bb.188:
	scratch_load_b64 v[1:2], off, off offset:240
	v_mov_b32_e32 v85, 0
	s_delay_alu instid0(VALU_DEP_1)
	v_mov_b32_e32 v86, v85
	scratch_store_b64 off, v[85:86], off offset:240
	s_waitcnt vmcnt(0)
	ds_store_b64 v3, v[1:2]
.LBB103_189:
	s_or_b32 exec_lo, exec_lo, s0
	s_waitcnt lgkmcnt(0)
	s_waitcnt_vscnt null, 0x0
	s_barrier
	buffer_gl0_inv
	s_clause 0x4
	scratch_load_b128 v[85:88], off, off offset:240
	scratch_load_b128 v[89:92], off, off offset:256
	;; [unrolled: 1-line block ×5, first 2 shown]
	v_mov_b32_e32 v1, 0
	ds_load_2addr_b64 v[105:108], v1 offset0:71 offset1:72
	ds_load_2addr_b64 v[109:112], v1 offset0:73 offset1:74
	s_mov_b32 s0, exec_lo
	s_waitcnt vmcnt(4) lgkmcnt(1)
	v_fma_f64 v[87:88], v[87:88], v[105:106], 0
	s_waitcnt vmcnt(3)
	s_delay_alu instid0(VALU_DEP_1) | instskip(SKIP_1) | instid1(VALU_DEP_1)
	v_fma_f64 v[87:88], v[89:90], v[107:108], v[87:88]
	s_waitcnt lgkmcnt(0)
	v_fma_f64 v[87:88], v[91:92], v[109:110], v[87:88]
	s_waitcnt vmcnt(2)
	s_delay_alu instid0(VALU_DEP_1)
	v_fma_f64 v[105:106], v[93:94], v[111:112], v[87:88]
	ds_load_2addr_b64 v[87:90], v1 offset0:75 offset1:76
	ds_load_2addr_b64 v[91:94], v1 offset0:77 offset1:78
	s_waitcnt lgkmcnt(1)
	v_fma_f64 v[87:88], v[95:96], v[87:88], v[105:106]
	s_waitcnt vmcnt(1)
	s_delay_alu instid0(VALU_DEP_1) | instskip(SKIP_4) | instid1(VALU_DEP_1)
	v_fma_f64 v[87:88], v[97:98], v[89:90], v[87:88]
	ds_load_b64 v[89:90], v1 offset:632
	s_waitcnt lgkmcnt(1)
	v_fma_f64 v[87:88], v[99:100], v[91:92], v[87:88]
	s_waitcnt vmcnt(0)
	v_fma_f64 v[87:88], v[101:102], v[93:94], v[87:88]
	s_waitcnt lgkmcnt(0)
	s_delay_alu instid0(VALU_DEP_1) | instskip(NEXT) | instid1(VALU_DEP_1)
	v_fma_f64 v[87:88], v[103:104], v[89:90], v[87:88]
	v_add_f64 v[85:86], v[85:86], -v[87:88]
	scratch_store_b64 off, v[85:86], off offset:240
	v_cmpx_lt_u32_e32 29, v0
	s_cbranch_execz .LBB103_191
; %bb.190:
	scratch_load_b64 v[85:86], off, off offset:232
	v_mov_b32_e32 v2, v1
	scratch_store_b64 off, v[1:2], off offset:232
	s_waitcnt vmcnt(0)
	ds_store_b64 v3, v[85:86]
.LBB103_191:
	s_or_b32 exec_lo, exec_lo, s0
	s_waitcnt lgkmcnt(0)
	s_waitcnt_vscnt null, 0x0
	s_barrier
	buffer_gl0_inv
	s_clause 0x4
	scratch_load_b128 v[85:88], off, off offset:232
	scratch_load_b128 v[89:92], off, off offset:248
	;; [unrolled: 1-line block ×5, first 2 shown]
	ds_load_b128 v[105:108], v1 offset:560
	ds_load_b128 v[109:112], v1 offset:576
	s_mov_b32 s0, exec_lo
	s_waitcnt vmcnt(4) lgkmcnt(1)
	v_fma_f64 v[87:88], v[87:88], v[105:106], 0
	scratch_load_b64 v[105:106], off, off offset:312
	s_waitcnt vmcnt(4)
	v_fma_f64 v[87:88], v[89:90], v[107:108], v[87:88]
	s_waitcnt lgkmcnt(0)
	s_delay_alu instid0(VALU_DEP_1) | instskip(SKIP_1) | instid1(VALU_DEP_1)
	v_fma_f64 v[87:88], v[91:92], v[109:110], v[87:88]
	s_waitcnt vmcnt(3)
	v_fma_f64 v[107:108], v[93:94], v[111:112], v[87:88]
	ds_load_b128 v[87:90], v1 offset:592
	ds_load_b128 v[91:94], v1 offset:608
	s_waitcnt lgkmcnt(1)
	v_fma_f64 v[87:88], v[95:96], v[87:88], v[107:108]
	s_waitcnt vmcnt(2)
	s_delay_alu instid0(VALU_DEP_1) | instskip(SKIP_1) | instid1(VALU_DEP_1)
	v_fma_f64 v[87:88], v[97:98], v[89:90], v[87:88]
	s_waitcnt lgkmcnt(0)
	v_fma_f64 v[87:88], v[99:100], v[91:92], v[87:88]
	s_waitcnt vmcnt(1)
	s_delay_alu instid0(VALU_DEP_1) | instskip(SKIP_4) | instid1(VALU_DEP_1)
	v_fma_f64 v[91:92], v[101:102], v[93:94], v[87:88]
	ds_load_b128 v[87:90], v1 offset:624
	s_waitcnt lgkmcnt(0)
	v_fma_f64 v[1:2], v[103:104], v[87:88], v[91:92]
	s_waitcnt vmcnt(0)
	v_fma_f64 v[1:2], v[105:106], v[89:90], v[1:2]
	s_delay_alu instid0(VALU_DEP_1)
	v_add_f64 v[1:2], v[85:86], -v[1:2]
	scratch_store_b64 off, v[1:2], off offset:232
	v_cmpx_lt_u32_e32 28, v0
	s_cbranch_execz .LBB103_193
; %bb.192:
	scratch_load_b64 v[1:2], off, off offset:224
	v_mov_b32_e32 v85, 0
	s_delay_alu instid0(VALU_DEP_1)
	v_mov_b32_e32 v86, v85
	scratch_store_b64 off, v[85:86], off offset:224
	s_waitcnt vmcnt(0)
	ds_store_b64 v3, v[1:2]
.LBB103_193:
	s_or_b32 exec_lo, exec_lo, s0
	s_waitcnt lgkmcnt(0)
	s_waitcnt_vscnt null, 0x0
	s_barrier
	buffer_gl0_inv
	s_clause 0x4
	scratch_load_b128 v[85:88], off, off offset:224
	scratch_load_b128 v[89:92], off, off offset:240
	;; [unrolled: 1-line block ×5, first 2 shown]
	v_mov_b32_e32 v1, 0
	ds_load_2addr_b64 v[105:108], v1 offset0:69 offset1:70
	ds_load_2addr_b64 v[109:112], v1 offset0:71 offset1:72
	scratch_load_b128 v[113:116], off, off offset:304
	s_mov_b32 s0, exec_lo
	s_waitcnt vmcnt(5) lgkmcnt(1)
	v_fma_f64 v[87:88], v[87:88], v[105:106], 0
	s_waitcnt vmcnt(4)
	s_delay_alu instid0(VALU_DEP_1) | instskip(SKIP_1) | instid1(VALU_DEP_1)
	v_fma_f64 v[87:88], v[89:90], v[107:108], v[87:88]
	s_waitcnt lgkmcnt(0)
	v_fma_f64 v[87:88], v[91:92], v[109:110], v[87:88]
	s_waitcnt vmcnt(3)
	s_delay_alu instid0(VALU_DEP_1)
	v_fma_f64 v[105:106], v[93:94], v[111:112], v[87:88]
	ds_load_2addr_b64 v[87:90], v1 offset0:73 offset1:74
	ds_load_2addr_b64 v[91:94], v1 offset0:75 offset1:76
	s_waitcnt lgkmcnt(1)
	v_fma_f64 v[87:88], v[95:96], v[87:88], v[105:106]
	s_waitcnt vmcnt(2)
	s_delay_alu instid0(VALU_DEP_1) | instskip(SKIP_1) | instid1(VALU_DEP_1)
	v_fma_f64 v[87:88], v[97:98], v[89:90], v[87:88]
	s_waitcnt lgkmcnt(0)
	v_fma_f64 v[87:88], v[99:100], v[91:92], v[87:88]
	s_waitcnt vmcnt(1)
	s_delay_alu instid0(VALU_DEP_1)
	v_fma_f64 v[91:92], v[101:102], v[93:94], v[87:88]
	ds_load_2addr_b64 v[87:90], v1 offset0:77 offset1:78
	ds_load_b64 v[93:94], v1 offset:632
	s_waitcnt lgkmcnt(1)
	v_fma_f64 v[87:88], v[103:104], v[87:88], v[91:92]
	s_waitcnt vmcnt(0)
	s_delay_alu instid0(VALU_DEP_1) | instskip(SKIP_1) | instid1(VALU_DEP_1)
	v_fma_f64 v[87:88], v[113:114], v[89:90], v[87:88]
	s_waitcnt lgkmcnt(0)
	v_fma_f64 v[87:88], v[115:116], v[93:94], v[87:88]
	s_delay_alu instid0(VALU_DEP_1)
	v_add_f64 v[85:86], v[85:86], -v[87:88]
	scratch_store_b64 off, v[85:86], off offset:224
	v_cmpx_lt_u32_e32 27, v0
	s_cbranch_execz .LBB103_195
; %bb.194:
	scratch_load_b64 v[85:86], off, off offset:216
	v_mov_b32_e32 v2, v1
	scratch_store_b64 off, v[1:2], off offset:216
	s_waitcnt vmcnt(0)
	ds_store_b64 v3, v[85:86]
.LBB103_195:
	s_or_b32 exec_lo, exec_lo, s0
	s_waitcnt lgkmcnt(0)
	s_waitcnt_vscnt null, 0x0
	s_barrier
	buffer_gl0_inv
	s_clause 0x4
	scratch_load_b128 v[85:88], off, off offset:216
	scratch_load_b128 v[89:92], off, off offset:232
	;; [unrolled: 1-line block ×5, first 2 shown]
	ds_load_b128 v[105:108], v1 offset:544
	ds_load_b128 v[109:112], v1 offset:560
	scratch_load_b128 v[113:116], off, off offset:296
	s_mov_b32 s0, exec_lo
	s_waitcnt vmcnt(5) lgkmcnt(1)
	v_fma_f64 v[87:88], v[87:88], v[105:106], 0
	scratch_load_b64 v[105:106], off, off offset:312
	s_waitcnt vmcnt(5)
	v_fma_f64 v[87:88], v[89:90], v[107:108], v[87:88]
	s_waitcnt lgkmcnt(0)
	s_delay_alu instid0(VALU_DEP_1) | instskip(SKIP_1) | instid1(VALU_DEP_1)
	v_fma_f64 v[87:88], v[91:92], v[109:110], v[87:88]
	s_waitcnt vmcnt(4)
	v_fma_f64 v[107:108], v[93:94], v[111:112], v[87:88]
	ds_load_b128 v[87:90], v1 offset:576
	ds_load_b128 v[91:94], v1 offset:592
	s_waitcnt lgkmcnt(1)
	v_fma_f64 v[87:88], v[95:96], v[87:88], v[107:108]
	s_waitcnt vmcnt(3)
	s_delay_alu instid0(VALU_DEP_1) | instskip(SKIP_1) | instid1(VALU_DEP_1)
	v_fma_f64 v[87:88], v[97:98], v[89:90], v[87:88]
	s_waitcnt lgkmcnt(0)
	v_fma_f64 v[87:88], v[99:100], v[91:92], v[87:88]
	s_waitcnt vmcnt(2)
	s_delay_alu instid0(VALU_DEP_1)
	v_fma_f64 v[95:96], v[101:102], v[93:94], v[87:88]
	ds_load_b128 v[87:90], v1 offset:608
	ds_load_b128 v[91:94], v1 offset:624
	s_waitcnt lgkmcnt(1)
	v_fma_f64 v[1:2], v[103:104], v[87:88], v[95:96]
	s_waitcnt vmcnt(1)
	s_delay_alu instid0(VALU_DEP_1) | instskip(SKIP_1) | instid1(VALU_DEP_1)
	v_fma_f64 v[1:2], v[113:114], v[89:90], v[1:2]
	s_waitcnt lgkmcnt(0)
	v_fma_f64 v[1:2], v[115:116], v[91:92], v[1:2]
	s_waitcnt vmcnt(0)
	s_delay_alu instid0(VALU_DEP_1) | instskip(NEXT) | instid1(VALU_DEP_1)
	v_fma_f64 v[1:2], v[105:106], v[93:94], v[1:2]
	v_add_f64 v[1:2], v[85:86], -v[1:2]
	scratch_store_b64 off, v[1:2], off offset:216
	v_cmpx_lt_u32_e32 26, v0
	s_cbranch_execz .LBB103_197
; %bb.196:
	scratch_load_b64 v[1:2], off, off offset:208
	v_mov_b32_e32 v85, 0
	s_delay_alu instid0(VALU_DEP_1)
	v_mov_b32_e32 v86, v85
	scratch_store_b64 off, v[85:86], off offset:208
	s_waitcnt vmcnt(0)
	ds_store_b64 v3, v[1:2]
.LBB103_197:
	s_or_b32 exec_lo, exec_lo, s0
	s_waitcnt lgkmcnt(0)
	s_waitcnt_vscnt null, 0x0
	s_barrier
	buffer_gl0_inv
	s_clause 0x4
	scratch_load_b128 v[85:88], off, off offset:208
	scratch_load_b128 v[89:92], off, off offset:224
	;; [unrolled: 1-line block ×5, first 2 shown]
	v_mov_b32_e32 v1, 0
	ds_load_2addr_b64 v[105:108], v1 offset0:67 offset1:68
	ds_load_2addr_b64 v[109:112], v1 offset0:69 offset1:70
	scratch_load_b128 v[113:116], off, off offset:288
	s_mov_b32 s0, exec_lo
	s_waitcnt vmcnt(5) lgkmcnt(1)
	v_fma_f64 v[87:88], v[87:88], v[105:106], 0
	s_waitcnt vmcnt(4)
	s_delay_alu instid0(VALU_DEP_1) | instskip(SKIP_1) | instid1(VALU_DEP_1)
	v_fma_f64 v[87:88], v[89:90], v[107:108], v[87:88]
	s_waitcnt lgkmcnt(0)
	v_fma_f64 v[91:92], v[91:92], v[109:110], v[87:88]
	scratch_load_b128 v[87:90], off, off offset:304
	s_waitcnt vmcnt(4)
	v_fma_f64 v[109:110], v[93:94], v[111:112], v[91:92]
	ds_load_2addr_b64 v[91:94], v1 offset0:71 offset1:72
	ds_load_2addr_b64 v[105:108], v1 offset0:73 offset1:74
	s_waitcnt lgkmcnt(1)
	v_fma_f64 v[91:92], v[95:96], v[91:92], v[109:110]
	s_waitcnt vmcnt(3)
	s_delay_alu instid0(VALU_DEP_1) | instskip(SKIP_1) | instid1(VALU_DEP_1)
	v_fma_f64 v[91:92], v[97:98], v[93:94], v[91:92]
	s_waitcnt lgkmcnt(0)
	v_fma_f64 v[91:92], v[99:100], v[105:106], v[91:92]
	s_waitcnt vmcnt(2)
	s_delay_alu instid0(VALU_DEP_1)
	v_fma_f64 v[99:100], v[101:102], v[107:108], v[91:92]
	ds_load_2addr_b64 v[91:94], v1 offset0:75 offset1:76
	ds_load_2addr_b64 v[95:98], v1 offset0:77 offset1:78
	s_waitcnt lgkmcnt(1)
	v_fma_f64 v[91:92], v[103:104], v[91:92], v[99:100]
	s_waitcnt vmcnt(1)
	s_delay_alu instid0(VALU_DEP_1) | instskip(SKIP_1) | instid1(VALU_DEP_1)
	v_fma_f64 v[91:92], v[113:114], v[93:94], v[91:92]
	s_waitcnt lgkmcnt(0)
	v_fma_f64 v[91:92], v[115:116], v[95:96], v[91:92]
	s_waitcnt vmcnt(0)
	s_delay_alu instid0(VALU_DEP_1) | instskip(SKIP_3) | instid1(VALU_DEP_1)
	v_fma_f64 v[87:88], v[87:88], v[97:98], v[91:92]
	ds_load_b64 v[91:92], v1 offset:632
	s_waitcnt lgkmcnt(0)
	v_fma_f64 v[87:88], v[89:90], v[91:92], v[87:88]
	v_add_f64 v[85:86], v[85:86], -v[87:88]
	scratch_store_b64 off, v[85:86], off offset:208
	v_cmpx_lt_u32_e32 25, v0
	s_cbranch_execz .LBB103_199
; %bb.198:
	scratch_load_b64 v[85:86], off, off offset:200
	v_mov_b32_e32 v2, v1
	scratch_store_b64 off, v[1:2], off offset:200
	s_waitcnt vmcnt(0)
	ds_store_b64 v3, v[85:86]
.LBB103_199:
	s_or_b32 exec_lo, exec_lo, s0
	s_waitcnt lgkmcnt(0)
	s_waitcnt_vscnt null, 0x0
	s_barrier
	buffer_gl0_inv
	s_clause 0x4
	scratch_load_b128 v[85:88], off, off offset:200
	scratch_load_b128 v[89:92], off, off offset:216
	;; [unrolled: 1-line block ×5, first 2 shown]
	ds_load_b128 v[105:108], v1 offset:528
	ds_load_b128 v[109:112], v1 offset:544
	scratch_load_b128 v[113:116], off, off offset:280
	s_mov_b32 s0, exec_lo
	s_waitcnt vmcnt(5) lgkmcnt(1)
	v_fma_f64 v[87:88], v[87:88], v[105:106], 0
	s_waitcnt vmcnt(4)
	s_delay_alu instid0(VALU_DEP_1) | instskip(SKIP_1) | instid1(VALU_DEP_1)
	v_fma_f64 v[87:88], v[89:90], v[107:108], v[87:88]
	s_waitcnt lgkmcnt(0)
	v_fma_f64 v[91:92], v[91:92], v[109:110], v[87:88]
	scratch_load_b128 v[87:90], off, off offset:296
	s_waitcnt vmcnt(4)
	v_fma_f64 v[109:110], v[93:94], v[111:112], v[91:92]
	ds_load_b128 v[91:94], v1 offset:560
	ds_load_b128 v[105:108], v1 offset:576
	s_waitcnt lgkmcnt(1)
	v_fma_f64 v[91:92], v[95:96], v[91:92], v[109:110]
	scratch_load_b64 v[109:110], off, off offset:312
	s_waitcnt vmcnt(4)
	v_fma_f64 v[91:92], v[97:98], v[93:94], v[91:92]
	s_waitcnt lgkmcnt(0)
	s_delay_alu instid0(VALU_DEP_1) | instskip(SKIP_1) | instid1(VALU_DEP_1)
	v_fma_f64 v[91:92], v[99:100], v[105:106], v[91:92]
	s_waitcnt vmcnt(3)
	v_fma_f64 v[99:100], v[101:102], v[107:108], v[91:92]
	ds_load_b128 v[91:94], v1 offset:592
	ds_load_b128 v[95:98], v1 offset:608
	s_waitcnt lgkmcnt(1)
	v_fma_f64 v[91:92], v[103:104], v[91:92], v[99:100]
	s_waitcnt vmcnt(2)
	s_delay_alu instid0(VALU_DEP_1) | instskip(SKIP_1) | instid1(VALU_DEP_1)
	v_fma_f64 v[91:92], v[113:114], v[93:94], v[91:92]
	s_waitcnt lgkmcnt(0)
	v_fma_f64 v[91:92], v[115:116], v[95:96], v[91:92]
	s_waitcnt vmcnt(1)
	s_delay_alu instid0(VALU_DEP_1) | instskip(SKIP_4) | instid1(VALU_DEP_1)
	v_fma_f64 v[87:88], v[87:88], v[97:98], v[91:92]
	ds_load_b128 v[91:94], v1 offset:624
	s_waitcnt lgkmcnt(0)
	v_fma_f64 v[1:2], v[89:90], v[91:92], v[87:88]
	s_waitcnt vmcnt(0)
	v_fma_f64 v[1:2], v[109:110], v[93:94], v[1:2]
	s_delay_alu instid0(VALU_DEP_1)
	v_add_f64 v[1:2], v[85:86], -v[1:2]
	scratch_store_b64 off, v[1:2], off offset:200
	v_cmpx_lt_u32_e32 24, v0
	s_cbranch_execz .LBB103_201
; %bb.200:
	scratch_load_b64 v[1:2], off, off offset:192
	v_mov_b32_e32 v85, 0
	s_delay_alu instid0(VALU_DEP_1)
	v_mov_b32_e32 v86, v85
	scratch_store_b64 off, v[85:86], off offset:192
	s_waitcnt vmcnt(0)
	ds_store_b64 v3, v[1:2]
.LBB103_201:
	s_or_b32 exec_lo, exec_lo, s0
	s_waitcnt lgkmcnt(0)
	s_waitcnt_vscnt null, 0x0
	s_barrier
	buffer_gl0_inv
	s_clause 0x4
	scratch_load_b128 v[85:88], off, off offset:192
	scratch_load_b128 v[89:92], off, off offset:208
	;; [unrolled: 1-line block ×5, first 2 shown]
	v_mov_b32_e32 v1, 0
	ds_load_2addr_b64 v[105:108], v1 offset0:65 offset1:66
	ds_load_2addr_b64 v[109:112], v1 offset0:67 offset1:68
	scratch_load_b128 v[113:116], off, off offset:272
	s_mov_b32 s0, exec_lo
	s_waitcnt vmcnt(5) lgkmcnt(1)
	v_fma_f64 v[87:88], v[87:88], v[105:106], 0
	s_waitcnt vmcnt(4)
	s_delay_alu instid0(VALU_DEP_1) | instskip(SKIP_1) | instid1(VALU_DEP_1)
	v_fma_f64 v[87:88], v[89:90], v[107:108], v[87:88]
	s_waitcnt lgkmcnt(0)
	v_fma_f64 v[91:92], v[91:92], v[109:110], v[87:88]
	scratch_load_b128 v[87:90], off, off offset:288
	s_waitcnt vmcnt(4)
	v_fma_f64 v[109:110], v[93:94], v[111:112], v[91:92]
	ds_load_2addr_b64 v[91:94], v1 offset0:69 offset1:70
	ds_load_2addr_b64 v[105:108], v1 offset0:71 offset1:72
	s_waitcnt lgkmcnt(1)
	v_fma_f64 v[91:92], v[95:96], v[91:92], v[109:110]
	scratch_load_b128 v[109:112], off, off offset:304
	s_waitcnt vmcnt(4)
	v_fma_f64 v[91:92], v[97:98], v[93:94], v[91:92]
	s_waitcnt lgkmcnt(0)
	s_delay_alu instid0(VALU_DEP_1) | instskip(SKIP_1) | instid1(VALU_DEP_1)
	v_fma_f64 v[91:92], v[99:100], v[105:106], v[91:92]
	s_waitcnt vmcnt(3)
	v_fma_f64 v[99:100], v[101:102], v[107:108], v[91:92]
	ds_load_2addr_b64 v[91:94], v1 offset0:73 offset1:74
	ds_load_2addr_b64 v[95:98], v1 offset0:75 offset1:76
	s_waitcnt lgkmcnt(1)
	v_fma_f64 v[91:92], v[103:104], v[91:92], v[99:100]
	s_waitcnt vmcnt(2)
	s_delay_alu instid0(VALU_DEP_1) | instskip(SKIP_1) | instid1(VALU_DEP_1)
	v_fma_f64 v[91:92], v[113:114], v[93:94], v[91:92]
	s_waitcnt lgkmcnt(0)
	v_fma_f64 v[91:92], v[115:116], v[95:96], v[91:92]
	s_waitcnt vmcnt(1)
	s_delay_alu instid0(VALU_DEP_1)
	v_fma_f64 v[87:88], v[87:88], v[97:98], v[91:92]
	ds_load_2addr_b64 v[91:94], v1 offset0:77 offset1:78
	ds_load_b64 v[95:96], v1 offset:632
	s_waitcnt lgkmcnt(1)
	v_fma_f64 v[87:88], v[89:90], v[91:92], v[87:88]
	s_waitcnt vmcnt(0)
	s_delay_alu instid0(VALU_DEP_1) | instskip(SKIP_1) | instid1(VALU_DEP_1)
	v_fma_f64 v[87:88], v[109:110], v[93:94], v[87:88]
	s_waitcnt lgkmcnt(0)
	v_fma_f64 v[87:88], v[111:112], v[95:96], v[87:88]
	s_delay_alu instid0(VALU_DEP_1)
	v_add_f64 v[85:86], v[85:86], -v[87:88]
	scratch_store_b64 off, v[85:86], off offset:192
	v_cmpx_lt_u32_e32 23, v0
	s_cbranch_execz .LBB103_203
; %bb.202:
	scratch_load_b64 v[85:86], off, off offset:184
	v_mov_b32_e32 v2, v1
	scratch_store_b64 off, v[1:2], off offset:184
	s_waitcnt vmcnt(0)
	ds_store_b64 v3, v[85:86]
.LBB103_203:
	s_or_b32 exec_lo, exec_lo, s0
	s_waitcnt lgkmcnt(0)
	s_waitcnt_vscnt null, 0x0
	s_barrier
	buffer_gl0_inv
	s_clause 0x4
	scratch_load_b128 v[85:88], off, off offset:184
	scratch_load_b128 v[89:92], off, off offset:200
	;; [unrolled: 1-line block ×5, first 2 shown]
	ds_load_b128 v[105:108], v1 offset:512
	ds_load_b128 v[109:112], v1 offset:528
	scratch_load_b128 v[113:116], off, off offset:264
	s_mov_b32 s0, exec_lo
	s_waitcnt vmcnt(5) lgkmcnt(1)
	v_fma_f64 v[87:88], v[87:88], v[105:106], 0
	s_waitcnt vmcnt(4)
	s_delay_alu instid0(VALU_DEP_1) | instskip(SKIP_1) | instid1(VALU_DEP_1)
	v_fma_f64 v[87:88], v[89:90], v[107:108], v[87:88]
	s_waitcnt lgkmcnt(0)
	v_fma_f64 v[91:92], v[91:92], v[109:110], v[87:88]
	scratch_load_b128 v[87:90], off, off offset:280
	s_waitcnt vmcnt(4)
	v_fma_f64 v[109:110], v[93:94], v[111:112], v[91:92]
	ds_load_b128 v[91:94], v1 offset:544
	ds_load_b128 v[105:108], v1 offset:560
	s_waitcnt lgkmcnt(1)
	v_fma_f64 v[91:92], v[95:96], v[91:92], v[109:110]
	scratch_load_b128 v[109:112], off, off offset:296
	s_waitcnt vmcnt(4)
	v_fma_f64 v[91:92], v[97:98], v[93:94], v[91:92]
	s_waitcnt lgkmcnt(0)
	s_delay_alu instid0(VALU_DEP_1)
	v_fma_f64 v[91:92], v[99:100], v[105:106], v[91:92]
	scratch_load_b64 v[99:100], off, off offset:312
	s_waitcnt vmcnt(4)
	v_fma_f64 v[101:102], v[101:102], v[107:108], v[91:92]
	ds_load_b128 v[91:94], v1 offset:576
	ds_load_b128 v[95:98], v1 offset:592
	s_waitcnt lgkmcnt(1)
	v_fma_f64 v[91:92], v[103:104], v[91:92], v[101:102]
	s_waitcnt vmcnt(3)
	s_delay_alu instid0(VALU_DEP_1) | instskip(SKIP_1) | instid1(VALU_DEP_1)
	v_fma_f64 v[91:92], v[113:114], v[93:94], v[91:92]
	s_waitcnt lgkmcnt(0)
	v_fma_f64 v[91:92], v[115:116], v[95:96], v[91:92]
	s_waitcnt vmcnt(2)
	s_delay_alu instid0(VALU_DEP_1)
	v_fma_f64 v[87:88], v[87:88], v[97:98], v[91:92]
	ds_load_b128 v[91:94], v1 offset:608
	ds_load_b128 v[95:98], v1 offset:624
	s_waitcnt lgkmcnt(1)
	v_fma_f64 v[1:2], v[89:90], v[91:92], v[87:88]
	s_waitcnt vmcnt(1)
	s_delay_alu instid0(VALU_DEP_1) | instskip(SKIP_1) | instid1(VALU_DEP_1)
	v_fma_f64 v[1:2], v[109:110], v[93:94], v[1:2]
	s_waitcnt lgkmcnt(0)
	v_fma_f64 v[1:2], v[111:112], v[95:96], v[1:2]
	s_waitcnt vmcnt(0)
	s_delay_alu instid0(VALU_DEP_1) | instskip(NEXT) | instid1(VALU_DEP_1)
	v_fma_f64 v[1:2], v[99:100], v[97:98], v[1:2]
	v_add_f64 v[1:2], v[85:86], -v[1:2]
	scratch_store_b64 off, v[1:2], off offset:184
	v_cmpx_lt_u32_e32 22, v0
	s_cbranch_execz .LBB103_205
; %bb.204:
	scratch_load_b64 v[1:2], off, off offset:176
	v_mov_b32_e32 v85, 0
	s_delay_alu instid0(VALU_DEP_1)
	v_mov_b32_e32 v86, v85
	scratch_store_b64 off, v[85:86], off offset:176
	s_waitcnt vmcnt(0)
	ds_store_b64 v3, v[1:2]
.LBB103_205:
	s_or_b32 exec_lo, exec_lo, s0
	s_waitcnt lgkmcnt(0)
	s_waitcnt_vscnt null, 0x0
	s_barrier
	buffer_gl0_inv
	s_clause 0x4
	scratch_load_b128 v[85:88], off, off offset:176
	scratch_load_b128 v[89:92], off, off offset:192
	;; [unrolled: 1-line block ×5, first 2 shown]
	v_mov_b32_e32 v1, 0
	ds_load_2addr_b64 v[105:108], v1 offset0:63 offset1:64
	ds_load_2addr_b64 v[109:112], v1 offset0:65 offset1:66
	scratch_load_b128 v[113:116], off, off offset:256
	s_mov_b32 s0, exec_lo
	s_waitcnt vmcnt(5) lgkmcnt(1)
	v_fma_f64 v[87:88], v[87:88], v[105:106], 0
	s_waitcnt vmcnt(4)
	s_delay_alu instid0(VALU_DEP_1) | instskip(SKIP_1) | instid1(VALU_DEP_1)
	v_fma_f64 v[87:88], v[89:90], v[107:108], v[87:88]
	s_waitcnt lgkmcnt(0)
	v_fma_f64 v[91:92], v[91:92], v[109:110], v[87:88]
	scratch_load_b128 v[87:90], off, off offset:272
	s_waitcnt vmcnt(4)
	v_fma_f64 v[109:110], v[93:94], v[111:112], v[91:92]
	ds_load_2addr_b64 v[91:94], v1 offset0:67 offset1:68
	ds_load_2addr_b64 v[105:108], v1 offset0:69 offset1:70
	s_waitcnt lgkmcnt(1)
	v_fma_f64 v[91:92], v[95:96], v[91:92], v[109:110]
	scratch_load_b128 v[109:112], off, off offset:288
	s_waitcnt vmcnt(4)
	v_fma_f64 v[91:92], v[97:98], v[93:94], v[91:92]
	s_waitcnt lgkmcnt(0)
	s_delay_alu instid0(VALU_DEP_1)
	v_fma_f64 v[95:96], v[99:100], v[105:106], v[91:92]
	scratch_load_b128 v[91:94], off, off offset:304
	s_waitcnt vmcnt(4)
	v_fma_f64 v[105:106], v[101:102], v[107:108], v[95:96]
	ds_load_2addr_b64 v[95:98], v1 offset0:71 offset1:72
	ds_load_2addr_b64 v[99:102], v1 offset0:73 offset1:74
	s_waitcnt lgkmcnt(1)
	v_fma_f64 v[95:96], v[103:104], v[95:96], v[105:106]
	s_waitcnt vmcnt(3)
	s_delay_alu instid0(VALU_DEP_1) | instskip(SKIP_1) | instid1(VALU_DEP_1)
	v_fma_f64 v[95:96], v[113:114], v[97:98], v[95:96]
	s_waitcnt lgkmcnt(0)
	v_fma_f64 v[95:96], v[115:116], v[99:100], v[95:96]
	s_waitcnt vmcnt(2)
	s_delay_alu instid0(VALU_DEP_1)
	v_fma_f64 v[87:88], v[87:88], v[101:102], v[95:96]
	ds_load_2addr_b64 v[95:98], v1 offset0:75 offset1:76
	ds_load_2addr_b64 v[99:102], v1 offset0:77 offset1:78
	s_waitcnt lgkmcnt(1)
	v_fma_f64 v[87:88], v[89:90], v[95:96], v[87:88]
	ds_load_b64 v[89:90], v1 offset:632
	s_waitcnt vmcnt(1)
	v_fma_f64 v[87:88], v[109:110], v[97:98], v[87:88]
	s_waitcnt lgkmcnt(1)
	s_delay_alu instid0(VALU_DEP_1) | instskip(SKIP_1) | instid1(VALU_DEP_1)
	v_fma_f64 v[87:88], v[111:112], v[99:100], v[87:88]
	s_waitcnt vmcnt(0)
	v_fma_f64 v[87:88], v[91:92], v[101:102], v[87:88]
	s_waitcnt lgkmcnt(0)
	s_delay_alu instid0(VALU_DEP_1) | instskip(NEXT) | instid1(VALU_DEP_1)
	v_fma_f64 v[87:88], v[93:94], v[89:90], v[87:88]
	v_add_f64 v[85:86], v[85:86], -v[87:88]
	scratch_store_b64 off, v[85:86], off offset:176
	v_cmpx_lt_u32_e32 21, v0
	s_cbranch_execz .LBB103_207
; %bb.206:
	scratch_load_b64 v[85:86], off, off offset:168
	v_mov_b32_e32 v2, v1
	scratch_store_b64 off, v[1:2], off offset:168
	s_waitcnt vmcnt(0)
	ds_store_b64 v3, v[85:86]
.LBB103_207:
	s_or_b32 exec_lo, exec_lo, s0
	s_waitcnt lgkmcnt(0)
	s_waitcnt_vscnt null, 0x0
	s_barrier
	buffer_gl0_inv
	s_clause 0x4
	scratch_load_b128 v[85:88], off, off offset:168
	scratch_load_b128 v[89:92], off, off offset:184
	;; [unrolled: 1-line block ×5, first 2 shown]
	ds_load_b128 v[105:108], v1 offset:496
	ds_load_b128 v[109:112], v1 offset:512
	scratch_load_b128 v[113:116], off, off offset:248
	s_mov_b32 s0, exec_lo
	s_waitcnt vmcnt(5) lgkmcnt(1)
	v_fma_f64 v[87:88], v[87:88], v[105:106], 0
	s_waitcnt vmcnt(4)
	s_delay_alu instid0(VALU_DEP_1) | instskip(SKIP_1) | instid1(VALU_DEP_1)
	v_fma_f64 v[87:88], v[89:90], v[107:108], v[87:88]
	s_waitcnt lgkmcnt(0)
	v_fma_f64 v[91:92], v[91:92], v[109:110], v[87:88]
	scratch_load_b128 v[87:90], off, off offset:264
	s_waitcnt vmcnt(4)
	v_fma_f64 v[109:110], v[93:94], v[111:112], v[91:92]
	ds_load_b128 v[91:94], v1 offset:528
	ds_load_b128 v[105:108], v1 offset:544
	s_waitcnt lgkmcnt(1)
	v_fma_f64 v[91:92], v[95:96], v[91:92], v[109:110]
	scratch_load_b128 v[109:112], off, off offset:280
	s_waitcnt vmcnt(4)
	v_fma_f64 v[91:92], v[97:98], v[93:94], v[91:92]
	s_waitcnt lgkmcnt(0)
	s_delay_alu instid0(VALU_DEP_1)
	v_fma_f64 v[95:96], v[99:100], v[105:106], v[91:92]
	scratch_load_b128 v[91:94], off, off offset:296
	s_waitcnt vmcnt(4)
	v_fma_f64 v[105:106], v[101:102], v[107:108], v[95:96]
	ds_load_b128 v[95:98], v1 offset:560
	ds_load_b128 v[99:102], v1 offset:576
	s_waitcnt lgkmcnt(1)
	v_fma_f64 v[95:96], v[103:104], v[95:96], v[105:106]
	scratch_load_b64 v[103:104], off, off offset:312
	s_waitcnt vmcnt(4)
	v_fma_f64 v[95:96], v[113:114], v[97:98], v[95:96]
	s_waitcnt lgkmcnt(0)
	s_delay_alu instid0(VALU_DEP_1) | instskip(SKIP_1) | instid1(VALU_DEP_1)
	v_fma_f64 v[95:96], v[115:116], v[99:100], v[95:96]
	s_waitcnt vmcnt(3)
	v_fma_f64 v[87:88], v[87:88], v[101:102], v[95:96]
	ds_load_b128 v[95:98], v1 offset:592
	ds_load_b128 v[99:102], v1 offset:608
	s_waitcnt lgkmcnt(1)
	v_fma_f64 v[87:88], v[89:90], v[95:96], v[87:88]
	s_waitcnt vmcnt(2)
	s_delay_alu instid0(VALU_DEP_1) | instskip(SKIP_1) | instid1(VALU_DEP_1)
	v_fma_f64 v[87:88], v[109:110], v[97:98], v[87:88]
	s_waitcnt lgkmcnt(0)
	v_fma_f64 v[87:88], v[111:112], v[99:100], v[87:88]
	s_waitcnt vmcnt(1)
	s_delay_alu instid0(VALU_DEP_1) | instskip(SKIP_4) | instid1(VALU_DEP_1)
	v_fma_f64 v[91:92], v[91:92], v[101:102], v[87:88]
	ds_load_b128 v[87:90], v1 offset:624
	s_waitcnt lgkmcnt(0)
	v_fma_f64 v[1:2], v[93:94], v[87:88], v[91:92]
	s_waitcnt vmcnt(0)
	v_fma_f64 v[1:2], v[103:104], v[89:90], v[1:2]
	s_delay_alu instid0(VALU_DEP_1)
	v_add_f64 v[1:2], v[85:86], -v[1:2]
	scratch_store_b64 off, v[1:2], off offset:168
	v_cmpx_lt_u32_e32 20, v0
	s_cbranch_execz .LBB103_209
; %bb.208:
	scratch_load_b64 v[1:2], off, off offset:160
	v_mov_b32_e32 v85, 0
	s_delay_alu instid0(VALU_DEP_1)
	v_mov_b32_e32 v86, v85
	scratch_store_b64 off, v[85:86], off offset:160
	s_waitcnt vmcnt(0)
	ds_store_b64 v3, v[1:2]
.LBB103_209:
	s_or_b32 exec_lo, exec_lo, s0
	s_waitcnt lgkmcnt(0)
	s_waitcnt_vscnt null, 0x0
	s_barrier
	buffer_gl0_inv
	s_clause 0x4
	scratch_load_b128 v[85:88], off, off offset:160
	scratch_load_b128 v[89:92], off, off offset:176
	;; [unrolled: 1-line block ×5, first 2 shown]
	v_mov_b32_e32 v1, 0
	ds_load_2addr_b64 v[105:108], v1 offset0:61 offset1:62
	ds_load_2addr_b64 v[109:112], v1 offset0:63 offset1:64
	scratch_load_b128 v[113:116], off, off offset:240
	s_mov_b32 s0, exec_lo
	s_waitcnt vmcnt(5) lgkmcnt(1)
	v_fma_f64 v[87:88], v[87:88], v[105:106], 0
	s_waitcnt vmcnt(4)
	s_delay_alu instid0(VALU_DEP_1) | instskip(SKIP_1) | instid1(VALU_DEP_1)
	v_fma_f64 v[87:88], v[89:90], v[107:108], v[87:88]
	s_waitcnt lgkmcnt(0)
	v_fma_f64 v[91:92], v[91:92], v[109:110], v[87:88]
	scratch_load_b128 v[87:90], off, off offset:256
	s_waitcnt vmcnt(4)
	v_fma_f64 v[109:110], v[93:94], v[111:112], v[91:92]
	ds_load_2addr_b64 v[91:94], v1 offset0:65 offset1:66
	ds_load_2addr_b64 v[105:108], v1 offset0:67 offset1:68
	s_waitcnt lgkmcnt(1)
	v_fma_f64 v[91:92], v[95:96], v[91:92], v[109:110]
	scratch_load_b128 v[109:112], off, off offset:272
	s_waitcnt vmcnt(4)
	v_fma_f64 v[91:92], v[97:98], v[93:94], v[91:92]
	s_waitcnt lgkmcnt(0)
	s_delay_alu instid0(VALU_DEP_1)
	v_fma_f64 v[95:96], v[99:100], v[105:106], v[91:92]
	scratch_load_b128 v[91:94], off, off offset:288
	s_waitcnt vmcnt(4)
	v_fma_f64 v[105:106], v[101:102], v[107:108], v[95:96]
	ds_load_2addr_b64 v[95:98], v1 offset0:69 offset1:70
	ds_load_2addr_b64 v[99:102], v1 offset0:71 offset1:72
	s_waitcnt lgkmcnt(1)
	v_fma_f64 v[95:96], v[103:104], v[95:96], v[105:106]
	scratch_load_b128 v[103:106], off, off offset:304
	s_waitcnt vmcnt(4)
	v_fma_f64 v[95:96], v[113:114], v[97:98], v[95:96]
	s_waitcnt lgkmcnt(0)
	s_delay_alu instid0(VALU_DEP_1) | instskip(SKIP_1) | instid1(VALU_DEP_1)
	v_fma_f64 v[95:96], v[115:116], v[99:100], v[95:96]
	s_waitcnt vmcnt(3)
	v_fma_f64 v[87:88], v[87:88], v[101:102], v[95:96]
	ds_load_2addr_b64 v[95:98], v1 offset0:73 offset1:74
	ds_load_2addr_b64 v[99:102], v1 offset0:75 offset1:76
	s_waitcnt lgkmcnt(1)
	v_fma_f64 v[87:88], v[89:90], v[95:96], v[87:88]
	s_waitcnt vmcnt(2)
	s_delay_alu instid0(VALU_DEP_1) | instskip(SKIP_1) | instid1(VALU_DEP_1)
	v_fma_f64 v[87:88], v[109:110], v[97:98], v[87:88]
	s_waitcnt lgkmcnt(0)
	v_fma_f64 v[87:88], v[111:112], v[99:100], v[87:88]
	s_waitcnt vmcnt(1)
	s_delay_alu instid0(VALU_DEP_1)
	v_fma_f64 v[91:92], v[91:92], v[101:102], v[87:88]
	ds_load_2addr_b64 v[87:90], v1 offset0:77 offset1:78
	ds_load_b64 v[95:96], v1 offset:632
	s_waitcnt lgkmcnt(1)
	v_fma_f64 v[87:88], v[93:94], v[87:88], v[91:92]
	s_waitcnt vmcnt(0)
	s_delay_alu instid0(VALU_DEP_1) | instskip(SKIP_1) | instid1(VALU_DEP_1)
	v_fma_f64 v[87:88], v[103:104], v[89:90], v[87:88]
	s_waitcnt lgkmcnt(0)
	v_fma_f64 v[87:88], v[105:106], v[95:96], v[87:88]
	s_delay_alu instid0(VALU_DEP_1)
	v_add_f64 v[85:86], v[85:86], -v[87:88]
	scratch_store_b64 off, v[85:86], off offset:160
	v_cmpx_lt_u32_e32 19, v0
	s_cbranch_execz .LBB103_211
; %bb.210:
	scratch_load_b64 v[85:86], off, off offset:152
	v_mov_b32_e32 v2, v1
	scratch_store_b64 off, v[1:2], off offset:152
	s_waitcnt vmcnt(0)
	ds_store_b64 v3, v[85:86]
.LBB103_211:
	s_or_b32 exec_lo, exec_lo, s0
	s_waitcnt lgkmcnt(0)
	s_waitcnt_vscnt null, 0x0
	s_barrier
	buffer_gl0_inv
	s_clause 0x4
	scratch_load_b128 v[85:88], off, off offset:152
	scratch_load_b128 v[89:92], off, off offset:168
	;; [unrolled: 1-line block ×5, first 2 shown]
	ds_load_b128 v[105:108], v1 offset:480
	ds_load_b128 v[109:112], v1 offset:496
	scratch_load_b128 v[113:116], off, off offset:232
	s_mov_b32 s0, exec_lo
	s_waitcnt vmcnt(5) lgkmcnt(1)
	v_fma_f64 v[87:88], v[87:88], v[105:106], 0
	s_waitcnt vmcnt(4)
	s_delay_alu instid0(VALU_DEP_1) | instskip(SKIP_1) | instid1(VALU_DEP_1)
	v_fma_f64 v[87:88], v[89:90], v[107:108], v[87:88]
	s_waitcnt lgkmcnt(0)
	v_fma_f64 v[91:92], v[91:92], v[109:110], v[87:88]
	scratch_load_b128 v[87:90], off, off offset:248
	s_waitcnt vmcnt(4)
	v_fma_f64 v[109:110], v[93:94], v[111:112], v[91:92]
	ds_load_b128 v[91:94], v1 offset:512
	ds_load_b128 v[105:108], v1 offset:528
	s_waitcnt lgkmcnt(1)
	v_fma_f64 v[91:92], v[95:96], v[91:92], v[109:110]
	scratch_load_b128 v[109:112], off, off offset:264
	s_waitcnt vmcnt(4)
	v_fma_f64 v[91:92], v[97:98], v[93:94], v[91:92]
	s_waitcnt lgkmcnt(0)
	s_delay_alu instid0(VALU_DEP_1)
	v_fma_f64 v[95:96], v[99:100], v[105:106], v[91:92]
	scratch_load_b128 v[91:94], off, off offset:280
	s_waitcnt vmcnt(4)
	v_fma_f64 v[105:106], v[101:102], v[107:108], v[95:96]
	ds_load_b128 v[95:98], v1 offset:544
	ds_load_b128 v[99:102], v1 offset:560
	scratch_load_b64 v[107:108], off, off offset:312
	s_waitcnt lgkmcnt(1)
	v_fma_f64 v[95:96], v[103:104], v[95:96], v[105:106]
	scratch_load_b128 v[103:106], off, off offset:296
	s_waitcnt vmcnt(5)
	v_fma_f64 v[95:96], v[113:114], v[97:98], v[95:96]
	s_waitcnt lgkmcnt(0)
	s_delay_alu instid0(VALU_DEP_1) | instskip(SKIP_1) | instid1(VALU_DEP_1)
	v_fma_f64 v[95:96], v[115:116], v[99:100], v[95:96]
	s_waitcnt vmcnt(4)
	v_fma_f64 v[87:88], v[87:88], v[101:102], v[95:96]
	ds_load_b128 v[95:98], v1 offset:576
	ds_load_b128 v[99:102], v1 offset:592
	s_waitcnt lgkmcnt(1)
	v_fma_f64 v[87:88], v[89:90], v[95:96], v[87:88]
	s_waitcnt vmcnt(3)
	s_delay_alu instid0(VALU_DEP_1) | instskip(SKIP_1) | instid1(VALU_DEP_1)
	v_fma_f64 v[87:88], v[109:110], v[97:98], v[87:88]
	s_waitcnt lgkmcnt(0)
	v_fma_f64 v[87:88], v[111:112], v[99:100], v[87:88]
	s_waitcnt vmcnt(2)
	s_delay_alu instid0(VALU_DEP_1)
	v_fma_f64 v[91:92], v[91:92], v[101:102], v[87:88]
	ds_load_b128 v[87:90], v1 offset:608
	ds_load_b128 v[95:98], v1 offset:624
	s_waitcnt lgkmcnt(1)
	v_fma_f64 v[1:2], v[93:94], v[87:88], v[91:92]
	s_waitcnt vmcnt(0)
	s_delay_alu instid0(VALU_DEP_1) | instskip(SKIP_1) | instid1(VALU_DEP_1)
	v_fma_f64 v[1:2], v[103:104], v[89:90], v[1:2]
	s_waitcnt lgkmcnt(0)
	v_fma_f64 v[1:2], v[105:106], v[95:96], v[1:2]
	s_delay_alu instid0(VALU_DEP_1) | instskip(NEXT) | instid1(VALU_DEP_1)
	v_fma_f64 v[1:2], v[107:108], v[97:98], v[1:2]
	v_add_f64 v[1:2], v[85:86], -v[1:2]
	scratch_store_b64 off, v[1:2], off offset:152
	v_cmpx_lt_u32_e32 18, v0
	s_cbranch_execz .LBB103_213
; %bb.212:
	scratch_load_b64 v[1:2], off, off offset:144
	v_mov_b32_e32 v85, 0
	s_delay_alu instid0(VALU_DEP_1)
	v_mov_b32_e32 v86, v85
	scratch_store_b64 off, v[85:86], off offset:144
	s_waitcnt vmcnt(0)
	ds_store_b64 v3, v[1:2]
.LBB103_213:
	s_or_b32 exec_lo, exec_lo, s0
	s_waitcnt lgkmcnt(0)
	s_waitcnt_vscnt null, 0x0
	s_barrier
	buffer_gl0_inv
	s_clause 0x4
	scratch_load_b128 v[85:88], off, off offset:144
	scratch_load_b128 v[89:92], off, off offset:160
	;; [unrolled: 1-line block ×5, first 2 shown]
	v_mov_b32_e32 v1, 0
	ds_load_2addr_b64 v[105:108], v1 offset0:59 offset1:60
	ds_load_2addr_b64 v[109:112], v1 offset0:61 offset1:62
	scratch_load_b128 v[113:116], off, off offset:224
	s_mov_b32 s0, exec_lo
	s_waitcnt vmcnt(5) lgkmcnt(1)
	v_fma_f64 v[87:88], v[87:88], v[105:106], 0
	s_waitcnt vmcnt(4)
	s_delay_alu instid0(VALU_DEP_1) | instskip(SKIP_1) | instid1(VALU_DEP_1)
	v_fma_f64 v[87:88], v[89:90], v[107:108], v[87:88]
	s_waitcnt lgkmcnt(0)
	v_fma_f64 v[91:92], v[91:92], v[109:110], v[87:88]
	scratch_load_b128 v[87:90], off, off offset:240
	s_waitcnt vmcnt(4)
	v_fma_f64 v[109:110], v[93:94], v[111:112], v[91:92]
	ds_load_2addr_b64 v[91:94], v1 offset0:63 offset1:64
	ds_load_2addr_b64 v[105:108], v1 offset0:65 offset1:66
	s_waitcnt lgkmcnt(1)
	v_fma_f64 v[91:92], v[95:96], v[91:92], v[109:110]
	scratch_load_b128 v[109:112], off, off offset:256
	s_waitcnt vmcnt(4)
	v_fma_f64 v[91:92], v[97:98], v[93:94], v[91:92]
	s_waitcnt lgkmcnt(0)
	s_delay_alu instid0(VALU_DEP_1)
	v_fma_f64 v[95:96], v[99:100], v[105:106], v[91:92]
	scratch_load_b128 v[91:94], off, off offset:272
	s_waitcnt vmcnt(4)
	v_fma_f64 v[105:106], v[101:102], v[107:108], v[95:96]
	ds_load_2addr_b64 v[95:98], v1 offset0:67 offset1:68
	ds_load_2addr_b64 v[99:102], v1 offset0:69 offset1:70
	s_waitcnt lgkmcnt(1)
	v_fma_f64 v[95:96], v[103:104], v[95:96], v[105:106]
	scratch_load_b128 v[103:106], off, off offset:288
	s_waitcnt vmcnt(4)
	v_fma_f64 v[95:96], v[113:114], v[97:98], v[95:96]
	s_waitcnt lgkmcnt(0)
	s_delay_alu instid0(VALU_DEP_1)
	v_fma_f64 v[99:100], v[115:116], v[99:100], v[95:96]
	scratch_load_b128 v[95:98], off, off offset:304
	s_waitcnt vmcnt(4)
	v_fma_f64 v[87:88], v[87:88], v[101:102], v[99:100]
	ds_load_2addr_b64 v[99:102], v1 offset0:71 offset1:72
	ds_load_2addr_b64 v[113:116], v1 offset0:73 offset1:74
	s_waitcnt lgkmcnt(1)
	v_fma_f64 v[87:88], v[89:90], v[99:100], v[87:88]
	s_waitcnt vmcnt(3)
	s_delay_alu instid0(VALU_DEP_1) | instskip(SKIP_1) | instid1(VALU_DEP_1)
	v_fma_f64 v[87:88], v[109:110], v[101:102], v[87:88]
	s_waitcnt lgkmcnt(0)
	v_fma_f64 v[87:88], v[111:112], v[113:114], v[87:88]
	s_waitcnt vmcnt(2)
	s_delay_alu instid0(VALU_DEP_1)
	v_fma_f64 v[91:92], v[91:92], v[115:116], v[87:88]
	ds_load_2addr_b64 v[87:90], v1 offset0:75 offset1:76
	ds_load_2addr_b64 v[99:102], v1 offset0:77 offset1:78
	s_waitcnt lgkmcnt(1)
	v_fma_f64 v[87:88], v[93:94], v[87:88], v[91:92]
	s_waitcnt vmcnt(1)
	s_delay_alu instid0(VALU_DEP_1) | instskip(SKIP_4) | instid1(VALU_DEP_1)
	v_fma_f64 v[87:88], v[103:104], v[89:90], v[87:88]
	ds_load_b64 v[89:90], v1 offset:632
	s_waitcnt lgkmcnt(1)
	v_fma_f64 v[87:88], v[105:106], v[99:100], v[87:88]
	s_waitcnt vmcnt(0)
	v_fma_f64 v[87:88], v[95:96], v[101:102], v[87:88]
	s_waitcnt lgkmcnt(0)
	s_delay_alu instid0(VALU_DEP_1) | instskip(NEXT) | instid1(VALU_DEP_1)
	v_fma_f64 v[87:88], v[97:98], v[89:90], v[87:88]
	v_add_f64 v[85:86], v[85:86], -v[87:88]
	scratch_store_b64 off, v[85:86], off offset:144
	v_cmpx_lt_u32_e32 17, v0
	s_cbranch_execz .LBB103_215
; %bb.214:
	scratch_load_b64 v[85:86], off, off offset:136
	v_mov_b32_e32 v2, v1
	scratch_store_b64 off, v[1:2], off offset:136
	s_waitcnt vmcnt(0)
	ds_store_b64 v3, v[85:86]
.LBB103_215:
	s_or_b32 exec_lo, exec_lo, s0
	s_waitcnt lgkmcnt(0)
	s_waitcnt_vscnt null, 0x0
	s_barrier
	buffer_gl0_inv
	s_clause 0x4
	scratch_load_b128 v[85:88], off, off offset:136
	scratch_load_b128 v[89:92], off, off offset:152
	;; [unrolled: 1-line block ×5, first 2 shown]
	ds_load_b128 v[105:108], v1 offset:464
	ds_load_b128 v[109:112], v1 offset:480
	scratch_load_b128 v[113:116], off, off offset:216
	s_mov_b32 s0, exec_lo
	s_waitcnt vmcnt(5) lgkmcnt(1)
	v_fma_f64 v[87:88], v[87:88], v[105:106], 0
	s_waitcnt vmcnt(4)
	s_delay_alu instid0(VALU_DEP_1) | instskip(SKIP_1) | instid1(VALU_DEP_1)
	v_fma_f64 v[87:88], v[89:90], v[107:108], v[87:88]
	s_waitcnt lgkmcnt(0)
	v_fma_f64 v[91:92], v[91:92], v[109:110], v[87:88]
	scratch_load_b128 v[87:90], off, off offset:232
	s_waitcnt vmcnt(4)
	v_fma_f64 v[109:110], v[93:94], v[111:112], v[91:92]
	ds_load_b128 v[91:94], v1 offset:496
	ds_load_b128 v[105:108], v1 offset:512
	s_waitcnt lgkmcnt(1)
	v_fma_f64 v[91:92], v[95:96], v[91:92], v[109:110]
	scratch_load_b128 v[109:112], off, off offset:248
	s_waitcnt vmcnt(4)
	v_fma_f64 v[91:92], v[97:98], v[93:94], v[91:92]
	s_waitcnt lgkmcnt(0)
	s_delay_alu instid0(VALU_DEP_1)
	v_fma_f64 v[95:96], v[99:100], v[105:106], v[91:92]
	scratch_load_b128 v[91:94], off, off offset:264
	s_waitcnt vmcnt(4)
	v_fma_f64 v[105:106], v[101:102], v[107:108], v[95:96]
	ds_load_b128 v[95:98], v1 offset:528
	ds_load_b128 v[99:102], v1 offset:544
	s_waitcnt lgkmcnt(1)
	v_fma_f64 v[95:96], v[103:104], v[95:96], v[105:106]
	scratch_load_b128 v[103:106], off, off offset:280
	s_waitcnt vmcnt(4)
	v_fma_f64 v[95:96], v[113:114], v[97:98], v[95:96]
	s_waitcnt lgkmcnt(0)
	s_delay_alu instid0(VALU_DEP_1)
	v_fma_f64 v[99:100], v[115:116], v[99:100], v[95:96]
	scratch_load_b128 v[95:98], off, off offset:296
	s_waitcnt vmcnt(4)
	v_fma_f64 v[87:88], v[87:88], v[101:102], v[99:100]
	ds_load_b128 v[99:102], v1 offset:560
	ds_load_b128 v[113:116], v1 offset:576
	scratch_load_b64 v[107:108], off, off offset:312
	s_waitcnt lgkmcnt(1)
	v_fma_f64 v[87:88], v[89:90], v[99:100], v[87:88]
	s_waitcnt vmcnt(4)
	s_delay_alu instid0(VALU_DEP_1) | instskip(SKIP_1) | instid1(VALU_DEP_1)
	v_fma_f64 v[87:88], v[109:110], v[101:102], v[87:88]
	s_waitcnt lgkmcnt(0)
	v_fma_f64 v[87:88], v[111:112], v[113:114], v[87:88]
	s_waitcnt vmcnt(3)
	s_delay_alu instid0(VALU_DEP_1)
	v_fma_f64 v[91:92], v[91:92], v[115:116], v[87:88]
	ds_load_b128 v[87:90], v1 offset:592
	ds_load_b128 v[99:102], v1 offset:608
	s_waitcnt lgkmcnt(1)
	v_fma_f64 v[87:88], v[93:94], v[87:88], v[91:92]
	s_waitcnt vmcnt(2)
	s_delay_alu instid0(VALU_DEP_1) | instskip(SKIP_1) | instid1(VALU_DEP_1)
	v_fma_f64 v[87:88], v[103:104], v[89:90], v[87:88]
	s_waitcnt lgkmcnt(0)
	v_fma_f64 v[87:88], v[105:106], v[99:100], v[87:88]
	s_waitcnt vmcnt(1)
	s_delay_alu instid0(VALU_DEP_1) | instskip(SKIP_4) | instid1(VALU_DEP_1)
	v_fma_f64 v[91:92], v[95:96], v[101:102], v[87:88]
	ds_load_b128 v[87:90], v1 offset:624
	s_waitcnt lgkmcnt(0)
	v_fma_f64 v[1:2], v[97:98], v[87:88], v[91:92]
	s_waitcnt vmcnt(0)
	v_fma_f64 v[1:2], v[107:108], v[89:90], v[1:2]
	s_delay_alu instid0(VALU_DEP_1)
	v_add_f64 v[1:2], v[85:86], -v[1:2]
	scratch_store_b64 off, v[1:2], off offset:136
	v_cmpx_lt_u32_e32 16, v0
	s_cbranch_execz .LBB103_217
; %bb.216:
	scratch_load_b64 v[1:2], off, off offset:128
	v_mov_b32_e32 v85, 0
	s_delay_alu instid0(VALU_DEP_1)
	v_mov_b32_e32 v86, v85
	scratch_store_b64 off, v[85:86], off offset:128
	s_waitcnt vmcnt(0)
	ds_store_b64 v3, v[1:2]
.LBB103_217:
	s_or_b32 exec_lo, exec_lo, s0
	s_waitcnt lgkmcnt(0)
	s_waitcnt_vscnt null, 0x0
	s_barrier
	buffer_gl0_inv
	s_clause 0x4
	scratch_load_b128 v[85:88], off, off offset:128
	scratch_load_b128 v[89:92], off, off offset:144
	;; [unrolled: 1-line block ×5, first 2 shown]
	v_mov_b32_e32 v1, 0
	ds_load_2addr_b64 v[105:108], v1 offset0:57 offset1:58
	ds_load_2addr_b64 v[109:112], v1 offset0:59 offset1:60
	scratch_load_b128 v[113:116], off, off offset:208
	s_mov_b32 s0, exec_lo
	s_waitcnt vmcnt(5) lgkmcnt(1)
	v_fma_f64 v[87:88], v[87:88], v[105:106], 0
	s_waitcnt vmcnt(4)
	s_delay_alu instid0(VALU_DEP_1) | instskip(SKIP_1) | instid1(VALU_DEP_1)
	v_fma_f64 v[87:88], v[89:90], v[107:108], v[87:88]
	s_waitcnt lgkmcnt(0)
	v_fma_f64 v[91:92], v[91:92], v[109:110], v[87:88]
	scratch_load_b128 v[87:90], off, off offset:224
	s_waitcnt vmcnt(4)
	v_fma_f64 v[109:110], v[93:94], v[111:112], v[91:92]
	ds_load_2addr_b64 v[91:94], v1 offset0:61 offset1:62
	ds_load_2addr_b64 v[105:108], v1 offset0:63 offset1:64
	s_waitcnt lgkmcnt(1)
	v_fma_f64 v[91:92], v[95:96], v[91:92], v[109:110]
	scratch_load_b128 v[109:112], off, off offset:240
	s_waitcnt vmcnt(4)
	v_fma_f64 v[91:92], v[97:98], v[93:94], v[91:92]
	s_waitcnt lgkmcnt(0)
	s_delay_alu instid0(VALU_DEP_1)
	v_fma_f64 v[95:96], v[99:100], v[105:106], v[91:92]
	scratch_load_b128 v[91:94], off, off offset:256
	s_waitcnt vmcnt(4)
	v_fma_f64 v[105:106], v[101:102], v[107:108], v[95:96]
	ds_load_2addr_b64 v[95:98], v1 offset0:65 offset1:66
	ds_load_2addr_b64 v[99:102], v1 offset0:67 offset1:68
	s_waitcnt lgkmcnt(1)
	v_fma_f64 v[95:96], v[103:104], v[95:96], v[105:106]
	scratch_load_b128 v[103:106], off, off offset:272
	s_waitcnt vmcnt(4)
	v_fma_f64 v[95:96], v[113:114], v[97:98], v[95:96]
	s_waitcnt lgkmcnt(0)
	s_delay_alu instid0(VALU_DEP_1)
	v_fma_f64 v[99:100], v[115:116], v[99:100], v[95:96]
	scratch_load_b128 v[95:98], off, off offset:288
	s_waitcnt vmcnt(4)
	v_fma_f64 v[87:88], v[87:88], v[101:102], v[99:100]
	ds_load_2addr_b64 v[99:102], v1 offset0:69 offset1:70
	ds_load_2addr_b64 v[113:116], v1 offset0:71 offset1:72
	s_waitcnt lgkmcnt(1)
	v_fma_f64 v[99:100], v[89:90], v[99:100], v[87:88]
	scratch_load_b128 v[87:90], off, off offset:304
	s_waitcnt vmcnt(4)
	v_fma_f64 v[99:100], v[109:110], v[101:102], v[99:100]
	s_waitcnt lgkmcnt(0)
	s_delay_alu instid0(VALU_DEP_1) | instskip(SKIP_1) | instid1(VALU_DEP_1)
	v_fma_f64 v[99:100], v[111:112], v[113:114], v[99:100]
	s_waitcnt vmcnt(3)
	v_fma_f64 v[91:92], v[91:92], v[115:116], v[99:100]
	ds_load_2addr_b64 v[99:102], v1 offset0:73 offset1:74
	ds_load_2addr_b64 v[107:110], v1 offset0:75 offset1:76
	s_waitcnt lgkmcnt(1)
	v_fma_f64 v[91:92], v[93:94], v[99:100], v[91:92]
	s_waitcnt vmcnt(2)
	s_delay_alu instid0(VALU_DEP_1) | instskip(SKIP_1) | instid1(VALU_DEP_1)
	v_fma_f64 v[91:92], v[103:104], v[101:102], v[91:92]
	s_waitcnt lgkmcnt(0)
	v_fma_f64 v[91:92], v[105:106], v[107:108], v[91:92]
	s_waitcnt vmcnt(1)
	s_delay_alu instid0(VALU_DEP_1)
	v_fma_f64 v[95:96], v[95:96], v[109:110], v[91:92]
	ds_load_2addr_b64 v[91:94], v1 offset0:77 offset1:78
	ds_load_b64 v[99:100], v1 offset:632
	s_waitcnt lgkmcnt(1)
	v_fma_f64 v[91:92], v[97:98], v[91:92], v[95:96]
	s_waitcnt vmcnt(0)
	s_delay_alu instid0(VALU_DEP_1) | instskip(SKIP_1) | instid1(VALU_DEP_1)
	v_fma_f64 v[87:88], v[87:88], v[93:94], v[91:92]
	s_waitcnt lgkmcnt(0)
	v_fma_f64 v[87:88], v[89:90], v[99:100], v[87:88]
	s_delay_alu instid0(VALU_DEP_1)
	v_add_f64 v[85:86], v[85:86], -v[87:88]
	scratch_store_b64 off, v[85:86], off offset:128
	v_cmpx_lt_u32_e32 15, v0
	s_cbranch_execz .LBB103_219
; %bb.218:
	scratch_load_b64 v[85:86], off, off offset:120
	v_mov_b32_e32 v2, v1
	scratch_store_b64 off, v[1:2], off offset:120
	s_waitcnt vmcnt(0)
	ds_store_b64 v3, v[85:86]
.LBB103_219:
	s_or_b32 exec_lo, exec_lo, s0
	s_waitcnt lgkmcnt(0)
	s_waitcnt_vscnt null, 0x0
	s_barrier
	buffer_gl0_inv
	s_clause 0x4
	scratch_load_b128 v[85:88], off, off offset:120
	scratch_load_b128 v[89:92], off, off offset:136
	scratch_load_b128 v[93:96], off, off offset:152
	scratch_load_b128 v[97:100], off, off offset:168
	scratch_load_b128 v[101:104], off, off offset:184
	ds_load_b128 v[105:108], v1 offset:448
	ds_load_b128 v[109:112], v1 offset:464
	scratch_load_b128 v[113:116], off, off offset:200
	s_mov_b32 s0, exec_lo
	s_waitcnt vmcnt(5) lgkmcnt(1)
	v_fma_f64 v[87:88], v[87:88], v[105:106], 0
	s_waitcnt vmcnt(4)
	s_delay_alu instid0(VALU_DEP_1) | instskip(SKIP_1) | instid1(VALU_DEP_1)
	v_fma_f64 v[87:88], v[89:90], v[107:108], v[87:88]
	s_waitcnt lgkmcnt(0)
	v_fma_f64 v[91:92], v[91:92], v[109:110], v[87:88]
	scratch_load_b128 v[87:90], off, off offset:216
	s_waitcnt vmcnt(4)
	v_fma_f64 v[109:110], v[93:94], v[111:112], v[91:92]
	ds_load_b128 v[91:94], v1 offset:480
	ds_load_b128 v[105:108], v1 offset:496
	s_waitcnt lgkmcnt(1)
	v_fma_f64 v[91:92], v[95:96], v[91:92], v[109:110]
	scratch_load_b128 v[109:112], off, off offset:232
	s_waitcnt vmcnt(4)
	v_fma_f64 v[91:92], v[97:98], v[93:94], v[91:92]
	s_waitcnt lgkmcnt(0)
	s_delay_alu instid0(VALU_DEP_1)
	v_fma_f64 v[95:96], v[99:100], v[105:106], v[91:92]
	scratch_load_b128 v[91:94], off, off offset:248
	s_waitcnt vmcnt(4)
	v_fma_f64 v[105:106], v[101:102], v[107:108], v[95:96]
	ds_load_b128 v[95:98], v1 offset:512
	ds_load_b128 v[99:102], v1 offset:528
	s_waitcnt lgkmcnt(1)
	v_fma_f64 v[95:96], v[103:104], v[95:96], v[105:106]
	scratch_load_b128 v[103:106], off, off offset:264
	s_waitcnt vmcnt(4)
	v_fma_f64 v[95:96], v[113:114], v[97:98], v[95:96]
	s_waitcnt lgkmcnt(0)
	s_delay_alu instid0(VALU_DEP_1)
	;; [unrolled: 13-line block ×3, first 2 shown]
	v_fma_f64 v[99:100], v[111:112], v[113:114], v[99:100]
	scratch_load_b64 v[111:112], off, off offset:312
	s_waitcnt vmcnt(4)
	v_fma_f64 v[91:92], v[91:92], v[115:116], v[99:100]
	ds_load_b128 v[99:102], v1 offset:576
	ds_load_b128 v[107:110], v1 offset:592
	s_waitcnt lgkmcnt(1)
	v_fma_f64 v[91:92], v[93:94], v[99:100], v[91:92]
	s_waitcnt vmcnt(3)
	s_delay_alu instid0(VALU_DEP_1) | instskip(SKIP_1) | instid1(VALU_DEP_1)
	v_fma_f64 v[91:92], v[103:104], v[101:102], v[91:92]
	s_waitcnt lgkmcnt(0)
	v_fma_f64 v[91:92], v[105:106], v[107:108], v[91:92]
	s_waitcnt vmcnt(2)
	s_delay_alu instid0(VALU_DEP_1)
	v_fma_f64 v[95:96], v[95:96], v[109:110], v[91:92]
	ds_load_b128 v[91:94], v1 offset:608
	ds_load_b128 v[99:102], v1 offset:624
	s_waitcnt lgkmcnt(1)
	v_fma_f64 v[1:2], v[97:98], v[91:92], v[95:96]
	s_waitcnt vmcnt(1)
	s_delay_alu instid0(VALU_DEP_1) | instskip(SKIP_1) | instid1(VALU_DEP_1)
	v_fma_f64 v[1:2], v[87:88], v[93:94], v[1:2]
	s_waitcnt lgkmcnt(0)
	v_fma_f64 v[1:2], v[89:90], v[99:100], v[1:2]
	s_waitcnt vmcnt(0)
	s_delay_alu instid0(VALU_DEP_1) | instskip(NEXT) | instid1(VALU_DEP_1)
	v_fma_f64 v[1:2], v[111:112], v[101:102], v[1:2]
	v_add_f64 v[1:2], v[85:86], -v[1:2]
	scratch_store_b64 off, v[1:2], off offset:120
	v_cmpx_lt_u32_e32 14, v0
	s_cbranch_execz .LBB103_221
; %bb.220:
	scratch_load_b64 v[1:2], off, off offset:112
	v_mov_b32_e32 v85, 0
	s_delay_alu instid0(VALU_DEP_1)
	v_mov_b32_e32 v86, v85
	scratch_store_b64 off, v[85:86], off offset:112
	s_waitcnt vmcnt(0)
	ds_store_b64 v3, v[1:2]
.LBB103_221:
	s_or_b32 exec_lo, exec_lo, s0
	s_waitcnt lgkmcnt(0)
	s_waitcnt_vscnt null, 0x0
	s_barrier
	buffer_gl0_inv
	s_clause 0x4
	scratch_load_b128 v[85:88], off, off offset:112
	scratch_load_b128 v[89:92], off, off offset:128
	;; [unrolled: 1-line block ×5, first 2 shown]
	v_mov_b32_e32 v1, 0
	ds_load_2addr_b64 v[105:108], v1 offset0:55 offset1:56
	ds_load_2addr_b64 v[109:112], v1 offset0:57 offset1:58
	scratch_load_b128 v[113:116], off, off offset:192
	s_mov_b32 s0, exec_lo
	s_waitcnt vmcnt(5) lgkmcnt(1)
	v_fma_f64 v[87:88], v[87:88], v[105:106], 0
	s_waitcnt vmcnt(4)
	s_delay_alu instid0(VALU_DEP_1) | instskip(SKIP_1) | instid1(VALU_DEP_1)
	v_fma_f64 v[87:88], v[89:90], v[107:108], v[87:88]
	s_waitcnt lgkmcnt(0)
	v_fma_f64 v[91:92], v[91:92], v[109:110], v[87:88]
	scratch_load_b128 v[87:90], off, off offset:208
	s_waitcnt vmcnt(4)
	v_fma_f64 v[109:110], v[93:94], v[111:112], v[91:92]
	ds_load_2addr_b64 v[91:94], v1 offset0:59 offset1:60
	ds_load_2addr_b64 v[105:108], v1 offset0:61 offset1:62
	s_waitcnt lgkmcnt(1)
	v_fma_f64 v[91:92], v[95:96], v[91:92], v[109:110]
	scratch_load_b128 v[109:112], off, off offset:224
	s_waitcnt vmcnt(4)
	v_fma_f64 v[91:92], v[97:98], v[93:94], v[91:92]
	s_waitcnt lgkmcnt(0)
	s_delay_alu instid0(VALU_DEP_1)
	v_fma_f64 v[95:96], v[99:100], v[105:106], v[91:92]
	scratch_load_b128 v[91:94], off, off offset:240
	s_waitcnt vmcnt(4)
	v_fma_f64 v[105:106], v[101:102], v[107:108], v[95:96]
	ds_load_2addr_b64 v[95:98], v1 offset0:63 offset1:64
	ds_load_2addr_b64 v[99:102], v1 offset0:65 offset1:66
	s_waitcnt lgkmcnt(1)
	v_fma_f64 v[95:96], v[103:104], v[95:96], v[105:106]
	scratch_load_b128 v[103:106], off, off offset:256
	s_waitcnt vmcnt(4)
	v_fma_f64 v[95:96], v[113:114], v[97:98], v[95:96]
	s_waitcnt lgkmcnt(0)
	s_delay_alu instid0(VALU_DEP_1)
	;; [unrolled: 13-line block ×3, first 2 shown]
	v_fma_f64 v[107:108], v[111:112], v[113:114], v[99:100]
	scratch_load_b128 v[99:102], off, off offset:304
	s_waitcnt vmcnt(4)
	v_fma_f64 v[91:92], v[91:92], v[115:116], v[107:108]
	ds_load_2addr_b64 v[107:110], v1 offset0:71 offset1:72
	ds_load_2addr_b64 v[111:114], v1 offset0:73 offset1:74
	s_waitcnt lgkmcnt(1)
	v_fma_f64 v[91:92], v[93:94], v[107:108], v[91:92]
	s_waitcnt vmcnt(3)
	s_delay_alu instid0(VALU_DEP_1) | instskip(SKIP_1) | instid1(VALU_DEP_1)
	v_fma_f64 v[91:92], v[103:104], v[109:110], v[91:92]
	s_waitcnt lgkmcnt(0)
	v_fma_f64 v[91:92], v[105:106], v[111:112], v[91:92]
	s_waitcnt vmcnt(2)
	s_delay_alu instid0(VALU_DEP_1)
	v_fma_f64 v[95:96], v[95:96], v[113:114], v[91:92]
	ds_load_2addr_b64 v[91:94], v1 offset0:75 offset1:76
	ds_load_2addr_b64 v[103:106], v1 offset0:77 offset1:78
	s_waitcnt lgkmcnt(1)
	v_fma_f64 v[91:92], v[97:98], v[91:92], v[95:96]
	s_waitcnt vmcnt(1)
	s_delay_alu instid0(VALU_DEP_1) | instskip(SKIP_1) | instid1(VALU_DEP_1)
	v_fma_f64 v[87:88], v[87:88], v[93:94], v[91:92]
	s_waitcnt lgkmcnt(0)
	v_fma_f64 v[87:88], v[89:90], v[103:104], v[87:88]
	ds_load_b64 v[89:90], v1 offset:632
	s_waitcnt vmcnt(0)
	v_fma_f64 v[87:88], v[99:100], v[105:106], v[87:88]
	s_waitcnt lgkmcnt(0)
	s_delay_alu instid0(VALU_DEP_1) | instskip(NEXT) | instid1(VALU_DEP_1)
	v_fma_f64 v[87:88], v[101:102], v[89:90], v[87:88]
	v_add_f64 v[85:86], v[85:86], -v[87:88]
	scratch_store_b64 off, v[85:86], off offset:112
	v_cmpx_lt_u32_e32 13, v0
	s_cbranch_execz .LBB103_223
; %bb.222:
	scratch_load_b64 v[85:86], off, off offset:104
	v_mov_b32_e32 v2, v1
	scratch_store_b64 off, v[1:2], off offset:104
	s_waitcnt vmcnt(0)
	ds_store_b64 v3, v[85:86]
.LBB103_223:
	s_or_b32 exec_lo, exec_lo, s0
	s_waitcnt lgkmcnt(0)
	s_waitcnt_vscnt null, 0x0
	s_barrier
	buffer_gl0_inv
	s_clause 0x4
	scratch_load_b128 v[85:88], off, off offset:104
	scratch_load_b128 v[89:92], off, off offset:120
	;; [unrolled: 1-line block ×5, first 2 shown]
	ds_load_b128 v[105:108], v1 offset:432
	ds_load_b128 v[109:112], v1 offset:448
	scratch_load_b128 v[113:116], off, off offset:184
	s_mov_b32 s0, exec_lo
	s_waitcnt vmcnt(5) lgkmcnt(1)
	v_fma_f64 v[87:88], v[87:88], v[105:106], 0
	s_waitcnt vmcnt(4)
	s_delay_alu instid0(VALU_DEP_1) | instskip(SKIP_1) | instid1(VALU_DEP_1)
	v_fma_f64 v[87:88], v[89:90], v[107:108], v[87:88]
	s_waitcnt lgkmcnt(0)
	v_fma_f64 v[91:92], v[91:92], v[109:110], v[87:88]
	scratch_load_b128 v[87:90], off, off offset:200
	s_waitcnt vmcnt(4)
	v_fma_f64 v[109:110], v[93:94], v[111:112], v[91:92]
	ds_load_b128 v[91:94], v1 offset:464
	ds_load_b128 v[105:108], v1 offset:480
	s_waitcnt lgkmcnt(1)
	v_fma_f64 v[91:92], v[95:96], v[91:92], v[109:110]
	scratch_load_b128 v[109:112], off, off offset:216
	s_waitcnt vmcnt(4)
	v_fma_f64 v[91:92], v[97:98], v[93:94], v[91:92]
	s_waitcnt lgkmcnt(0)
	s_delay_alu instid0(VALU_DEP_1)
	v_fma_f64 v[95:96], v[99:100], v[105:106], v[91:92]
	scratch_load_b128 v[91:94], off, off offset:232
	s_waitcnt vmcnt(4)
	v_fma_f64 v[105:106], v[101:102], v[107:108], v[95:96]
	ds_load_b128 v[95:98], v1 offset:496
	ds_load_b128 v[99:102], v1 offset:512
	s_waitcnt lgkmcnt(1)
	v_fma_f64 v[95:96], v[103:104], v[95:96], v[105:106]
	scratch_load_b128 v[103:106], off, off offset:248
	s_waitcnt vmcnt(4)
	v_fma_f64 v[95:96], v[113:114], v[97:98], v[95:96]
	s_waitcnt lgkmcnt(0)
	s_delay_alu instid0(VALU_DEP_1)
	;; [unrolled: 13-line block ×3, first 2 shown]
	v_fma_f64 v[107:108], v[111:112], v[113:114], v[99:100]
	scratch_load_b128 v[99:102], off, off offset:296
	s_waitcnt vmcnt(4)
	v_fma_f64 v[91:92], v[91:92], v[115:116], v[107:108]
	ds_load_b128 v[107:110], v1 offset:560
	ds_load_b128 v[111:114], v1 offset:576
	s_waitcnt lgkmcnt(1)
	v_fma_f64 v[91:92], v[93:94], v[107:108], v[91:92]
	scratch_load_b64 v[107:108], off, off offset:312
	s_waitcnt vmcnt(4)
	v_fma_f64 v[91:92], v[103:104], v[109:110], v[91:92]
	s_waitcnt lgkmcnt(0)
	s_delay_alu instid0(VALU_DEP_1) | instskip(SKIP_1) | instid1(VALU_DEP_1)
	v_fma_f64 v[91:92], v[105:106], v[111:112], v[91:92]
	s_waitcnt vmcnt(3)
	v_fma_f64 v[95:96], v[95:96], v[113:114], v[91:92]
	ds_load_b128 v[91:94], v1 offset:592
	ds_load_b128 v[103:106], v1 offset:608
	s_waitcnt lgkmcnt(1)
	v_fma_f64 v[91:92], v[97:98], v[91:92], v[95:96]
	s_waitcnt vmcnt(2)
	s_delay_alu instid0(VALU_DEP_1) | instskip(SKIP_1) | instid1(VALU_DEP_1)
	v_fma_f64 v[87:88], v[87:88], v[93:94], v[91:92]
	s_waitcnt lgkmcnt(0)
	v_fma_f64 v[87:88], v[89:90], v[103:104], v[87:88]
	s_waitcnt vmcnt(1)
	s_delay_alu instid0(VALU_DEP_1) | instskip(SKIP_4) | instid1(VALU_DEP_1)
	v_fma_f64 v[91:92], v[99:100], v[105:106], v[87:88]
	ds_load_b128 v[87:90], v1 offset:624
	s_waitcnt lgkmcnt(0)
	v_fma_f64 v[1:2], v[101:102], v[87:88], v[91:92]
	s_waitcnt vmcnt(0)
	v_fma_f64 v[1:2], v[107:108], v[89:90], v[1:2]
	s_delay_alu instid0(VALU_DEP_1)
	v_add_f64 v[1:2], v[85:86], -v[1:2]
	scratch_store_b64 off, v[1:2], off offset:104
	v_cmpx_lt_u32_e32 12, v0
	s_cbranch_execz .LBB103_225
; %bb.224:
	scratch_load_b64 v[1:2], off, off offset:96
	v_mov_b32_e32 v85, 0
	s_delay_alu instid0(VALU_DEP_1)
	v_mov_b32_e32 v86, v85
	scratch_store_b64 off, v[85:86], off offset:96
	s_waitcnt vmcnt(0)
	ds_store_b64 v3, v[1:2]
.LBB103_225:
	s_or_b32 exec_lo, exec_lo, s0
	s_waitcnt lgkmcnt(0)
	s_waitcnt_vscnt null, 0x0
	s_barrier
	buffer_gl0_inv
	s_clause 0x4
	scratch_load_b128 v[85:88], off, off offset:96
	scratch_load_b128 v[89:92], off, off offset:112
	;; [unrolled: 1-line block ×5, first 2 shown]
	v_mov_b32_e32 v1, 0
	ds_load_2addr_b64 v[105:108], v1 offset0:53 offset1:54
	ds_load_2addr_b64 v[109:112], v1 offset0:55 offset1:56
	scratch_load_b128 v[113:116], off, off offset:176
	s_mov_b32 s0, exec_lo
	s_waitcnt vmcnt(5) lgkmcnt(1)
	v_fma_f64 v[87:88], v[87:88], v[105:106], 0
	s_waitcnt vmcnt(4)
	s_delay_alu instid0(VALU_DEP_1) | instskip(SKIP_1) | instid1(VALU_DEP_1)
	v_fma_f64 v[87:88], v[89:90], v[107:108], v[87:88]
	s_waitcnt lgkmcnt(0)
	v_fma_f64 v[91:92], v[91:92], v[109:110], v[87:88]
	scratch_load_b128 v[87:90], off, off offset:192
	s_waitcnt vmcnt(4)
	v_fma_f64 v[109:110], v[93:94], v[111:112], v[91:92]
	ds_load_2addr_b64 v[91:94], v1 offset0:57 offset1:58
	ds_load_2addr_b64 v[105:108], v1 offset0:59 offset1:60
	s_waitcnt lgkmcnt(1)
	v_fma_f64 v[91:92], v[95:96], v[91:92], v[109:110]
	scratch_load_b128 v[109:112], off, off offset:208
	s_waitcnt vmcnt(4)
	v_fma_f64 v[91:92], v[97:98], v[93:94], v[91:92]
	s_waitcnt lgkmcnt(0)
	s_delay_alu instid0(VALU_DEP_1)
	v_fma_f64 v[95:96], v[99:100], v[105:106], v[91:92]
	scratch_load_b128 v[91:94], off, off offset:224
	s_waitcnt vmcnt(4)
	v_fma_f64 v[105:106], v[101:102], v[107:108], v[95:96]
	ds_load_2addr_b64 v[95:98], v1 offset0:61 offset1:62
	ds_load_2addr_b64 v[99:102], v1 offset0:63 offset1:64
	s_waitcnt lgkmcnt(1)
	v_fma_f64 v[95:96], v[103:104], v[95:96], v[105:106]
	scratch_load_b128 v[103:106], off, off offset:240
	s_waitcnt vmcnt(4)
	v_fma_f64 v[95:96], v[113:114], v[97:98], v[95:96]
	s_waitcnt lgkmcnt(0)
	s_delay_alu instid0(VALU_DEP_1)
	;; [unrolled: 13-line block ×3, first 2 shown]
	v_fma_f64 v[107:108], v[111:112], v[113:114], v[99:100]
	scratch_load_b128 v[99:102], off, off offset:288
	s_waitcnt vmcnt(4)
	v_fma_f64 v[91:92], v[91:92], v[115:116], v[107:108]
	ds_load_2addr_b64 v[107:110], v1 offset0:69 offset1:70
	ds_load_2addr_b64 v[111:114], v1 offset0:71 offset1:72
	s_waitcnt lgkmcnt(1)
	v_fma_f64 v[107:108], v[93:94], v[107:108], v[91:92]
	scratch_load_b128 v[91:94], off, off offset:304
	s_waitcnt vmcnt(4)
	v_fma_f64 v[103:104], v[103:104], v[109:110], v[107:108]
	s_waitcnt lgkmcnt(0)
	s_delay_alu instid0(VALU_DEP_1) | instskip(SKIP_1) | instid1(VALU_DEP_1)
	v_fma_f64 v[103:104], v[105:106], v[111:112], v[103:104]
	s_waitcnt vmcnt(3)
	v_fma_f64 v[95:96], v[95:96], v[113:114], v[103:104]
	ds_load_2addr_b64 v[103:106], v1 offset0:73 offset1:74
	ds_load_2addr_b64 v[107:110], v1 offset0:75 offset1:76
	s_waitcnt lgkmcnt(1)
	v_fma_f64 v[95:96], v[97:98], v[103:104], v[95:96]
	s_waitcnt vmcnt(2)
	s_delay_alu instid0(VALU_DEP_1) | instskip(SKIP_1) | instid1(VALU_DEP_1)
	v_fma_f64 v[87:88], v[87:88], v[105:106], v[95:96]
	s_waitcnt lgkmcnt(0)
	v_fma_f64 v[87:88], v[89:90], v[107:108], v[87:88]
	s_waitcnt vmcnt(1)
	s_delay_alu instid0(VALU_DEP_1)
	v_fma_f64 v[95:96], v[99:100], v[109:110], v[87:88]
	ds_load_2addr_b64 v[87:90], v1 offset0:77 offset1:78
	ds_load_b64 v[97:98], v1 offset:632
	s_waitcnt lgkmcnt(1)
	v_fma_f64 v[87:88], v[101:102], v[87:88], v[95:96]
	s_waitcnt vmcnt(0)
	s_delay_alu instid0(VALU_DEP_1) | instskip(SKIP_1) | instid1(VALU_DEP_1)
	v_fma_f64 v[87:88], v[91:92], v[89:90], v[87:88]
	s_waitcnt lgkmcnt(0)
	v_fma_f64 v[87:88], v[93:94], v[97:98], v[87:88]
	s_delay_alu instid0(VALU_DEP_1)
	v_add_f64 v[85:86], v[85:86], -v[87:88]
	scratch_store_b64 off, v[85:86], off offset:96
	v_cmpx_lt_u32_e32 11, v0
	s_cbranch_execz .LBB103_227
; %bb.226:
	scratch_load_b64 v[85:86], off, off offset:88
	v_mov_b32_e32 v2, v1
	scratch_store_b64 off, v[1:2], off offset:88
	s_waitcnt vmcnt(0)
	ds_store_b64 v3, v[85:86]
.LBB103_227:
	s_or_b32 exec_lo, exec_lo, s0
	s_waitcnt lgkmcnt(0)
	s_waitcnt_vscnt null, 0x0
	s_barrier
	buffer_gl0_inv
	s_clause 0x4
	scratch_load_b128 v[85:88], off, off offset:88
	scratch_load_b128 v[89:92], off, off offset:104
	;; [unrolled: 1-line block ×5, first 2 shown]
	ds_load_b128 v[105:108], v1 offset:416
	ds_load_b128 v[109:112], v1 offset:432
	scratch_load_b128 v[113:116], off, off offset:168
	s_mov_b32 s0, exec_lo
	s_waitcnt vmcnt(5) lgkmcnt(1)
	v_fma_f64 v[87:88], v[87:88], v[105:106], 0
	s_waitcnt vmcnt(4)
	s_delay_alu instid0(VALU_DEP_1) | instskip(SKIP_1) | instid1(VALU_DEP_1)
	v_fma_f64 v[87:88], v[89:90], v[107:108], v[87:88]
	s_waitcnt lgkmcnt(0)
	v_fma_f64 v[91:92], v[91:92], v[109:110], v[87:88]
	scratch_load_b128 v[87:90], off, off offset:184
	s_waitcnt vmcnt(4)
	v_fma_f64 v[109:110], v[93:94], v[111:112], v[91:92]
	ds_load_b128 v[91:94], v1 offset:448
	ds_load_b128 v[105:108], v1 offset:464
	s_waitcnt lgkmcnt(1)
	v_fma_f64 v[91:92], v[95:96], v[91:92], v[109:110]
	scratch_load_b128 v[109:112], off, off offset:200
	s_waitcnt vmcnt(4)
	v_fma_f64 v[91:92], v[97:98], v[93:94], v[91:92]
	s_waitcnt lgkmcnt(0)
	s_delay_alu instid0(VALU_DEP_1)
	v_fma_f64 v[95:96], v[99:100], v[105:106], v[91:92]
	scratch_load_b128 v[91:94], off, off offset:216
	s_waitcnt vmcnt(4)
	v_fma_f64 v[105:106], v[101:102], v[107:108], v[95:96]
	ds_load_b128 v[95:98], v1 offset:480
	ds_load_b128 v[99:102], v1 offset:496
	s_waitcnt lgkmcnt(1)
	v_fma_f64 v[95:96], v[103:104], v[95:96], v[105:106]
	scratch_load_b128 v[103:106], off, off offset:232
	s_waitcnt vmcnt(4)
	v_fma_f64 v[95:96], v[113:114], v[97:98], v[95:96]
	s_waitcnt lgkmcnt(0)
	s_delay_alu instid0(VALU_DEP_1)
	;; [unrolled: 13-line block ×4, first 2 shown]
	v_fma_f64 v[103:104], v[105:106], v[111:112], v[103:104]
	scratch_load_b64 v[111:112], off, off offset:312
	s_waitcnt vmcnt(4)
	v_fma_f64 v[95:96], v[95:96], v[113:114], v[103:104]
	ds_load_b128 v[103:106], v1 offset:576
	ds_load_b128 v[107:110], v1 offset:592
	s_waitcnt lgkmcnt(1)
	v_fma_f64 v[95:96], v[97:98], v[103:104], v[95:96]
	s_waitcnt vmcnt(3)
	s_delay_alu instid0(VALU_DEP_1) | instskip(SKIP_1) | instid1(VALU_DEP_1)
	v_fma_f64 v[87:88], v[87:88], v[105:106], v[95:96]
	s_waitcnt lgkmcnt(0)
	v_fma_f64 v[87:88], v[89:90], v[107:108], v[87:88]
	s_waitcnt vmcnt(2)
	s_delay_alu instid0(VALU_DEP_1)
	v_fma_f64 v[99:100], v[99:100], v[109:110], v[87:88]
	ds_load_b128 v[87:90], v1 offset:608
	ds_load_b128 v[95:98], v1 offset:624
	s_waitcnt lgkmcnt(1)
	v_fma_f64 v[1:2], v[101:102], v[87:88], v[99:100]
	s_waitcnt vmcnt(1)
	s_delay_alu instid0(VALU_DEP_1) | instskip(SKIP_1) | instid1(VALU_DEP_1)
	v_fma_f64 v[1:2], v[91:92], v[89:90], v[1:2]
	s_waitcnt lgkmcnt(0)
	v_fma_f64 v[1:2], v[93:94], v[95:96], v[1:2]
	s_waitcnt vmcnt(0)
	s_delay_alu instid0(VALU_DEP_1) | instskip(NEXT) | instid1(VALU_DEP_1)
	v_fma_f64 v[1:2], v[111:112], v[97:98], v[1:2]
	v_add_f64 v[1:2], v[85:86], -v[1:2]
	scratch_store_b64 off, v[1:2], off offset:88
	v_cmpx_lt_u32_e32 10, v0
	s_cbranch_execz .LBB103_229
; %bb.228:
	scratch_load_b64 v[1:2], off, off offset:80
	v_mov_b32_e32 v85, 0
	s_delay_alu instid0(VALU_DEP_1)
	v_mov_b32_e32 v86, v85
	scratch_store_b64 off, v[85:86], off offset:80
	s_waitcnt vmcnt(0)
	ds_store_b64 v3, v[1:2]
.LBB103_229:
	s_or_b32 exec_lo, exec_lo, s0
	s_waitcnt lgkmcnt(0)
	s_waitcnt_vscnt null, 0x0
	s_barrier
	buffer_gl0_inv
	s_clause 0x4
	scratch_load_b128 v[85:88], off, off offset:80
	scratch_load_b128 v[89:92], off, off offset:96
	;; [unrolled: 1-line block ×5, first 2 shown]
	v_mov_b32_e32 v1, 0
	ds_load_2addr_b64 v[105:108], v1 offset0:51 offset1:52
	ds_load_2addr_b64 v[109:112], v1 offset0:53 offset1:54
	scratch_load_b128 v[113:116], off, off offset:160
	s_mov_b32 s0, exec_lo
	s_waitcnt vmcnt(5) lgkmcnt(1)
	v_fma_f64 v[87:88], v[87:88], v[105:106], 0
	s_waitcnt vmcnt(4)
	s_delay_alu instid0(VALU_DEP_1) | instskip(SKIP_1) | instid1(VALU_DEP_1)
	v_fma_f64 v[87:88], v[89:90], v[107:108], v[87:88]
	s_waitcnt lgkmcnt(0)
	v_fma_f64 v[91:92], v[91:92], v[109:110], v[87:88]
	scratch_load_b128 v[87:90], off, off offset:176
	s_waitcnt vmcnt(4)
	v_fma_f64 v[109:110], v[93:94], v[111:112], v[91:92]
	ds_load_2addr_b64 v[91:94], v1 offset0:55 offset1:56
	ds_load_2addr_b64 v[105:108], v1 offset0:57 offset1:58
	s_waitcnt lgkmcnt(1)
	v_fma_f64 v[91:92], v[95:96], v[91:92], v[109:110]
	scratch_load_b128 v[109:112], off, off offset:192
	s_waitcnt vmcnt(4)
	v_fma_f64 v[91:92], v[97:98], v[93:94], v[91:92]
	s_waitcnt lgkmcnt(0)
	s_delay_alu instid0(VALU_DEP_1)
	v_fma_f64 v[95:96], v[99:100], v[105:106], v[91:92]
	scratch_load_b128 v[91:94], off, off offset:208
	s_waitcnt vmcnt(4)
	v_fma_f64 v[105:106], v[101:102], v[107:108], v[95:96]
	ds_load_2addr_b64 v[95:98], v1 offset0:59 offset1:60
	ds_load_2addr_b64 v[99:102], v1 offset0:61 offset1:62
	s_waitcnt lgkmcnt(1)
	v_fma_f64 v[95:96], v[103:104], v[95:96], v[105:106]
	scratch_load_b128 v[103:106], off, off offset:224
	s_waitcnt vmcnt(4)
	v_fma_f64 v[95:96], v[113:114], v[97:98], v[95:96]
	s_waitcnt lgkmcnt(0)
	s_delay_alu instid0(VALU_DEP_1)
	;; [unrolled: 13-line block ×4, first 2 shown]
	v_fma_f64 v[107:108], v[105:106], v[111:112], v[103:104]
	scratch_load_b128 v[103:106], off, off offset:304
	s_waitcnt vmcnt(4)
	v_fma_f64 v[95:96], v[95:96], v[113:114], v[107:108]
	ds_load_2addr_b64 v[107:110], v1 offset0:71 offset1:72
	ds_load_2addr_b64 v[111:114], v1 offset0:73 offset1:74
	s_waitcnt lgkmcnt(1)
	v_fma_f64 v[95:96], v[97:98], v[107:108], v[95:96]
	s_waitcnt vmcnt(3)
	s_delay_alu instid0(VALU_DEP_1) | instskip(SKIP_1) | instid1(VALU_DEP_1)
	v_fma_f64 v[87:88], v[87:88], v[109:110], v[95:96]
	s_waitcnt lgkmcnt(0)
	v_fma_f64 v[87:88], v[89:90], v[111:112], v[87:88]
	s_waitcnt vmcnt(2)
	s_delay_alu instid0(VALU_DEP_1)
	v_fma_f64 v[99:100], v[99:100], v[113:114], v[87:88]
	ds_load_2addr_b64 v[87:90], v1 offset0:75 offset1:76
	ds_load_2addr_b64 v[95:98], v1 offset0:77 offset1:78
	s_waitcnt lgkmcnt(1)
	v_fma_f64 v[87:88], v[101:102], v[87:88], v[99:100]
	s_waitcnt vmcnt(1)
	s_delay_alu instid0(VALU_DEP_1) | instskip(SKIP_4) | instid1(VALU_DEP_1)
	v_fma_f64 v[87:88], v[91:92], v[89:90], v[87:88]
	ds_load_b64 v[89:90], v1 offset:632
	s_waitcnt lgkmcnt(1)
	v_fma_f64 v[87:88], v[93:94], v[95:96], v[87:88]
	s_waitcnt vmcnt(0)
	v_fma_f64 v[87:88], v[103:104], v[97:98], v[87:88]
	s_waitcnt lgkmcnt(0)
	s_delay_alu instid0(VALU_DEP_1) | instskip(NEXT) | instid1(VALU_DEP_1)
	v_fma_f64 v[87:88], v[105:106], v[89:90], v[87:88]
	v_add_f64 v[85:86], v[85:86], -v[87:88]
	scratch_store_b64 off, v[85:86], off offset:80
	v_cmpx_lt_u32_e32 9, v0
	s_cbranch_execz .LBB103_231
; %bb.230:
	scratch_load_b64 v[85:86], off, off offset:72
	v_mov_b32_e32 v2, v1
	scratch_store_b64 off, v[1:2], off offset:72
	s_waitcnt vmcnt(0)
	ds_store_b64 v3, v[85:86]
.LBB103_231:
	s_or_b32 exec_lo, exec_lo, s0
	s_waitcnt lgkmcnt(0)
	s_waitcnt_vscnt null, 0x0
	s_barrier
	buffer_gl0_inv
	s_clause 0x4
	scratch_load_b128 v[85:88], off, off offset:72
	scratch_load_b128 v[89:92], off, off offset:88
	;; [unrolled: 1-line block ×5, first 2 shown]
	ds_load_b128 v[105:108], v1 offset:400
	ds_load_b128 v[109:112], v1 offset:416
	scratch_load_b128 v[113:116], off, off offset:152
	s_mov_b32 s0, exec_lo
	s_waitcnt vmcnt(5) lgkmcnt(1)
	v_fma_f64 v[87:88], v[87:88], v[105:106], 0
	s_waitcnt vmcnt(4)
	s_delay_alu instid0(VALU_DEP_1) | instskip(SKIP_1) | instid1(VALU_DEP_1)
	v_fma_f64 v[87:88], v[89:90], v[107:108], v[87:88]
	s_waitcnt lgkmcnt(0)
	v_fma_f64 v[91:92], v[91:92], v[109:110], v[87:88]
	scratch_load_b128 v[87:90], off, off offset:168
	s_waitcnt vmcnt(4)
	v_fma_f64 v[109:110], v[93:94], v[111:112], v[91:92]
	ds_load_b128 v[91:94], v1 offset:432
	ds_load_b128 v[105:108], v1 offset:448
	s_waitcnt lgkmcnt(1)
	v_fma_f64 v[91:92], v[95:96], v[91:92], v[109:110]
	scratch_load_b128 v[109:112], off, off offset:184
	s_waitcnt vmcnt(4)
	v_fma_f64 v[91:92], v[97:98], v[93:94], v[91:92]
	s_waitcnt lgkmcnt(0)
	s_delay_alu instid0(VALU_DEP_1)
	v_fma_f64 v[95:96], v[99:100], v[105:106], v[91:92]
	scratch_load_b128 v[91:94], off, off offset:200
	s_waitcnt vmcnt(4)
	v_fma_f64 v[105:106], v[101:102], v[107:108], v[95:96]
	ds_load_b128 v[95:98], v1 offset:464
	ds_load_b128 v[99:102], v1 offset:480
	s_waitcnt lgkmcnt(1)
	v_fma_f64 v[95:96], v[103:104], v[95:96], v[105:106]
	scratch_load_b128 v[103:106], off, off offset:216
	s_waitcnt vmcnt(4)
	v_fma_f64 v[95:96], v[113:114], v[97:98], v[95:96]
	s_waitcnt lgkmcnt(0)
	s_delay_alu instid0(VALU_DEP_1)
	;; [unrolled: 13-line block ×4, first 2 shown]
	v_fma_f64 v[107:108], v[105:106], v[111:112], v[103:104]
	scratch_load_b128 v[103:106], off, off offset:296
	s_waitcnt vmcnt(4)
	v_fma_f64 v[95:96], v[95:96], v[113:114], v[107:108]
	ds_load_b128 v[107:110], v1 offset:560
	ds_load_b128 v[111:114], v1 offset:576
	s_waitcnt lgkmcnt(1)
	v_fma_f64 v[95:96], v[97:98], v[107:108], v[95:96]
	scratch_load_b64 v[107:108], off, off offset:312
	s_waitcnt vmcnt(4)
	v_fma_f64 v[87:88], v[87:88], v[109:110], v[95:96]
	s_waitcnt lgkmcnt(0)
	s_delay_alu instid0(VALU_DEP_1) | instskip(SKIP_1) | instid1(VALU_DEP_1)
	v_fma_f64 v[87:88], v[89:90], v[111:112], v[87:88]
	s_waitcnt vmcnt(3)
	v_fma_f64 v[99:100], v[99:100], v[113:114], v[87:88]
	ds_load_b128 v[87:90], v1 offset:592
	ds_load_b128 v[95:98], v1 offset:608
	s_waitcnt lgkmcnt(1)
	v_fma_f64 v[87:88], v[101:102], v[87:88], v[99:100]
	s_waitcnt vmcnt(2)
	s_delay_alu instid0(VALU_DEP_1) | instskip(SKIP_1) | instid1(VALU_DEP_1)
	v_fma_f64 v[87:88], v[91:92], v[89:90], v[87:88]
	s_waitcnt lgkmcnt(0)
	v_fma_f64 v[87:88], v[93:94], v[95:96], v[87:88]
	s_waitcnt vmcnt(1)
	s_delay_alu instid0(VALU_DEP_1) | instskip(SKIP_4) | instid1(VALU_DEP_1)
	v_fma_f64 v[91:92], v[103:104], v[97:98], v[87:88]
	ds_load_b128 v[87:90], v1 offset:624
	s_waitcnt lgkmcnt(0)
	v_fma_f64 v[1:2], v[105:106], v[87:88], v[91:92]
	s_waitcnt vmcnt(0)
	v_fma_f64 v[1:2], v[107:108], v[89:90], v[1:2]
	s_delay_alu instid0(VALU_DEP_1)
	v_add_f64 v[1:2], v[85:86], -v[1:2]
	scratch_store_b64 off, v[1:2], off offset:72
	v_cmpx_lt_u32_e32 8, v0
	s_cbranch_execz .LBB103_233
; %bb.232:
	scratch_load_b64 v[1:2], off, off offset:64
	v_mov_b32_e32 v85, 0
	s_delay_alu instid0(VALU_DEP_1)
	v_mov_b32_e32 v86, v85
	scratch_store_b64 off, v[85:86], off offset:64
	s_waitcnt vmcnt(0)
	ds_store_b64 v3, v[1:2]
.LBB103_233:
	s_or_b32 exec_lo, exec_lo, s0
	s_waitcnt lgkmcnt(0)
	s_waitcnt_vscnt null, 0x0
	s_barrier
	buffer_gl0_inv
	s_clause 0x4
	scratch_load_b128 v[85:88], off, off offset:64
	scratch_load_b128 v[89:92], off, off offset:80
	;; [unrolled: 1-line block ×5, first 2 shown]
	v_mov_b32_e32 v1, 0
	ds_load_2addr_b64 v[105:108], v1 offset0:49 offset1:50
	ds_load_2addr_b64 v[109:112], v1 offset0:51 offset1:52
	scratch_load_b128 v[113:116], off, off offset:144
	s_mov_b32 s0, exec_lo
	s_waitcnt vmcnt(5) lgkmcnt(1)
	v_fma_f64 v[87:88], v[87:88], v[105:106], 0
	s_waitcnt vmcnt(4)
	s_delay_alu instid0(VALU_DEP_1) | instskip(SKIP_1) | instid1(VALU_DEP_1)
	v_fma_f64 v[87:88], v[89:90], v[107:108], v[87:88]
	s_waitcnt lgkmcnt(0)
	v_fma_f64 v[91:92], v[91:92], v[109:110], v[87:88]
	scratch_load_b128 v[87:90], off, off offset:160
	s_waitcnt vmcnt(4)
	v_fma_f64 v[109:110], v[93:94], v[111:112], v[91:92]
	ds_load_2addr_b64 v[91:94], v1 offset0:53 offset1:54
	ds_load_2addr_b64 v[105:108], v1 offset0:55 offset1:56
	s_waitcnt lgkmcnt(1)
	v_fma_f64 v[91:92], v[95:96], v[91:92], v[109:110]
	scratch_load_b128 v[109:112], off, off offset:176
	s_waitcnt vmcnt(4)
	v_fma_f64 v[91:92], v[97:98], v[93:94], v[91:92]
	s_waitcnt lgkmcnt(0)
	s_delay_alu instid0(VALU_DEP_1)
	v_fma_f64 v[95:96], v[99:100], v[105:106], v[91:92]
	scratch_load_b128 v[91:94], off, off offset:192
	s_waitcnt vmcnt(4)
	v_fma_f64 v[105:106], v[101:102], v[107:108], v[95:96]
	ds_load_2addr_b64 v[95:98], v1 offset0:57 offset1:58
	ds_load_2addr_b64 v[99:102], v1 offset0:59 offset1:60
	s_waitcnt lgkmcnt(1)
	v_fma_f64 v[95:96], v[103:104], v[95:96], v[105:106]
	scratch_load_b128 v[103:106], off, off offset:208
	s_waitcnt vmcnt(4)
	v_fma_f64 v[95:96], v[113:114], v[97:98], v[95:96]
	s_waitcnt lgkmcnt(0)
	s_delay_alu instid0(VALU_DEP_1)
	;; [unrolled: 13-line block ×4, first 2 shown]
	v_fma_f64 v[107:108], v[105:106], v[111:112], v[103:104]
	scratch_load_b128 v[103:106], off, off offset:288
	s_waitcnt vmcnt(4)
	v_fma_f64 v[95:96], v[95:96], v[113:114], v[107:108]
	ds_load_2addr_b64 v[107:110], v1 offset0:69 offset1:70
	ds_load_2addr_b64 v[111:114], v1 offset0:71 offset1:72
	s_waitcnt lgkmcnt(1)
	v_fma_f64 v[107:108], v[97:98], v[107:108], v[95:96]
	scratch_load_b128 v[95:98], off, off offset:304
	s_waitcnt vmcnt(4)
	v_fma_f64 v[87:88], v[87:88], v[109:110], v[107:108]
	s_waitcnt lgkmcnt(0)
	s_delay_alu instid0(VALU_DEP_1) | instskip(SKIP_1) | instid1(VALU_DEP_1)
	v_fma_f64 v[87:88], v[89:90], v[111:112], v[87:88]
	s_waitcnt vmcnt(3)
	v_fma_f64 v[99:100], v[99:100], v[113:114], v[87:88]
	ds_load_2addr_b64 v[87:90], v1 offset0:73 offset1:74
	ds_load_2addr_b64 v[107:110], v1 offset0:75 offset1:76
	s_waitcnt lgkmcnt(1)
	v_fma_f64 v[87:88], v[101:102], v[87:88], v[99:100]
	s_waitcnt vmcnt(2)
	s_delay_alu instid0(VALU_DEP_1) | instskip(SKIP_1) | instid1(VALU_DEP_1)
	v_fma_f64 v[87:88], v[91:92], v[89:90], v[87:88]
	s_waitcnt lgkmcnt(0)
	v_fma_f64 v[87:88], v[93:94], v[107:108], v[87:88]
	s_waitcnt vmcnt(1)
	s_delay_alu instid0(VALU_DEP_1)
	v_fma_f64 v[91:92], v[103:104], v[109:110], v[87:88]
	ds_load_2addr_b64 v[87:90], v1 offset0:77 offset1:78
	ds_load_b64 v[93:94], v1 offset:632
	s_waitcnt lgkmcnt(1)
	v_fma_f64 v[87:88], v[105:106], v[87:88], v[91:92]
	s_waitcnt vmcnt(0)
	s_delay_alu instid0(VALU_DEP_1) | instskip(SKIP_1) | instid1(VALU_DEP_1)
	v_fma_f64 v[87:88], v[95:96], v[89:90], v[87:88]
	s_waitcnt lgkmcnt(0)
	v_fma_f64 v[87:88], v[97:98], v[93:94], v[87:88]
	s_delay_alu instid0(VALU_DEP_1)
	v_add_f64 v[85:86], v[85:86], -v[87:88]
	scratch_store_b64 off, v[85:86], off offset:64
	v_cmpx_lt_u32_e32 7, v0
	s_cbranch_execz .LBB103_235
; %bb.234:
	scratch_load_b64 v[85:86], off, off offset:56
	v_mov_b32_e32 v2, v1
	scratch_store_b64 off, v[1:2], off offset:56
	s_waitcnt vmcnt(0)
	ds_store_b64 v3, v[85:86]
.LBB103_235:
	s_or_b32 exec_lo, exec_lo, s0
	s_waitcnt lgkmcnt(0)
	s_waitcnt_vscnt null, 0x0
	s_barrier
	buffer_gl0_inv
	s_clause 0x4
	scratch_load_b128 v[85:88], off, off offset:56
	scratch_load_b128 v[89:92], off, off offset:72
	;; [unrolled: 1-line block ×5, first 2 shown]
	ds_load_b128 v[105:108], v1 offset:384
	ds_load_b128 v[109:112], v1 offset:400
	scratch_load_b128 v[113:116], off, off offset:136
	s_mov_b32 s0, exec_lo
	s_waitcnt vmcnt(5) lgkmcnt(1)
	v_fma_f64 v[87:88], v[87:88], v[105:106], 0
	s_waitcnt vmcnt(4)
	s_delay_alu instid0(VALU_DEP_1) | instskip(SKIP_1) | instid1(VALU_DEP_1)
	v_fma_f64 v[87:88], v[89:90], v[107:108], v[87:88]
	s_waitcnt lgkmcnt(0)
	v_fma_f64 v[91:92], v[91:92], v[109:110], v[87:88]
	scratch_load_b128 v[87:90], off, off offset:152
	s_waitcnt vmcnt(4)
	v_fma_f64 v[109:110], v[93:94], v[111:112], v[91:92]
	ds_load_b128 v[91:94], v1 offset:416
	ds_load_b128 v[105:108], v1 offset:432
	s_waitcnt lgkmcnt(1)
	v_fma_f64 v[91:92], v[95:96], v[91:92], v[109:110]
	scratch_load_b128 v[109:112], off, off offset:168
	s_waitcnt vmcnt(4)
	v_fma_f64 v[91:92], v[97:98], v[93:94], v[91:92]
	s_waitcnt lgkmcnt(0)
	s_delay_alu instid0(VALU_DEP_1)
	v_fma_f64 v[95:96], v[99:100], v[105:106], v[91:92]
	scratch_load_b128 v[91:94], off, off offset:184
	s_waitcnt vmcnt(4)
	v_fma_f64 v[105:106], v[101:102], v[107:108], v[95:96]
	ds_load_b128 v[95:98], v1 offset:448
	ds_load_b128 v[99:102], v1 offset:464
	s_waitcnt lgkmcnt(1)
	v_fma_f64 v[95:96], v[103:104], v[95:96], v[105:106]
	scratch_load_b128 v[103:106], off, off offset:200
	s_waitcnt vmcnt(4)
	v_fma_f64 v[95:96], v[113:114], v[97:98], v[95:96]
	s_waitcnt lgkmcnt(0)
	s_delay_alu instid0(VALU_DEP_1)
	;; [unrolled: 13-line block ×5, first 2 shown]
	v_fma_f64 v[87:88], v[89:90], v[111:112], v[87:88]
	scratch_load_b64 v[111:112], off, off offset:312
	s_waitcnt vmcnt(4)
	v_fma_f64 v[99:100], v[99:100], v[113:114], v[87:88]
	ds_load_b128 v[87:90], v1 offset:576
	ds_load_b128 v[107:110], v1 offset:592
	s_waitcnt lgkmcnt(1)
	v_fma_f64 v[87:88], v[101:102], v[87:88], v[99:100]
	s_waitcnt vmcnt(3)
	s_delay_alu instid0(VALU_DEP_1) | instskip(SKIP_1) | instid1(VALU_DEP_1)
	v_fma_f64 v[87:88], v[91:92], v[89:90], v[87:88]
	s_waitcnt lgkmcnt(0)
	v_fma_f64 v[87:88], v[93:94], v[107:108], v[87:88]
	s_waitcnt vmcnt(2)
	s_delay_alu instid0(VALU_DEP_1)
	v_fma_f64 v[99:100], v[103:104], v[109:110], v[87:88]
	ds_load_b128 v[87:90], v1 offset:608
	ds_load_b128 v[91:94], v1 offset:624
	s_waitcnt lgkmcnt(1)
	v_fma_f64 v[1:2], v[105:106], v[87:88], v[99:100]
	s_waitcnt vmcnt(1)
	s_delay_alu instid0(VALU_DEP_1) | instskip(SKIP_1) | instid1(VALU_DEP_1)
	v_fma_f64 v[1:2], v[95:96], v[89:90], v[1:2]
	s_waitcnt lgkmcnt(0)
	v_fma_f64 v[1:2], v[97:98], v[91:92], v[1:2]
	s_waitcnt vmcnt(0)
	s_delay_alu instid0(VALU_DEP_1) | instskip(NEXT) | instid1(VALU_DEP_1)
	v_fma_f64 v[1:2], v[111:112], v[93:94], v[1:2]
	v_add_f64 v[1:2], v[85:86], -v[1:2]
	scratch_store_b64 off, v[1:2], off offset:56
	v_cmpx_lt_u32_e32 6, v0
	s_cbranch_execz .LBB103_237
; %bb.236:
	scratch_load_b64 v[1:2], off, off offset:48
	v_mov_b32_e32 v85, 0
	s_delay_alu instid0(VALU_DEP_1)
	v_mov_b32_e32 v86, v85
	scratch_store_b64 off, v[85:86], off offset:48
	s_waitcnt vmcnt(0)
	ds_store_b64 v3, v[1:2]
.LBB103_237:
	s_or_b32 exec_lo, exec_lo, s0
	s_waitcnt lgkmcnt(0)
	s_waitcnt_vscnt null, 0x0
	s_barrier
	buffer_gl0_inv
	s_clause 0x4
	scratch_load_b128 v[85:88], off, off offset:48
	scratch_load_b128 v[89:92], off, off offset:64
	;; [unrolled: 1-line block ×5, first 2 shown]
	v_mov_b32_e32 v1, 0
	ds_load_2addr_b64 v[105:108], v1 offset0:47 offset1:48
	ds_load_2addr_b64 v[109:112], v1 offset0:49 offset1:50
	scratch_load_b128 v[113:116], off, off offset:128
	s_mov_b32 s0, exec_lo
	s_waitcnt vmcnt(5) lgkmcnt(1)
	v_fma_f64 v[87:88], v[87:88], v[105:106], 0
	s_waitcnt vmcnt(4)
	s_delay_alu instid0(VALU_DEP_1) | instskip(SKIP_1) | instid1(VALU_DEP_1)
	v_fma_f64 v[87:88], v[89:90], v[107:108], v[87:88]
	s_waitcnt lgkmcnt(0)
	v_fma_f64 v[91:92], v[91:92], v[109:110], v[87:88]
	scratch_load_b128 v[87:90], off, off offset:144
	s_waitcnt vmcnt(4)
	v_fma_f64 v[109:110], v[93:94], v[111:112], v[91:92]
	ds_load_2addr_b64 v[91:94], v1 offset0:51 offset1:52
	ds_load_2addr_b64 v[105:108], v1 offset0:53 offset1:54
	s_waitcnt lgkmcnt(1)
	v_fma_f64 v[91:92], v[95:96], v[91:92], v[109:110]
	scratch_load_b128 v[109:112], off, off offset:160
	s_waitcnt vmcnt(4)
	v_fma_f64 v[91:92], v[97:98], v[93:94], v[91:92]
	s_waitcnt lgkmcnt(0)
	s_delay_alu instid0(VALU_DEP_1)
	v_fma_f64 v[95:96], v[99:100], v[105:106], v[91:92]
	scratch_load_b128 v[91:94], off, off offset:176
	s_waitcnt vmcnt(4)
	v_fma_f64 v[105:106], v[101:102], v[107:108], v[95:96]
	ds_load_2addr_b64 v[95:98], v1 offset0:55 offset1:56
	ds_load_2addr_b64 v[99:102], v1 offset0:57 offset1:58
	s_waitcnt lgkmcnt(1)
	v_fma_f64 v[95:96], v[103:104], v[95:96], v[105:106]
	scratch_load_b128 v[103:106], off, off offset:192
	s_waitcnt vmcnt(4)
	v_fma_f64 v[95:96], v[113:114], v[97:98], v[95:96]
	s_waitcnt lgkmcnt(0)
	s_delay_alu instid0(VALU_DEP_1)
	;; [unrolled: 13-line block ×5, first 2 shown]
	v_fma_f64 v[107:108], v[89:90], v[111:112], v[87:88]
	scratch_load_b128 v[87:90], off, off offset:304
	s_waitcnt vmcnt(4)
	v_fma_f64 v[99:100], v[99:100], v[113:114], v[107:108]
	ds_load_2addr_b64 v[107:110], v1 offset0:71 offset1:72
	ds_load_2addr_b64 v[111:114], v1 offset0:73 offset1:74
	s_waitcnt lgkmcnt(1)
	v_fma_f64 v[99:100], v[101:102], v[107:108], v[99:100]
	s_waitcnt vmcnt(3)
	s_delay_alu instid0(VALU_DEP_1) | instskip(SKIP_1) | instid1(VALU_DEP_1)
	v_fma_f64 v[91:92], v[91:92], v[109:110], v[99:100]
	s_waitcnt lgkmcnt(0)
	v_fma_f64 v[91:92], v[93:94], v[111:112], v[91:92]
	s_waitcnt vmcnt(2)
	s_delay_alu instid0(VALU_DEP_1)
	v_fma_f64 v[103:104], v[103:104], v[113:114], v[91:92]
	ds_load_2addr_b64 v[91:94], v1 offset0:75 offset1:76
	ds_load_2addr_b64 v[99:102], v1 offset0:77 offset1:78
	s_waitcnt lgkmcnt(1)
	v_fma_f64 v[91:92], v[105:106], v[91:92], v[103:104]
	s_waitcnt vmcnt(1)
	s_delay_alu instid0(VALU_DEP_1) | instskip(SKIP_1) | instid1(VALU_DEP_1)
	v_fma_f64 v[91:92], v[95:96], v[93:94], v[91:92]
	s_waitcnt lgkmcnt(0)
	v_fma_f64 v[91:92], v[97:98], v[99:100], v[91:92]
	s_waitcnt vmcnt(0)
	s_delay_alu instid0(VALU_DEP_1) | instskip(SKIP_3) | instid1(VALU_DEP_1)
	v_fma_f64 v[87:88], v[87:88], v[101:102], v[91:92]
	ds_load_b64 v[91:92], v1 offset:632
	s_waitcnt lgkmcnt(0)
	v_fma_f64 v[87:88], v[89:90], v[91:92], v[87:88]
	v_add_f64 v[85:86], v[85:86], -v[87:88]
	scratch_store_b64 off, v[85:86], off offset:48
	v_cmpx_lt_u32_e32 5, v0
	s_cbranch_execz .LBB103_239
; %bb.238:
	scratch_load_b64 v[85:86], off, off offset:40
	v_mov_b32_e32 v2, v1
	scratch_store_b64 off, v[1:2], off offset:40
	s_waitcnt vmcnt(0)
	ds_store_b64 v3, v[85:86]
.LBB103_239:
	s_or_b32 exec_lo, exec_lo, s0
	s_waitcnt lgkmcnt(0)
	s_waitcnt_vscnt null, 0x0
	s_barrier
	buffer_gl0_inv
	s_clause 0x4
	scratch_load_b128 v[85:88], off, off offset:40
	scratch_load_b128 v[89:92], off, off offset:56
	;; [unrolled: 1-line block ×5, first 2 shown]
	ds_load_b128 v[105:108], v1 offset:368
	ds_load_b128 v[109:112], v1 offset:384
	scratch_load_b128 v[113:116], off, off offset:120
	s_mov_b32 s0, exec_lo
	s_waitcnt vmcnt(5) lgkmcnt(1)
	v_fma_f64 v[87:88], v[87:88], v[105:106], 0
	s_waitcnt vmcnt(4)
	s_delay_alu instid0(VALU_DEP_1) | instskip(SKIP_1) | instid1(VALU_DEP_1)
	v_fma_f64 v[87:88], v[89:90], v[107:108], v[87:88]
	s_waitcnt lgkmcnt(0)
	v_fma_f64 v[91:92], v[91:92], v[109:110], v[87:88]
	scratch_load_b128 v[87:90], off, off offset:136
	s_waitcnt vmcnt(4)
	v_fma_f64 v[109:110], v[93:94], v[111:112], v[91:92]
	ds_load_b128 v[91:94], v1 offset:400
	ds_load_b128 v[105:108], v1 offset:416
	s_waitcnt lgkmcnt(1)
	v_fma_f64 v[91:92], v[95:96], v[91:92], v[109:110]
	scratch_load_b128 v[109:112], off, off offset:152
	s_waitcnt vmcnt(4)
	v_fma_f64 v[91:92], v[97:98], v[93:94], v[91:92]
	s_waitcnt lgkmcnt(0)
	s_delay_alu instid0(VALU_DEP_1)
	v_fma_f64 v[95:96], v[99:100], v[105:106], v[91:92]
	scratch_load_b128 v[91:94], off, off offset:168
	s_waitcnt vmcnt(4)
	v_fma_f64 v[105:106], v[101:102], v[107:108], v[95:96]
	ds_load_b128 v[95:98], v1 offset:432
	ds_load_b128 v[99:102], v1 offset:448
	s_waitcnt lgkmcnt(1)
	v_fma_f64 v[95:96], v[103:104], v[95:96], v[105:106]
	scratch_load_b128 v[103:106], off, off offset:184
	s_waitcnt vmcnt(4)
	v_fma_f64 v[95:96], v[113:114], v[97:98], v[95:96]
	s_waitcnt lgkmcnt(0)
	s_delay_alu instid0(VALU_DEP_1)
	;; [unrolled: 13-line block ×5, first 2 shown]
	v_fma_f64 v[107:108], v[89:90], v[111:112], v[87:88]
	scratch_load_b128 v[87:90], off, off offset:296
	s_waitcnt vmcnt(4)
	v_fma_f64 v[99:100], v[99:100], v[113:114], v[107:108]
	ds_load_b128 v[107:110], v1 offset:560
	ds_load_b128 v[111:114], v1 offset:576
	s_waitcnt lgkmcnt(1)
	v_fma_f64 v[99:100], v[101:102], v[107:108], v[99:100]
	scratch_load_b64 v[107:108], off, off offset:312
	s_waitcnt vmcnt(4)
	v_fma_f64 v[91:92], v[91:92], v[109:110], v[99:100]
	s_waitcnt lgkmcnt(0)
	s_delay_alu instid0(VALU_DEP_1) | instskip(SKIP_1) | instid1(VALU_DEP_1)
	v_fma_f64 v[91:92], v[93:94], v[111:112], v[91:92]
	s_waitcnt vmcnt(3)
	v_fma_f64 v[103:104], v[103:104], v[113:114], v[91:92]
	ds_load_b128 v[91:94], v1 offset:592
	ds_load_b128 v[99:102], v1 offset:608
	s_waitcnt lgkmcnt(1)
	v_fma_f64 v[91:92], v[105:106], v[91:92], v[103:104]
	s_waitcnt vmcnt(2)
	s_delay_alu instid0(VALU_DEP_1) | instskip(SKIP_1) | instid1(VALU_DEP_1)
	v_fma_f64 v[91:92], v[95:96], v[93:94], v[91:92]
	s_waitcnt lgkmcnt(0)
	v_fma_f64 v[91:92], v[97:98], v[99:100], v[91:92]
	s_waitcnt vmcnt(1)
	s_delay_alu instid0(VALU_DEP_1) | instskip(SKIP_4) | instid1(VALU_DEP_1)
	v_fma_f64 v[87:88], v[87:88], v[101:102], v[91:92]
	ds_load_b128 v[91:94], v1 offset:624
	s_waitcnt lgkmcnt(0)
	v_fma_f64 v[1:2], v[89:90], v[91:92], v[87:88]
	s_waitcnt vmcnt(0)
	v_fma_f64 v[1:2], v[107:108], v[93:94], v[1:2]
	s_delay_alu instid0(VALU_DEP_1)
	v_add_f64 v[1:2], v[85:86], -v[1:2]
	scratch_store_b64 off, v[1:2], off offset:40
	v_cmpx_lt_u32_e32 4, v0
	s_cbranch_execz .LBB103_241
; %bb.240:
	scratch_load_b64 v[1:2], off, off offset:32
	v_mov_b32_e32 v85, 0
	s_delay_alu instid0(VALU_DEP_1)
	v_mov_b32_e32 v86, v85
	scratch_store_b64 off, v[85:86], off offset:32
	s_waitcnt vmcnt(0)
	ds_store_b64 v3, v[1:2]
.LBB103_241:
	s_or_b32 exec_lo, exec_lo, s0
	s_waitcnt lgkmcnt(0)
	s_waitcnt_vscnt null, 0x0
	s_barrier
	buffer_gl0_inv
	s_clause 0x4
	scratch_load_b128 v[85:88], off, off offset:32
	scratch_load_b128 v[89:92], off, off offset:48
	;; [unrolled: 1-line block ×5, first 2 shown]
	v_mov_b32_e32 v1, 0
	ds_load_2addr_b64 v[105:108], v1 offset0:45 offset1:46
	ds_load_2addr_b64 v[109:112], v1 offset0:47 offset1:48
	scratch_load_b128 v[113:116], off, off offset:112
	s_mov_b32 s0, exec_lo
	s_waitcnt vmcnt(5) lgkmcnt(1)
	v_fma_f64 v[87:88], v[87:88], v[105:106], 0
	s_waitcnt vmcnt(4)
	s_delay_alu instid0(VALU_DEP_1) | instskip(SKIP_1) | instid1(VALU_DEP_1)
	v_fma_f64 v[87:88], v[89:90], v[107:108], v[87:88]
	s_waitcnt lgkmcnt(0)
	v_fma_f64 v[91:92], v[91:92], v[109:110], v[87:88]
	scratch_load_b128 v[87:90], off, off offset:128
	s_waitcnt vmcnt(4)
	v_fma_f64 v[109:110], v[93:94], v[111:112], v[91:92]
	ds_load_2addr_b64 v[91:94], v1 offset0:49 offset1:50
	ds_load_2addr_b64 v[105:108], v1 offset0:51 offset1:52
	s_waitcnt lgkmcnt(1)
	v_fma_f64 v[91:92], v[95:96], v[91:92], v[109:110]
	scratch_load_b128 v[109:112], off, off offset:144
	s_waitcnt vmcnt(4)
	v_fma_f64 v[91:92], v[97:98], v[93:94], v[91:92]
	s_waitcnt lgkmcnt(0)
	s_delay_alu instid0(VALU_DEP_1)
	v_fma_f64 v[95:96], v[99:100], v[105:106], v[91:92]
	scratch_load_b128 v[91:94], off, off offset:160
	s_waitcnt vmcnt(4)
	v_fma_f64 v[105:106], v[101:102], v[107:108], v[95:96]
	ds_load_2addr_b64 v[95:98], v1 offset0:53 offset1:54
	ds_load_2addr_b64 v[99:102], v1 offset0:55 offset1:56
	s_waitcnt lgkmcnt(1)
	v_fma_f64 v[95:96], v[103:104], v[95:96], v[105:106]
	scratch_load_b128 v[103:106], off, off offset:176
	s_waitcnt vmcnt(4)
	v_fma_f64 v[95:96], v[113:114], v[97:98], v[95:96]
	s_waitcnt lgkmcnt(0)
	s_delay_alu instid0(VALU_DEP_1)
	;; [unrolled: 13-line block ×5, first 2 shown]
	v_fma_f64 v[107:108], v[89:90], v[111:112], v[87:88]
	scratch_load_b128 v[87:90], off, off offset:288
	s_waitcnt vmcnt(4)
	v_fma_f64 v[99:100], v[99:100], v[113:114], v[107:108]
	ds_load_2addr_b64 v[107:110], v1 offset0:69 offset1:70
	ds_load_2addr_b64 v[111:114], v1 offset0:71 offset1:72
	s_waitcnt lgkmcnt(1)
	v_fma_f64 v[107:108], v[101:102], v[107:108], v[99:100]
	scratch_load_b128 v[99:102], off, off offset:304
	s_waitcnt vmcnt(4)
	v_fma_f64 v[91:92], v[91:92], v[109:110], v[107:108]
	s_waitcnt lgkmcnt(0)
	s_delay_alu instid0(VALU_DEP_1) | instskip(SKIP_1) | instid1(VALU_DEP_1)
	v_fma_f64 v[91:92], v[93:94], v[111:112], v[91:92]
	s_waitcnt vmcnt(3)
	v_fma_f64 v[103:104], v[103:104], v[113:114], v[91:92]
	ds_load_2addr_b64 v[91:94], v1 offset0:73 offset1:74
	ds_load_2addr_b64 v[107:110], v1 offset0:75 offset1:76
	s_waitcnt lgkmcnt(1)
	v_fma_f64 v[91:92], v[105:106], v[91:92], v[103:104]
	s_waitcnt vmcnt(2)
	s_delay_alu instid0(VALU_DEP_1) | instskip(SKIP_1) | instid1(VALU_DEP_1)
	v_fma_f64 v[91:92], v[95:96], v[93:94], v[91:92]
	s_waitcnt lgkmcnt(0)
	v_fma_f64 v[91:92], v[97:98], v[107:108], v[91:92]
	s_waitcnt vmcnt(1)
	s_delay_alu instid0(VALU_DEP_1)
	v_fma_f64 v[87:88], v[87:88], v[109:110], v[91:92]
	ds_load_2addr_b64 v[91:94], v1 offset0:77 offset1:78
	ds_load_b64 v[95:96], v1 offset:632
	s_waitcnt lgkmcnt(1)
	v_fma_f64 v[87:88], v[89:90], v[91:92], v[87:88]
	s_waitcnt vmcnt(0)
	s_delay_alu instid0(VALU_DEP_1) | instskip(SKIP_1) | instid1(VALU_DEP_1)
	v_fma_f64 v[87:88], v[99:100], v[93:94], v[87:88]
	s_waitcnt lgkmcnt(0)
	v_fma_f64 v[87:88], v[101:102], v[95:96], v[87:88]
	s_delay_alu instid0(VALU_DEP_1)
	v_add_f64 v[85:86], v[85:86], -v[87:88]
	scratch_store_b64 off, v[85:86], off offset:32
	v_cmpx_lt_u32_e32 3, v0
	s_cbranch_execz .LBB103_243
; %bb.242:
	scratch_load_b64 v[85:86], off, off offset:24
	v_mov_b32_e32 v2, v1
	scratch_store_b64 off, v[1:2], off offset:24
	s_waitcnt vmcnt(0)
	ds_store_b64 v3, v[85:86]
.LBB103_243:
	s_or_b32 exec_lo, exec_lo, s0
	s_waitcnt lgkmcnt(0)
	s_waitcnt_vscnt null, 0x0
	s_barrier
	buffer_gl0_inv
	s_clause 0x4
	scratch_load_b128 v[85:88], off, off offset:24
	scratch_load_b128 v[89:92], off, off offset:40
	;; [unrolled: 1-line block ×5, first 2 shown]
	ds_load_b128 v[105:108], v1 offset:352
	ds_load_b128 v[109:112], v1 offset:368
	scratch_load_b128 v[113:116], off, off offset:104
	s_mov_b32 s0, exec_lo
	s_waitcnt vmcnt(5) lgkmcnt(1)
	v_fma_f64 v[87:88], v[87:88], v[105:106], 0
	s_waitcnt vmcnt(4)
	s_delay_alu instid0(VALU_DEP_1) | instskip(SKIP_1) | instid1(VALU_DEP_1)
	v_fma_f64 v[87:88], v[89:90], v[107:108], v[87:88]
	s_waitcnt lgkmcnt(0)
	v_fma_f64 v[91:92], v[91:92], v[109:110], v[87:88]
	scratch_load_b128 v[87:90], off, off offset:120
	s_waitcnt vmcnt(4)
	v_fma_f64 v[109:110], v[93:94], v[111:112], v[91:92]
	ds_load_b128 v[91:94], v1 offset:384
	ds_load_b128 v[105:108], v1 offset:400
	s_waitcnt lgkmcnt(1)
	v_fma_f64 v[91:92], v[95:96], v[91:92], v[109:110]
	scratch_load_b128 v[109:112], off, off offset:136
	s_waitcnt vmcnt(4)
	v_fma_f64 v[91:92], v[97:98], v[93:94], v[91:92]
	s_waitcnt lgkmcnt(0)
	s_delay_alu instid0(VALU_DEP_1)
	v_fma_f64 v[95:96], v[99:100], v[105:106], v[91:92]
	scratch_load_b128 v[91:94], off, off offset:152
	s_waitcnt vmcnt(4)
	v_fma_f64 v[105:106], v[101:102], v[107:108], v[95:96]
	ds_load_b128 v[95:98], v1 offset:416
	ds_load_b128 v[99:102], v1 offset:432
	s_waitcnt lgkmcnt(1)
	v_fma_f64 v[95:96], v[103:104], v[95:96], v[105:106]
	scratch_load_b128 v[103:106], off, off offset:168
	s_waitcnt vmcnt(4)
	v_fma_f64 v[95:96], v[113:114], v[97:98], v[95:96]
	s_waitcnt lgkmcnt(0)
	s_delay_alu instid0(VALU_DEP_1)
	;; [unrolled: 13-line block ×6, first 2 shown]
	v_fma_f64 v[91:92], v[93:94], v[111:112], v[91:92]
	scratch_load_b64 v[111:112], off, off offset:312
	s_waitcnt vmcnt(4)
	v_fma_f64 v[103:104], v[103:104], v[113:114], v[91:92]
	ds_load_b128 v[91:94], v1 offset:576
	ds_load_b128 v[107:110], v1 offset:592
	s_waitcnt lgkmcnt(1)
	v_fma_f64 v[91:92], v[105:106], v[91:92], v[103:104]
	s_waitcnt vmcnt(3)
	s_delay_alu instid0(VALU_DEP_1) | instskip(SKIP_1) | instid1(VALU_DEP_1)
	v_fma_f64 v[91:92], v[95:96], v[93:94], v[91:92]
	s_waitcnt lgkmcnt(0)
	v_fma_f64 v[91:92], v[97:98], v[107:108], v[91:92]
	s_waitcnt vmcnt(2)
	s_delay_alu instid0(VALU_DEP_1)
	v_fma_f64 v[87:88], v[87:88], v[109:110], v[91:92]
	ds_load_b128 v[91:94], v1 offset:608
	ds_load_b128 v[95:98], v1 offset:624
	s_waitcnt lgkmcnt(1)
	v_fma_f64 v[1:2], v[89:90], v[91:92], v[87:88]
	s_waitcnt vmcnt(1)
	s_delay_alu instid0(VALU_DEP_1) | instskip(SKIP_1) | instid1(VALU_DEP_1)
	v_fma_f64 v[1:2], v[99:100], v[93:94], v[1:2]
	s_waitcnt lgkmcnt(0)
	v_fma_f64 v[1:2], v[101:102], v[95:96], v[1:2]
	s_waitcnt vmcnt(0)
	s_delay_alu instid0(VALU_DEP_1) | instskip(NEXT) | instid1(VALU_DEP_1)
	v_fma_f64 v[1:2], v[111:112], v[97:98], v[1:2]
	v_add_f64 v[1:2], v[85:86], -v[1:2]
	scratch_store_b64 off, v[1:2], off offset:24
	v_cmpx_lt_u32_e32 2, v0
	s_cbranch_execz .LBB103_245
; %bb.244:
	scratch_load_b64 v[1:2], off, off offset:16
	v_mov_b32_e32 v85, 0
	s_delay_alu instid0(VALU_DEP_1)
	v_mov_b32_e32 v86, v85
	scratch_store_b64 off, v[85:86], off offset:16
	s_waitcnt vmcnt(0)
	ds_store_b64 v3, v[1:2]
.LBB103_245:
	s_or_b32 exec_lo, exec_lo, s0
	s_waitcnt lgkmcnt(0)
	s_waitcnt_vscnt null, 0x0
	s_barrier
	buffer_gl0_inv
	s_clause 0x4
	scratch_load_b128 v[85:88], off, off offset:16
	scratch_load_b128 v[89:92], off, off offset:32
	;; [unrolled: 1-line block ×5, first 2 shown]
	v_mov_b32_e32 v1, 0
	ds_load_2addr_b64 v[105:108], v1 offset0:43 offset1:44
	ds_load_2addr_b64 v[109:112], v1 offset0:45 offset1:46
	scratch_load_b128 v[113:116], off, off offset:96
	s_mov_b32 s0, exec_lo
	s_waitcnt vmcnt(5) lgkmcnt(1)
	v_fma_f64 v[87:88], v[87:88], v[105:106], 0
	s_waitcnt vmcnt(4)
	s_delay_alu instid0(VALU_DEP_1) | instskip(SKIP_1) | instid1(VALU_DEP_1)
	v_fma_f64 v[87:88], v[89:90], v[107:108], v[87:88]
	s_waitcnt lgkmcnt(0)
	v_fma_f64 v[91:92], v[91:92], v[109:110], v[87:88]
	scratch_load_b128 v[87:90], off, off offset:112
	s_waitcnt vmcnt(4)
	v_fma_f64 v[109:110], v[93:94], v[111:112], v[91:92]
	ds_load_2addr_b64 v[91:94], v1 offset0:47 offset1:48
	ds_load_2addr_b64 v[105:108], v1 offset0:49 offset1:50
	s_waitcnt lgkmcnt(1)
	v_fma_f64 v[91:92], v[95:96], v[91:92], v[109:110]
	scratch_load_b128 v[109:112], off, off offset:128
	s_waitcnt vmcnt(4)
	v_fma_f64 v[91:92], v[97:98], v[93:94], v[91:92]
	s_waitcnt lgkmcnt(0)
	s_delay_alu instid0(VALU_DEP_1)
	v_fma_f64 v[95:96], v[99:100], v[105:106], v[91:92]
	scratch_load_b128 v[91:94], off, off offset:144
	s_waitcnt vmcnt(4)
	v_fma_f64 v[105:106], v[101:102], v[107:108], v[95:96]
	ds_load_2addr_b64 v[95:98], v1 offset0:51 offset1:52
	ds_load_2addr_b64 v[99:102], v1 offset0:53 offset1:54
	s_waitcnt lgkmcnt(1)
	v_fma_f64 v[95:96], v[103:104], v[95:96], v[105:106]
	scratch_load_b128 v[103:106], off, off offset:160
	s_waitcnt vmcnt(4)
	v_fma_f64 v[95:96], v[113:114], v[97:98], v[95:96]
	s_waitcnt lgkmcnt(0)
	s_delay_alu instid0(VALU_DEP_1)
	;; [unrolled: 13-line block ×6, first 2 shown]
	v_fma_f64 v[107:108], v[93:94], v[111:112], v[91:92]
	scratch_load_b128 v[91:94], off, off offset:304
	s_waitcnt vmcnt(4)
	v_fma_f64 v[103:104], v[103:104], v[113:114], v[107:108]
	ds_load_2addr_b64 v[107:110], v1 offset0:71 offset1:72
	ds_load_2addr_b64 v[111:114], v1 offset0:73 offset1:74
	s_waitcnt lgkmcnt(1)
	v_fma_f64 v[103:104], v[105:106], v[107:108], v[103:104]
	s_waitcnt vmcnt(3)
	s_delay_alu instid0(VALU_DEP_1) | instskip(SKIP_1) | instid1(VALU_DEP_1)
	v_fma_f64 v[95:96], v[95:96], v[109:110], v[103:104]
	s_waitcnt lgkmcnt(0)
	v_fma_f64 v[95:96], v[97:98], v[111:112], v[95:96]
	s_waitcnt vmcnt(2)
	s_delay_alu instid0(VALU_DEP_1)
	v_fma_f64 v[87:88], v[87:88], v[113:114], v[95:96]
	ds_load_2addr_b64 v[95:98], v1 offset0:75 offset1:76
	ds_load_2addr_b64 v[103:106], v1 offset0:77 offset1:78
	s_waitcnt lgkmcnt(1)
	v_fma_f64 v[87:88], v[89:90], v[95:96], v[87:88]
	ds_load_b64 v[89:90], v1 offset:632
	s_waitcnt vmcnt(1)
	v_fma_f64 v[87:88], v[99:100], v[97:98], v[87:88]
	s_waitcnt lgkmcnt(1)
	s_delay_alu instid0(VALU_DEP_1) | instskip(SKIP_1) | instid1(VALU_DEP_1)
	v_fma_f64 v[87:88], v[101:102], v[103:104], v[87:88]
	s_waitcnt vmcnt(0)
	v_fma_f64 v[87:88], v[91:92], v[105:106], v[87:88]
	s_waitcnt lgkmcnt(0)
	s_delay_alu instid0(VALU_DEP_1) | instskip(NEXT) | instid1(VALU_DEP_1)
	v_fma_f64 v[87:88], v[93:94], v[89:90], v[87:88]
	v_add_f64 v[85:86], v[85:86], -v[87:88]
	scratch_store_b64 off, v[85:86], off offset:16
	v_cmpx_lt_u32_e32 1, v0
	s_cbranch_execz .LBB103_247
; %bb.246:
	scratch_load_b64 v[85:86], off, off offset:8
	v_mov_b32_e32 v2, v1
	scratch_store_b64 off, v[1:2], off offset:8
	s_waitcnt vmcnt(0)
	ds_store_b64 v3, v[85:86]
.LBB103_247:
	s_or_b32 exec_lo, exec_lo, s0
	s_waitcnt lgkmcnt(0)
	s_waitcnt_vscnt null, 0x0
	s_barrier
	buffer_gl0_inv
	s_clause 0x4
	scratch_load_b128 v[85:88], off, off offset:8
	scratch_load_b128 v[89:92], off, off offset:24
	;; [unrolled: 1-line block ×5, first 2 shown]
	ds_load_b128 v[105:108], v1 offset:336
	ds_load_b128 v[109:112], v1 offset:352
	scratch_load_b128 v[113:116], off, off offset:88
	s_mov_b32 s0, exec_lo
	s_waitcnt vmcnt(5) lgkmcnt(1)
	v_fma_f64 v[87:88], v[87:88], v[105:106], 0
	s_waitcnt vmcnt(4)
	s_delay_alu instid0(VALU_DEP_1) | instskip(SKIP_1) | instid1(VALU_DEP_1)
	v_fma_f64 v[87:88], v[89:90], v[107:108], v[87:88]
	s_waitcnt lgkmcnt(0)
	v_fma_f64 v[91:92], v[91:92], v[109:110], v[87:88]
	scratch_load_b128 v[87:90], off, off offset:104
	s_waitcnt vmcnt(4)
	v_fma_f64 v[109:110], v[93:94], v[111:112], v[91:92]
	ds_load_b128 v[91:94], v1 offset:368
	ds_load_b128 v[105:108], v1 offset:384
	s_waitcnt lgkmcnt(1)
	v_fma_f64 v[91:92], v[95:96], v[91:92], v[109:110]
	scratch_load_b128 v[109:112], off, off offset:120
	s_waitcnt vmcnt(4)
	v_fma_f64 v[91:92], v[97:98], v[93:94], v[91:92]
	s_waitcnt lgkmcnt(0)
	s_delay_alu instid0(VALU_DEP_1)
	v_fma_f64 v[95:96], v[99:100], v[105:106], v[91:92]
	scratch_load_b128 v[91:94], off, off offset:136
	s_waitcnt vmcnt(4)
	v_fma_f64 v[105:106], v[101:102], v[107:108], v[95:96]
	ds_load_b128 v[95:98], v1 offset:400
	ds_load_b128 v[99:102], v1 offset:416
	s_waitcnt lgkmcnt(1)
	v_fma_f64 v[95:96], v[103:104], v[95:96], v[105:106]
	scratch_load_b128 v[103:106], off, off offset:152
	s_waitcnt vmcnt(4)
	v_fma_f64 v[95:96], v[113:114], v[97:98], v[95:96]
	s_waitcnt lgkmcnt(0)
	s_delay_alu instid0(VALU_DEP_1)
	;; [unrolled: 13-line block ×6, first 2 shown]
	v_fma_f64 v[107:108], v[93:94], v[111:112], v[91:92]
	scratch_load_b128 v[91:94], off, off offset:296
	s_waitcnt vmcnt(4)
	v_fma_f64 v[103:104], v[103:104], v[113:114], v[107:108]
	ds_load_b128 v[107:110], v1 offset:560
	ds_load_b128 v[111:114], v1 offset:576
	s_waitcnt lgkmcnt(1)
	v_fma_f64 v[103:104], v[105:106], v[107:108], v[103:104]
	scratch_load_b64 v[107:108], off, off offset:312
	s_waitcnt vmcnt(4)
	v_fma_f64 v[95:96], v[95:96], v[109:110], v[103:104]
	s_waitcnt lgkmcnt(0)
	s_delay_alu instid0(VALU_DEP_1) | instskip(SKIP_1) | instid1(VALU_DEP_1)
	v_fma_f64 v[95:96], v[97:98], v[111:112], v[95:96]
	s_waitcnt vmcnt(3)
	v_fma_f64 v[87:88], v[87:88], v[113:114], v[95:96]
	ds_load_b128 v[95:98], v1 offset:592
	ds_load_b128 v[103:106], v1 offset:608
	s_waitcnt lgkmcnt(1)
	v_fma_f64 v[87:88], v[89:90], v[95:96], v[87:88]
	s_waitcnt vmcnt(2)
	s_delay_alu instid0(VALU_DEP_1) | instskip(SKIP_1) | instid1(VALU_DEP_1)
	v_fma_f64 v[87:88], v[99:100], v[97:98], v[87:88]
	s_waitcnt lgkmcnt(0)
	v_fma_f64 v[87:88], v[101:102], v[103:104], v[87:88]
	s_waitcnt vmcnt(1)
	s_delay_alu instid0(VALU_DEP_1) | instskip(SKIP_4) | instid1(VALU_DEP_1)
	v_fma_f64 v[91:92], v[91:92], v[105:106], v[87:88]
	ds_load_b128 v[87:90], v1 offset:624
	s_waitcnt lgkmcnt(0)
	v_fma_f64 v[1:2], v[93:94], v[87:88], v[91:92]
	s_waitcnt vmcnt(0)
	v_fma_f64 v[1:2], v[107:108], v[89:90], v[1:2]
	s_delay_alu instid0(VALU_DEP_1)
	v_add_f64 v[1:2], v[85:86], -v[1:2]
	scratch_store_b64 off, v[1:2], off offset:8
	v_cmpx_ne_u32_e32 0, v0
	s_cbranch_execz .LBB103_249
; %bb.248:
	scratch_load_b64 v[0:1], off, off
	v_mov_b32_e32 v85, 0
	s_delay_alu instid0(VALU_DEP_1)
	v_mov_b32_e32 v86, v85
	scratch_store_b64 off, v[85:86], off
	s_waitcnt vmcnt(0)
	ds_store_b64 v3, v[0:1]
.LBB103_249:
	s_or_b32 exec_lo, exec_lo, s0
	s_waitcnt lgkmcnt(0)
	s_waitcnt_vscnt null, 0x0
	s_barrier
	buffer_gl0_inv
	s_clause 0x4
	scratch_load_b128 v[85:88], off, off
	scratch_load_b128 v[0:3], off, off offset:16
	scratch_load_b128 v[89:92], off, off offset:32
	;; [unrolled: 1-line block ×4, first 2 shown]
	v_mov_b32_e32 v4, 0
	ds_load_2addr_b64 v[101:104], v4 offset0:41 offset1:42
	ds_load_2addr_b64 v[105:108], v4 offset0:43 offset1:44
	scratch_load_b128 v[109:112], off, off offset:80
	s_and_b32 vcc_lo, exec_lo, s12
	s_waitcnt vmcnt(5) lgkmcnt(1)
	v_fma_f64 v[87:88], v[87:88], v[101:102], 0
	s_waitcnt vmcnt(4)
	s_delay_alu instid0(VALU_DEP_1) | instskip(SKIP_1) | instid1(VALU_DEP_1)
	v_fma_f64 v[0:1], v[0:1], v[103:104], v[87:88]
	s_waitcnt lgkmcnt(0)
	v_fma_f64 v[87:88], v[2:3], v[105:106], v[0:1]
	scratch_load_b128 v[0:3], off, off offset:96
	s_waitcnt vmcnt(4)
	v_fma_f64 v[105:106], v[89:90], v[107:108], v[87:88]
	ds_load_2addr_b64 v[87:90], v4 offset0:45 offset1:46
	ds_load_2addr_b64 v[101:104], v4 offset0:47 offset1:48
	s_waitcnt lgkmcnt(1)
	v_fma_f64 v[87:88], v[91:92], v[87:88], v[105:106]
	scratch_load_b128 v[105:108], off, off offset:112
	s_waitcnt vmcnt(4)
	v_fma_f64 v[87:88], v[93:94], v[89:90], v[87:88]
	s_waitcnt lgkmcnt(0)
	s_delay_alu instid0(VALU_DEP_1)
	v_fma_f64 v[91:92], v[95:96], v[101:102], v[87:88]
	scratch_load_b128 v[87:90], off, off offset:128
	s_waitcnt vmcnt(4)
	v_fma_f64 v[101:102], v[97:98], v[103:104], v[91:92]
	ds_load_2addr_b64 v[91:94], v4 offset0:49 offset1:50
	ds_load_2addr_b64 v[95:98], v4 offset0:51 offset1:52
	s_waitcnt lgkmcnt(1)
	v_fma_f64 v[91:92], v[99:100], v[91:92], v[101:102]
	scratch_load_b128 v[99:102], off, off offset:144
	s_waitcnt vmcnt(4)
	v_fma_f64 v[91:92], v[109:110], v[93:94], v[91:92]
	s_waitcnt lgkmcnt(0)
	s_delay_alu instid0(VALU_DEP_1)
	;; [unrolled: 13-line block ×4, first 2 shown]
	v_fma_f64 v[103:104], v[101:102], v[107:108], v[99:100]
	scratch_load_b128 v[99:102], off, off offset:224
	s_waitcnt vmcnt(4)
	v_fma_f64 v[91:92], v[91:92], v[109:110], v[103:104]
	ds_load_2addr_b64 v[103:106], v4 offset0:61 offset1:62
	ds_load_2addr_b64 v[107:110], v4 offset0:63 offset1:64
	s_waitcnt lgkmcnt(1)
	v_fma_f64 v[103:104], v[93:94], v[103:104], v[91:92]
	scratch_load_b128 v[91:94], off, off offset:240
	s_waitcnt vmcnt(4)
	v_fma_f64 v[0:1], v[0:1], v[105:106], v[103:104]
	scratch_load_b128 v[103:106], off, off offset:256
	s_waitcnt lgkmcnt(0)
	v_fma_f64 v[0:1], v[2:3], v[107:108], v[0:1]
	s_waitcnt vmcnt(4)
	s_delay_alu instid0(VALU_DEP_1)
	v_fma_f64 v[95:96], v[95:96], v[109:110], v[0:1]
	ds_load_2addr_b64 v[0:3], v4 offset0:65 offset1:66
	ds_load_2addr_b64 v[107:110], v4 offset0:67 offset1:68
	s_waitcnt lgkmcnt(1)
	v_fma_f64 v[0:1], v[97:98], v[0:1], v[95:96]
	scratch_load_b128 v[95:98], off, off offset:272
	s_waitcnt vmcnt(4)
	v_fma_f64 v[0:1], v[87:88], v[2:3], v[0:1]
	s_waitcnt lgkmcnt(0)
	s_delay_alu instid0(VALU_DEP_1)
	v_fma_f64 v[0:1], v[89:90], v[107:108], v[0:1]
	scratch_load_b128 v[87:90], off, off offset:288
	s_waitcnt vmcnt(4)
	v_fma_f64 v[0:1], v[99:100], v[109:110], v[0:1]
	ds_load_2addr_b64 v[107:110], v4 offset0:69 offset1:70
	ds_load_2addr_b64 v[111:114], v4 offset0:71 offset1:72
	s_waitcnt lgkmcnt(1)
	v_fma_f64 v[99:100], v[101:102], v[107:108], v[0:1]
	scratch_load_b128 v[0:3], off, off offset:304
	s_waitcnt vmcnt(4)
	v_fma_f64 v[91:92], v[91:92], v[109:110], v[99:100]
	s_waitcnt lgkmcnt(0)
	s_delay_alu instid0(VALU_DEP_1) | instskip(SKIP_1) | instid1(VALU_DEP_1)
	v_fma_f64 v[91:92], v[93:94], v[111:112], v[91:92]
	s_waitcnt vmcnt(3)
	v_fma_f64 v[103:104], v[103:104], v[113:114], v[91:92]
	ds_load_2addr_b64 v[91:94], v4 offset0:73 offset1:74
	ds_load_2addr_b64 v[99:102], v4 offset0:75 offset1:76
	s_waitcnt lgkmcnt(1)
	v_fma_f64 v[91:92], v[105:106], v[91:92], v[103:104]
	s_waitcnt vmcnt(2)
	s_delay_alu instid0(VALU_DEP_1) | instskip(SKIP_1) | instid1(VALU_DEP_1)
	v_fma_f64 v[91:92], v[95:96], v[93:94], v[91:92]
	s_waitcnt lgkmcnt(0)
	v_fma_f64 v[91:92], v[97:98], v[99:100], v[91:92]
	s_waitcnt vmcnt(1)
	s_delay_alu instid0(VALU_DEP_1)
	v_fma_f64 v[87:88], v[87:88], v[101:102], v[91:92]
	ds_load_2addr_b64 v[91:94], v4 offset0:77 offset1:78
	ds_load_b64 v[95:96], v4 offset:632
	s_waitcnt lgkmcnt(1)
	v_fma_f64 v[87:88], v[89:90], v[91:92], v[87:88]
	s_waitcnt vmcnt(0)
	s_delay_alu instid0(VALU_DEP_1) | instskip(SKIP_1) | instid1(VALU_DEP_1)
	v_fma_f64 v[87:88], v[0:1], v[93:94], v[87:88]
	s_waitcnt lgkmcnt(0)
	v_fma_f64 v[2:3], v[2:3], v[95:96], v[87:88]
	s_delay_alu instid0(VALU_DEP_1)
	v_add_f64 v[2:3], v[85:86], -v[2:3]
	scratch_store_b64 off, v[2:3], off
	s_cbranch_vccz .LBB103_329
; %bb.250:
	v_dual_mov_b32 v2, s2 :: v_dual_mov_b32 v3, s3
	s_mov_b32 s0, exec_lo
	flat_load_b32 v2, v[2:3] offset:152
	s_waitcnt vmcnt(0) lgkmcnt(0)
	v_cmpx_ne_u32_e32 39, v2
	s_cbranch_execz .LBB103_252
; %bb.251:
	v_lshl_add_u32 v4, v2, 3, 0
	scratch_load_b64 v[2:3], v4, off offset:-8
	s_waitcnt vmcnt(0)
	scratch_store_b64 off, v[2:3], off offset:304
	scratch_store_b64 v4, v[0:1], off offset:-8
.LBB103_252:
	s_or_b32 exec_lo, exec_lo, s0
	v_dual_mov_b32 v0, s2 :: v_dual_mov_b32 v1, s3
	s_mov_b32 s0, exec_lo
	flat_load_b32 v0, v[0:1] offset:148
	s_waitcnt vmcnt(0) lgkmcnt(0)
	v_cmpx_ne_u32_e32 38, v0
	s_cbranch_execz .LBB103_254
; %bb.253:
	v_lshl_add_u32 v4, v0, 3, 0
	scratch_load_b64 v[0:1], v4, off offset:-8
	scratch_load_b64 v[2:3], off, off offset:296
	s_waitcnt vmcnt(1)
	scratch_store_b64 off, v[0:1], off offset:296
	s_waitcnt vmcnt(0)
	scratch_store_b64 v4, v[2:3], off offset:-8
.LBB103_254:
	s_or_b32 exec_lo, exec_lo, s0
	v_dual_mov_b32 v0, s2 :: v_dual_mov_b32 v1, s3
	s_mov_b32 s0, exec_lo
	flat_load_b32 v0, v[0:1] offset:144
	s_waitcnt vmcnt(0) lgkmcnt(0)
	v_cmpx_ne_u32_e32 37, v0
	s_cbranch_execz .LBB103_256
; %bb.255:
	v_lshl_add_u32 v4, v0, 3, 0
	scratch_load_b64 v[0:1], v4, off offset:-8
	scratch_load_b64 v[2:3], off, off offset:288
	s_waitcnt vmcnt(1)
	scratch_store_b64 off, v[0:1], off offset:288
	s_waitcnt vmcnt(0)
	scratch_store_b64 v4, v[2:3], off offset:-8
.LBB103_256:
	;; [unrolled: 16-line block ×37, first 2 shown]
	s_or_b32 exec_lo, exec_lo, s0
	v_dual_mov_b32 v0, s2 :: v_dual_mov_b32 v1, s3
	s_mov_b32 s0, exec_lo
	flat_load_b32 v0, v[0:1]
	scratch_load_b64 v[2:3], off, off
	s_waitcnt vmcnt(1) lgkmcnt(0)
	v_cmpx_ne_u32_e32 1, v0
	s_cbranch_execz .LBB103_328
; %bb.327:
	v_lshl_add_u32 v4, v0, 3, 0
	scratch_load_b64 v[0:1], v4, off offset:-8
	s_waitcnt vmcnt(0)
	scratch_store_b64 off, v[0:1], off
	scratch_store_b64 v4, v[2:3], off offset:-8
	scratch_load_b64 v[2:3], off, off
.LBB103_328:
	s_or_b32 exec_lo, exec_lo, s0
.LBB103_329:
	s_clause 0x7
	scratch_load_b128 v[85:88], off, off offset:8
	scratch_load_b128 v[89:92], off, off offset:24
	;; [unrolled: 1-line block ×8, first 2 shown]
	s_waitcnt vmcnt(8)
	global_store_b64 v[7:8], v[2:3], off
	s_clause 0x2
	scratch_load_b128 v[0:3], off, off offset:136
	scratch_load_b128 v[117:120], off, off offset:184
	;; [unrolled: 1-line block ×3, first 2 shown]
	s_waitcnt vmcnt(10)
	global_store_b64 v[5:6], v[85:86], off
	scratch_load_b128 v[4:7], off, off offset:152
	global_store_b64 v[19:20], v[87:88], off
	s_waitcnt vmcnt(10)
	s_clause 0x1
	global_store_b64 v[25:26], v[89:90], off
	global_store_b64 v[17:18], v[91:92], off
	s_waitcnt vmcnt(9)
	s_clause 0x1
	global_store_b64 v[11:12], v[93:94], off
	;; [unrolled: 4-line block ×4, first 2 shown]
	global_store_b64 v[33:34], v[103:104], off
	s_clause 0x7
	scratch_load_b128 v[85:88], off, off offset:168
	scratch_load_b128 v[17:20], off, off offset:200
	;; [unrolled: 1-line block ×7, first 2 shown]
	scratch_load_b64 v[8:9], off, off offset:312
	s_waitcnt vmcnt(14)
	s_clause 0x1
	global_store_b64 v[23:24], v[105:106], off
	global_store_b64 v[27:28], v[107:108], off
	s_waitcnt vmcnt(13)
	s_clause 0x1
	global_store_b64 v[31:32], v[109:110], off
	global_store_b64 v[35:36], v[111:112], off
	;; [unrolled: 4-line block ×6, first 2 shown]
	global_store_b64 v[53:54], v[117:118], off
	global_store_b64 v[55:56], v[119:120], off
	s_waitcnt vmcnt(6)
	s_clause 0x1
	global_store_b64 v[57:58], v[17:18], off
	global_store_b64 v[59:60], v[19:20], off
	s_waitcnt vmcnt(5)
	s_clause 0x1
	;; [unrolled: 4-line block ×5, first 2 shown]
	global_store_b64 v[73:74], v[97:98], off
	global_store_b64 v[75:76], v[99:100], off
	;; [unrolled: 1-line block ×4, first 2 shown]
	s_waitcnt vmcnt(1)
	s_clause 0x1
	global_store_b64 v[81:82], v[101:102], off
	global_store_b64 v[83:84], v[103:104], off
	s_waitcnt vmcnt(0)
	global_store_b64 v[29:30], v[8:9], off
	s_endpgm
	.section	.rodata,"a",@progbits
	.p2align	6, 0x0
	.amdhsa_kernel _ZN9rocsolver6v33100L18getri_kernel_smallILi40EdPKPdEEvT1_iilPiilS6_bb
		.amdhsa_group_segment_fixed_size 648
		.amdhsa_private_segment_fixed_size 336
		.amdhsa_kernarg_size 60
		.amdhsa_user_sgpr_count 15
		.amdhsa_user_sgpr_dispatch_ptr 0
		.amdhsa_user_sgpr_queue_ptr 0
		.amdhsa_user_sgpr_kernarg_segment_ptr 1
		.amdhsa_user_sgpr_dispatch_id 0
		.amdhsa_user_sgpr_private_segment_size 0
		.amdhsa_wavefront_size32 1
		.amdhsa_uses_dynamic_stack 0
		.amdhsa_enable_private_segment 1
		.amdhsa_system_sgpr_workgroup_id_x 1
		.amdhsa_system_sgpr_workgroup_id_y 0
		.amdhsa_system_sgpr_workgroup_id_z 0
		.amdhsa_system_sgpr_workgroup_info 0
		.amdhsa_system_vgpr_workitem_id 0
		.amdhsa_next_free_vgpr 128
		.amdhsa_next_free_sgpr 17
		.amdhsa_reserve_vcc 1
		.amdhsa_float_round_mode_32 0
		.amdhsa_float_round_mode_16_64 0
		.amdhsa_float_denorm_mode_32 3
		.amdhsa_float_denorm_mode_16_64 3
		.amdhsa_dx10_clamp 1
		.amdhsa_ieee_mode 1
		.amdhsa_fp16_overflow 0
		.amdhsa_workgroup_processor_mode 1
		.amdhsa_memory_ordered 1
		.amdhsa_forward_progress 0
		.amdhsa_shared_vgpr_count 0
		.amdhsa_exception_fp_ieee_invalid_op 0
		.amdhsa_exception_fp_denorm_src 0
		.amdhsa_exception_fp_ieee_div_zero 0
		.amdhsa_exception_fp_ieee_overflow 0
		.amdhsa_exception_fp_ieee_underflow 0
		.amdhsa_exception_fp_ieee_inexact 0
		.amdhsa_exception_int_div_zero 0
	.end_amdhsa_kernel
	.section	.text._ZN9rocsolver6v33100L18getri_kernel_smallILi40EdPKPdEEvT1_iilPiilS6_bb,"axG",@progbits,_ZN9rocsolver6v33100L18getri_kernel_smallILi40EdPKPdEEvT1_iilPiilS6_bb,comdat
.Lfunc_end103:
	.size	_ZN9rocsolver6v33100L18getri_kernel_smallILi40EdPKPdEEvT1_iilPiilS6_bb, .Lfunc_end103-_ZN9rocsolver6v33100L18getri_kernel_smallILi40EdPKPdEEvT1_iilPiilS6_bb
                                        ; -- End function
	.section	.AMDGPU.csdata,"",@progbits
; Kernel info:
; codeLenInByte = 34488
; NumSgprs: 19
; NumVgprs: 128
; ScratchSize: 336
; MemoryBound: 0
; FloatMode: 240
; IeeeMode: 1
; LDSByteSize: 648 bytes/workgroup (compile time only)
; SGPRBlocks: 2
; VGPRBlocks: 15
; NumSGPRsForWavesPerEU: 19
; NumVGPRsForWavesPerEU: 128
; Occupancy: 10
; WaveLimiterHint : 1
; COMPUTE_PGM_RSRC2:SCRATCH_EN: 1
; COMPUTE_PGM_RSRC2:USER_SGPR: 15
; COMPUTE_PGM_RSRC2:TRAP_HANDLER: 0
; COMPUTE_PGM_RSRC2:TGID_X_EN: 1
; COMPUTE_PGM_RSRC2:TGID_Y_EN: 0
; COMPUTE_PGM_RSRC2:TGID_Z_EN: 0
; COMPUTE_PGM_RSRC2:TIDIG_COMP_CNT: 0
	.section	.text._ZN9rocsolver6v33100L18getri_kernel_smallILi41EdPKPdEEvT1_iilPiilS6_bb,"axG",@progbits,_ZN9rocsolver6v33100L18getri_kernel_smallILi41EdPKPdEEvT1_iilPiilS6_bb,comdat
	.globl	_ZN9rocsolver6v33100L18getri_kernel_smallILi41EdPKPdEEvT1_iilPiilS6_bb ; -- Begin function _ZN9rocsolver6v33100L18getri_kernel_smallILi41EdPKPdEEvT1_iilPiilS6_bb
	.p2align	8
	.type	_ZN9rocsolver6v33100L18getri_kernel_smallILi41EdPKPdEEvT1_iilPiilS6_bb,@function
_ZN9rocsolver6v33100L18getri_kernel_smallILi41EdPKPdEEvT1_iilPiilS6_bb: ; @_ZN9rocsolver6v33100L18getri_kernel_smallILi41EdPKPdEEvT1_iilPiilS6_bb
; %bb.0:
	s_mov_b32 s2, exec_lo
	v_cmpx_gt_u32_e32 41, v0
	s_cbranch_execz .LBB104_174
; %bb.1:
	s_clause 0x1
	s_load_b32 s13, s[0:1], 0x38
	s_load_b64 s[2:3], s[0:1], 0x0
	s_mov_b32 s8, s15
	s_load_b128 s[4:7], s[0:1], 0x28
	s_waitcnt lgkmcnt(0)
	s_bitcmp1_b32 s13, 8
	s_cselect_b32 s12, -1, 0
	s_ashr_i32 s9, s15, 31
	s_delay_alu instid0(SALU_CYCLE_1) | instskip(NEXT) | instid1(SALU_CYCLE_1)
	s_lshl_b64 s[10:11], s[8:9], 3
	s_add_u32 s2, s2, s10
	s_addc_u32 s3, s3, s11
	s_load_b64 s[10:11], s[2:3], 0x0
	s_bfe_u32 s2, s13, 0x10008
	s_delay_alu instid0(SALU_CYCLE_1)
	s_cmp_eq_u32 s2, 0
                                        ; implicit-def: $sgpr2_sgpr3
	s_cbranch_scc1 .LBB104_3
; %bb.2:
	s_clause 0x1
	s_load_b32 s2, s[0:1], 0x20
	s_load_b64 s[14:15], s[0:1], 0x18
	s_mul_i32 s3, s8, s5
	s_mul_hi_u32 s5, s8, s4
	s_mul_i32 s16, s9, s4
	s_add_i32 s3, s5, s3
	s_mul_i32 s4, s8, s4
	s_add_i32 s5, s3, s16
	s_delay_alu instid0(SALU_CYCLE_1)
	s_lshl_b64 s[4:5], s[4:5], 2
	s_waitcnt lgkmcnt(0)
	s_ashr_i32 s3, s2, 31
	s_add_u32 s4, s14, s4
	s_addc_u32 s5, s15, s5
	s_lshl_b64 s[2:3], s[2:3], 2
	s_delay_alu instid0(SALU_CYCLE_1)
	s_add_u32 s2, s4, s2
	s_addc_u32 s3, s5, s3
.LBB104_3:
	s_load_b64 s[0:1], s[0:1], 0x8
	v_lshlrev_b32_e32 v95, 3, v0
	s_waitcnt lgkmcnt(0)
	v_add3_u32 v3, s1, s1, v0
	s_ashr_i32 s5, s0, 31
	s_mov_b32 s4, s0
	s_mov_b32 s14, s1
	s_lshl_b64 s[4:5], s[4:5], 3
	v_add_nc_u32_e32 v5, s1, v3
	v_ashrrev_i32_e32 v4, 31, v3
	s_add_u32 s4, s10, s4
	s_addc_u32 s5, s11, s5
	v_add_co_u32 v13, s0, s4, v95
	v_add_nc_u32_e32 v7, s1, v5
	s_ashr_i32 s15, s1, 31
	v_add_co_ci_u32_e64 v14, null, s5, 0, s0
	v_lshlrev_b64 v[3:4], 3, v[3:4]
	s_lshl_b64 s[10:11], s[14:15], 3
	v_add_nc_u32_e32 v9, s1, v7
	v_add_co_u32 v15, vcc_lo, v13, s10
	v_add_co_ci_u32_e32 v16, vcc_lo, s11, v14, vcc_lo
	v_ashrrev_i32_e32 v6, 31, v5
	v_add_co_u32 v17, vcc_lo, s4, v3
	v_add_nc_u32_e32 v3, s1, v9
	v_ashrrev_i32_e32 v8, 31, v7
	s_delay_alu instid0(VALU_DEP_4)
	v_lshlrev_b64 v[5:6], 3, v[5:6]
	v_ashrrev_i32_e32 v10, 31, v9
	v_add_co_ci_u32_e32 v18, vcc_lo, s5, v4, vcc_lo
	v_add_nc_u32_e32 v11, s1, v3
	v_lshlrev_b64 v[7:8], 3, v[7:8]
	v_add_co_u32 v19, vcc_lo, s4, v5
	v_ashrrev_i32_e32 v4, 31, v3
	s_delay_alu instid0(VALU_DEP_4) | instskip(SKIP_3) | instid1(VALU_DEP_4)
	v_add_nc_u32_e32 v27, s1, v11
	v_add_co_ci_u32_e32 v20, vcc_lo, s5, v6, vcc_lo
	v_lshlrev_b64 v[5:6], 3, v[9:10]
	v_ashrrev_i32_e32 v12, 31, v11
	v_add_nc_u32_e32 v33, s1, v27
	v_add_co_u32 v21, vcc_lo, s4, v7
	v_lshlrev_b64 v[25:26], 3, v[3:4]
	v_ashrrev_i32_e32 v28, 31, v27
	v_add_co_ci_u32_e32 v22, vcc_lo, s5, v8, vcc_lo
	v_add_co_u32 v23, vcc_lo, s4, v5
	v_lshlrev_b64 v[29:30], 3, v[11:12]
	v_ashrrev_i32_e32 v34, 31, v33
	v_add_co_ci_u32_e32 v24, vcc_lo, s5, v6, vcc_lo
	v_add_co_u32 v25, vcc_lo, s4, v25
	v_lshlrev_b64 v[31:32], 3, v[27:28]
	v_add_co_ci_u32_e32 v26, vcc_lo, s5, v26, vcc_lo
	v_add_co_u32 v27, vcc_lo, s4, v29
	v_lshlrev_b64 v[34:35], 3, v[33:34]
	v_add_co_ci_u32_e32 v28, vcc_lo, s5, v30, vcc_lo
	v_add_co_u32 v29, vcc_lo, s4, v31
	v_add_co_ci_u32_e32 v30, vcc_lo, s5, v32, vcc_lo
	s_delay_alu instid0(VALU_DEP_4)
	v_add_co_u32 v31, vcc_lo, s4, v34
	s_clause 0x4
	global_load_b64 v[1:2], v95, s[4:5]
	global_load_b64 v[3:4], v[15:16], off
	global_load_b64 v[5:6], v[17:18], off
	;; [unrolled: 1-line block ×4, first 2 shown]
	v_add_co_ci_u32_e32 v32, vcc_lo, s5, v35, vcc_lo
	s_clause 0x4
	global_load_b64 v[11:12], v[23:24], off
	global_load_b64 v[96:97], v[25:26], off
	;; [unrolled: 1-line block ×5, first 2 shown]
	v_add_nc_u32_e32 v33, s1, v33
	s_bitcmp0_b32 s13, 0
	s_delay_alu instid0(VALU_DEP_1) | instskip(SKIP_1) | instid1(VALU_DEP_2)
	v_add_nc_u32_e32 v35, s1, v33
	v_ashrrev_i32_e32 v34, 31, v33
	v_add_nc_u32_e32 v37, s1, v35
	s_delay_alu instid0(VALU_DEP_2) | instskip(SKIP_1) | instid1(VALU_DEP_3)
	v_lshlrev_b64 v[33:34], 3, v[33:34]
	v_ashrrev_i32_e32 v36, 31, v35
	v_ashrrev_i32_e32 v38, 31, v37
	v_add_nc_u32_e32 v39, s1, v37
	s_delay_alu instid0(VALU_DEP_4) | instskip(SKIP_1) | instid1(VALU_DEP_4)
	v_add_co_u32 v45, vcc_lo, s4, v33
	v_add_co_ci_u32_e32 v46, vcc_lo, s5, v34, vcc_lo
	v_lshlrev_b64 v[33:34], 3, v[37:38]
	s_delay_alu instid0(VALU_DEP_4) | instskip(SKIP_2) | instid1(VALU_DEP_3)
	v_add_nc_u32_e32 v37, s1, v39
	v_lshlrev_b64 v[35:36], 3, v[35:36]
	v_ashrrev_i32_e32 v40, 31, v39
	v_add_nc_u32_e32 v43, s1, v37
	v_ashrrev_i32_e32 v38, 31, v37
	s_delay_alu instid0(VALU_DEP_4) | instskip(NEXT) | instid1(VALU_DEP_4)
	v_add_co_u32 v41, vcc_lo, s4, v35
	v_lshlrev_b64 v[39:40], 3, v[39:40]
	v_add_co_ci_u32_e32 v42, vcc_lo, s5, v36, vcc_lo
	v_add_co_u32 v35, vcc_lo, s4, v33
	v_ashrrev_i32_e32 v44, 31, v43
	v_add_nc_u32_e32 v47, s1, v43
	v_add_co_ci_u32_e32 v36, vcc_lo, s5, v34, vcc_lo
	v_add_co_u32 v33, vcc_lo, s4, v39
	v_add_co_ci_u32_e32 v34, vcc_lo, s5, v40, vcc_lo
	v_lshlrev_b64 v[39:40], 3, v[43:44]
	v_add_nc_u32_e32 v43, s1, v47
	v_lshlrev_b64 v[37:38], 3, v[37:38]
	v_ashrrev_i32_e32 v48, 31, v47
	s_clause 0x2
	global_load_b64 v[104:105], v[45:46], off
	global_load_b64 v[106:107], v[41:42], off
	;; [unrolled: 1-line block ×3, first 2 shown]
	v_add_nc_u32_e32 v49, s1, v43
	v_ashrrev_i32_e32 v44, 31, v43
	v_add_co_u32 v37, vcc_lo, s4, v37
	v_lshlrev_b64 v[47:48], 3, v[47:48]
	s_delay_alu instid0(VALU_DEP_4)
	v_add_nc_u32_e32 v53, s1, v49
	v_add_co_ci_u32_e32 v38, vcc_lo, s5, v38, vcc_lo
	v_add_co_u32 v39, vcc_lo, s4, v39
	v_lshlrev_b64 v[51:52], 3, v[43:44]
	v_add_co_ci_u32_e32 v40, vcc_lo, s5, v40, vcc_lo
	v_add_co_u32 v43, vcc_lo, s4, v47
	v_ashrrev_i32_e32 v54, 31, v53
	v_add_nc_u32_e32 v55, s1, v53
	v_add_co_ci_u32_e32 v44, vcc_lo, s5, v48, vcc_lo
	v_ashrrev_i32_e32 v50, 31, v49
	v_add_co_u32 v47, vcc_lo, s4, v51
	v_add_co_ci_u32_e32 v48, vcc_lo, s5, v52, vcc_lo
	v_lshlrev_b64 v[51:52], 3, v[53:54]
	v_add_nc_u32_e32 v53, s1, v55
	v_lshlrev_b64 v[49:50], 3, v[49:50]
	v_ashrrev_i32_e32 v56, 31, v55
	s_delay_alu instid0(VALU_DEP_3) | instskip(SKIP_1) | instid1(VALU_DEP_4)
	v_add_nc_u32_e32 v57, s1, v53
	v_ashrrev_i32_e32 v54, 31, v53
	v_add_co_u32 v49, vcc_lo, s4, v49
	s_delay_alu instid0(VALU_DEP_4) | instskip(NEXT) | instid1(VALU_DEP_4)
	v_lshlrev_b64 v[55:56], 3, v[55:56]
	v_add_nc_u32_e32 v61, s1, v57
	v_add_co_ci_u32_e32 v50, vcc_lo, s5, v50, vcc_lo
	v_add_co_u32 v51, vcc_lo, s4, v51
	v_lshlrev_b64 v[59:60], 3, v[53:54]
	v_add_co_ci_u32_e32 v52, vcc_lo, s5, v52, vcc_lo
	v_add_co_u32 v53, vcc_lo, s4, v55
	v_ashrrev_i32_e32 v62, 31, v61
	v_add_nc_u32_e32 v63, s1, v61
	v_add_co_ci_u32_e32 v54, vcc_lo, s5, v56, vcc_lo
	v_ashrrev_i32_e32 v58, 31, v57
	v_add_co_u32 v55, vcc_lo, s4, v59
	v_add_co_ci_u32_e32 v56, vcc_lo, s5, v60, vcc_lo
	v_lshlrev_b64 v[59:60], 3, v[61:62]
	v_add_nc_u32_e32 v61, s1, v63
	v_lshlrev_b64 v[57:58], 3, v[57:58]
	v_ashrrev_i32_e32 v64, 31, v63
	s_delay_alu instid0(VALU_DEP_3) | instskip(SKIP_1) | instid1(VALU_DEP_4)
	v_add_nc_u32_e32 v65, s1, v61
	v_ashrrev_i32_e32 v62, 31, v61
	v_add_co_u32 v57, vcc_lo, s4, v57
	s_delay_alu instid0(VALU_DEP_4) | instskip(NEXT) | instid1(VALU_DEP_4)
	v_lshlrev_b64 v[63:64], 3, v[63:64]
	;; [unrolled: 22-line block ×4, first 2 shown]
	v_add_nc_u32_e32 v85, s1, v81
	v_add_co_ci_u32_e32 v74, vcc_lo, s5, v74, vcc_lo
	v_add_co_u32 v75, vcc_lo, s4, v75
	v_lshlrev_b64 v[83:84], 3, v[77:78]
	v_add_co_ci_u32_e32 v76, vcc_lo, s5, v76, vcc_lo
	v_add_co_u32 v77, vcc_lo, s4, v79
	v_ashrrev_i32_e32 v86, 31, v85
	v_add_nc_u32_e32 v87, s1, v85
	v_add_co_ci_u32_e32 v78, vcc_lo, s5, v80, vcc_lo
	v_add_co_u32 v79, vcc_lo, s4, v83
	v_ashrrev_i32_e32 v82, 31, v81
	v_add_co_ci_u32_e32 v80, vcc_lo, s5, v84, vcc_lo
	v_lshlrev_b64 v[83:84], 3, v[85:86]
	v_add_nc_u32_e32 v85, s1, v87
	s_delay_alu instid0(VALU_DEP_4) | instskip(SKIP_1) | instid1(VALU_DEP_3)
	v_lshlrev_b64 v[81:82], 3, v[81:82]
	v_ashrrev_i32_e32 v88, 31, v87
	v_add_nc_u32_e32 v89, s1, v85
	v_ashrrev_i32_e32 v86, 31, v85
	s_delay_alu instid0(VALU_DEP_4) | instskip(NEXT) | instid1(VALU_DEP_4)
	v_add_co_u32 v81, vcc_lo, s4, v81
	v_lshlrev_b64 v[87:88], 3, v[87:88]
	s_delay_alu instid0(VALU_DEP_4) | instskip(SKIP_3) | instid1(VALU_DEP_4)
	v_add_nc_u32_e32 v91, s1, v89
	v_add_co_ci_u32_e32 v82, vcc_lo, s5, v82, vcc_lo
	v_add_co_u32 v83, vcc_lo, s4, v83
	v_ashrrev_i32_e32 v90, 31, v89
	v_add_nc_u32_e32 v110, s1, v91
	v_add_co_ci_u32_e32 v84, vcc_lo, s5, v84, vcc_lo
	v_lshlrev_b64 v[93:94], 3, v[85:86]
	v_add_co_u32 v85, vcc_lo, s4, v87
	v_ashrrev_i32_e32 v92, 31, v91
	v_add_co_ci_u32_e32 v86, vcc_lo, s5, v88, vcc_lo
	v_lshlrev_b64 v[87:88], 3, v[89:90]
	v_ashrrev_i32_e32 v111, 31, v110
	v_add_co_u32 v89, vcc_lo, s4, v93
	v_lshlrev_b64 v[91:92], 3, v[91:92]
	v_add_co_ci_u32_e32 v90, vcc_lo, s5, v94, vcc_lo
	v_add_co_u32 v93, vcc_lo, s4, v87
	v_lshlrev_b64 v[110:111], 3, v[110:111]
	v_add_co_ci_u32_e32 v94, vcc_lo, s5, v88, vcc_lo
	v_add_co_u32 v87, vcc_lo, s4, v91
	v_add_co_ci_u32_e32 v88, vcc_lo, s5, v92, vcc_lo
	s_delay_alu instid0(VALU_DEP_4)
	v_add_co_u32 v91, vcc_lo, s4, v110
	v_add_co_ci_u32_e32 v92, vcc_lo, s5, v111, vcc_lo
	global_load_b64 v[110:111], v[33:34], off
	s_mov_b32 s1, -1
	s_waitcnt vmcnt(12)
	scratch_store_b128 off, v[1:4], off
	s_clause 0x3
	global_load_b64 v[1:2], v[37:38], off
	global_load_b64 v[3:4], v[39:40], off
	;; [unrolled: 1-line block ×4, first 2 shown]
	s_waitcnt vmcnt(14)
	scratch_store_b128 off, v[5:8], off offset:16
	s_waitcnt vmcnt(12)
	scratch_store_b128 off, v[9:12], off offset:32
	s_clause 0x3
	global_load_b64 v[5:6], v[49:50], off
	global_load_b64 v[7:8], v[51:52], off
	;; [unrolled: 1-line block ×4, first 2 shown]
	s_waitcnt vmcnt(14)
	scratch_store_b128 off, v[96:99], off offset:48
	s_clause 0x1
	global_load_b64 v[96:97], v[57:58], off
	global_load_b64 v[98:99], v[59:60], off
	s_waitcnt vmcnt(14)
	scratch_store_b128 off, v[100:103], off offset:64
	s_clause 0x1
	global_load_b64 v[100:101], v[61:62], off
	global_load_b64 v[102:103], v[63:64], off
	s_waitcnt vmcnt(14)
	scratch_store_b128 off, v[104:107], off offset:80
	s_waitcnt vmcnt(12)
	scratch_store_b128 off, v[108:111], off offset:96
	s_clause 0x2
	global_load_b64 v[104:105], v[65:66], off
	global_load_b64 v[106:107], v[67:68], off
	;; [unrolled: 1-line block ×3, first 2 shown]
	s_waitcnt vmcnt(13)
	scratch_store_b128 off, v[1:4], off offset:112
	s_waitcnt vmcnt(11)
	scratch_store_b128 off, v[112:115], off offset:128
	s_clause 0x3
	global_load_b64 v[110:111], v[71:72], off
	global_load_b64 v[1:2], v[73:74], off
	;; [unrolled: 1-line block ×4, first 2 shown]
	s_waitcnt vmcnt(13)
	scratch_store_b128 off, v[5:8], off offset:144
	s_waitcnt vmcnt(11)
	scratch_store_b128 off, v[9:12], off offset:160
	s_clause 0x3
	global_load_b64 v[114:115], v[79:80], off
	global_load_b64 v[5:6], v[81:82], off
	;; [unrolled: 1-line block ×4, first 2 shown]
	s_waitcnt vmcnt(13)
	scratch_store_b128 off, v[96:99], off offset:176
	s_clause 0x2
	global_load_b64 v[11:12], v[89:90], off
	global_load_b64 v[96:97], v[93:94], off
	;; [unrolled: 1-line block ×3, first 2 shown]
	s_waitcnt vmcnt(14)
	scratch_store_b128 off, v[100:103], off offset:192
	global_load_b64 v[100:101], v[91:92], off
	s_waitcnt vmcnt(13)
	scratch_store_b128 off, v[104:107], off offset:208
	s_waitcnt vmcnt(11)
	scratch_store_b128 off, v[108:111], off offset:224
	;; [unrolled: 2-line block ×7, first 2 shown]
	s_waitcnt vmcnt(0)
	scratch_store_b64 off, v[100:101], off offset:320
	s_cbranch_scc1 .LBB104_172
; %bb.4:
	v_cmp_eq_u32_e64 s0, 0, v0
	s_delay_alu instid0(VALU_DEP_1)
	s_and_saveexec_b32 s1, s0
	s_cbranch_execz .LBB104_6
; %bb.5:
	v_mov_b32_e32 v1, 0
	ds_store_b32 v1, v1 offset:328
.LBB104_6:
	s_or_b32 exec_lo, exec_lo, s1
	s_waitcnt lgkmcnt(0)
	s_waitcnt_vscnt null, 0x0
	s_barrier
	buffer_gl0_inv
	scratch_load_b64 v[1:2], v95, off
	s_mov_b32 s4, exec_lo
	s_waitcnt vmcnt(0)
	v_cmpx_eq_f64_e32 0, v[1:2]
	s_cbranch_execz .LBB104_10
; %bb.7:
	v_mov_b32_e32 v1, 0
	s_mov_b32 s5, 0
	ds_load_b32 v2, v1 offset:328
	s_waitcnt lgkmcnt(0)
	v_readfirstlane_b32 s1, v2
	v_add_nc_u32_e32 v2, 1, v0
	s_delay_alu instid0(VALU_DEP_2) | instskip(NEXT) | instid1(VALU_DEP_1)
	s_cmp_eq_u32 s1, 0
	v_cmp_gt_i32_e32 vcc_lo, s1, v2
	s_cselect_b32 s10, -1, 0
	s_delay_alu instid0(SALU_CYCLE_1) | instskip(NEXT) | instid1(SALU_CYCLE_1)
	s_or_b32 s10, s10, vcc_lo
	s_and_b32 exec_lo, exec_lo, s10
	s_cbranch_execz .LBB104_10
; %bb.8:
	v_mov_b32_e32 v3, s1
.LBB104_9:                              ; =>This Inner Loop Header: Depth=1
	ds_cmpstore_rtn_b32 v3, v1, v2, v3 offset:328
	s_waitcnt lgkmcnt(0)
	v_cmp_ne_u32_e32 vcc_lo, 0, v3
	v_cmp_le_i32_e64 s1, v3, v2
	s_delay_alu instid0(VALU_DEP_1) | instskip(NEXT) | instid1(SALU_CYCLE_1)
	s_and_b32 s1, vcc_lo, s1
	s_and_b32 s1, exec_lo, s1
	s_delay_alu instid0(SALU_CYCLE_1) | instskip(NEXT) | instid1(SALU_CYCLE_1)
	s_or_b32 s5, s1, s5
	s_and_not1_b32 exec_lo, exec_lo, s5
	s_cbranch_execnz .LBB104_9
.LBB104_10:
	s_or_b32 exec_lo, exec_lo, s4
	v_mov_b32_e32 v1, 0
	s_barrier
	buffer_gl0_inv
	ds_load_b32 v2, v1 offset:328
	s_and_saveexec_b32 s1, s0
	s_cbranch_execz .LBB104_12
; %bb.11:
	s_lshl_b64 s[4:5], s[8:9], 2
	s_delay_alu instid0(SALU_CYCLE_1)
	s_add_u32 s4, s6, s4
	s_addc_u32 s5, s7, s5
	s_waitcnt lgkmcnt(0)
	global_store_b32 v1, v2, s[4:5]
.LBB104_12:
	s_or_b32 exec_lo, exec_lo, s1
	s_waitcnt lgkmcnt(0)
	v_cmp_ne_u32_e32 vcc_lo, 0, v2
	s_mov_b32 s1, 0
	s_cbranch_vccnz .LBB104_172
; %bb.13:
	v_add_nc_u32_e32 v3, 0, v95
	scratch_load_b64 v[1:2], v3, off
	s_waitcnt vmcnt(0)
	v_div_scale_f64 v[4:5], null, v[1:2], v[1:2], 1.0
	v_div_scale_f64 v[10:11], vcc_lo, 1.0, v[1:2], 1.0
	s_delay_alu instid0(VALU_DEP_2) | instskip(SKIP_2) | instid1(VALU_DEP_1)
	v_rcp_f64_e32 v[6:7], v[4:5]
	s_waitcnt_depctr 0xfff
	v_fma_f64 v[8:9], -v[4:5], v[6:7], 1.0
	v_fma_f64 v[6:7], v[6:7], v[8:9], v[6:7]
	s_delay_alu instid0(VALU_DEP_1) | instskip(NEXT) | instid1(VALU_DEP_1)
	v_fma_f64 v[8:9], -v[4:5], v[6:7], 1.0
	v_fma_f64 v[6:7], v[6:7], v[8:9], v[6:7]
	s_delay_alu instid0(VALU_DEP_1) | instskip(NEXT) | instid1(VALU_DEP_1)
	v_mul_f64 v[8:9], v[10:11], v[6:7]
	v_fma_f64 v[4:5], -v[4:5], v[8:9], v[10:11]
	s_delay_alu instid0(VALU_DEP_1) | instskip(NEXT) | instid1(VALU_DEP_1)
	v_div_fmas_f64 v[4:5], v[4:5], v[6:7], v[8:9]
	v_div_fixup_f64 v[1:2], v[4:5], v[1:2], 1.0
	v_add_nc_u32_e32 v4, 0x150, v95
	scratch_store_b64 v3, v[1:2], off
	scratch_load_b64 v[5:6], off, off offset:8
	v_xor_b32_e32 v2, 0x80000000, v2
	s_waitcnt vmcnt(0)
	ds_store_2addr_b64 v95, v[1:2], v[5:6] offset1:42
	s_waitcnt lgkmcnt(0)
	s_waitcnt_vscnt null, 0x0
	s_barrier
	buffer_gl0_inv
	s_and_saveexec_b32 s1, s0
	s_cbranch_execz .LBB104_15
; %bb.14:
	scratch_load_b64 v[1:2], v3, off
	ds_load_b64 v[5:6], v4
	s_waitcnt vmcnt(0) lgkmcnt(0)
	v_fma_f64 v[1:2], v[1:2], v[5:6], 0
	v_mov_b32_e32 v5, 0
	ds_load_b64 v[5:6], v5 offset:8
	s_waitcnt lgkmcnt(0)
	v_mul_f64 v[1:2], v[1:2], v[5:6]
	scratch_store_b64 off, v[1:2], off offset:8
.LBB104_15:
	s_or_b32 exec_lo, exec_lo, s1
	s_waitcnt_vscnt null, 0x0
	s_barrier
	buffer_gl0_inv
	scratch_load_b64 v[1:2], off, off offset:16
	s_mov_b32 s1, exec_lo
	s_waitcnt vmcnt(0)
	ds_store_b64 v4, v[1:2]
	s_waitcnt lgkmcnt(0)
	s_barrier
	buffer_gl0_inv
	v_cmpx_gt_u32_e32 2, v0
	s_cbranch_execz .LBB104_19
; %bb.16:
	scratch_load_b64 v[1:2], v3, off
	ds_load_b64 v[5:6], v4
	s_waitcnt vmcnt(0) lgkmcnt(0)
	v_fma_f64 v[1:2], v[1:2], v[5:6], 0
	s_and_saveexec_b32 s4, s0
	s_cbranch_execz .LBB104_18
; %bb.17:
	scratch_load_b64 v[5:6], off, off offset:8
	v_mov_b32_e32 v7, 0
	ds_load_b64 v[7:8], v7 offset:344
	s_waitcnt vmcnt(0) lgkmcnt(0)
	v_fma_f64 v[1:2], v[5:6], v[7:8], v[1:2]
.LBB104_18:
	s_or_b32 exec_lo, exec_lo, s4
	v_mov_b32_e32 v5, 0
	ds_load_b64 v[5:6], v5 offset:16
	s_waitcnt lgkmcnt(0)
	v_mul_f64 v[1:2], v[1:2], v[5:6]
	scratch_store_b64 off, v[1:2], off offset:16
.LBB104_19:
	s_or_b32 exec_lo, exec_lo, s1
	s_waitcnt_vscnt null, 0x0
	s_barrier
	buffer_gl0_inv
	scratch_load_b64 v[1:2], off, off offset:24
	v_add_nc_u32_e32 v5, -1, v0
	s_mov_b32 s0, exec_lo
	s_waitcnt vmcnt(0)
	ds_store_b64 v4, v[1:2]
	s_waitcnt lgkmcnt(0)
	s_barrier
	buffer_gl0_inv
	v_cmpx_gt_u32_e32 3, v0
	s_cbranch_execz .LBB104_23
; %bb.20:
	v_dual_mov_b32 v1, 0 :: v_dual_add_nc_u32 v6, -1, v0
	v_dual_mov_b32 v2, 0 :: v_dual_add_nc_u32 v7, 0x150, v95
	v_add_nc_u32_e32 v8, 0, v95
	s_mov_b32 s1, 0
.LBB104_21:                             ; =>This Inner Loop Header: Depth=1
	scratch_load_b64 v[9:10], v8, off
	ds_load_b64 v[11:12], v7
	v_add_nc_u32_e32 v6, 1, v6
	v_add_nc_u32_e32 v7, 8, v7
	v_add_nc_u32_e32 v8, 8, v8
	s_delay_alu instid0(VALU_DEP_3)
	v_cmp_lt_u32_e32 vcc_lo, 1, v6
	s_or_b32 s1, vcc_lo, s1
	s_waitcnt vmcnt(0) lgkmcnt(0)
	v_fma_f64 v[1:2], v[9:10], v[11:12], v[1:2]
	s_and_not1_b32 exec_lo, exec_lo, s1
	s_cbranch_execnz .LBB104_21
; %bb.22:
	s_or_b32 exec_lo, exec_lo, s1
	v_mov_b32_e32 v6, 0
	ds_load_b64 v[6:7], v6 offset:24
	s_waitcnt lgkmcnt(0)
	v_mul_f64 v[1:2], v[1:2], v[6:7]
	scratch_store_b64 off, v[1:2], off offset:24
.LBB104_23:
	s_or_b32 exec_lo, exec_lo, s0
	s_waitcnt_vscnt null, 0x0
	s_barrier
	buffer_gl0_inv
	scratch_load_b64 v[1:2], off, off offset:32
	s_mov_b32 s0, exec_lo
	s_waitcnt vmcnt(0)
	ds_store_b64 v4, v[1:2]
	s_waitcnt lgkmcnt(0)
	s_barrier
	buffer_gl0_inv
	v_cmpx_gt_u32_e32 4, v0
	s_cbranch_execz .LBB104_27
; %bb.24:
	v_dual_mov_b32 v1, 0 :: v_dual_add_nc_u32 v6, -1, v0
	v_dual_mov_b32 v2, 0 :: v_dual_add_nc_u32 v7, 0x150, v95
	v_add_nc_u32_e32 v8, 0, v95
	s_mov_b32 s1, 0
.LBB104_25:                             ; =>This Inner Loop Header: Depth=1
	scratch_load_b64 v[9:10], v8, off
	ds_load_b64 v[11:12], v7
	v_add_nc_u32_e32 v6, 1, v6
	v_add_nc_u32_e32 v7, 8, v7
	v_add_nc_u32_e32 v8, 8, v8
	s_delay_alu instid0(VALU_DEP_3)
	v_cmp_lt_u32_e32 vcc_lo, 2, v6
	s_or_b32 s1, vcc_lo, s1
	s_waitcnt vmcnt(0) lgkmcnt(0)
	v_fma_f64 v[1:2], v[9:10], v[11:12], v[1:2]
	s_and_not1_b32 exec_lo, exec_lo, s1
	s_cbranch_execnz .LBB104_25
; %bb.26:
	s_or_b32 exec_lo, exec_lo, s1
	v_mov_b32_e32 v6, 0
	ds_load_b64 v[6:7], v6 offset:32
	s_waitcnt lgkmcnt(0)
	v_mul_f64 v[1:2], v[1:2], v[6:7]
	scratch_store_b64 off, v[1:2], off offset:32
.LBB104_27:
	s_or_b32 exec_lo, exec_lo, s0
	s_waitcnt_vscnt null, 0x0
	s_barrier
	buffer_gl0_inv
	scratch_load_b64 v[1:2], off, off offset:40
	;; [unrolled: 39-line block ×20, first 2 shown]
	s_mov_b32 s0, exec_lo
	s_waitcnt vmcnt(0)
	ds_store_b64 v4, v[1:2]
	s_waitcnt lgkmcnt(0)
	s_barrier
	buffer_gl0_inv
	v_cmpx_gt_u32_e32 23, v0
	s_cbranch_execz .LBB104_103
; %bb.100:
	v_dual_mov_b32 v1, 0 :: v_dual_add_nc_u32 v6, -1, v0
	v_dual_mov_b32 v2, 0 :: v_dual_add_nc_u32 v7, 0x150, v95
	v_add_nc_u32_e32 v8, 0, v95
	s_mov_b32 s1, 0
.LBB104_101:                            ; =>This Inner Loop Header: Depth=1
	scratch_load_b64 v[9:10], v8, off
	ds_load_b64 v[11:12], v7
	v_add_nc_u32_e32 v6, 1, v6
	v_add_nc_u32_e32 v7, 8, v7
	v_add_nc_u32_e32 v8, 8, v8
	s_delay_alu instid0(VALU_DEP_3)
	v_cmp_lt_u32_e32 vcc_lo, 21, v6
	s_or_b32 s1, vcc_lo, s1
	s_waitcnt vmcnt(0) lgkmcnt(0)
	v_fma_f64 v[1:2], v[9:10], v[11:12], v[1:2]
	s_and_not1_b32 exec_lo, exec_lo, s1
	s_cbranch_execnz .LBB104_101
; %bb.102:
	s_or_b32 exec_lo, exec_lo, s1
	v_mov_b32_e32 v6, 0
	ds_load_b64 v[6:7], v6 offset:184
	s_waitcnt lgkmcnt(0)
	v_mul_f64 v[1:2], v[1:2], v[6:7]
	scratch_store_b64 off, v[1:2], off offset:184
.LBB104_103:
	s_or_b32 exec_lo, exec_lo, s0
	s_waitcnt_vscnt null, 0x0
	s_barrier
	buffer_gl0_inv
	scratch_load_b64 v[1:2], off, off offset:192
	s_mov_b32 s0, exec_lo
	s_waitcnt vmcnt(0)
	ds_store_b64 v4, v[1:2]
	s_waitcnt lgkmcnt(0)
	s_barrier
	buffer_gl0_inv
	v_cmpx_gt_u32_e32 24, v0
	s_cbranch_execz .LBB104_107
; %bb.104:
	v_dual_mov_b32 v1, 0 :: v_dual_add_nc_u32 v6, -1, v0
	v_dual_mov_b32 v2, 0 :: v_dual_add_nc_u32 v7, 0x150, v95
	v_add_nc_u32_e32 v8, 0, v95
	s_mov_b32 s1, 0
.LBB104_105:                            ; =>This Inner Loop Header: Depth=1
	scratch_load_b64 v[9:10], v8, off
	ds_load_b64 v[11:12], v7
	v_add_nc_u32_e32 v6, 1, v6
	v_add_nc_u32_e32 v7, 8, v7
	v_add_nc_u32_e32 v8, 8, v8
	s_delay_alu instid0(VALU_DEP_3)
	v_cmp_lt_u32_e32 vcc_lo, 22, v6
	s_or_b32 s1, vcc_lo, s1
	s_waitcnt vmcnt(0) lgkmcnt(0)
	v_fma_f64 v[1:2], v[9:10], v[11:12], v[1:2]
	s_and_not1_b32 exec_lo, exec_lo, s1
	s_cbranch_execnz .LBB104_105
; %bb.106:
	s_or_b32 exec_lo, exec_lo, s1
	v_mov_b32_e32 v6, 0
	ds_load_b64 v[6:7], v6 offset:192
	s_waitcnt lgkmcnt(0)
	v_mul_f64 v[1:2], v[1:2], v[6:7]
	scratch_store_b64 off, v[1:2], off offset:192
.LBB104_107:
	s_or_b32 exec_lo, exec_lo, s0
	s_waitcnt_vscnt null, 0x0
	s_barrier
	buffer_gl0_inv
	scratch_load_b64 v[1:2], off, off offset:200
	;; [unrolled: 39-line block ×17, first 2 shown]
	s_mov_b32 s0, exec_lo
	s_waitcnt vmcnt(0)
	ds_store_b64 v4, v[1:2]
	s_waitcnt lgkmcnt(0)
	s_barrier
	buffer_gl0_inv
	v_cmpx_ne_u32_e32 40, v0
	s_cbranch_execz .LBB104_171
; %bb.168:
	v_mov_b32_e32 v1, 0
	v_mov_b32_e32 v2, 0
	s_mov_b32 s1, 0
.LBB104_169:                            ; =>This Inner Loop Header: Depth=1
	scratch_load_b64 v[6:7], v3, off
	ds_load_b64 v[8:9], v4
	v_add_nc_u32_e32 v5, 1, v5
	v_add_nc_u32_e32 v4, 8, v4
	;; [unrolled: 1-line block ×3, first 2 shown]
	s_delay_alu instid0(VALU_DEP_3)
	v_cmp_lt_u32_e32 vcc_lo, 38, v5
	s_or_b32 s1, vcc_lo, s1
	s_waitcnt vmcnt(0) lgkmcnt(0)
	v_fma_f64 v[1:2], v[6:7], v[8:9], v[1:2]
	s_and_not1_b32 exec_lo, exec_lo, s1
	s_cbranch_execnz .LBB104_169
; %bb.170:
	s_or_b32 exec_lo, exec_lo, s1
	v_mov_b32_e32 v3, 0
	ds_load_b64 v[3:4], v3 offset:320
	s_waitcnt lgkmcnt(0)
	v_mul_f64 v[1:2], v[1:2], v[3:4]
	scratch_store_b64 off, v[1:2], off offset:320
.LBB104_171:
	s_or_b32 exec_lo, exec_lo, s0
	s_mov_b32 s1, -1
	s_waitcnt_vscnt null, 0x0
	s_barrier
	buffer_gl0_inv
.LBB104_172:
	s_and_b32 vcc_lo, exec_lo, s1
	s_cbranch_vccz .LBB104_174
; %bb.173:
	s_lshl_b64 s[0:1], s[8:9], 2
	v_mov_b32_e32 v1, 0
	s_add_u32 s0, s6, s0
	s_addc_u32 s1, s7, s1
	global_load_b32 v1, v1, s[0:1]
	s_waitcnt vmcnt(0)
	v_cmp_ne_u32_e32 vcc_lo, 0, v1
	s_cbranch_vccz .LBB104_175
.LBB104_174:
	s_endpgm
.LBB104_175:
	v_lshl_add_u32 v3, v0, 3, 0x150
	s_mov_b32 s0, exec_lo
	v_cmpx_eq_u32_e32 40, v0
	s_cbranch_execz .LBB104_177
; %bb.176:
	scratch_load_b64 v[1:2], off, off offset:312
	v_mov_b32_e32 v4, 0
	s_delay_alu instid0(VALU_DEP_1)
	v_mov_b32_e32 v5, v4
	scratch_store_b64 off, v[4:5], off offset:312
	s_waitcnt vmcnt(0)
	ds_store_b64 v3, v[1:2]
.LBB104_177:
	s_or_b32 exec_lo, exec_lo, s0
	s_waitcnt lgkmcnt(0)
	s_waitcnt_vscnt null, 0x0
	s_barrier
	buffer_gl0_inv
	scratch_load_b128 v[4:7], off, off offset:312
	v_mov_b32_e32 v1, 0
	s_mov_b32 s0, exec_lo
	ds_load_b64 v[8:9], v1 offset:656
	s_waitcnt vmcnt(0) lgkmcnt(0)
	v_fma_f64 v[6:7], v[6:7], v[8:9], 0
	s_delay_alu instid0(VALU_DEP_1)
	v_add_f64 v[4:5], v[4:5], -v[6:7]
	scratch_store_b64 off, v[4:5], off offset:312
	v_cmpx_lt_u32_e32 38, v0
	s_cbranch_execz .LBB104_179
; %bb.178:
	scratch_load_b64 v[4:5], off, off offset:304
	v_mov_b32_e32 v2, v1
	scratch_store_b64 off, v[1:2], off offset:304
	s_waitcnt vmcnt(0)
	ds_store_b64 v3, v[4:5]
.LBB104_179:
	s_or_b32 exec_lo, exec_lo, s0
	s_waitcnt lgkmcnt(0)
	s_waitcnt_vscnt null, 0x0
	s_barrier
	buffer_gl0_inv
	s_clause 0x1
	scratch_load_b128 v[4:7], off, off offset:304
	scratch_load_b64 v[95:96], off, off offset:320
	ds_load_2addr_b64 v[8:11], v1 offset0:81 offset1:82
	s_mov_b32 s0, exec_lo
	s_waitcnt vmcnt(1) lgkmcnt(0)
	v_fma_f64 v[1:2], v[6:7], v[8:9], 0
	s_waitcnt vmcnt(0)
	s_delay_alu instid0(VALU_DEP_1) | instskip(NEXT) | instid1(VALU_DEP_1)
	v_fma_f64 v[1:2], v[95:96], v[10:11], v[1:2]
	v_add_f64 v[1:2], v[4:5], -v[1:2]
	scratch_store_b64 off, v[1:2], off offset:304
	v_cmpx_lt_u32_e32 37, v0
	s_cbranch_execz .LBB104_181
; %bb.180:
	scratch_load_b64 v[1:2], off, off offset:296
	v_mov_b32_e32 v4, 0
	s_delay_alu instid0(VALU_DEP_1)
	v_mov_b32_e32 v5, v4
	scratch_store_b64 off, v[4:5], off offset:296
	s_waitcnt vmcnt(0)
	ds_store_b64 v3, v[1:2]
.LBB104_181:
	s_or_b32 exec_lo, exec_lo, s0
	s_waitcnt lgkmcnt(0)
	s_waitcnt_vscnt null, 0x0
	s_barrier
	buffer_gl0_inv
	s_clause 0x1
	scratch_load_b128 v[4:7], off, off offset:296
	scratch_load_b128 v[8:11], off, off offset:312
	v_mov_b32_e32 v1, 0
	ds_load_b128 v[95:98], v1 offset:640
	ds_load_b64 v[99:100], v1 offset:656
	s_mov_b32 s0, exec_lo
	s_waitcnt vmcnt(1) lgkmcnt(1)
	v_fma_f64 v[6:7], v[6:7], v[95:96], 0
	s_waitcnt vmcnt(0)
	s_delay_alu instid0(VALU_DEP_1) | instskip(SKIP_1) | instid1(VALU_DEP_1)
	v_fma_f64 v[6:7], v[8:9], v[97:98], v[6:7]
	s_waitcnt lgkmcnt(0)
	v_fma_f64 v[6:7], v[10:11], v[99:100], v[6:7]
	s_delay_alu instid0(VALU_DEP_1)
	v_add_f64 v[4:5], v[4:5], -v[6:7]
	scratch_store_b64 off, v[4:5], off offset:296
	v_cmpx_lt_u32_e32 36, v0
	s_cbranch_execz .LBB104_183
; %bb.182:
	scratch_load_b64 v[4:5], off, off offset:288
	v_mov_b32_e32 v2, v1
	scratch_store_b64 off, v[1:2], off offset:288
	s_waitcnt vmcnt(0)
	ds_store_b64 v3, v[4:5]
.LBB104_183:
	s_or_b32 exec_lo, exec_lo, s0
	s_waitcnt lgkmcnt(0)
	s_waitcnt_vscnt null, 0x0
	s_barrier
	buffer_gl0_inv
	s_clause 0x2
	scratch_load_b128 v[4:7], off, off offset:288
	scratch_load_b128 v[8:11], off, off offset:304
	scratch_load_b64 v[103:104], off, off offset:320
	ds_load_2addr_b64 v[95:98], v1 offset0:79 offset1:80
	ds_load_2addr_b64 v[99:102], v1 offset0:81 offset1:82
	s_mov_b32 s0, exec_lo
	s_waitcnt vmcnt(2) lgkmcnt(1)
	v_fma_f64 v[1:2], v[6:7], v[95:96], 0
	s_waitcnt vmcnt(1)
	s_delay_alu instid0(VALU_DEP_1) | instskip(SKIP_1) | instid1(VALU_DEP_1)
	v_fma_f64 v[1:2], v[8:9], v[97:98], v[1:2]
	s_waitcnt lgkmcnt(0)
	v_fma_f64 v[1:2], v[10:11], v[99:100], v[1:2]
	s_waitcnt vmcnt(0)
	s_delay_alu instid0(VALU_DEP_1) | instskip(NEXT) | instid1(VALU_DEP_1)
	v_fma_f64 v[1:2], v[103:104], v[101:102], v[1:2]
	v_add_f64 v[1:2], v[4:5], -v[1:2]
	scratch_store_b64 off, v[1:2], off offset:288
	v_cmpx_lt_u32_e32 35, v0
	s_cbranch_execz .LBB104_185
; %bb.184:
	scratch_load_b64 v[1:2], off, off offset:280
	v_mov_b32_e32 v4, 0
	s_delay_alu instid0(VALU_DEP_1)
	v_mov_b32_e32 v5, v4
	scratch_store_b64 off, v[4:5], off offset:280
	s_waitcnt vmcnt(0)
	ds_store_b64 v3, v[1:2]
.LBB104_185:
	s_or_b32 exec_lo, exec_lo, s0
	s_waitcnt lgkmcnt(0)
	s_waitcnt_vscnt null, 0x0
	s_barrier
	buffer_gl0_inv
	s_clause 0x2
	scratch_load_b128 v[4:7], off, off offset:280
	scratch_load_b128 v[8:11], off, off offset:296
	;; [unrolled: 1-line block ×3, first 2 shown]
	v_mov_b32_e32 v1, 0
	ds_load_b128 v[99:102], v1 offset:624
	ds_load_b128 v[103:106], v1 offset:640
	s_mov_b32 s0, exec_lo
	s_waitcnt vmcnt(2) lgkmcnt(1)
	v_fma_f64 v[6:7], v[6:7], v[99:100], 0
	s_waitcnt vmcnt(1)
	s_delay_alu instid0(VALU_DEP_1) | instskip(SKIP_4) | instid1(VALU_DEP_1)
	v_fma_f64 v[6:7], v[8:9], v[101:102], v[6:7]
	ds_load_b64 v[8:9], v1 offset:656
	s_waitcnt lgkmcnt(1)
	v_fma_f64 v[6:7], v[10:11], v[103:104], v[6:7]
	s_waitcnt vmcnt(0)
	v_fma_f64 v[6:7], v[95:96], v[105:106], v[6:7]
	s_waitcnt lgkmcnt(0)
	s_delay_alu instid0(VALU_DEP_1) | instskip(NEXT) | instid1(VALU_DEP_1)
	v_fma_f64 v[6:7], v[97:98], v[8:9], v[6:7]
	v_add_f64 v[4:5], v[4:5], -v[6:7]
	scratch_store_b64 off, v[4:5], off offset:280
	v_cmpx_lt_u32_e32 34, v0
	s_cbranch_execz .LBB104_187
; %bb.186:
	scratch_load_b64 v[4:5], off, off offset:272
	v_mov_b32_e32 v2, v1
	scratch_store_b64 off, v[1:2], off offset:272
	s_waitcnt vmcnt(0)
	ds_store_b64 v3, v[4:5]
.LBB104_187:
	s_or_b32 exec_lo, exec_lo, s0
	s_waitcnt lgkmcnt(0)
	s_waitcnt_vscnt null, 0x0
	s_barrier
	buffer_gl0_inv
	s_clause 0x3
	scratch_load_b128 v[4:7], off, off offset:272
	scratch_load_b128 v[8:11], off, off offset:288
	;; [unrolled: 1-line block ×3, first 2 shown]
	scratch_load_b64 v[107:108], off, off offset:320
	ds_load_2addr_b64 v[99:102], v1 offset0:77 offset1:78
	ds_load_2addr_b64 v[103:106], v1 offset0:79 offset1:80
	s_mov_b32 s0, exec_lo
	s_waitcnt vmcnt(3) lgkmcnt(1)
	v_fma_f64 v[6:7], v[6:7], v[99:100], 0
	s_waitcnt vmcnt(2)
	s_delay_alu instid0(VALU_DEP_1) | instskip(SKIP_1) | instid1(VALU_DEP_1)
	v_fma_f64 v[6:7], v[8:9], v[101:102], v[6:7]
	s_waitcnt lgkmcnt(0)
	v_fma_f64 v[6:7], v[10:11], v[103:104], v[6:7]
	s_waitcnt vmcnt(1)
	s_delay_alu instid0(VALU_DEP_1) | instskip(SKIP_4) | instid1(VALU_DEP_1)
	v_fma_f64 v[10:11], v[95:96], v[105:106], v[6:7]
	ds_load_2addr_b64 v[6:9], v1 offset0:81 offset1:82
	s_waitcnt lgkmcnt(0)
	v_fma_f64 v[1:2], v[97:98], v[6:7], v[10:11]
	s_waitcnt vmcnt(0)
	v_fma_f64 v[1:2], v[107:108], v[8:9], v[1:2]
	s_delay_alu instid0(VALU_DEP_1)
	v_add_f64 v[1:2], v[4:5], -v[1:2]
	scratch_store_b64 off, v[1:2], off offset:272
	v_cmpx_lt_u32_e32 33, v0
	s_cbranch_execz .LBB104_189
; %bb.188:
	scratch_load_b64 v[1:2], off, off offset:264
	v_mov_b32_e32 v4, 0
	s_delay_alu instid0(VALU_DEP_1)
	v_mov_b32_e32 v5, v4
	scratch_store_b64 off, v[4:5], off offset:264
	s_waitcnt vmcnt(0)
	ds_store_b64 v3, v[1:2]
.LBB104_189:
	s_or_b32 exec_lo, exec_lo, s0
	s_waitcnt lgkmcnt(0)
	s_waitcnt_vscnt null, 0x0
	s_barrier
	buffer_gl0_inv
	s_clause 0x3
	scratch_load_b128 v[4:7], off, off offset:264
	scratch_load_b128 v[8:11], off, off offset:280
	;; [unrolled: 1-line block ×4, first 2 shown]
	v_mov_b32_e32 v1, 0
	ds_load_b128 v[103:106], v1 offset:608
	ds_load_b128 v[107:110], v1 offset:624
	s_mov_b32 s0, exec_lo
	s_waitcnt vmcnt(3) lgkmcnt(1)
	v_fma_f64 v[6:7], v[6:7], v[103:104], 0
	s_waitcnt vmcnt(2)
	s_delay_alu instid0(VALU_DEP_1) | instskip(SKIP_1) | instid1(VALU_DEP_1)
	v_fma_f64 v[6:7], v[8:9], v[105:106], v[6:7]
	s_waitcnt lgkmcnt(0)
	v_fma_f64 v[6:7], v[10:11], v[107:108], v[6:7]
	s_waitcnt vmcnt(1)
	s_delay_alu instid0(VALU_DEP_1)
	v_fma_f64 v[10:11], v[95:96], v[109:110], v[6:7]
	ds_load_b128 v[6:9], v1 offset:640
	ds_load_b64 v[95:96], v1 offset:656
	s_waitcnt lgkmcnt(1)
	v_fma_f64 v[6:7], v[97:98], v[6:7], v[10:11]
	s_waitcnt vmcnt(0)
	s_delay_alu instid0(VALU_DEP_1) | instskip(SKIP_1) | instid1(VALU_DEP_1)
	v_fma_f64 v[6:7], v[99:100], v[8:9], v[6:7]
	s_waitcnt lgkmcnt(0)
	v_fma_f64 v[6:7], v[101:102], v[95:96], v[6:7]
	s_delay_alu instid0(VALU_DEP_1)
	v_add_f64 v[4:5], v[4:5], -v[6:7]
	scratch_store_b64 off, v[4:5], off offset:264
	v_cmpx_lt_u32_e32 32, v0
	s_cbranch_execz .LBB104_191
; %bb.190:
	scratch_load_b64 v[4:5], off, off offset:256
	v_mov_b32_e32 v2, v1
	scratch_store_b64 off, v[1:2], off offset:256
	s_waitcnt vmcnt(0)
	ds_store_b64 v3, v[4:5]
.LBB104_191:
	s_or_b32 exec_lo, exec_lo, s0
	s_waitcnt lgkmcnt(0)
	s_waitcnt_vscnt null, 0x0
	s_barrier
	buffer_gl0_inv
	s_clause 0x4
	scratch_load_b128 v[4:7], off, off offset:256
	scratch_load_b128 v[8:11], off, off offset:272
	;; [unrolled: 1-line block ×4, first 2 shown]
	scratch_load_b64 v[111:112], off, off offset:320
	ds_load_2addr_b64 v[103:106], v1 offset0:75 offset1:76
	ds_load_2addr_b64 v[107:110], v1 offset0:77 offset1:78
	s_mov_b32 s0, exec_lo
	s_waitcnt vmcnt(4) lgkmcnt(1)
	v_fma_f64 v[6:7], v[6:7], v[103:104], 0
	s_waitcnt vmcnt(3)
	s_delay_alu instid0(VALU_DEP_1) | instskip(SKIP_1) | instid1(VALU_DEP_1)
	v_fma_f64 v[6:7], v[8:9], v[105:106], v[6:7]
	s_waitcnt lgkmcnt(0)
	v_fma_f64 v[6:7], v[10:11], v[107:108], v[6:7]
	s_waitcnt vmcnt(2)
	s_delay_alu instid0(VALU_DEP_1)
	v_fma_f64 v[10:11], v[95:96], v[109:110], v[6:7]
	ds_load_2addr_b64 v[6:9], v1 offset0:79 offset1:80
	ds_load_2addr_b64 v[103:106], v1 offset0:81 offset1:82
	s_waitcnt lgkmcnt(1)
	v_fma_f64 v[1:2], v[97:98], v[6:7], v[10:11]
	s_waitcnt vmcnt(1)
	s_delay_alu instid0(VALU_DEP_1) | instskip(SKIP_1) | instid1(VALU_DEP_1)
	v_fma_f64 v[1:2], v[99:100], v[8:9], v[1:2]
	s_waitcnt lgkmcnt(0)
	v_fma_f64 v[1:2], v[101:102], v[103:104], v[1:2]
	s_waitcnt vmcnt(0)
	s_delay_alu instid0(VALU_DEP_1) | instskip(NEXT) | instid1(VALU_DEP_1)
	v_fma_f64 v[1:2], v[111:112], v[105:106], v[1:2]
	v_add_f64 v[1:2], v[4:5], -v[1:2]
	scratch_store_b64 off, v[1:2], off offset:256
	v_cmpx_lt_u32_e32 31, v0
	s_cbranch_execz .LBB104_193
; %bb.192:
	scratch_load_b64 v[1:2], off, off offset:248
	v_mov_b32_e32 v4, 0
	s_delay_alu instid0(VALU_DEP_1)
	v_mov_b32_e32 v5, v4
	scratch_store_b64 off, v[4:5], off offset:248
	s_waitcnt vmcnt(0)
	ds_store_b64 v3, v[1:2]
.LBB104_193:
	s_or_b32 exec_lo, exec_lo, s0
	s_waitcnt lgkmcnt(0)
	s_waitcnt_vscnt null, 0x0
	s_barrier
	buffer_gl0_inv
	s_clause 0x4
	scratch_load_b128 v[4:7], off, off offset:248
	scratch_load_b128 v[8:11], off, off offset:264
	;; [unrolled: 1-line block ×5, first 2 shown]
	v_mov_b32_e32 v1, 0
	ds_load_b128 v[107:110], v1 offset:592
	ds_load_b128 v[111:114], v1 offset:608
	s_mov_b32 s0, exec_lo
	s_waitcnt vmcnt(4) lgkmcnt(1)
	v_fma_f64 v[6:7], v[6:7], v[107:108], 0
	s_waitcnt vmcnt(3)
	s_delay_alu instid0(VALU_DEP_1) | instskip(SKIP_1) | instid1(VALU_DEP_1)
	v_fma_f64 v[6:7], v[8:9], v[109:110], v[6:7]
	s_waitcnt lgkmcnt(0)
	v_fma_f64 v[6:7], v[10:11], v[111:112], v[6:7]
	s_waitcnt vmcnt(2)
	s_delay_alu instid0(VALU_DEP_1)
	v_fma_f64 v[10:11], v[95:96], v[113:114], v[6:7]
	ds_load_b128 v[6:9], v1 offset:624
	ds_load_b128 v[107:110], v1 offset:640
	s_waitcnt lgkmcnt(1)
	v_fma_f64 v[6:7], v[97:98], v[6:7], v[10:11]
	s_waitcnt vmcnt(1)
	s_delay_alu instid0(VALU_DEP_1) | instskip(SKIP_4) | instid1(VALU_DEP_1)
	v_fma_f64 v[6:7], v[99:100], v[8:9], v[6:7]
	ds_load_b64 v[8:9], v1 offset:656
	s_waitcnt lgkmcnt(1)
	v_fma_f64 v[6:7], v[101:102], v[107:108], v[6:7]
	s_waitcnt vmcnt(0)
	v_fma_f64 v[6:7], v[103:104], v[109:110], v[6:7]
	s_waitcnt lgkmcnt(0)
	s_delay_alu instid0(VALU_DEP_1) | instskip(NEXT) | instid1(VALU_DEP_1)
	v_fma_f64 v[6:7], v[105:106], v[8:9], v[6:7]
	v_add_f64 v[4:5], v[4:5], -v[6:7]
	scratch_store_b64 off, v[4:5], off offset:248
	v_cmpx_lt_u32_e32 30, v0
	s_cbranch_execz .LBB104_195
; %bb.194:
	scratch_load_b64 v[4:5], off, off offset:240
	v_mov_b32_e32 v2, v1
	scratch_store_b64 off, v[1:2], off offset:240
	s_waitcnt vmcnt(0)
	ds_store_b64 v3, v[4:5]
.LBB104_195:
	s_or_b32 exec_lo, exec_lo, s0
	s_waitcnt lgkmcnt(0)
	s_waitcnt_vscnt null, 0x0
	s_barrier
	buffer_gl0_inv
	s_clause 0x4
	scratch_load_b128 v[4:7], off, off offset:240
	scratch_load_b128 v[8:11], off, off offset:256
	scratch_load_b128 v[95:98], off, off offset:272
	scratch_load_b128 v[99:102], off, off offset:288
	scratch_load_b128 v[103:106], off, off offset:304
	ds_load_2addr_b64 v[107:110], v1 offset0:73 offset1:74
	ds_load_2addr_b64 v[111:114], v1 offset0:75 offset1:76
	scratch_load_b64 v[115:116], off, off offset:320
	s_mov_b32 s0, exec_lo
	s_waitcnt vmcnt(5) lgkmcnt(1)
	v_fma_f64 v[6:7], v[6:7], v[107:108], 0
	s_waitcnt vmcnt(4)
	s_delay_alu instid0(VALU_DEP_1) | instskip(SKIP_1) | instid1(VALU_DEP_1)
	v_fma_f64 v[6:7], v[8:9], v[109:110], v[6:7]
	s_waitcnt lgkmcnt(0)
	v_fma_f64 v[6:7], v[10:11], v[111:112], v[6:7]
	s_waitcnt vmcnt(3)
	s_delay_alu instid0(VALU_DEP_1)
	v_fma_f64 v[10:11], v[95:96], v[113:114], v[6:7]
	ds_load_2addr_b64 v[6:9], v1 offset0:77 offset1:78
	ds_load_2addr_b64 v[107:110], v1 offset0:79 offset1:80
	s_waitcnt lgkmcnt(1)
	v_fma_f64 v[6:7], v[97:98], v[6:7], v[10:11]
	s_waitcnt vmcnt(2)
	s_delay_alu instid0(VALU_DEP_1) | instskip(SKIP_1) | instid1(VALU_DEP_1)
	v_fma_f64 v[6:7], v[99:100], v[8:9], v[6:7]
	s_waitcnt lgkmcnt(0)
	v_fma_f64 v[6:7], v[101:102], v[107:108], v[6:7]
	s_waitcnt vmcnt(1)
	s_delay_alu instid0(VALU_DEP_1) | instskip(SKIP_4) | instid1(VALU_DEP_1)
	v_fma_f64 v[10:11], v[103:104], v[109:110], v[6:7]
	ds_load_2addr_b64 v[6:9], v1 offset0:81 offset1:82
	s_waitcnt lgkmcnt(0)
	v_fma_f64 v[1:2], v[105:106], v[6:7], v[10:11]
	s_waitcnt vmcnt(0)
	v_fma_f64 v[1:2], v[115:116], v[8:9], v[1:2]
	s_delay_alu instid0(VALU_DEP_1)
	v_add_f64 v[1:2], v[4:5], -v[1:2]
	scratch_store_b64 off, v[1:2], off offset:240
	v_cmpx_lt_u32_e32 29, v0
	s_cbranch_execz .LBB104_197
; %bb.196:
	scratch_load_b64 v[1:2], off, off offset:232
	v_mov_b32_e32 v4, 0
	s_delay_alu instid0(VALU_DEP_1)
	v_mov_b32_e32 v5, v4
	scratch_store_b64 off, v[4:5], off offset:232
	s_waitcnt vmcnt(0)
	ds_store_b64 v3, v[1:2]
.LBB104_197:
	s_or_b32 exec_lo, exec_lo, s0
	s_waitcnt lgkmcnt(0)
	s_waitcnt_vscnt null, 0x0
	s_barrier
	buffer_gl0_inv
	s_clause 0x4
	scratch_load_b128 v[4:7], off, off offset:232
	scratch_load_b128 v[8:11], off, off offset:248
	scratch_load_b128 v[95:98], off, off offset:264
	scratch_load_b128 v[99:102], off, off offset:280
	scratch_load_b128 v[103:106], off, off offset:296
	v_mov_b32_e32 v1, 0
	ds_load_b128 v[107:110], v1 offset:576
	ds_load_b128 v[111:114], v1 offset:592
	scratch_load_b128 v[115:118], off, off offset:312
	s_mov_b32 s0, exec_lo
	s_waitcnt vmcnt(5) lgkmcnt(1)
	v_fma_f64 v[6:7], v[6:7], v[107:108], 0
	s_waitcnt vmcnt(4)
	s_delay_alu instid0(VALU_DEP_1) | instskip(SKIP_1) | instid1(VALU_DEP_1)
	v_fma_f64 v[6:7], v[8:9], v[109:110], v[6:7]
	s_waitcnt lgkmcnt(0)
	v_fma_f64 v[6:7], v[10:11], v[111:112], v[6:7]
	s_waitcnt vmcnt(3)
	s_delay_alu instid0(VALU_DEP_1)
	v_fma_f64 v[10:11], v[95:96], v[113:114], v[6:7]
	ds_load_b128 v[6:9], v1 offset:608
	ds_load_b128 v[107:110], v1 offset:624
	s_waitcnt lgkmcnt(1)
	v_fma_f64 v[6:7], v[97:98], v[6:7], v[10:11]
	s_waitcnt vmcnt(2)
	s_delay_alu instid0(VALU_DEP_1) | instskip(SKIP_1) | instid1(VALU_DEP_1)
	v_fma_f64 v[6:7], v[99:100], v[8:9], v[6:7]
	s_waitcnt lgkmcnt(0)
	v_fma_f64 v[6:7], v[101:102], v[107:108], v[6:7]
	s_waitcnt vmcnt(1)
	s_delay_alu instid0(VALU_DEP_1)
	v_fma_f64 v[10:11], v[103:104], v[109:110], v[6:7]
	ds_load_b128 v[6:9], v1 offset:640
	ds_load_b64 v[95:96], v1 offset:656
	s_waitcnt lgkmcnt(1)
	v_fma_f64 v[6:7], v[105:106], v[6:7], v[10:11]
	s_waitcnt vmcnt(0)
	s_delay_alu instid0(VALU_DEP_1) | instskip(SKIP_1) | instid1(VALU_DEP_1)
	v_fma_f64 v[6:7], v[115:116], v[8:9], v[6:7]
	s_waitcnt lgkmcnt(0)
	v_fma_f64 v[6:7], v[117:118], v[95:96], v[6:7]
	s_delay_alu instid0(VALU_DEP_1)
	v_add_f64 v[4:5], v[4:5], -v[6:7]
	scratch_store_b64 off, v[4:5], off offset:232
	v_cmpx_lt_u32_e32 28, v0
	s_cbranch_execz .LBB104_199
; %bb.198:
	scratch_load_b64 v[4:5], off, off offset:224
	v_mov_b32_e32 v2, v1
	scratch_store_b64 off, v[1:2], off offset:224
	s_waitcnt vmcnt(0)
	ds_store_b64 v3, v[4:5]
.LBB104_199:
	s_or_b32 exec_lo, exec_lo, s0
	s_waitcnt lgkmcnt(0)
	s_waitcnt_vscnt null, 0x0
	s_barrier
	buffer_gl0_inv
	s_clause 0x4
	scratch_load_b128 v[4:7], off, off offset:224
	scratch_load_b128 v[8:11], off, off offset:240
	;; [unrolled: 1-line block ×5, first 2 shown]
	ds_load_2addr_b64 v[107:110], v1 offset0:71 offset1:72
	ds_load_2addr_b64 v[111:114], v1 offset0:73 offset1:74
	scratch_load_b128 v[115:118], off, off offset:304
	s_mov_b32 s0, exec_lo
	s_waitcnt vmcnt(5) lgkmcnt(1)
	v_fma_f64 v[6:7], v[6:7], v[107:108], 0
	s_waitcnt vmcnt(4)
	s_delay_alu instid0(VALU_DEP_1) | instskip(SKIP_1) | instid1(VALU_DEP_1)
	v_fma_f64 v[6:7], v[8:9], v[109:110], v[6:7]
	s_waitcnt lgkmcnt(0)
	v_fma_f64 v[6:7], v[10:11], v[111:112], v[6:7]
	scratch_load_b64 v[10:11], off, off offset:320
	s_waitcnt vmcnt(4)
	v_fma_f64 v[95:96], v[95:96], v[113:114], v[6:7]
	ds_load_2addr_b64 v[6:9], v1 offset0:75 offset1:76
	ds_load_2addr_b64 v[107:110], v1 offset0:77 offset1:78
	s_waitcnt lgkmcnt(1)
	v_fma_f64 v[6:7], v[97:98], v[6:7], v[95:96]
	s_waitcnt vmcnt(3)
	s_delay_alu instid0(VALU_DEP_1) | instskip(SKIP_1) | instid1(VALU_DEP_1)
	v_fma_f64 v[6:7], v[99:100], v[8:9], v[6:7]
	s_waitcnt lgkmcnt(0)
	v_fma_f64 v[6:7], v[101:102], v[107:108], v[6:7]
	s_waitcnt vmcnt(2)
	s_delay_alu instid0(VALU_DEP_1)
	v_fma_f64 v[99:100], v[103:104], v[109:110], v[6:7]
	ds_load_2addr_b64 v[6:9], v1 offset0:79 offset1:80
	ds_load_2addr_b64 v[95:98], v1 offset0:81 offset1:82
	s_waitcnt lgkmcnt(1)
	v_fma_f64 v[1:2], v[105:106], v[6:7], v[99:100]
	s_waitcnt vmcnt(1)
	s_delay_alu instid0(VALU_DEP_1) | instskip(SKIP_1) | instid1(VALU_DEP_1)
	v_fma_f64 v[1:2], v[115:116], v[8:9], v[1:2]
	s_waitcnt lgkmcnt(0)
	v_fma_f64 v[1:2], v[117:118], v[95:96], v[1:2]
	s_waitcnt vmcnt(0)
	s_delay_alu instid0(VALU_DEP_1) | instskip(NEXT) | instid1(VALU_DEP_1)
	v_fma_f64 v[1:2], v[10:11], v[97:98], v[1:2]
	v_add_f64 v[1:2], v[4:5], -v[1:2]
	scratch_store_b64 off, v[1:2], off offset:224
	v_cmpx_lt_u32_e32 27, v0
	s_cbranch_execz .LBB104_201
; %bb.200:
	scratch_load_b64 v[1:2], off, off offset:216
	v_mov_b32_e32 v4, 0
	s_delay_alu instid0(VALU_DEP_1)
	v_mov_b32_e32 v5, v4
	scratch_store_b64 off, v[4:5], off offset:216
	s_waitcnt vmcnt(0)
	ds_store_b64 v3, v[1:2]
.LBB104_201:
	s_or_b32 exec_lo, exec_lo, s0
	s_waitcnt lgkmcnt(0)
	s_waitcnt_vscnt null, 0x0
	s_barrier
	buffer_gl0_inv
	s_clause 0x4
	scratch_load_b128 v[4:7], off, off offset:216
	scratch_load_b128 v[8:11], off, off offset:232
	;; [unrolled: 1-line block ×5, first 2 shown]
	v_mov_b32_e32 v1, 0
	ds_load_b128 v[107:110], v1 offset:560
	ds_load_b128 v[111:114], v1 offset:576
	scratch_load_b128 v[115:118], off, off offset:296
	s_mov_b32 s0, exec_lo
	s_waitcnt vmcnt(5) lgkmcnt(1)
	v_fma_f64 v[6:7], v[6:7], v[107:108], 0
	s_waitcnt vmcnt(4)
	s_delay_alu instid0(VALU_DEP_1) | instskip(SKIP_1) | instid1(VALU_DEP_1)
	v_fma_f64 v[6:7], v[8:9], v[109:110], v[6:7]
	s_waitcnt lgkmcnt(0)
	v_fma_f64 v[10:11], v[10:11], v[111:112], v[6:7]
	scratch_load_b128 v[6:9], off, off offset:312
	s_waitcnt vmcnt(4)
	v_fma_f64 v[10:11], v[95:96], v[113:114], v[10:11]
	ds_load_b128 v[107:110], v1 offset:592
	ds_load_b128 v[111:114], v1 offset:608
	s_waitcnt lgkmcnt(1)
	v_fma_f64 v[10:11], v[97:98], v[107:108], v[10:11]
	s_waitcnt vmcnt(3)
	s_delay_alu instid0(VALU_DEP_1) | instskip(SKIP_1) | instid1(VALU_DEP_1)
	v_fma_f64 v[10:11], v[99:100], v[109:110], v[10:11]
	s_waitcnt lgkmcnt(0)
	v_fma_f64 v[10:11], v[101:102], v[111:112], v[10:11]
	ds_load_b128 v[95:98], v1 offset:624
	ds_load_b128 v[99:102], v1 offset:640
	s_waitcnt vmcnt(2)
	v_fma_f64 v[10:11], v[103:104], v[113:114], v[10:11]
	s_waitcnt lgkmcnt(1)
	s_delay_alu instid0(VALU_DEP_1) | instskip(SKIP_1) | instid1(VALU_DEP_1)
	v_fma_f64 v[10:11], v[105:106], v[95:96], v[10:11]
	s_waitcnt vmcnt(1)
	v_fma_f64 v[10:11], v[115:116], v[97:98], v[10:11]
	s_waitcnt lgkmcnt(0)
	s_delay_alu instid0(VALU_DEP_1) | instskip(SKIP_1) | instid1(VALU_DEP_1)
	v_fma_f64 v[10:11], v[117:118], v[99:100], v[10:11]
	s_waitcnt vmcnt(0)
	v_fma_f64 v[6:7], v[6:7], v[101:102], v[10:11]
	ds_load_b64 v[10:11], v1 offset:656
	s_waitcnt lgkmcnt(0)
	v_fma_f64 v[6:7], v[8:9], v[10:11], v[6:7]
	s_delay_alu instid0(VALU_DEP_1)
	v_add_f64 v[4:5], v[4:5], -v[6:7]
	scratch_store_b64 off, v[4:5], off offset:216
	v_cmpx_lt_u32_e32 26, v0
	s_cbranch_execz .LBB104_203
; %bb.202:
	scratch_load_b64 v[4:5], off, off offset:208
	v_mov_b32_e32 v2, v1
	scratch_store_b64 off, v[1:2], off offset:208
	s_waitcnt vmcnt(0)
	ds_store_b64 v3, v[4:5]
.LBB104_203:
	s_or_b32 exec_lo, exec_lo, s0
	s_waitcnt lgkmcnt(0)
	s_waitcnt_vscnt null, 0x0
	s_barrier
	buffer_gl0_inv
	s_clause 0x4
	scratch_load_b128 v[4:7], off, off offset:208
	scratch_load_b128 v[8:11], off, off offset:224
	;; [unrolled: 1-line block ×5, first 2 shown]
	ds_load_2addr_b64 v[107:110], v1 offset0:69 offset1:70
	ds_load_2addr_b64 v[111:114], v1 offset0:71 offset1:72
	scratch_load_b128 v[115:118], off, off offset:288
	s_mov_b32 s0, exec_lo
	s_waitcnt vmcnt(5) lgkmcnt(1)
	v_fma_f64 v[6:7], v[6:7], v[107:108], 0
	s_waitcnt vmcnt(4)
	s_delay_alu instid0(VALU_DEP_1) | instskip(SKIP_1) | instid1(VALU_DEP_1)
	v_fma_f64 v[6:7], v[8:9], v[109:110], v[6:7]
	s_waitcnt lgkmcnt(0)
	v_fma_f64 v[10:11], v[10:11], v[111:112], v[6:7]
	scratch_load_b128 v[6:9], off, off offset:304
	s_waitcnt vmcnt(4)
	v_fma_f64 v[10:11], v[95:96], v[113:114], v[10:11]
	ds_load_2addr_b64 v[107:110], v1 offset0:73 offset1:74
	ds_load_2addr_b64 v[111:114], v1 offset0:75 offset1:76
	s_waitcnt lgkmcnt(1)
	v_fma_f64 v[10:11], v[97:98], v[107:108], v[10:11]
	scratch_load_b64 v[107:108], off, off offset:320
	s_waitcnt vmcnt(4)
	v_fma_f64 v[10:11], v[99:100], v[109:110], v[10:11]
	s_waitcnt lgkmcnt(0)
	s_delay_alu instid0(VALU_DEP_1)
	v_fma_f64 v[10:11], v[101:102], v[111:112], v[10:11]
	ds_load_2addr_b64 v[95:98], v1 offset0:77 offset1:78
	ds_load_2addr_b64 v[99:102], v1 offset0:79 offset1:80
	s_waitcnt vmcnt(3)
	v_fma_f64 v[10:11], v[103:104], v[113:114], v[10:11]
	s_waitcnt lgkmcnt(1)
	s_delay_alu instid0(VALU_DEP_1) | instskip(SKIP_1) | instid1(VALU_DEP_1)
	v_fma_f64 v[10:11], v[105:106], v[95:96], v[10:11]
	s_waitcnt vmcnt(2)
	v_fma_f64 v[10:11], v[115:116], v[97:98], v[10:11]
	ds_load_2addr_b64 v[95:98], v1 offset0:81 offset1:82
	s_waitcnt lgkmcnt(1)
	v_fma_f64 v[10:11], v[117:118], v[99:100], v[10:11]
	s_waitcnt vmcnt(1)
	s_delay_alu instid0(VALU_DEP_1) | instskip(SKIP_1) | instid1(VALU_DEP_1)
	v_fma_f64 v[6:7], v[6:7], v[101:102], v[10:11]
	s_waitcnt lgkmcnt(0)
	v_fma_f64 v[1:2], v[8:9], v[95:96], v[6:7]
	s_waitcnt vmcnt(0)
	s_delay_alu instid0(VALU_DEP_1) | instskip(NEXT) | instid1(VALU_DEP_1)
	v_fma_f64 v[1:2], v[107:108], v[97:98], v[1:2]
	v_add_f64 v[1:2], v[4:5], -v[1:2]
	scratch_store_b64 off, v[1:2], off offset:208
	v_cmpx_lt_u32_e32 25, v0
	s_cbranch_execz .LBB104_205
; %bb.204:
	scratch_load_b64 v[1:2], off, off offset:200
	v_mov_b32_e32 v4, 0
	s_delay_alu instid0(VALU_DEP_1)
	v_mov_b32_e32 v5, v4
	scratch_store_b64 off, v[4:5], off offset:200
	s_waitcnt vmcnt(0)
	ds_store_b64 v3, v[1:2]
.LBB104_205:
	s_or_b32 exec_lo, exec_lo, s0
	s_waitcnt lgkmcnt(0)
	s_waitcnt_vscnt null, 0x0
	s_barrier
	buffer_gl0_inv
	s_clause 0x4
	scratch_load_b128 v[4:7], off, off offset:200
	scratch_load_b128 v[8:11], off, off offset:216
	;; [unrolled: 1-line block ×5, first 2 shown]
	v_mov_b32_e32 v1, 0
	ds_load_b128 v[107:110], v1 offset:544
	ds_load_b128 v[111:114], v1 offset:560
	scratch_load_b128 v[115:118], off, off offset:280
	s_mov_b32 s0, exec_lo
	s_waitcnt vmcnt(5) lgkmcnt(1)
	v_fma_f64 v[6:7], v[6:7], v[107:108], 0
	s_waitcnt vmcnt(4)
	s_delay_alu instid0(VALU_DEP_1) | instskip(SKIP_1) | instid1(VALU_DEP_1)
	v_fma_f64 v[6:7], v[8:9], v[109:110], v[6:7]
	s_waitcnt lgkmcnt(0)
	v_fma_f64 v[10:11], v[10:11], v[111:112], v[6:7]
	scratch_load_b128 v[6:9], off, off offset:296
	s_waitcnt vmcnt(4)
	v_fma_f64 v[10:11], v[95:96], v[113:114], v[10:11]
	ds_load_b128 v[107:110], v1 offset:576
	ds_load_b128 v[111:114], v1 offset:592
	s_waitcnt lgkmcnt(1)
	v_fma_f64 v[10:11], v[97:98], v[107:108], v[10:11]
	scratch_load_b128 v[95:98], off, off offset:312
	s_waitcnt vmcnt(4)
	v_fma_f64 v[10:11], v[99:100], v[109:110], v[10:11]
	s_waitcnt lgkmcnt(0)
	s_delay_alu instid0(VALU_DEP_1)
	v_fma_f64 v[10:11], v[101:102], v[111:112], v[10:11]
	ds_load_b128 v[99:102], v1 offset:608
	ds_load_b128 v[107:110], v1 offset:624
	s_waitcnt vmcnt(3)
	v_fma_f64 v[10:11], v[103:104], v[113:114], v[10:11]
	s_waitcnt lgkmcnt(1)
	s_delay_alu instid0(VALU_DEP_1) | instskip(SKIP_1) | instid1(VALU_DEP_1)
	v_fma_f64 v[10:11], v[105:106], v[99:100], v[10:11]
	s_waitcnt vmcnt(2)
	v_fma_f64 v[10:11], v[115:116], v[101:102], v[10:11]
	s_waitcnt lgkmcnt(0)
	s_delay_alu instid0(VALU_DEP_1) | instskip(SKIP_1) | instid1(VALU_DEP_1)
	v_fma_f64 v[10:11], v[117:118], v[107:108], v[10:11]
	s_waitcnt vmcnt(1)
	v_fma_f64 v[6:7], v[6:7], v[109:110], v[10:11]
	ds_load_b128 v[99:102], v1 offset:640
	ds_load_b64 v[10:11], v1 offset:656
	s_waitcnt lgkmcnt(1)
	v_fma_f64 v[6:7], v[8:9], v[99:100], v[6:7]
	s_waitcnt vmcnt(0)
	s_delay_alu instid0(VALU_DEP_1) | instskip(SKIP_1) | instid1(VALU_DEP_1)
	v_fma_f64 v[6:7], v[95:96], v[101:102], v[6:7]
	s_waitcnt lgkmcnt(0)
	v_fma_f64 v[6:7], v[97:98], v[10:11], v[6:7]
	s_delay_alu instid0(VALU_DEP_1)
	v_add_f64 v[4:5], v[4:5], -v[6:7]
	scratch_store_b64 off, v[4:5], off offset:200
	v_cmpx_lt_u32_e32 24, v0
	s_cbranch_execz .LBB104_207
; %bb.206:
	scratch_load_b64 v[4:5], off, off offset:192
	v_mov_b32_e32 v2, v1
	scratch_store_b64 off, v[1:2], off offset:192
	s_waitcnt vmcnt(0)
	ds_store_b64 v3, v[4:5]
.LBB104_207:
	s_or_b32 exec_lo, exec_lo, s0
	s_waitcnt lgkmcnt(0)
	s_waitcnt_vscnt null, 0x0
	s_barrier
	buffer_gl0_inv
	s_clause 0x4
	scratch_load_b128 v[4:7], off, off offset:192
	scratch_load_b128 v[8:11], off, off offset:208
	scratch_load_b128 v[95:98], off, off offset:224
	scratch_load_b128 v[99:102], off, off offset:240
	scratch_load_b128 v[103:106], off, off offset:256
	ds_load_2addr_b64 v[107:110], v1 offset0:67 offset1:68
	ds_load_2addr_b64 v[111:114], v1 offset0:69 offset1:70
	scratch_load_b128 v[115:118], off, off offset:272
	s_mov_b32 s0, exec_lo
	s_waitcnt vmcnt(5) lgkmcnt(1)
	v_fma_f64 v[6:7], v[6:7], v[107:108], 0
	s_waitcnt vmcnt(4)
	s_delay_alu instid0(VALU_DEP_1) | instskip(SKIP_1) | instid1(VALU_DEP_1)
	v_fma_f64 v[6:7], v[8:9], v[109:110], v[6:7]
	s_waitcnt lgkmcnt(0)
	v_fma_f64 v[10:11], v[10:11], v[111:112], v[6:7]
	scratch_load_b128 v[6:9], off, off offset:288
	s_waitcnt vmcnt(4)
	v_fma_f64 v[10:11], v[95:96], v[113:114], v[10:11]
	ds_load_2addr_b64 v[107:110], v1 offset0:71 offset1:72
	ds_load_2addr_b64 v[111:114], v1 offset0:73 offset1:74
	s_waitcnt lgkmcnt(1)
	v_fma_f64 v[10:11], v[97:98], v[107:108], v[10:11]
	scratch_load_b128 v[95:98], off, off offset:304
	s_waitcnt vmcnt(4)
	v_fma_f64 v[10:11], v[99:100], v[109:110], v[10:11]
	s_waitcnt lgkmcnt(0)
	s_delay_alu instid0(VALU_DEP_1)
	v_fma_f64 v[10:11], v[101:102], v[111:112], v[10:11]
	scratch_load_b64 v[111:112], off, off offset:320
	ds_load_2addr_b64 v[99:102], v1 offset0:75 offset1:76
	ds_load_2addr_b64 v[107:110], v1 offset0:77 offset1:78
	s_waitcnt vmcnt(4)
	v_fma_f64 v[10:11], v[103:104], v[113:114], v[10:11]
	s_waitcnt lgkmcnt(1)
	s_delay_alu instid0(VALU_DEP_1) | instskip(SKIP_1) | instid1(VALU_DEP_1)
	v_fma_f64 v[10:11], v[105:106], v[99:100], v[10:11]
	s_waitcnt vmcnt(3)
	v_fma_f64 v[10:11], v[115:116], v[101:102], v[10:11]
	ds_load_2addr_b64 v[99:102], v1 offset0:79 offset1:80
	ds_load_2addr_b64 v[103:106], v1 offset0:81 offset1:82
	s_waitcnt lgkmcnt(2)
	v_fma_f64 v[10:11], v[117:118], v[107:108], v[10:11]
	s_waitcnt vmcnt(2)
	s_delay_alu instid0(VALU_DEP_1) | instskip(SKIP_1) | instid1(VALU_DEP_1)
	v_fma_f64 v[6:7], v[6:7], v[109:110], v[10:11]
	s_waitcnt lgkmcnt(1)
	v_fma_f64 v[1:2], v[8:9], v[99:100], v[6:7]
	s_waitcnt vmcnt(1)
	s_delay_alu instid0(VALU_DEP_1) | instskip(SKIP_1) | instid1(VALU_DEP_1)
	v_fma_f64 v[1:2], v[95:96], v[101:102], v[1:2]
	s_waitcnt lgkmcnt(0)
	v_fma_f64 v[1:2], v[97:98], v[103:104], v[1:2]
	s_waitcnt vmcnt(0)
	s_delay_alu instid0(VALU_DEP_1) | instskip(NEXT) | instid1(VALU_DEP_1)
	v_fma_f64 v[1:2], v[111:112], v[105:106], v[1:2]
	v_add_f64 v[1:2], v[4:5], -v[1:2]
	scratch_store_b64 off, v[1:2], off offset:192
	v_cmpx_lt_u32_e32 23, v0
	s_cbranch_execz .LBB104_209
; %bb.208:
	scratch_load_b64 v[1:2], off, off offset:184
	v_mov_b32_e32 v4, 0
	s_delay_alu instid0(VALU_DEP_1)
	v_mov_b32_e32 v5, v4
	scratch_store_b64 off, v[4:5], off offset:184
	s_waitcnt vmcnt(0)
	ds_store_b64 v3, v[1:2]
.LBB104_209:
	s_or_b32 exec_lo, exec_lo, s0
	s_waitcnt lgkmcnt(0)
	s_waitcnt_vscnt null, 0x0
	s_barrier
	buffer_gl0_inv
	s_clause 0x4
	scratch_load_b128 v[4:7], off, off offset:184
	scratch_load_b128 v[8:11], off, off offset:200
	;; [unrolled: 1-line block ×5, first 2 shown]
	v_mov_b32_e32 v1, 0
	ds_load_b128 v[107:110], v1 offset:528
	ds_load_b128 v[111:114], v1 offset:544
	scratch_load_b128 v[115:118], off, off offset:264
	s_mov_b32 s0, exec_lo
	s_waitcnt vmcnt(5) lgkmcnt(1)
	v_fma_f64 v[6:7], v[6:7], v[107:108], 0
	s_waitcnt vmcnt(4)
	s_delay_alu instid0(VALU_DEP_1) | instskip(SKIP_1) | instid1(VALU_DEP_1)
	v_fma_f64 v[6:7], v[8:9], v[109:110], v[6:7]
	s_waitcnt lgkmcnt(0)
	v_fma_f64 v[10:11], v[10:11], v[111:112], v[6:7]
	scratch_load_b128 v[6:9], off, off offset:280
	s_waitcnt vmcnt(4)
	v_fma_f64 v[10:11], v[95:96], v[113:114], v[10:11]
	ds_load_b128 v[107:110], v1 offset:560
	ds_load_b128 v[111:114], v1 offset:576
	s_waitcnt lgkmcnt(1)
	v_fma_f64 v[10:11], v[97:98], v[107:108], v[10:11]
	scratch_load_b128 v[95:98], off, off offset:296
	s_waitcnt vmcnt(4)
	v_fma_f64 v[10:11], v[99:100], v[109:110], v[10:11]
	s_waitcnt lgkmcnt(0)
	s_delay_alu instid0(VALU_DEP_1)
	v_fma_f64 v[10:11], v[101:102], v[111:112], v[10:11]
	scratch_load_b128 v[99:102], off, off offset:312
	s_waitcnt vmcnt(4)
	v_fma_f64 v[10:11], v[103:104], v[113:114], v[10:11]
	ds_load_b128 v[107:110], v1 offset:592
	ds_load_b128 v[111:114], v1 offset:608
	s_waitcnt lgkmcnt(1)
	v_fma_f64 v[10:11], v[105:106], v[107:108], v[10:11]
	s_waitcnt vmcnt(3)
	s_delay_alu instid0(VALU_DEP_1)
	v_fma_f64 v[10:11], v[115:116], v[109:110], v[10:11]
	ds_load_b128 v[103:106], v1 offset:624
	ds_load_b128 v[107:110], v1 offset:640
	s_waitcnt lgkmcnt(2)
	v_fma_f64 v[10:11], v[117:118], v[111:112], v[10:11]
	s_waitcnt vmcnt(2)
	s_delay_alu instid0(VALU_DEP_1) | instskip(SKIP_1) | instid1(VALU_DEP_1)
	v_fma_f64 v[6:7], v[6:7], v[113:114], v[10:11]
	s_waitcnt lgkmcnt(1)
	v_fma_f64 v[6:7], v[8:9], v[103:104], v[6:7]
	ds_load_b64 v[8:9], v1 offset:656
	s_waitcnt vmcnt(1)
	v_fma_f64 v[6:7], v[95:96], v[105:106], v[6:7]
	s_waitcnt lgkmcnt(1)
	s_delay_alu instid0(VALU_DEP_1) | instskip(SKIP_1) | instid1(VALU_DEP_1)
	v_fma_f64 v[6:7], v[97:98], v[107:108], v[6:7]
	s_waitcnt vmcnt(0)
	v_fma_f64 v[6:7], v[99:100], v[109:110], v[6:7]
	s_waitcnt lgkmcnt(0)
	s_delay_alu instid0(VALU_DEP_1) | instskip(NEXT) | instid1(VALU_DEP_1)
	v_fma_f64 v[6:7], v[101:102], v[8:9], v[6:7]
	v_add_f64 v[4:5], v[4:5], -v[6:7]
	scratch_store_b64 off, v[4:5], off offset:184
	v_cmpx_lt_u32_e32 22, v0
	s_cbranch_execz .LBB104_211
; %bb.210:
	scratch_load_b64 v[4:5], off, off offset:176
	v_mov_b32_e32 v2, v1
	scratch_store_b64 off, v[1:2], off offset:176
	s_waitcnt vmcnt(0)
	ds_store_b64 v3, v[4:5]
.LBB104_211:
	s_or_b32 exec_lo, exec_lo, s0
	s_waitcnt lgkmcnt(0)
	s_waitcnt_vscnt null, 0x0
	s_barrier
	buffer_gl0_inv
	s_clause 0x4
	scratch_load_b128 v[4:7], off, off offset:176
	scratch_load_b128 v[8:11], off, off offset:192
	;; [unrolled: 1-line block ×5, first 2 shown]
	ds_load_2addr_b64 v[107:110], v1 offset0:65 offset1:66
	ds_load_2addr_b64 v[111:114], v1 offset0:67 offset1:68
	scratch_load_b128 v[115:118], off, off offset:256
	s_mov_b32 s0, exec_lo
	s_waitcnt vmcnt(5) lgkmcnt(1)
	v_fma_f64 v[6:7], v[6:7], v[107:108], 0
	s_waitcnt vmcnt(4)
	s_delay_alu instid0(VALU_DEP_1) | instskip(SKIP_1) | instid1(VALU_DEP_1)
	v_fma_f64 v[6:7], v[8:9], v[109:110], v[6:7]
	s_waitcnt lgkmcnt(0)
	v_fma_f64 v[10:11], v[10:11], v[111:112], v[6:7]
	scratch_load_b128 v[6:9], off, off offset:272
	s_waitcnt vmcnt(4)
	v_fma_f64 v[10:11], v[95:96], v[113:114], v[10:11]
	ds_load_2addr_b64 v[107:110], v1 offset0:69 offset1:70
	ds_load_2addr_b64 v[111:114], v1 offset0:71 offset1:72
	s_waitcnt lgkmcnt(1)
	v_fma_f64 v[10:11], v[97:98], v[107:108], v[10:11]
	scratch_load_b128 v[95:98], off, off offset:288
	s_waitcnt vmcnt(4)
	v_fma_f64 v[10:11], v[99:100], v[109:110], v[10:11]
	s_waitcnt lgkmcnt(0)
	s_delay_alu instid0(VALU_DEP_1)
	v_fma_f64 v[10:11], v[101:102], v[111:112], v[10:11]
	scratch_load_b128 v[99:102], off, off offset:304
	s_waitcnt vmcnt(4)
	v_fma_f64 v[10:11], v[103:104], v[113:114], v[10:11]
	ds_load_2addr_b64 v[107:110], v1 offset0:73 offset1:74
	ds_load_2addr_b64 v[111:114], v1 offset0:75 offset1:76
	scratch_load_b64 v[119:120], off, off offset:320
	s_waitcnt lgkmcnt(1)
	v_fma_f64 v[10:11], v[105:106], v[107:108], v[10:11]
	s_waitcnt vmcnt(4)
	s_delay_alu instid0(VALU_DEP_1)
	v_fma_f64 v[10:11], v[115:116], v[109:110], v[10:11]
	ds_load_2addr_b64 v[103:106], v1 offset0:77 offset1:78
	ds_load_2addr_b64 v[107:110], v1 offset0:79 offset1:80
	s_waitcnt lgkmcnt(2)
	v_fma_f64 v[10:11], v[117:118], v[111:112], v[10:11]
	s_waitcnt vmcnt(3)
	s_delay_alu instid0(VALU_DEP_1) | instskip(SKIP_1) | instid1(VALU_DEP_1)
	v_fma_f64 v[6:7], v[6:7], v[113:114], v[10:11]
	s_waitcnt lgkmcnt(1)
	v_fma_f64 v[6:7], v[8:9], v[103:104], v[6:7]
	s_waitcnt vmcnt(2)
	s_delay_alu instid0(VALU_DEP_1) | instskip(SKIP_1) | instid1(VALU_DEP_1)
	v_fma_f64 v[6:7], v[95:96], v[105:106], v[6:7]
	s_waitcnt lgkmcnt(0)
	v_fma_f64 v[6:7], v[97:98], v[107:108], v[6:7]
	s_waitcnt vmcnt(1)
	s_delay_alu instid0(VALU_DEP_1) | instskip(SKIP_4) | instid1(VALU_DEP_1)
	v_fma_f64 v[10:11], v[99:100], v[109:110], v[6:7]
	ds_load_2addr_b64 v[6:9], v1 offset0:81 offset1:82
	s_waitcnt lgkmcnt(0)
	v_fma_f64 v[1:2], v[101:102], v[6:7], v[10:11]
	s_waitcnt vmcnt(0)
	v_fma_f64 v[1:2], v[119:120], v[8:9], v[1:2]
	s_delay_alu instid0(VALU_DEP_1)
	v_add_f64 v[1:2], v[4:5], -v[1:2]
	scratch_store_b64 off, v[1:2], off offset:176
	v_cmpx_lt_u32_e32 21, v0
	s_cbranch_execz .LBB104_213
; %bb.212:
	scratch_load_b64 v[1:2], off, off offset:168
	v_mov_b32_e32 v4, 0
	s_delay_alu instid0(VALU_DEP_1)
	v_mov_b32_e32 v5, v4
	scratch_store_b64 off, v[4:5], off offset:168
	s_waitcnt vmcnt(0)
	ds_store_b64 v3, v[1:2]
.LBB104_213:
	s_or_b32 exec_lo, exec_lo, s0
	s_waitcnt lgkmcnt(0)
	s_waitcnt_vscnt null, 0x0
	s_barrier
	buffer_gl0_inv
	s_clause 0x4
	scratch_load_b128 v[4:7], off, off offset:168
	scratch_load_b128 v[8:11], off, off offset:184
	;; [unrolled: 1-line block ×5, first 2 shown]
	v_mov_b32_e32 v1, 0
	ds_load_b128 v[107:110], v1 offset:512
	ds_load_b128 v[111:114], v1 offset:528
	scratch_load_b128 v[115:118], off, off offset:248
	s_mov_b32 s0, exec_lo
	s_waitcnt vmcnt(5) lgkmcnt(1)
	v_fma_f64 v[6:7], v[6:7], v[107:108], 0
	s_waitcnt vmcnt(4)
	s_delay_alu instid0(VALU_DEP_1) | instskip(SKIP_1) | instid1(VALU_DEP_1)
	v_fma_f64 v[6:7], v[8:9], v[109:110], v[6:7]
	s_waitcnt lgkmcnt(0)
	v_fma_f64 v[10:11], v[10:11], v[111:112], v[6:7]
	scratch_load_b128 v[6:9], off, off offset:264
	s_waitcnt vmcnt(4)
	v_fma_f64 v[10:11], v[95:96], v[113:114], v[10:11]
	ds_load_b128 v[107:110], v1 offset:544
	ds_load_b128 v[111:114], v1 offset:560
	s_waitcnt lgkmcnt(1)
	v_fma_f64 v[10:11], v[97:98], v[107:108], v[10:11]
	scratch_load_b128 v[95:98], off, off offset:280
	s_waitcnt vmcnt(4)
	v_fma_f64 v[10:11], v[99:100], v[109:110], v[10:11]
	s_waitcnt lgkmcnt(0)
	s_delay_alu instid0(VALU_DEP_1)
	v_fma_f64 v[10:11], v[101:102], v[111:112], v[10:11]
	scratch_load_b128 v[99:102], off, off offset:296
	s_waitcnt vmcnt(4)
	v_fma_f64 v[10:11], v[103:104], v[113:114], v[10:11]
	ds_load_b128 v[107:110], v1 offset:576
	ds_load_b128 v[111:114], v1 offset:592
	s_waitcnt lgkmcnt(1)
	v_fma_f64 v[10:11], v[105:106], v[107:108], v[10:11]
	scratch_load_b128 v[103:106], off, off offset:312
	s_waitcnt vmcnt(4)
	v_fma_f64 v[10:11], v[115:116], v[109:110], v[10:11]
	s_waitcnt lgkmcnt(0)
	s_delay_alu instid0(VALU_DEP_1) | instskip(SKIP_1) | instid1(VALU_DEP_1)
	v_fma_f64 v[10:11], v[117:118], v[111:112], v[10:11]
	s_waitcnt vmcnt(3)
	v_fma_f64 v[6:7], v[6:7], v[113:114], v[10:11]
	ds_load_b128 v[107:110], v1 offset:608
	ds_load_b128 v[111:114], v1 offset:624
	s_waitcnt lgkmcnt(1)
	v_fma_f64 v[6:7], v[8:9], v[107:108], v[6:7]
	s_waitcnt vmcnt(2)
	s_delay_alu instid0(VALU_DEP_1) | instskip(SKIP_1) | instid1(VALU_DEP_1)
	v_fma_f64 v[6:7], v[95:96], v[109:110], v[6:7]
	s_waitcnt lgkmcnt(0)
	v_fma_f64 v[6:7], v[97:98], v[111:112], v[6:7]
	s_waitcnt vmcnt(1)
	s_delay_alu instid0(VALU_DEP_1)
	v_fma_f64 v[10:11], v[99:100], v[113:114], v[6:7]
	ds_load_b128 v[6:9], v1 offset:640
	ds_load_b64 v[95:96], v1 offset:656
	s_waitcnt lgkmcnt(1)
	v_fma_f64 v[6:7], v[101:102], v[6:7], v[10:11]
	s_waitcnt vmcnt(0)
	s_delay_alu instid0(VALU_DEP_1) | instskip(SKIP_1) | instid1(VALU_DEP_1)
	v_fma_f64 v[6:7], v[103:104], v[8:9], v[6:7]
	s_waitcnt lgkmcnt(0)
	v_fma_f64 v[6:7], v[105:106], v[95:96], v[6:7]
	s_delay_alu instid0(VALU_DEP_1)
	v_add_f64 v[4:5], v[4:5], -v[6:7]
	scratch_store_b64 off, v[4:5], off offset:168
	v_cmpx_lt_u32_e32 20, v0
	s_cbranch_execz .LBB104_215
; %bb.214:
	scratch_load_b64 v[4:5], off, off offset:160
	v_mov_b32_e32 v2, v1
	scratch_store_b64 off, v[1:2], off offset:160
	s_waitcnt vmcnt(0)
	ds_store_b64 v3, v[4:5]
.LBB104_215:
	s_or_b32 exec_lo, exec_lo, s0
	s_waitcnt lgkmcnt(0)
	s_waitcnt_vscnt null, 0x0
	s_barrier
	buffer_gl0_inv
	s_clause 0x4
	scratch_load_b128 v[4:7], off, off offset:160
	scratch_load_b128 v[8:11], off, off offset:176
	;; [unrolled: 1-line block ×5, first 2 shown]
	ds_load_2addr_b64 v[107:110], v1 offset0:63 offset1:64
	ds_load_2addr_b64 v[111:114], v1 offset0:65 offset1:66
	scratch_load_b128 v[115:118], off, off offset:240
	s_mov_b32 s0, exec_lo
	s_waitcnt vmcnt(5) lgkmcnt(1)
	v_fma_f64 v[6:7], v[6:7], v[107:108], 0
	s_waitcnt vmcnt(4)
	s_delay_alu instid0(VALU_DEP_1) | instskip(SKIP_1) | instid1(VALU_DEP_1)
	v_fma_f64 v[6:7], v[8:9], v[109:110], v[6:7]
	s_waitcnt lgkmcnt(0)
	v_fma_f64 v[10:11], v[10:11], v[111:112], v[6:7]
	scratch_load_b128 v[6:9], off, off offset:256
	s_waitcnt vmcnt(4)
	v_fma_f64 v[10:11], v[95:96], v[113:114], v[10:11]
	ds_load_2addr_b64 v[107:110], v1 offset0:67 offset1:68
	ds_load_2addr_b64 v[111:114], v1 offset0:69 offset1:70
	s_waitcnt lgkmcnt(1)
	v_fma_f64 v[10:11], v[97:98], v[107:108], v[10:11]
	scratch_load_b128 v[95:98], off, off offset:272
	s_waitcnt vmcnt(4)
	v_fma_f64 v[10:11], v[99:100], v[109:110], v[10:11]
	s_waitcnt lgkmcnt(0)
	s_delay_alu instid0(VALU_DEP_1)
	v_fma_f64 v[10:11], v[101:102], v[111:112], v[10:11]
	scratch_load_b128 v[99:102], off, off offset:288
	s_waitcnt vmcnt(4)
	v_fma_f64 v[10:11], v[103:104], v[113:114], v[10:11]
	ds_load_2addr_b64 v[107:110], v1 offset0:71 offset1:72
	ds_load_2addr_b64 v[111:114], v1 offset0:73 offset1:74
	s_waitcnt lgkmcnt(1)
	v_fma_f64 v[10:11], v[105:106], v[107:108], v[10:11]
	scratch_load_b128 v[103:106], off, off offset:304
	s_waitcnt vmcnt(4)
	v_fma_f64 v[10:11], v[115:116], v[109:110], v[10:11]
	scratch_load_b64 v[115:116], off, off offset:320
	s_waitcnt lgkmcnt(0)
	v_fma_f64 v[10:11], v[117:118], v[111:112], v[10:11]
	s_waitcnt vmcnt(4)
	s_delay_alu instid0(VALU_DEP_1)
	v_fma_f64 v[6:7], v[6:7], v[113:114], v[10:11]
	ds_load_2addr_b64 v[107:110], v1 offset0:75 offset1:76
	ds_load_2addr_b64 v[111:114], v1 offset0:77 offset1:78
	s_waitcnt lgkmcnt(1)
	v_fma_f64 v[6:7], v[8:9], v[107:108], v[6:7]
	s_waitcnt vmcnt(3)
	s_delay_alu instid0(VALU_DEP_1) | instskip(SKIP_1) | instid1(VALU_DEP_1)
	v_fma_f64 v[6:7], v[95:96], v[109:110], v[6:7]
	s_waitcnt lgkmcnt(0)
	v_fma_f64 v[6:7], v[97:98], v[111:112], v[6:7]
	s_waitcnt vmcnt(2)
	s_delay_alu instid0(VALU_DEP_1)
	v_fma_f64 v[10:11], v[99:100], v[113:114], v[6:7]
	ds_load_2addr_b64 v[6:9], v1 offset0:79 offset1:80
	ds_load_2addr_b64 v[95:98], v1 offset0:81 offset1:82
	s_waitcnt lgkmcnt(1)
	v_fma_f64 v[1:2], v[101:102], v[6:7], v[10:11]
	s_waitcnt vmcnt(1)
	s_delay_alu instid0(VALU_DEP_1) | instskip(SKIP_1) | instid1(VALU_DEP_1)
	v_fma_f64 v[1:2], v[103:104], v[8:9], v[1:2]
	s_waitcnt lgkmcnt(0)
	v_fma_f64 v[1:2], v[105:106], v[95:96], v[1:2]
	s_waitcnt vmcnt(0)
	s_delay_alu instid0(VALU_DEP_1) | instskip(NEXT) | instid1(VALU_DEP_1)
	v_fma_f64 v[1:2], v[115:116], v[97:98], v[1:2]
	v_add_f64 v[1:2], v[4:5], -v[1:2]
	scratch_store_b64 off, v[1:2], off offset:160
	v_cmpx_lt_u32_e32 19, v0
	s_cbranch_execz .LBB104_217
; %bb.216:
	scratch_load_b64 v[1:2], off, off offset:152
	v_mov_b32_e32 v4, 0
	s_delay_alu instid0(VALU_DEP_1)
	v_mov_b32_e32 v5, v4
	scratch_store_b64 off, v[4:5], off offset:152
	s_waitcnt vmcnt(0)
	ds_store_b64 v3, v[1:2]
.LBB104_217:
	s_or_b32 exec_lo, exec_lo, s0
	s_waitcnt lgkmcnt(0)
	s_waitcnt_vscnt null, 0x0
	s_barrier
	buffer_gl0_inv
	s_clause 0x4
	scratch_load_b128 v[4:7], off, off offset:152
	scratch_load_b128 v[8:11], off, off offset:168
	;; [unrolled: 1-line block ×5, first 2 shown]
	v_mov_b32_e32 v1, 0
	ds_load_b128 v[107:110], v1 offset:496
	ds_load_b128 v[111:114], v1 offset:512
	scratch_load_b128 v[115:118], off, off offset:232
	s_mov_b32 s0, exec_lo
	s_waitcnt vmcnt(5) lgkmcnt(1)
	v_fma_f64 v[6:7], v[6:7], v[107:108], 0
	s_waitcnt vmcnt(4)
	s_delay_alu instid0(VALU_DEP_1) | instskip(SKIP_1) | instid1(VALU_DEP_1)
	v_fma_f64 v[6:7], v[8:9], v[109:110], v[6:7]
	s_waitcnt lgkmcnt(0)
	v_fma_f64 v[10:11], v[10:11], v[111:112], v[6:7]
	scratch_load_b128 v[6:9], off, off offset:248
	s_waitcnt vmcnt(4)
	v_fma_f64 v[10:11], v[95:96], v[113:114], v[10:11]
	ds_load_b128 v[107:110], v1 offset:528
	ds_load_b128 v[111:114], v1 offset:544
	s_waitcnt lgkmcnt(1)
	v_fma_f64 v[10:11], v[97:98], v[107:108], v[10:11]
	scratch_load_b128 v[95:98], off, off offset:264
	s_waitcnt vmcnt(4)
	v_fma_f64 v[10:11], v[99:100], v[109:110], v[10:11]
	s_waitcnt lgkmcnt(0)
	s_delay_alu instid0(VALU_DEP_1)
	v_fma_f64 v[10:11], v[101:102], v[111:112], v[10:11]
	scratch_load_b128 v[99:102], off, off offset:280
	s_waitcnt vmcnt(4)
	v_fma_f64 v[10:11], v[103:104], v[113:114], v[10:11]
	ds_load_b128 v[107:110], v1 offset:560
	ds_load_b128 v[111:114], v1 offset:576
	s_waitcnt lgkmcnt(1)
	v_fma_f64 v[10:11], v[105:106], v[107:108], v[10:11]
	scratch_load_b128 v[103:106], off, off offset:296
	s_waitcnt vmcnt(4)
	v_fma_f64 v[10:11], v[115:116], v[109:110], v[10:11]
	scratch_load_b128 v[107:110], off, off offset:312
	s_waitcnt lgkmcnt(0)
	v_fma_f64 v[10:11], v[117:118], v[111:112], v[10:11]
	s_waitcnt vmcnt(4)
	s_delay_alu instid0(VALU_DEP_1)
	v_fma_f64 v[6:7], v[6:7], v[113:114], v[10:11]
	ds_load_b128 v[111:114], v1 offset:592
	ds_load_b128 v[115:118], v1 offset:608
	s_waitcnt lgkmcnt(1)
	v_fma_f64 v[6:7], v[8:9], v[111:112], v[6:7]
	s_waitcnt vmcnt(3)
	s_delay_alu instid0(VALU_DEP_1) | instskip(SKIP_1) | instid1(VALU_DEP_1)
	v_fma_f64 v[6:7], v[95:96], v[113:114], v[6:7]
	s_waitcnt lgkmcnt(0)
	v_fma_f64 v[6:7], v[97:98], v[115:116], v[6:7]
	s_waitcnt vmcnt(2)
	s_delay_alu instid0(VALU_DEP_1)
	v_fma_f64 v[10:11], v[99:100], v[117:118], v[6:7]
	ds_load_b128 v[6:9], v1 offset:624
	ds_load_b128 v[95:98], v1 offset:640
	s_waitcnt lgkmcnt(1)
	v_fma_f64 v[6:7], v[101:102], v[6:7], v[10:11]
	s_waitcnt vmcnt(1)
	s_delay_alu instid0(VALU_DEP_1) | instskip(SKIP_4) | instid1(VALU_DEP_1)
	v_fma_f64 v[6:7], v[103:104], v[8:9], v[6:7]
	ds_load_b64 v[8:9], v1 offset:656
	s_waitcnt lgkmcnt(1)
	v_fma_f64 v[6:7], v[105:106], v[95:96], v[6:7]
	s_waitcnt vmcnt(0)
	v_fma_f64 v[6:7], v[107:108], v[97:98], v[6:7]
	s_waitcnt lgkmcnt(0)
	s_delay_alu instid0(VALU_DEP_1) | instskip(NEXT) | instid1(VALU_DEP_1)
	v_fma_f64 v[6:7], v[109:110], v[8:9], v[6:7]
	v_add_f64 v[4:5], v[4:5], -v[6:7]
	scratch_store_b64 off, v[4:5], off offset:152
	v_cmpx_lt_u32_e32 18, v0
	s_cbranch_execz .LBB104_219
; %bb.218:
	scratch_load_b64 v[4:5], off, off offset:144
	v_mov_b32_e32 v2, v1
	scratch_store_b64 off, v[1:2], off offset:144
	s_waitcnt vmcnt(0)
	ds_store_b64 v3, v[4:5]
.LBB104_219:
	s_or_b32 exec_lo, exec_lo, s0
	s_waitcnt lgkmcnt(0)
	s_waitcnt_vscnt null, 0x0
	s_barrier
	buffer_gl0_inv
	s_clause 0x4
	scratch_load_b128 v[4:7], off, off offset:144
	scratch_load_b128 v[8:11], off, off offset:160
	;; [unrolled: 1-line block ×5, first 2 shown]
	ds_load_2addr_b64 v[107:110], v1 offset0:61 offset1:62
	ds_load_2addr_b64 v[111:114], v1 offset0:63 offset1:64
	scratch_load_b128 v[115:118], off, off offset:224
	s_mov_b32 s0, exec_lo
	s_waitcnt vmcnt(5) lgkmcnt(1)
	v_fma_f64 v[6:7], v[6:7], v[107:108], 0
	s_waitcnt vmcnt(4)
	s_delay_alu instid0(VALU_DEP_1) | instskip(SKIP_1) | instid1(VALU_DEP_1)
	v_fma_f64 v[6:7], v[8:9], v[109:110], v[6:7]
	s_waitcnt lgkmcnt(0)
	v_fma_f64 v[10:11], v[10:11], v[111:112], v[6:7]
	scratch_load_b128 v[6:9], off, off offset:240
	s_waitcnt vmcnt(4)
	v_fma_f64 v[10:11], v[95:96], v[113:114], v[10:11]
	ds_load_2addr_b64 v[107:110], v1 offset0:65 offset1:66
	ds_load_2addr_b64 v[111:114], v1 offset0:67 offset1:68
	s_waitcnt lgkmcnt(1)
	v_fma_f64 v[10:11], v[97:98], v[107:108], v[10:11]
	scratch_load_b128 v[95:98], off, off offset:256
	s_waitcnt vmcnt(4)
	v_fma_f64 v[10:11], v[99:100], v[109:110], v[10:11]
	s_waitcnt lgkmcnt(0)
	s_delay_alu instid0(VALU_DEP_1)
	v_fma_f64 v[10:11], v[101:102], v[111:112], v[10:11]
	scratch_load_b128 v[99:102], off, off offset:272
	s_waitcnt vmcnt(4)
	v_fma_f64 v[10:11], v[103:104], v[113:114], v[10:11]
	ds_load_2addr_b64 v[107:110], v1 offset0:69 offset1:70
	ds_load_2addr_b64 v[111:114], v1 offset0:71 offset1:72
	s_waitcnt lgkmcnt(1)
	v_fma_f64 v[10:11], v[105:106], v[107:108], v[10:11]
	scratch_load_b128 v[103:106], off, off offset:288
	s_waitcnt vmcnt(4)
	v_fma_f64 v[10:11], v[115:116], v[109:110], v[10:11]
	scratch_load_b128 v[107:110], off, off offset:304
	s_waitcnt lgkmcnt(0)
	v_fma_f64 v[10:11], v[117:118], v[111:112], v[10:11]
	s_waitcnt vmcnt(4)
	s_delay_alu instid0(VALU_DEP_1)
	v_fma_f64 v[6:7], v[6:7], v[113:114], v[10:11]
	ds_load_2addr_b64 v[111:114], v1 offset0:73 offset1:74
	ds_load_2addr_b64 v[115:118], v1 offset0:75 offset1:76
	scratch_load_b64 v[10:11], off, off offset:320
	s_waitcnt lgkmcnt(1)
	v_fma_f64 v[6:7], v[8:9], v[111:112], v[6:7]
	s_waitcnt vmcnt(4)
	s_delay_alu instid0(VALU_DEP_1) | instskip(SKIP_1) | instid1(VALU_DEP_1)
	v_fma_f64 v[6:7], v[95:96], v[113:114], v[6:7]
	s_waitcnt lgkmcnt(0)
	v_fma_f64 v[6:7], v[97:98], v[115:116], v[6:7]
	s_waitcnt vmcnt(3)
	s_delay_alu instid0(VALU_DEP_1)
	v_fma_f64 v[99:100], v[99:100], v[117:118], v[6:7]
	ds_load_2addr_b64 v[6:9], v1 offset0:77 offset1:78
	ds_load_2addr_b64 v[95:98], v1 offset0:79 offset1:80
	s_waitcnt lgkmcnt(1)
	v_fma_f64 v[6:7], v[101:102], v[6:7], v[99:100]
	s_waitcnt vmcnt(2)
	s_delay_alu instid0(VALU_DEP_1) | instskip(SKIP_1) | instid1(VALU_DEP_1)
	v_fma_f64 v[6:7], v[103:104], v[8:9], v[6:7]
	s_waitcnt lgkmcnt(0)
	v_fma_f64 v[6:7], v[105:106], v[95:96], v[6:7]
	s_waitcnt vmcnt(1)
	s_delay_alu instid0(VALU_DEP_1) | instskip(SKIP_4) | instid1(VALU_DEP_1)
	v_fma_f64 v[95:96], v[107:108], v[97:98], v[6:7]
	ds_load_2addr_b64 v[6:9], v1 offset0:81 offset1:82
	s_waitcnt lgkmcnt(0)
	v_fma_f64 v[1:2], v[109:110], v[6:7], v[95:96]
	s_waitcnt vmcnt(0)
	v_fma_f64 v[1:2], v[10:11], v[8:9], v[1:2]
	s_delay_alu instid0(VALU_DEP_1)
	v_add_f64 v[1:2], v[4:5], -v[1:2]
	scratch_store_b64 off, v[1:2], off offset:144
	v_cmpx_lt_u32_e32 17, v0
	s_cbranch_execz .LBB104_221
; %bb.220:
	scratch_load_b64 v[1:2], off, off offset:136
	v_mov_b32_e32 v4, 0
	s_delay_alu instid0(VALU_DEP_1)
	v_mov_b32_e32 v5, v4
	scratch_store_b64 off, v[4:5], off offset:136
	s_waitcnt vmcnt(0)
	ds_store_b64 v3, v[1:2]
.LBB104_221:
	s_or_b32 exec_lo, exec_lo, s0
	s_waitcnt lgkmcnt(0)
	s_waitcnt_vscnt null, 0x0
	s_barrier
	buffer_gl0_inv
	s_clause 0x4
	scratch_load_b128 v[4:7], off, off offset:136
	scratch_load_b128 v[8:11], off, off offset:152
	;; [unrolled: 1-line block ×5, first 2 shown]
	v_mov_b32_e32 v1, 0
	ds_load_b128 v[107:110], v1 offset:480
	ds_load_b128 v[111:114], v1 offset:496
	scratch_load_b128 v[115:118], off, off offset:216
	s_mov_b32 s0, exec_lo
	s_waitcnt vmcnt(5) lgkmcnt(1)
	v_fma_f64 v[6:7], v[6:7], v[107:108], 0
	s_waitcnt vmcnt(4)
	s_delay_alu instid0(VALU_DEP_1) | instskip(SKIP_1) | instid1(VALU_DEP_1)
	v_fma_f64 v[6:7], v[8:9], v[109:110], v[6:7]
	s_waitcnt lgkmcnt(0)
	v_fma_f64 v[10:11], v[10:11], v[111:112], v[6:7]
	scratch_load_b128 v[6:9], off, off offset:232
	s_waitcnt vmcnt(4)
	v_fma_f64 v[10:11], v[95:96], v[113:114], v[10:11]
	ds_load_b128 v[107:110], v1 offset:512
	ds_load_b128 v[111:114], v1 offset:528
	s_waitcnt lgkmcnt(1)
	v_fma_f64 v[10:11], v[97:98], v[107:108], v[10:11]
	scratch_load_b128 v[95:98], off, off offset:248
	s_waitcnt vmcnt(4)
	v_fma_f64 v[10:11], v[99:100], v[109:110], v[10:11]
	s_waitcnt lgkmcnt(0)
	s_delay_alu instid0(VALU_DEP_1)
	v_fma_f64 v[10:11], v[101:102], v[111:112], v[10:11]
	scratch_load_b128 v[99:102], off, off offset:264
	s_waitcnt vmcnt(4)
	v_fma_f64 v[10:11], v[103:104], v[113:114], v[10:11]
	ds_load_b128 v[107:110], v1 offset:544
	ds_load_b128 v[111:114], v1 offset:560
	s_waitcnt lgkmcnt(1)
	v_fma_f64 v[10:11], v[105:106], v[107:108], v[10:11]
	scratch_load_b128 v[103:106], off, off offset:280
	s_waitcnt vmcnt(4)
	v_fma_f64 v[10:11], v[115:116], v[109:110], v[10:11]
	scratch_load_b128 v[107:110], off, off offset:296
	s_waitcnt lgkmcnt(0)
	v_fma_f64 v[10:11], v[117:118], v[111:112], v[10:11]
	s_waitcnt vmcnt(4)
	s_delay_alu instid0(VALU_DEP_1)
	v_fma_f64 v[6:7], v[6:7], v[113:114], v[10:11]
	ds_load_b128 v[111:114], v1 offset:576
	ds_load_b128 v[115:118], v1 offset:592
	s_waitcnt lgkmcnt(1)
	v_fma_f64 v[10:11], v[8:9], v[111:112], v[6:7]
	scratch_load_b128 v[6:9], off, off offset:312
	s_waitcnt vmcnt(4)
	v_fma_f64 v[10:11], v[95:96], v[113:114], v[10:11]
	s_waitcnt lgkmcnt(0)
	s_delay_alu instid0(VALU_DEP_1)
	v_fma_f64 v[10:11], v[97:98], v[115:116], v[10:11]
	ds_load_b128 v[95:98], v1 offset:608
	ds_load_b128 v[111:114], v1 offset:624
	s_waitcnt vmcnt(3)
	v_fma_f64 v[10:11], v[99:100], v[117:118], v[10:11]
	s_waitcnt lgkmcnt(1)
	s_delay_alu instid0(VALU_DEP_1) | instskip(SKIP_1) | instid1(VALU_DEP_1)
	v_fma_f64 v[10:11], v[101:102], v[95:96], v[10:11]
	s_waitcnt vmcnt(2)
	v_fma_f64 v[10:11], v[103:104], v[97:98], v[10:11]
	ds_load_b128 v[95:98], v1 offset:640
	ds_load_b64 v[99:100], v1 offset:656
	s_waitcnt lgkmcnt(2)
	v_fma_f64 v[10:11], v[105:106], v[111:112], v[10:11]
	s_waitcnt vmcnt(1)
	s_delay_alu instid0(VALU_DEP_1) | instskip(SKIP_1) | instid1(VALU_DEP_1)
	v_fma_f64 v[10:11], v[107:108], v[113:114], v[10:11]
	s_waitcnt lgkmcnt(1)
	v_fma_f64 v[10:11], v[109:110], v[95:96], v[10:11]
	s_waitcnt vmcnt(0)
	s_delay_alu instid0(VALU_DEP_1) | instskip(SKIP_1) | instid1(VALU_DEP_1)
	v_fma_f64 v[6:7], v[6:7], v[97:98], v[10:11]
	s_waitcnt lgkmcnt(0)
	v_fma_f64 v[6:7], v[8:9], v[99:100], v[6:7]
	s_delay_alu instid0(VALU_DEP_1)
	v_add_f64 v[4:5], v[4:5], -v[6:7]
	scratch_store_b64 off, v[4:5], off offset:136
	v_cmpx_lt_u32_e32 16, v0
	s_cbranch_execz .LBB104_223
; %bb.222:
	scratch_load_b64 v[4:5], off, off offset:128
	v_mov_b32_e32 v2, v1
	scratch_store_b64 off, v[1:2], off offset:128
	s_waitcnt vmcnt(0)
	ds_store_b64 v3, v[4:5]
.LBB104_223:
	s_or_b32 exec_lo, exec_lo, s0
	s_waitcnt lgkmcnt(0)
	s_waitcnt_vscnt null, 0x0
	s_barrier
	buffer_gl0_inv
	s_clause 0x4
	scratch_load_b128 v[4:7], off, off offset:128
	scratch_load_b128 v[8:11], off, off offset:144
	;; [unrolled: 1-line block ×5, first 2 shown]
	ds_load_2addr_b64 v[107:110], v1 offset0:59 offset1:60
	ds_load_2addr_b64 v[111:114], v1 offset0:61 offset1:62
	scratch_load_b128 v[115:118], off, off offset:208
	s_mov_b32 s0, exec_lo
	s_waitcnt vmcnt(5) lgkmcnt(1)
	v_fma_f64 v[6:7], v[6:7], v[107:108], 0
	s_waitcnt vmcnt(4)
	s_delay_alu instid0(VALU_DEP_1) | instskip(SKIP_1) | instid1(VALU_DEP_1)
	v_fma_f64 v[6:7], v[8:9], v[109:110], v[6:7]
	s_waitcnt lgkmcnt(0)
	v_fma_f64 v[10:11], v[10:11], v[111:112], v[6:7]
	scratch_load_b128 v[6:9], off, off offset:224
	s_waitcnt vmcnt(4)
	v_fma_f64 v[10:11], v[95:96], v[113:114], v[10:11]
	ds_load_2addr_b64 v[107:110], v1 offset0:63 offset1:64
	ds_load_2addr_b64 v[111:114], v1 offset0:65 offset1:66
	s_waitcnt lgkmcnt(1)
	v_fma_f64 v[10:11], v[97:98], v[107:108], v[10:11]
	scratch_load_b128 v[95:98], off, off offset:240
	s_waitcnt vmcnt(4)
	v_fma_f64 v[10:11], v[99:100], v[109:110], v[10:11]
	s_waitcnt lgkmcnt(0)
	s_delay_alu instid0(VALU_DEP_1)
	v_fma_f64 v[10:11], v[101:102], v[111:112], v[10:11]
	scratch_load_b128 v[99:102], off, off offset:256
	s_waitcnt vmcnt(4)
	v_fma_f64 v[10:11], v[103:104], v[113:114], v[10:11]
	ds_load_2addr_b64 v[107:110], v1 offset0:67 offset1:68
	ds_load_2addr_b64 v[111:114], v1 offset0:69 offset1:70
	s_waitcnt lgkmcnt(1)
	v_fma_f64 v[10:11], v[105:106], v[107:108], v[10:11]
	scratch_load_b128 v[103:106], off, off offset:272
	s_waitcnt vmcnt(4)
	v_fma_f64 v[10:11], v[115:116], v[109:110], v[10:11]
	scratch_load_b128 v[107:110], off, off offset:288
	s_waitcnt lgkmcnt(0)
	v_fma_f64 v[10:11], v[117:118], v[111:112], v[10:11]
	s_waitcnt vmcnt(4)
	s_delay_alu instid0(VALU_DEP_1)
	v_fma_f64 v[6:7], v[6:7], v[113:114], v[10:11]
	ds_load_2addr_b64 v[111:114], v1 offset0:71 offset1:72
	ds_load_2addr_b64 v[115:118], v1 offset0:73 offset1:74
	s_waitcnt lgkmcnt(1)
	v_fma_f64 v[10:11], v[8:9], v[111:112], v[6:7]
	scratch_load_b128 v[6:9], off, off offset:304
	s_waitcnt vmcnt(4)
	v_fma_f64 v[10:11], v[95:96], v[113:114], v[10:11]
	s_waitcnt lgkmcnt(0)
	s_delay_alu instid0(VALU_DEP_1)
	v_fma_f64 v[10:11], v[97:98], v[115:116], v[10:11]
	scratch_load_b64 v[115:116], off, off offset:320
	ds_load_2addr_b64 v[95:98], v1 offset0:75 offset1:76
	ds_load_2addr_b64 v[111:114], v1 offset0:77 offset1:78
	s_waitcnt vmcnt(4)
	v_fma_f64 v[10:11], v[99:100], v[117:118], v[10:11]
	s_waitcnt lgkmcnt(1)
	s_delay_alu instid0(VALU_DEP_1) | instskip(SKIP_1) | instid1(VALU_DEP_1)
	v_fma_f64 v[10:11], v[101:102], v[95:96], v[10:11]
	s_waitcnt vmcnt(3)
	v_fma_f64 v[10:11], v[103:104], v[97:98], v[10:11]
	ds_load_2addr_b64 v[95:98], v1 offset0:79 offset1:80
	ds_load_2addr_b64 v[99:102], v1 offset0:81 offset1:82
	s_waitcnt lgkmcnt(2)
	v_fma_f64 v[10:11], v[105:106], v[111:112], v[10:11]
	s_waitcnt vmcnt(2)
	s_delay_alu instid0(VALU_DEP_1) | instskip(SKIP_1) | instid1(VALU_DEP_1)
	v_fma_f64 v[10:11], v[107:108], v[113:114], v[10:11]
	s_waitcnt lgkmcnt(1)
	v_fma_f64 v[1:2], v[109:110], v[95:96], v[10:11]
	s_waitcnt vmcnt(1)
	s_delay_alu instid0(VALU_DEP_1) | instskip(SKIP_1) | instid1(VALU_DEP_1)
	v_fma_f64 v[1:2], v[6:7], v[97:98], v[1:2]
	s_waitcnt lgkmcnt(0)
	v_fma_f64 v[1:2], v[8:9], v[99:100], v[1:2]
	s_waitcnt vmcnt(0)
	s_delay_alu instid0(VALU_DEP_1) | instskip(NEXT) | instid1(VALU_DEP_1)
	v_fma_f64 v[1:2], v[115:116], v[101:102], v[1:2]
	v_add_f64 v[1:2], v[4:5], -v[1:2]
	scratch_store_b64 off, v[1:2], off offset:128
	v_cmpx_lt_u32_e32 15, v0
	s_cbranch_execz .LBB104_225
; %bb.224:
	scratch_load_b64 v[1:2], off, off offset:120
	v_mov_b32_e32 v4, 0
	s_delay_alu instid0(VALU_DEP_1)
	v_mov_b32_e32 v5, v4
	scratch_store_b64 off, v[4:5], off offset:120
	s_waitcnt vmcnt(0)
	ds_store_b64 v3, v[1:2]
.LBB104_225:
	s_or_b32 exec_lo, exec_lo, s0
	s_waitcnt lgkmcnt(0)
	s_waitcnt_vscnt null, 0x0
	s_barrier
	buffer_gl0_inv
	s_clause 0x4
	scratch_load_b128 v[4:7], off, off offset:120
	scratch_load_b128 v[8:11], off, off offset:136
	;; [unrolled: 1-line block ×5, first 2 shown]
	v_mov_b32_e32 v1, 0
	ds_load_b128 v[107:110], v1 offset:464
	ds_load_b128 v[111:114], v1 offset:480
	scratch_load_b128 v[115:118], off, off offset:200
	s_mov_b32 s0, exec_lo
	s_waitcnt vmcnt(5) lgkmcnt(1)
	v_fma_f64 v[6:7], v[6:7], v[107:108], 0
	s_waitcnt vmcnt(4)
	s_delay_alu instid0(VALU_DEP_1) | instskip(SKIP_1) | instid1(VALU_DEP_1)
	v_fma_f64 v[6:7], v[8:9], v[109:110], v[6:7]
	s_waitcnt lgkmcnt(0)
	v_fma_f64 v[10:11], v[10:11], v[111:112], v[6:7]
	scratch_load_b128 v[6:9], off, off offset:216
	s_waitcnt vmcnt(4)
	v_fma_f64 v[10:11], v[95:96], v[113:114], v[10:11]
	ds_load_b128 v[107:110], v1 offset:496
	ds_load_b128 v[111:114], v1 offset:512
	s_waitcnt lgkmcnt(1)
	v_fma_f64 v[10:11], v[97:98], v[107:108], v[10:11]
	scratch_load_b128 v[95:98], off, off offset:232
	s_waitcnt vmcnt(4)
	v_fma_f64 v[10:11], v[99:100], v[109:110], v[10:11]
	s_waitcnt lgkmcnt(0)
	s_delay_alu instid0(VALU_DEP_1)
	v_fma_f64 v[10:11], v[101:102], v[111:112], v[10:11]
	scratch_load_b128 v[99:102], off, off offset:248
	s_waitcnt vmcnt(4)
	v_fma_f64 v[10:11], v[103:104], v[113:114], v[10:11]
	ds_load_b128 v[107:110], v1 offset:528
	ds_load_b128 v[111:114], v1 offset:544
	s_waitcnt lgkmcnt(1)
	v_fma_f64 v[10:11], v[105:106], v[107:108], v[10:11]
	scratch_load_b128 v[103:106], off, off offset:264
	s_waitcnt vmcnt(4)
	v_fma_f64 v[10:11], v[115:116], v[109:110], v[10:11]
	scratch_load_b128 v[107:110], off, off offset:280
	s_waitcnt lgkmcnt(0)
	v_fma_f64 v[10:11], v[117:118], v[111:112], v[10:11]
	s_waitcnt vmcnt(4)
	s_delay_alu instid0(VALU_DEP_1)
	v_fma_f64 v[6:7], v[6:7], v[113:114], v[10:11]
	ds_load_b128 v[111:114], v1 offset:560
	ds_load_b128 v[115:118], v1 offset:576
	s_waitcnt lgkmcnt(1)
	v_fma_f64 v[10:11], v[8:9], v[111:112], v[6:7]
	scratch_load_b128 v[6:9], off, off offset:296
	s_waitcnt vmcnt(4)
	v_fma_f64 v[10:11], v[95:96], v[113:114], v[10:11]
	s_waitcnt lgkmcnt(0)
	s_delay_alu instid0(VALU_DEP_1)
	v_fma_f64 v[10:11], v[97:98], v[115:116], v[10:11]
	scratch_load_b128 v[95:98], off, off offset:312
	s_waitcnt vmcnt(4)
	v_fma_f64 v[10:11], v[99:100], v[117:118], v[10:11]
	ds_load_b128 v[111:114], v1 offset:592
	ds_load_b128 v[115:118], v1 offset:608
	s_waitcnt lgkmcnt(1)
	v_fma_f64 v[10:11], v[101:102], v[111:112], v[10:11]
	s_waitcnt vmcnt(3)
	s_delay_alu instid0(VALU_DEP_1) | instskip(SKIP_1) | instid1(VALU_DEP_1)
	v_fma_f64 v[10:11], v[103:104], v[113:114], v[10:11]
	s_waitcnt lgkmcnt(0)
	v_fma_f64 v[10:11], v[105:106], v[115:116], v[10:11]
	ds_load_b128 v[99:102], v1 offset:624
	ds_load_b128 v[103:106], v1 offset:640
	s_waitcnt vmcnt(2)
	v_fma_f64 v[10:11], v[107:108], v[117:118], v[10:11]
	s_waitcnt lgkmcnt(1)
	s_delay_alu instid0(VALU_DEP_1) | instskip(SKIP_1) | instid1(VALU_DEP_1)
	v_fma_f64 v[10:11], v[109:110], v[99:100], v[10:11]
	s_waitcnt vmcnt(1)
	v_fma_f64 v[6:7], v[6:7], v[101:102], v[10:11]
	s_waitcnt lgkmcnt(0)
	s_delay_alu instid0(VALU_DEP_1) | instskip(SKIP_4) | instid1(VALU_DEP_1)
	v_fma_f64 v[6:7], v[8:9], v[103:104], v[6:7]
	ds_load_b64 v[8:9], v1 offset:656
	s_waitcnt vmcnt(0)
	v_fma_f64 v[6:7], v[95:96], v[105:106], v[6:7]
	s_waitcnt lgkmcnt(0)
	v_fma_f64 v[6:7], v[97:98], v[8:9], v[6:7]
	s_delay_alu instid0(VALU_DEP_1)
	v_add_f64 v[4:5], v[4:5], -v[6:7]
	scratch_store_b64 off, v[4:5], off offset:120
	v_cmpx_lt_u32_e32 14, v0
	s_cbranch_execz .LBB104_227
; %bb.226:
	scratch_load_b64 v[4:5], off, off offset:112
	v_mov_b32_e32 v2, v1
	scratch_store_b64 off, v[1:2], off offset:112
	s_waitcnt vmcnt(0)
	ds_store_b64 v3, v[4:5]
.LBB104_227:
	s_or_b32 exec_lo, exec_lo, s0
	s_waitcnt lgkmcnt(0)
	s_waitcnt_vscnt null, 0x0
	s_barrier
	buffer_gl0_inv
	s_clause 0x4
	scratch_load_b128 v[4:7], off, off offset:112
	scratch_load_b128 v[8:11], off, off offset:128
	;; [unrolled: 1-line block ×5, first 2 shown]
	ds_load_2addr_b64 v[107:110], v1 offset0:57 offset1:58
	ds_load_2addr_b64 v[111:114], v1 offset0:59 offset1:60
	scratch_load_b128 v[115:118], off, off offset:192
	s_mov_b32 s0, exec_lo
	s_waitcnt vmcnt(5) lgkmcnt(1)
	v_fma_f64 v[6:7], v[6:7], v[107:108], 0
	s_waitcnt vmcnt(4)
	s_delay_alu instid0(VALU_DEP_1) | instskip(SKIP_1) | instid1(VALU_DEP_1)
	v_fma_f64 v[6:7], v[8:9], v[109:110], v[6:7]
	s_waitcnt lgkmcnt(0)
	v_fma_f64 v[10:11], v[10:11], v[111:112], v[6:7]
	scratch_load_b128 v[6:9], off, off offset:208
	s_waitcnt vmcnt(4)
	v_fma_f64 v[10:11], v[95:96], v[113:114], v[10:11]
	ds_load_2addr_b64 v[107:110], v1 offset0:61 offset1:62
	ds_load_2addr_b64 v[111:114], v1 offset0:63 offset1:64
	s_waitcnt lgkmcnt(1)
	v_fma_f64 v[10:11], v[97:98], v[107:108], v[10:11]
	scratch_load_b128 v[95:98], off, off offset:224
	s_waitcnt vmcnt(4)
	v_fma_f64 v[10:11], v[99:100], v[109:110], v[10:11]
	s_waitcnt lgkmcnt(0)
	s_delay_alu instid0(VALU_DEP_1)
	v_fma_f64 v[10:11], v[101:102], v[111:112], v[10:11]
	scratch_load_b128 v[99:102], off, off offset:240
	s_waitcnt vmcnt(4)
	v_fma_f64 v[10:11], v[103:104], v[113:114], v[10:11]
	ds_load_2addr_b64 v[107:110], v1 offset0:65 offset1:66
	ds_load_2addr_b64 v[111:114], v1 offset0:67 offset1:68
	s_waitcnt lgkmcnt(1)
	v_fma_f64 v[10:11], v[105:106], v[107:108], v[10:11]
	scratch_load_b128 v[103:106], off, off offset:256
	s_waitcnt vmcnt(4)
	v_fma_f64 v[10:11], v[115:116], v[109:110], v[10:11]
	scratch_load_b128 v[107:110], off, off offset:272
	s_waitcnt lgkmcnt(0)
	v_fma_f64 v[10:11], v[117:118], v[111:112], v[10:11]
	s_waitcnt vmcnt(4)
	s_delay_alu instid0(VALU_DEP_1)
	v_fma_f64 v[6:7], v[6:7], v[113:114], v[10:11]
	ds_load_2addr_b64 v[111:114], v1 offset0:69 offset1:70
	ds_load_2addr_b64 v[115:118], v1 offset0:71 offset1:72
	s_waitcnt lgkmcnt(1)
	v_fma_f64 v[10:11], v[8:9], v[111:112], v[6:7]
	scratch_load_b128 v[6:9], off, off offset:288
	s_waitcnt vmcnt(4)
	v_fma_f64 v[10:11], v[95:96], v[113:114], v[10:11]
	s_waitcnt lgkmcnt(0)
	s_delay_alu instid0(VALU_DEP_1)
	v_fma_f64 v[10:11], v[97:98], v[115:116], v[10:11]
	scratch_load_b128 v[95:98], off, off offset:304
	s_waitcnt vmcnt(4)
	v_fma_f64 v[10:11], v[99:100], v[117:118], v[10:11]
	ds_load_2addr_b64 v[111:114], v1 offset0:73 offset1:74
	ds_load_2addr_b64 v[115:118], v1 offset0:75 offset1:76
	s_waitcnt lgkmcnt(1)
	v_fma_f64 v[10:11], v[101:102], v[111:112], v[10:11]
	scratch_load_b64 v[111:112], off, off offset:320
	s_waitcnt vmcnt(4)
	v_fma_f64 v[10:11], v[103:104], v[113:114], v[10:11]
	s_waitcnt lgkmcnt(0)
	s_delay_alu instid0(VALU_DEP_1)
	v_fma_f64 v[10:11], v[105:106], v[115:116], v[10:11]
	ds_load_2addr_b64 v[99:102], v1 offset0:77 offset1:78
	ds_load_2addr_b64 v[103:106], v1 offset0:79 offset1:80
	s_waitcnt vmcnt(3)
	v_fma_f64 v[10:11], v[107:108], v[117:118], v[10:11]
	s_waitcnt lgkmcnt(1)
	s_delay_alu instid0(VALU_DEP_1) | instskip(SKIP_1) | instid1(VALU_DEP_1)
	v_fma_f64 v[10:11], v[109:110], v[99:100], v[10:11]
	s_waitcnt vmcnt(2)
	v_fma_f64 v[6:7], v[6:7], v[101:102], v[10:11]
	s_waitcnt lgkmcnt(0)
	s_delay_alu instid0(VALU_DEP_1) | instskip(SKIP_1) | instid1(VALU_DEP_1)
	v_fma_f64 v[6:7], v[8:9], v[103:104], v[6:7]
	s_waitcnt vmcnt(1)
	v_fma_f64 v[10:11], v[95:96], v[105:106], v[6:7]
	ds_load_2addr_b64 v[6:9], v1 offset0:81 offset1:82
	s_waitcnt lgkmcnt(0)
	v_fma_f64 v[1:2], v[97:98], v[6:7], v[10:11]
	s_waitcnt vmcnt(0)
	s_delay_alu instid0(VALU_DEP_1) | instskip(NEXT) | instid1(VALU_DEP_1)
	v_fma_f64 v[1:2], v[111:112], v[8:9], v[1:2]
	v_add_f64 v[1:2], v[4:5], -v[1:2]
	scratch_store_b64 off, v[1:2], off offset:112
	v_cmpx_lt_u32_e32 13, v0
	s_cbranch_execz .LBB104_229
; %bb.228:
	scratch_load_b64 v[1:2], off, off offset:104
	v_mov_b32_e32 v4, 0
	s_delay_alu instid0(VALU_DEP_1)
	v_mov_b32_e32 v5, v4
	scratch_store_b64 off, v[4:5], off offset:104
	s_waitcnt vmcnt(0)
	ds_store_b64 v3, v[1:2]
.LBB104_229:
	s_or_b32 exec_lo, exec_lo, s0
	s_waitcnt lgkmcnt(0)
	s_waitcnt_vscnt null, 0x0
	s_barrier
	buffer_gl0_inv
	s_clause 0x4
	scratch_load_b128 v[4:7], off, off offset:104
	scratch_load_b128 v[8:11], off, off offset:120
	;; [unrolled: 1-line block ×5, first 2 shown]
	v_mov_b32_e32 v1, 0
	ds_load_b128 v[107:110], v1 offset:448
	ds_load_b128 v[111:114], v1 offset:464
	scratch_load_b128 v[115:118], off, off offset:184
	s_mov_b32 s0, exec_lo
	s_waitcnt vmcnt(5) lgkmcnt(1)
	v_fma_f64 v[6:7], v[6:7], v[107:108], 0
	s_waitcnt vmcnt(4)
	s_delay_alu instid0(VALU_DEP_1) | instskip(SKIP_1) | instid1(VALU_DEP_1)
	v_fma_f64 v[6:7], v[8:9], v[109:110], v[6:7]
	s_waitcnt lgkmcnt(0)
	v_fma_f64 v[10:11], v[10:11], v[111:112], v[6:7]
	scratch_load_b128 v[6:9], off, off offset:200
	s_waitcnt vmcnt(4)
	v_fma_f64 v[10:11], v[95:96], v[113:114], v[10:11]
	ds_load_b128 v[107:110], v1 offset:480
	ds_load_b128 v[111:114], v1 offset:496
	s_waitcnt lgkmcnt(1)
	v_fma_f64 v[10:11], v[97:98], v[107:108], v[10:11]
	scratch_load_b128 v[95:98], off, off offset:216
	s_waitcnt vmcnt(4)
	v_fma_f64 v[10:11], v[99:100], v[109:110], v[10:11]
	s_waitcnt lgkmcnt(0)
	s_delay_alu instid0(VALU_DEP_1)
	v_fma_f64 v[10:11], v[101:102], v[111:112], v[10:11]
	scratch_load_b128 v[99:102], off, off offset:232
	s_waitcnt vmcnt(4)
	v_fma_f64 v[10:11], v[103:104], v[113:114], v[10:11]
	ds_load_b128 v[107:110], v1 offset:512
	ds_load_b128 v[111:114], v1 offset:528
	s_waitcnt lgkmcnt(1)
	v_fma_f64 v[10:11], v[105:106], v[107:108], v[10:11]
	scratch_load_b128 v[103:106], off, off offset:248
	s_waitcnt vmcnt(4)
	v_fma_f64 v[10:11], v[115:116], v[109:110], v[10:11]
	scratch_load_b128 v[107:110], off, off offset:264
	s_waitcnt lgkmcnt(0)
	v_fma_f64 v[10:11], v[117:118], v[111:112], v[10:11]
	s_waitcnt vmcnt(4)
	s_delay_alu instid0(VALU_DEP_1)
	v_fma_f64 v[6:7], v[6:7], v[113:114], v[10:11]
	ds_load_b128 v[111:114], v1 offset:544
	ds_load_b128 v[115:118], v1 offset:560
	s_waitcnt lgkmcnt(1)
	v_fma_f64 v[10:11], v[8:9], v[111:112], v[6:7]
	scratch_load_b128 v[6:9], off, off offset:280
	s_waitcnt vmcnt(4)
	v_fma_f64 v[10:11], v[95:96], v[113:114], v[10:11]
	s_waitcnt lgkmcnt(0)
	s_delay_alu instid0(VALU_DEP_1)
	v_fma_f64 v[10:11], v[97:98], v[115:116], v[10:11]
	scratch_load_b128 v[95:98], off, off offset:296
	s_waitcnt vmcnt(4)
	v_fma_f64 v[10:11], v[99:100], v[117:118], v[10:11]
	ds_load_b128 v[111:114], v1 offset:576
	ds_load_b128 v[115:118], v1 offset:592
	s_waitcnt lgkmcnt(1)
	v_fma_f64 v[10:11], v[101:102], v[111:112], v[10:11]
	scratch_load_b128 v[99:102], off, off offset:312
	s_waitcnt vmcnt(4)
	v_fma_f64 v[10:11], v[103:104], v[113:114], v[10:11]
	s_waitcnt lgkmcnt(0)
	s_delay_alu instid0(VALU_DEP_1)
	v_fma_f64 v[10:11], v[105:106], v[115:116], v[10:11]
	ds_load_b128 v[103:106], v1 offset:608
	ds_load_b128 v[111:114], v1 offset:624
	s_waitcnt vmcnt(3)
	v_fma_f64 v[10:11], v[107:108], v[117:118], v[10:11]
	s_waitcnt lgkmcnt(1)
	s_delay_alu instid0(VALU_DEP_1) | instskip(SKIP_1) | instid1(VALU_DEP_1)
	v_fma_f64 v[10:11], v[109:110], v[103:104], v[10:11]
	s_waitcnt vmcnt(2)
	v_fma_f64 v[6:7], v[6:7], v[105:106], v[10:11]
	s_waitcnt lgkmcnt(0)
	s_delay_alu instid0(VALU_DEP_1) | instskip(SKIP_1) | instid1(VALU_DEP_1)
	v_fma_f64 v[6:7], v[8:9], v[111:112], v[6:7]
	s_waitcnt vmcnt(1)
	v_fma_f64 v[10:11], v[95:96], v[113:114], v[6:7]
	ds_load_b128 v[6:9], v1 offset:640
	ds_load_b64 v[95:96], v1 offset:656
	s_waitcnt lgkmcnt(1)
	v_fma_f64 v[6:7], v[97:98], v[6:7], v[10:11]
	s_waitcnt vmcnt(0)
	s_delay_alu instid0(VALU_DEP_1) | instskip(SKIP_1) | instid1(VALU_DEP_1)
	v_fma_f64 v[6:7], v[99:100], v[8:9], v[6:7]
	s_waitcnt lgkmcnt(0)
	v_fma_f64 v[6:7], v[101:102], v[95:96], v[6:7]
	s_delay_alu instid0(VALU_DEP_1)
	v_add_f64 v[4:5], v[4:5], -v[6:7]
	scratch_store_b64 off, v[4:5], off offset:104
	v_cmpx_lt_u32_e32 12, v0
	s_cbranch_execz .LBB104_231
; %bb.230:
	scratch_load_b64 v[4:5], off, off offset:96
	v_mov_b32_e32 v2, v1
	scratch_store_b64 off, v[1:2], off offset:96
	s_waitcnt vmcnt(0)
	ds_store_b64 v3, v[4:5]
.LBB104_231:
	s_or_b32 exec_lo, exec_lo, s0
	s_waitcnt lgkmcnt(0)
	s_waitcnt_vscnt null, 0x0
	s_barrier
	buffer_gl0_inv
	s_clause 0x4
	scratch_load_b128 v[4:7], off, off offset:96
	scratch_load_b128 v[8:11], off, off offset:112
	;; [unrolled: 1-line block ×5, first 2 shown]
	ds_load_2addr_b64 v[107:110], v1 offset0:55 offset1:56
	ds_load_2addr_b64 v[111:114], v1 offset0:57 offset1:58
	scratch_load_b128 v[115:118], off, off offset:176
	s_mov_b32 s0, exec_lo
	s_waitcnt vmcnt(5) lgkmcnt(1)
	v_fma_f64 v[6:7], v[6:7], v[107:108], 0
	s_waitcnt vmcnt(4)
	s_delay_alu instid0(VALU_DEP_1) | instskip(SKIP_1) | instid1(VALU_DEP_1)
	v_fma_f64 v[6:7], v[8:9], v[109:110], v[6:7]
	s_waitcnt lgkmcnt(0)
	v_fma_f64 v[10:11], v[10:11], v[111:112], v[6:7]
	scratch_load_b128 v[6:9], off, off offset:192
	s_waitcnt vmcnt(4)
	v_fma_f64 v[10:11], v[95:96], v[113:114], v[10:11]
	ds_load_2addr_b64 v[107:110], v1 offset0:59 offset1:60
	ds_load_2addr_b64 v[111:114], v1 offset0:61 offset1:62
	s_waitcnt lgkmcnt(1)
	v_fma_f64 v[10:11], v[97:98], v[107:108], v[10:11]
	scratch_load_b128 v[95:98], off, off offset:208
	s_waitcnt vmcnt(4)
	v_fma_f64 v[10:11], v[99:100], v[109:110], v[10:11]
	s_waitcnt lgkmcnt(0)
	s_delay_alu instid0(VALU_DEP_1)
	v_fma_f64 v[10:11], v[101:102], v[111:112], v[10:11]
	scratch_load_b128 v[99:102], off, off offset:224
	s_waitcnt vmcnt(4)
	v_fma_f64 v[10:11], v[103:104], v[113:114], v[10:11]
	ds_load_2addr_b64 v[107:110], v1 offset0:63 offset1:64
	ds_load_2addr_b64 v[111:114], v1 offset0:65 offset1:66
	s_waitcnt lgkmcnt(1)
	v_fma_f64 v[10:11], v[105:106], v[107:108], v[10:11]
	scratch_load_b128 v[103:106], off, off offset:240
	s_waitcnt vmcnt(4)
	v_fma_f64 v[10:11], v[115:116], v[109:110], v[10:11]
	scratch_load_b128 v[107:110], off, off offset:256
	s_waitcnt lgkmcnt(0)
	v_fma_f64 v[10:11], v[117:118], v[111:112], v[10:11]
	s_waitcnt vmcnt(4)
	s_delay_alu instid0(VALU_DEP_1)
	v_fma_f64 v[6:7], v[6:7], v[113:114], v[10:11]
	ds_load_2addr_b64 v[111:114], v1 offset0:67 offset1:68
	ds_load_2addr_b64 v[115:118], v1 offset0:69 offset1:70
	s_waitcnt lgkmcnt(1)
	v_fma_f64 v[10:11], v[8:9], v[111:112], v[6:7]
	scratch_load_b128 v[6:9], off, off offset:272
	s_waitcnt vmcnt(4)
	v_fma_f64 v[10:11], v[95:96], v[113:114], v[10:11]
	s_waitcnt lgkmcnt(0)
	s_delay_alu instid0(VALU_DEP_1)
	v_fma_f64 v[10:11], v[97:98], v[115:116], v[10:11]
	scratch_load_b128 v[95:98], off, off offset:288
	s_waitcnt vmcnt(4)
	v_fma_f64 v[10:11], v[99:100], v[117:118], v[10:11]
	ds_load_2addr_b64 v[111:114], v1 offset0:71 offset1:72
	ds_load_2addr_b64 v[115:118], v1 offset0:73 offset1:74
	s_waitcnt lgkmcnt(1)
	v_fma_f64 v[10:11], v[101:102], v[111:112], v[10:11]
	scratch_load_b128 v[99:102], off, off offset:304
	s_waitcnt vmcnt(4)
	v_fma_f64 v[10:11], v[103:104], v[113:114], v[10:11]
	s_waitcnt lgkmcnt(0)
	s_delay_alu instid0(VALU_DEP_1)
	v_fma_f64 v[10:11], v[105:106], v[115:116], v[10:11]
	scratch_load_b64 v[115:116], off, off offset:320
	ds_load_2addr_b64 v[103:106], v1 offset0:75 offset1:76
	ds_load_2addr_b64 v[111:114], v1 offset0:77 offset1:78
	s_waitcnt vmcnt(4)
	v_fma_f64 v[10:11], v[107:108], v[117:118], v[10:11]
	s_waitcnt lgkmcnt(1)
	s_delay_alu instid0(VALU_DEP_1) | instskip(SKIP_1) | instid1(VALU_DEP_1)
	v_fma_f64 v[10:11], v[109:110], v[103:104], v[10:11]
	s_waitcnt vmcnt(3)
	v_fma_f64 v[6:7], v[6:7], v[105:106], v[10:11]
	s_waitcnt lgkmcnt(0)
	s_delay_alu instid0(VALU_DEP_1) | instskip(SKIP_1) | instid1(VALU_DEP_1)
	v_fma_f64 v[6:7], v[8:9], v[111:112], v[6:7]
	s_waitcnt vmcnt(2)
	v_fma_f64 v[10:11], v[95:96], v[113:114], v[6:7]
	ds_load_2addr_b64 v[6:9], v1 offset0:79 offset1:80
	ds_load_2addr_b64 v[103:106], v1 offset0:81 offset1:82
	s_waitcnt lgkmcnt(1)
	v_fma_f64 v[1:2], v[97:98], v[6:7], v[10:11]
	s_waitcnt vmcnt(1)
	s_delay_alu instid0(VALU_DEP_1) | instskip(SKIP_1) | instid1(VALU_DEP_1)
	v_fma_f64 v[1:2], v[99:100], v[8:9], v[1:2]
	s_waitcnt lgkmcnt(0)
	v_fma_f64 v[1:2], v[101:102], v[103:104], v[1:2]
	s_waitcnt vmcnt(0)
	s_delay_alu instid0(VALU_DEP_1) | instskip(NEXT) | instid1(VALU_DEP_1)
	v_fma_f64 v[1:2], v[115:116], v[105:106], v[1:2]
	v_add_f64 v[1:2], v[4:5], -v[1:2]
	scratch_store_b64 off, v[1:2], off offset:96
	v_cmpx_lt_u32_e32 11, v0
	s_cbranch_execz .LBB104_233
; %bb.232:
	scratch_load_b64 v[1:2], off, off offset:88
	v_mov_b32_e32 v4, 0
	s_delay_alu instid0(VALU_DEP_1)
	v_mov_b32_e32 v5, v4
	scratch_store_b64 off, v[4:5], off offset:88
	s_waitcnt vmcnt(0)
	ds_store_b64 v3, v[1:2]
.LBB104_233:
	s_or_b32 exec_lo, exec_lo, s0
	s_waitcnt lgkmcnt(0)
	s_waitcnt_vscnt null, 0x0
	s_barrier
	buffer_gl0_inv
	s_clause 0x4
	scratch_load_b128 v[4:7], off, off offset:88
	scratch_load_b128 v[8:11], off, off offset:104
	;; [unrolled: 1-line block ×5, first 2 shown]
	v_mov_b32_e32 v1, 0
	ds_load_b128 v[107:110], v1 offset:432
	ds_load_b128 v[111:114], v1 offset:448
	scratch_load_b128 v[115:118], off, off offset:168
	s_mov_b32 s0, exec_lo
	s_waitcnt vmcnt(5) lgkmcnt(1)
	v_fma_f64 v[6:7], v[6:7], v[107:108], 0
	s_waitcnt vmcnt(4)
	s_delay_alu instid0(VALU_DEP_1) | instskip(SKIP_1) | instid1(VALU_DEP_1)
	v_fma_f64 v[6:7], v[8:9], v[109:110], v[6:7]
	s_waitcnt lgkmcnt(0)
	v_fma_f64 v[10:11], v[10:11], v[111:112], v[6:7]
	scratch_load_b128 v[6:9], off, off offset:184
	s_waitcnt vmcnt(4)
	v_fma_f64 v[10:11], v[95:96], v[113:114], v[10:11]
	ds_load_b128 v[107:110], v1 offset:464
	ds_load_b128 v[111:114], v1 offset:480
	s_waitcnt lgkmcnt(1)
	v_fma_f64 v[10:11], v[97:98], v[107:108], v[10:11]
	scratch_load_b128 v[95:98], off, off offset:200
	s_waitcnt vmcnt(4)
	v_fma_f64 v[10:11], v[99:100], v[109:110], v[10:11]
	s_waitcnt lgkmcnt(0)
	s_delay_alu instid0(VALU_DEP_1)
	v_fma_f64 v[10:11], v[101:102], v[111:112], v[10:11]
	scratch_load_b128 v[99:102], off, off offset:216
	s_waitcnt vmcnt(4)
	v_fma_f64 v[10:11], v[103:104], v[113:114], v[10:11]
	ds_load_b128 v[107:110], v1 offset:496
	ds_load_b128 v[111:114], v1 offset:512
	s_waitcnt lgkmcnt(1)
	v_fma_f64 v[10:11], v[105:106], v[107:108], v[10:11]
	scratch_load_b128 v[103:106], off, off offset:232
	s_waitcnt vmcnt(4)
	v_fma_f64 v[10:11], v[115:116], v[109:110], v[10:11]
	scratch_load_b128 v[107:110], off, off offset:248
	s_waitcnt lgkmcnt(0)
	v_fma_f64 v[10:11], v[117:118], v[111:112], v[10:11]
	s_waitcnt vmcnt(4)
	s_delay_alu instid0(VALU_DEP_1)
	v_fma_f64 v[6:7], v[6:7], v[113:114], v[10:11]
	ds_load_b128 v[111:114], v1 offset:528
	ds_load_b128 v[115:118], v1 offset:544
	s_waitcnt lgkmcnt(1)
	v_fma_f64 v[10:11], v[8:9], v[111:112], v[6:7]
	scratch_load_b128 v[6:9], off, off offset:264
	s_waitcnt vmcnt(4)
	v_fma_f64 v[10:11], v[95:96], v[113:114], v[10:11]
	s_waitcnt lgkmcnt(0)
	s_delay_alu instid0(VALU_DEP_1)
	v_fma_f64 v[10:11], v[97:98], v[115:116], v[10:11]
	scratch_load_b128 v[95:98], off, off offset:280
	s_waitcnt vmcnt(4)
	v_fma_f64 v[10:11], v[99:100], v[117:118], v[10:11]
	ds_load_b128 v[111:114], v1 offset:560
	ds_load_b128 v[115:118], v1 offset:576
	s_waitcnt lgkmcnt(1)
	v_fma_f64 v[10:11], v[101:102], v[111:112], v[10:11]
	scratch_load_b128 v[99:102], off, off offset:296
	s_waitcnt vmcnt(4)
	v_fma_f64 v[10:11], v[103:104], v[113:114], v[10:11]
	s_waitcnt lgkmcnt(0)
	s_delay_alu instid0(VALU_DEP_1)
	v_fma_f64 v[10:11], v[105:106], v[115:116], v[10:11]
	scratch_load_b128 v[103:106], off, off offset:312
	s_waitcnt vmcnt(4)
	v_fma_f64 v[10:11], v[107:108], v[117:118], v[10:11]
	ds_load_b128 v[111:114], v1 offset:592
	ds_load_b128 v[115:118], v1 offset:608
	s_waitcnt lgkmcnt(1)
	v_fma_f64 v[10:11], v[109:110], v[111:112], v[10:11]
	s_waitcnt vmcnt(3)
	s_delay_alu instid0(VALU_DEP_1) | instskip(SKIP_1) | instid1(VALU_DEP_1)
	v_fma_f64 v[6:7], v[6:7], v[113:114], v[10:11]
	s_waitcnt lgkmcnt(0)
	v_fma_f64 v[6:7], v[8:9], v[115:116], v[6:7]
	s_waitcnt vmcnt(2)
	s_delay_alu instid0(VALU_DEP_1)
	v_fma_f64 v[10:11], v[95:96], v[117:118], v[6:7]
	ds_load_b128 v[6:9], v1 offset:624
	ds_load_b128 v[107:110], v1 offset:640
	s_waitcnt lgkmcnt(1)
	v_fma_f64 v[6:7], v[97:98], v[6:7], v[10:11]
	s_waitcnt vmcnt(1)
	s_delay_alu instid0(VALU_DEP_1) | instskip(SKIP_4) | instid1(VALU_DEP_1)
	v_fma_f64 v[6:7], v[99:100], v[8:9], v[6:7]
	ds_load_b64 v[8:9], v1 offset:656
	s_waitcnt lgkmcnt(1)
	v_fma_f64 v[6:7], v[101:102], v[107:108], v[6:7]
	s_waitcnt vmcnt(0)
	v_fma_f64 v[6:7], v[103:104], v[109:110], v[6:7]
	s_waitcnt lgkmcnt(0)
	s_delay_alu instid0(VALU_DEP_1) | instskip(NEXT) | instid1(VALU_DEP_1)
	v_fma_f64 v[6:7], v[105:106], v[8:9], v[6:7]
	v_add_f64 v[4:5], v[4:5], -v[6:7]
	scratch_store_b64 off, v[4:5], off offset:88
	v_cmpx_lt_u32_e32 10, v0
	s_cbranch_execz .LBB104_235
; %bb.234:
	scratch_load_b64 v[4:5], off, off offset:80
	v_mov_b32_e32 v2, v1
	scratch_store_b64 off, v[1:2], off offset:80
	s_waitcnt vmcnt(0)
	ds_store_b64 v3, v[4:5]
.LBB104_235:
	s_or_b32 exec_lo, exec_lo, s0
	s_waitcnt lgkmcnt(0)
	s_waitcnt_vscnt null, 0x0
	s_barrier
	buffer_gl0_inv
	s_clause 0x4
	scratch_load_b128 v[4:7], off, off offset:80
	scratch_load_b128 v[8:11], off, off offset:96
	;; [unrolled: 1-line block ×5, first 2 shown]
	ds_load_2addr_b64 v[107:110], v1 offset0:53 offset1:54
	ds_load_2addr_b64 v[111:114], v1 offset0:55 offset1:56
	scratch_load_b128 v[115:118], off, off offset:160
	s_mov_b32 s0, exec_lo
	s_waitcnt vmcnt(5) lgkmcnt(1)
	v_fma_f64 v[6:7], v[6:7], v[107:108], 0
	s_waitcnt vmcnt(4)
	s_delay_alu instid0(VALU_DEP_1) | instskip(SKIP_1) | instid1(VALU_DEP_1)
	v_fma_f64 v[6:7], v[8:9], v[109:110], v[6:7]
	s_waitcnt lgkmcnt(0)
	v_fma_f64 v[10:11], v[10:11], v[111:112], v[6:7]
	scratch_load_b128 v[6:9], off, off offset:176
	s_waitcnt vmcnt(4)
	v_fma_f64 v[10:11], v[95:96], v[113:114], v[10:11]
	ds_load_2addr_b64 v[107:110], v1 offset0:57 offset1:58
	ds_load_2addr_b64 v[111:114], v1 offset0:59 offset1:60
	s_waitcnt lgkmcnt(1)
	v_fma_f64 v[10:11], v[97:98], v[107:108], v[10:11]
	scratch_load_b128 v[95:98], off, off offset:192
	s_waitcnt vmcnt(4)
	v_fma_f64 v[10:11], v[99:100], v[109:110], v[10:11]
	s_waitcnt lgkmcnt(0)
	s_delay_alu instid0(VALU_DEP_1)
	v_fma_f64 v[10:11], v[101:102], v[111:112], v[10:11]
	scratch_load_b128 v[99:102], off, off offset:208
	s_waitcnt vmcnt(4)
	v_fma_f64 v[10:11], v[103:104], v[113:114], v[10:11]
	ds_load_2addr_b64 v[107:110], v1 offset0:61 offset1:62
	ds_load_2addr_b64 v[111:114], v1 offset0:63 offset1:64
	s_waitcnt lgkmcnt(1)
	v_fma_f64 v[10:11], v[105:106], v[107:108], v[10:11]
	scratch_load_b128 v[103:106], off, off offset:224
	s_waitcnt vmcnt(4)
	v_fma_f64 v[10:11], v[115:116], v[109:110], v[10:11]
	scratch_load_b128 v[107:110], off, off offset:240
	s_waitcnt lgkmcnt(0)
	v_fma_f64 v[10:11], v[117:118], v[111:112], v[10:11]
	s_waitcnt vmcnt(4)
	s_delay_alu instid0(VALU_DEP_1)
	v_fma_f64 v[6:7], v[6:7], v[113:114], v[10:11]
	ds_load_2addr_b64 v[111:114], v1 offset0:65 offset1:66
	ds_load_2addr_b64 v[115:118], v1 offset0:67 offset1:68
	s_waitcnt lgkmcnt(1)
	v_fma_f64 v[10:11], v[8:9], v[111:112], v[6:7]
	scratch_load_b128 v[6:9], off, off offset:256
	s_waitcnt vmcnt(4)
	v_fma_f64 v[10:11], v[95:96], v[113:114], v[10:11]
	s_waitcnt lgkmcnt(0)
	s_delay_alu instid0(VALU_DEP_1)
	v_fma_f64 v[10:11], v[97:98], v[115:116], v[10:11]
	scratch_load_b128 v[95:98], off, off offset:272
	s_waitcnt vmcnt(4)
	v_fma_f64 v[10:11], v[99:100], v[117:118], v[10:11]
	ds_load_2addr_b64 v[111:114], v1 offset0:69 offset1:70
	ds_load_2addr_b64 v[115:118], v1 offset0:71 offset1:72
	s_waitcnt lgkmcnt(1)
	v_fma_f64 v[10:11], v[101:102], v[111:112], v[10:11]
	scratch_load_b128 v[99:102], off, off offset:288
	s_waitcnt vmcnt(4)
	v_fma_f64 v[10:11], v[103:104], v[113:114], v[10:11]
	s_waitcnt lgkmcnt(0)
	s_delay_alu instid0(VALU_DEP_1)
	v_fma_f64 v[10:11], v[105:106], v[115:116], v[10:11]
	scratch_load_b128 v[103:106], off, off offset:304
	s_waitcnt vmcnt(4)
	v_fma_f64 v[10:11], v[107:108], v[117:118], v[10:11]
	ds_load_2addr_b64 v[111:114], v1 offset0:73 offset1:74
	ds_load_2addr_b64 v[115:118], v1 offset0:75 offset1:76
	s_waitcnt lgkmcnt(1)
	v_fma_f64 v[10:11], v[109:110], v[111:112], v[10:11]
	scratch_load_b64 v[111:112], off, off offset:320
	s_waitcnt vmcnt(4)
	v_fma_f64 v[6:7], v[6:7], v[113:114], v[10:11]
	s_waitcnt lgkmcnt(0)
	s_delay_alu instid0(VALU_DEP_1) | instskip(SKIP_1) | instid1(VALU_DEP_1)
	v_fma_f64 v[6:7], v[8:9], v[115:116], v[6:7]
	s_waitcnt vmcnt(3)
	v_fma_f64 v[10:11], v[95:96], v[117:118], v[6:7]
	ds_load_2addr_b64 v[6:9], v1 offset0:77 offset1:78
	ds_load_2addr_b64 v[107:110], v1 offset0:79 offset1:80
	s_waitcnt lgkmcnt(1)
	v_fma_f64 v[6:7], v[97:98], v[6:7], v[10:11]
	s_waitcnt vmcnt(2)
	s_delay_alu instid0(VALU_DEP_1) | instskip(SKIP_1) | instid1(VALU_DEP_1)
	v_fma_f64 v[6:7], v[99:100], v[8:9], v[6:7]
	s_waitcnt lgkmcnt(0)
	v_fma_f64 v[6:7], v[101:102], v[107:108], v[6:7]
	s_waitcnt vmcnt(1)
	s_delay_alu instid0(VALU_DEP_1) | instskip(SKIP_4) | instid1(VALU_DEP_1)
	v_fma_f64 v[10:11], v[103:104], v[109:110], v[6:7]
	ds_load_2addr_b64 v[6:9], v1 offset0:81 offset1:82
	s_waitcnt lgkmcnt(0)
	v_fma_f64 v[1:2], v[105:106], v[6:7], v[10:11]
	s_waitcnt vmcnt(0)
	v_fma_f64 v[1:2], v[111:112], v[8:9], v[1:2]
	s_delay_alu instid0(VALU_DEP_1)
	v_add_f64 v[1:2], v[4:5], -v[1:2]
	scratch_store_b64 off, v[1:2], off offset:80
	v_cmpx_lt_u32_e32 9, v0
	s_cbranch_execz .LBB104_237
; %bb.236:
	scratch_load_b64 v[1:2], off, off offset:72
	v_mov_b32_e32 v4, 0
	s_delay_alu instid0(VALU_DEP_1)
	v_mov_b32_e32 v5, v4
	scratch_store_b64 off, v[4:5], off offset:72
	s_waitcnt vmcnt(0)
	ds_store_b64 v3, v[1:2]
.LBB104_237:
	s_or_b32 exec_lo, exec_lo, s0
	s_waitcnt lgkmcnt(0)
	s_waitcnt_vscnt null, 0x0
	s_barrier
	buffer_gl0_inv
	s_clause 0x4
	scratch_load_b128 v[4:7], off, off offset:72
	scratch_load_b128 v[8:11], off, off offset:88
	;; [unrolled: 1-line block ×5, first 2 shown]
	v_mov_b32_e32 v1, 0
	ds_load_b128 v[107:110], v1 offset:416
	ds_load_b128 v[111:114], v1 offset:432
	scratch_load_b128 v[115:118], off, off offset:152
	s_mov_b32 s0, exec_lo
	s_waitcnt vmcnt(5) lgkmcnt(1)
	v_fma_f64 v[6:7], v[6:7], v[107:108], 0
	s_waitcnt vmcnt(4)
	s_delay_alu instid0(VALU_DEP_1) | instskip(SKIP_1) | instid1(VALU_DEP_1)
	v_fma_f64 v[6:7], v[8:9], v[109:110], v[6:7]
	s_waitcnt lgkmcnt(0)
	v_fma_f64 v[10:11], v[10:11], v[111:112], v[6:7]
	scratch_load_b128 v[6:9], off, off offset:168
	s_waitcnt vmcnt(4)
	v_fma_f64 v[10:11], v[95:96], v[113:114], v[10:11]
	ds_load_b128 v[107:110], v1 offset:448
	ds_load_b128 v[111:114], v1 offset:464
	s_waitcnt lgkmcnt(1)
	v_fma_f64 v[10:11], v[97:98], v[107:108], v[10:11]
	scratch_load_b128 v[95:98], off, off offset:184
	s_waitcnt vmcnt(4)
	v_fma_f64 v[10:11], v[99:100], v[109:110], v[10:11]
	s_waitcnt lgkmcnt(0)
	s_delay_alu instid0(VALU_DEP_1)
	v_fma_f64 v[10:11], v[101:102], v[111:112], v[10:11]
	scratch_load_b128 v[99:102], off, off offset:200
	s_waitcnt vmcnt(4)
	v_fma_f64 v[10:11], v[103:104], v[113:114], v[10:11]
	ds_load_b128 v[107:110], v1 offset:480
	ds_load_b128 v[111:114], v1 offset:496
	s_waitcnt lgkmcnt(1)
	v_fma_f64 v[10:11], v[105:106], v[107:108], v[10:11]
	scratch_load_b128 v[103:106], off, off offset:216
	s_waitcnt vmcnt(4)
	v_fma_f64 v[10:11], v[115:116], v[109:110], v[10:11]
	scratch_load_b128 v[107:110], off, off offset:232
	s_waitcnt lgkmcnt(0)
	v_fma_f64 v[10:11], v[117:118], v[111:112], v[10:11]
	s_waitcnt vmcnt(4)
	s_delay_alu instid0(VALU_DEP_1)
	v_fma_f64 v[6:7], v[6:7], v[113:114], v[10:11]
	ds_load_b128 v[111:114], v1 offset:512
	ds_load_b128 v[115:118], v1 offset:528
	s_waitcnt lgkmcnt(1)
	v_fma_f64 v[10:11], v[8:9], v[111:112], v[6:7]
	scratch_load_b128 v[6:9], off, off offset:248
	s_waitcnt vmcnt(4)
	v_fma_f64 v[10:11], v[95:96], v[113:114], v[10:11]
	s_waitcnt lgkmcnt(0)
	s_delay_alu instid0(VALU_DEP_1)
	v_fma_f64 v[10:11], v[97:98], v[115:116], v[10:11]
	scratch_load_b128 v[95:98], off, off offset:264
	s_waitcnt vmcnt(4)
	v_fma_f64 v[10:11], v[99:100], v[117:118], v[10:11]
	ds_load_b128 v[111:114], v1 offset:544
	ds_load_b128 v[115:118], v1 offset:560
	s_waitcnt lgkmcnt(1)
	v_fma_f64 v[10:11], v[101:102], v[111:112], v[10:11]
	scratch_load_b128 v[99:102], off, off offset:280
	s_waitcnt vmcnt(4)
	v_fma_f64 v[10:11], v[103:104], v[113:114], v[10:11]
	s_waitcnt lgkmcnt(0)
	s_delay_alu instid0(VALU_DEP_1)
	v_fma_f64 v[10:11], v[105:106], v[115:116], v[10:11]
	scratch_load_b128 v[103:106], off, off offset:296
	s_waitcnt vmcnt(4)
	v_fma_f64 v[10:11], v[107:108], v[117:118], v[10:11]
	ds_load_b128 v[111:114], v1 offset:576
	ds_load_b128 v[115:118], v1 offset:592
	s_waitcnt lgkmcnt(1)
	v_fma_f64 v[10:11], v[109:110], v[111:112], v[10:11]
	scratch_load_b128 v[107:110], off, off offset:312
	s_waitcnt vmcnt(4)
	v_fma_f64 v[6:7], v[6:7], v[113:114], v[10:11]
	s_waitcnt lgkmcnt(0)
	s_delay_alu instid0(VALU_DEP_1) | instskip(SKIP_1) | instid1(VALU_DEP_1)
	v_fma_f64 v[6:7], v[8:9], v[115:116], v[6:7]
	s_waitcnt vmcnt(3)
	v_fma_f64 v[10:11], v[95:96], v[117:118], v[6:7]
	ds_load_b128 v[6:9], v1 offset:608
	ds_load_b128 v[111:114], v1 offset:624
	s_waitcnt lgkmcnt(1)
	v_fma_f64 v[6:7], v[97:98], v[6:7], v[10:11]
	s_waitcnt vmcnt(2)
	s_delay_alu instid0(VALU_DEP_1) | instskip(SKIP_1) | instid1(VALU_DEP_1)
	v_fma_f64 v[6:7], v[99:100], v[8:9], v[6:7]
	s_waitcnt lgkmcnt(0)
	v_fma_f64 v[6:7], v[101:102], v[111:112], v[6:7]
	s_waitcnt vmcnt(1)
	s_delay_alu instid0(VALU_DEP_1)
	v_fma_f64 v[10:11], v[103:104], v[113:114], v[6:7]
	ds_load_b128 v[6:9], v1 offset:640
	ds_load_b64 v[95:96], v1 offset:656
	s_waitcnt lgkmcnt(1)
	v_fma_f64 v[6:7], v[105:106], v[6:7], v[10:11]
	s_waitcnt vmcnt(0)
	s_delay_alu instid0(VALU_DEP_1) | instskip(SKIP_1) | instid1(VALU_DEP_1)
	v_fma_f64 v[6:7], v[107:108], v[8:9], v[6:7]
	s_waitcnt lgkmcnt(0)
	v_fma_f64 v[6:7], v[109:110], v[95:96], v[6:7]
	s_delay_alu instid0(VALU_DEP_1)
	v_add_f64 v[4:5], v[4:5], -v[6:7]
	scratch_store_b64 off, v[4:5], off offset:72
	v_cmpx_lt_u32_e32 8, v0
	s_cbranch_execz .LBB104_239
; %bb.238:
	scratch_load_b64 v[4:5], off, off offset:64
	v_mov_b32_e32 v2, v1
	scratch_store_b64 off, v[1:2], off offset:64
	s_waitcnt vmcnt(0)
	ds_store_b64 v3, v[4:5]
.LBB104_239:
	s_or_b32 exec_lo, exec_lo, s0
	s_waitcnt lgkmcnt(0)
	s_waitcnt_vscnt null, 0x0
	s_barrier
	buffer_gl0_inv
	s_clause 0x4
	scratch_load_b128 v[4:7], off, off offset:64
	scratch_load_b128 v[8:11], off, off offset:80
	;; [unrolled: 1-line block ×5, first 2 shown]
	ds_load_2addr_b64 v[107:110], v1 offset0:51 offset1:52
	ds_load_2addr_b64 v[111:114], v1 offset0:53 offset1:54
	scratch_load_b128 v[115:118], off, off offset:144
	s_mov_b32 s0, exec_lo
	s_waitcnt vmcnt(5) lgkmcnt(1)
	v_fma_f64 v[6:7], v[6:7], v[107:108], 0
	s_waitcnt vmcnt(4)
	s_delay_alu instid0(VALU_DEP_1) | instskip(SKIP_1) | instid1(VALU_DEP_1)
	v_fma_f64 v[6:7], v[8:9], v[109:110], v[6:7]
	s_waitcnt lgkmcnt(0)
	v_fma_f64 v[10:11], v[10:11], v[111:112], v[6:7]
	scratch_load_b128 v[6:9], off, off offset:160
	s_waitcnt vmcnt(4)
	v_fma_f64 v[10:11], v[95:96], v[113:114], v[10:11]
	ds_load_2addr_b64 v[107:110], v1 offset0:55 offset1:56
	ds_load_2addr_b64 v[111:114], v1 offset0:57 offset1:58
	s_waitcnt lgkmcnt(1)
	v_fma_f64 v[10:11], v[97:98], v[107:108], v[10:11]
	scratch_load_b128 v[95:98], off, off offset:176
	s_waitcnt vmcnt(4)
	v_fma_f64 v[10:11], v[99:100], v[109:110], v[10:11]
	s_waitcnt lgkmcnt(0)
	s_delay_alu instid0(VALU_DEP_1)
	v_fma_f64 v[10:11], v[101:102], v[111:112], v[10:11]
	scratch_load_b128 v[99:102], off, off offset:192
	s_waitcnt vmcnt(4)
	v_fma_f64 v[10:11], v[103:104], v[113:114], v[10:11]
	ds_load_2addr_b64 v[107:110], v1 offset0:59 offset1:60
	ds_load_2addr_b64 v[111:114], v1 offset0:61 offset1:62
	s_waitcnt lgkmcnt(1)
	v_fma_f64 v[10:11], v[105:106], v[107:108], v[10:11]
	scratch_load_b128 v[103:106], off, off offset:208
	s_waitcnt vmcnt(4)
	v_fma_f64 v[10:11], v[115:116], v[109:110], v[10:11]
	scratch_load_b128 v[107:110], off, off offset:224
	s_waitcnt lgkmcnt(0)
	v_fma_f64 v[10:11], v[117:118], v[111:112], v[10:11]
	s_waitcnt vmcnt(4)
	s_delay_alu instid0(VALU_DEP_1)
	v_fma_f64 v[6:7], v[6:7], v[113:114], v[10:11]
	ds_load_2addr_b64 v[111:114], v1 offset0:63 offset1:64
	ds_load_2addr_b64 v[115:118], v1 offset0:65 offset1:66
	s_waitcnt lgkmcnt(1)
	v_fma_f64 v[10:11], v[8:9], v[111:112], v[6:7]
	scratch_load_b128 v[6:9], off, off offset:240
	s_waitcnt vmcnt(4)
	v_fma_f64 v[10:11], v[95:96], v[113:114], v[10:11]
	s_waitcnt lgkmcnt(0)
	s_delay_alu instid0(VALU_DEP_1)
	v_fma_f64 v[10:11], v[97:98], v[115:116], v[10:11]
	scratch_load_b128 v[95:98], off, off offset:256
	s_waitcnt vmcnt(4)
	v_fma_f64 v[10:11], v[99:100], v[117:118], v[10:11]
	ds_load_2addr_b64 v[111:114], v1 offset0:67 offset1:68
	ds_load_2addr_b64 v[115:118], v1 offset0:69 offset1:70
	s_waitcnt lgkmcnt(1)
	v_fma_f64 v[10:11], v[101:102], v[111:112], v[10:11]
	scratch_load_b128 v[99:102], off, off offset:272
	s_waitcnt vmcnt(4)
	v_fma_f64 v[10:11], v[103:104], v[113:114], v[10:11]
	s_waitcnt lgkmcnt(0)
	s_delay_alu instid0(VALU_DEP_1)
	v_fma_f64 v[10:11], v[105:106], v[115:116], v[10:11]
	scratch_load_b128 v[103:106], off, off offset:288
	s_waitcnt vmcnt(4)
	v_fma_f64 v[10:11], v[107:108], v[117:118], v[10:11]
	ds_load_2addr_b64 v[111:114], v1 offset0:71 offset1:72
	ds_load_2addr_b64 v[115:118], v1 offset0:73 offset1:74
	s_waitcnt lgkmcnt(1)
	v_fma_f64 v[10:11], v[109:110], v[111:112], v[10:11]
	scratch_load_b128 v[107:110], off, off offset:304
	s_waitcnt vmcnt(4)
	v_fma_f64 v[6:7], v[6:7], v[113:114], v[10:11]
	scratch_load_b64 v[10:11], off, off offset:320
	s_waitcnt lgkmcnt(0)
	v_fma_f64 v[6:7], v[8:9], v[115:116], v[6:7]
	s_waitcnt vmcnt(4)
	s_delay_alu instid0(VALU_DEP_1)
	v_fma_f64 v[95:96], v[95:96], v[117:118], v[6:7]
	ds_load_2addr_b64 v[6:9], v1 offset0:75 offset1:76
	ds_load_2addr_b64 v[111:114], v1 offset0:77 offset1:78
	s_waitcnt lgkmcnt(1)
	v_fma_f64 v[6:7], v[97:98], v[6:7], v[95:96]
	s_waitcnt vmcnt(3)
	s_delay_alu instid0(VALU_DEP_1) | instskip(SKIP_1) | instid1(VALU_DEP_1)
	v_fma_f64 v[6:7], v[99:100], v[8:9], v[6:7]
	s_waitcnt lgkmcnt(0)
	v_fma_f64 v[6:7], v[101:102], v[111:112], v[6:7]
	s_waitcnt vmcnt(2)
	s_delay_alu instid0(VALU_DEP_1)
	v_fma_f64 v[99:100], v[103:104], v[113:114], v[6:7]
	ds_load_2addr_b64 v[6:9], v1 offset0:79 offset1:80
	ds_load_2addr_b64 v[95:98], v1 offset0:81 offset1:82
	s_waitcnt lgkmcnt(1)
	v_fma_f64 v[1:2], v[105:106], v[6:7], v[99:100]
	s_waitcnt vmcnt(1)
	s_delay_alu instid0(VALU_DEP_1) | instskip(SKIP_1) | instid1(VALU_DEP_1)
	v_fma_f64 v[1:2], v[107:108], v[8:9], v[1:2]
	s_waitcnt lgkmcnt(0)
	v_fma_f64 v[1:2], v[109:110], v[95:96], v[1:2]
	s_waitcnt vmcnt(0)
	s_delay_alu instid0(VALU_DEP_1) | instskip(NEXT) | instid1(VALU_DEP_1)
	v_fma_f64 v[1:2], v[10:11], v[97:98], v[1:2]
	v_add_f64 v[1:2], v[4:5], -v[1:2]
	scratch_store_b64 off, v[1:2], off offset:64
	v_cmpx_lt_u32_e32 7, v0
	s_cbranch_execz .LBB104_241
; %bb.240:
	scratch_load_b64 v[1:2], off, off offset:56
	v_mov_b32_e32 v4, 0
	s_delay_alu instid0(VALU_DEP_1)
	v_mov_b32_e32 v5, v4
	scratch_store_b64 off, v[4:5], off offset:56
	s_waitcnt vmcnt(0)
	ds_store_b64 v3, v[1:2]
.LBB104_241:
	s_or_b32 exec_lo, exec_lo, s0
	s_waitcnt lgkmcnt(0)
	s_waitcnt_vscnt null, 0x0
	s_barrier
	buffer_gl0_inv
	s_clause 0x4
	scratch_load_b128 v[4:7], off, off offset:56
	scratch_load_b128 v[8:11], off, off offset:72
	;; [unrolled: 1-line block ×5, first 2 shown]
	v_mov_b32_e32 v1, 0
	ds_load_b128 v[107:110], v1 offset:400
	ds_load_b128 v[111:114], v1 offset:416
	scratch_load_b128 v[115:118], off, off offset:136
	s_mov_b32 s0, exec_lo
	s_waitcnt vmcnt(5) lgkmcnt(1)
	v_fma_f64 v[6:7], v[6:7], v[107:108], 0
	s_waitcnt vmcnt(4)
	s_delay_alu instid0(VALU_DEP_1) | instskip(SKIP_1) | instid1(VALU_DEP_1)
	v_fma_f64 v[6:7], v[8:9], v[109:110], v[6:7]
	s_waitcnt lgkmcnt(0)
	v_fma_f64 v[10:11], v[10:11], v[111:112], v[6:7]
	scratch_load_b128 v[6:9], off, off offset:152
	s_waitcnt vmcnt(4)
	v_fma_f64 v[10:11], v[95:96], v[113:114], v[10:11]
	ds_load_b128 v[107:110], v1 offset:432
	ds_load_b128 v[111:114], v1 offset:448
	s_waitcnt lgkmcnt(1)
	v_fma_f64 v[10:11], v[97:98], v[107:108], v[10:11]
	scratch_load_b128 v[95:98], off, off offset:168
	s_waitcnt vmcnt(4)
	v_fma_f64 v[10:11], v[99:100], v[109:110], v[10:11]
	s_waitcnt lgkmcnt(0)
	s_delay_alu instid0(VALU_DEP_1)
	v_fma_f64 v[10:11], v[101:102], v[111:112], v[10:11]
	scratch_load_b128 v[99:102], off, off offset:184
	s_waitcnt vmcnt(4)
	v_fma_f64 v[10:11], v[103:104], v[113:114], v[10:11]
	ds_load_b128 v[107:110], v1 offset:464
	ds_load_b128 v[111:114], v1 offset:480
	s_waitcnt lgkmcnt(1)
	v_fma_f64 v[10:11], v[105:106], v[107:108], v[10:11]
	scratch_load_b128 v[103:106], off, off offset:200
	s_waitcnt vmcnt(4)
	v_fma_f64 v[10:11], v[115:116], v[109:110], v[10:11]
	scratch_load_b128 v[107:110], off, off offset:216
	s_waitcnt lgkmcnt(0)
	v_fma_f64 v[10:11], v[117:118], v[111:112], v[10:11]
	s_waitcnt vmcnt(4)
	s_delay_alu instid0(VALU_DEP_1)
	v_fma_f64 v[6:7], v[6:7], v[113:114], v[10:11]
	ds_load_b128 v[111:114], v1 offset:496
	ds_load_b128 v[115:118], v1 offset:512
	s_waitcnt lgkmcnt(1)
	v_fma_f64 v[10:11], v[8:9], v[111:112], v[6:7]
	scratch_load_b128 v[6:9], off, off offset:232
	s_waitcnt vmcnt(4)
	v_fma_f64 v[10:11], v[95:96], v[113:114], v[10:11]
	s_waitcnt lgkmcnt(0)
	s_delay_alu instid0(VALU_DEP_1)
	v_fma_f64 v[10:11], v[97:98], v[115:116], v[10:11]
	scratch_load_b128 v[95:98], off, off offset:248
	s_waitcnt vmcnt(4)
	v_fma_f64 v[10:11], v[99:100], v[117:118], v[10:11]
	ds_load_b128 v[111:114], v1 offset:528
	ds_load_b128 v[115:118], v1 offset:544
	s_waitcnt lgkmcnt(1)
	v_fma_f64 v[10:11], v[101:102], v[111:112], v[10:11]
	scratch_load_b128 v[99:102], off, off offset:264
	s_waitcnt vmcnt(4)
	v_fma_f64 v[10:11], v[103:104], v[113:114], v[10:11]
	s_waitcnt lgkmcnt(0)
	s_delay_alu instid0(VALU_DEP_1)
	v_fma_f64 v[10:11], v[105:106], v[115:116], v[10:11]
	scratch_load_b128 v[103:106], off, off offset:280
	s_waitcnt vmcnt(4)
	v_fma_f64 v[10:11], v[107:108], v[117:118], v[10:11]
	ds_load_b128 v[111:114], v1 offset:560
	ds_load_b128 v[115:118], v1 offset:576
	s_waitcnt lgkmcnt(1)
	v_fma_f64 v[10:11], v[109:110], v[111:112], v[10:11]
	scratch_load_b128 v[107:110], off, off offset:296
	s_waitcnt vmcnt(4)
	v_fma_f64 v[6:7], v[6:7], v[113:114], v[10:11]
	s_waitcnt lgkmcnt(0)
	s_delay_alu instid0(VALU_DEP_1)
	v_fma_f64 v[10:11], v[8:9], v[115:116], v[6:7]
	scratch_load_b128 v[6:9], off, off offset:312
	s_waitcnt vmcnt(4)
	v_fma_f64 v[10:11], v[95:96], v[117:118], v[10:11]
	ds_load_b128 v[111:114], v1 offset:592
	ds_load_b128 v[115:118], v1 offset:608
	s_waitcnt lgkmcnt(1)
	v_fma_f64 v[10:11], v[97:98], v[111:112], v[10:11]
	s_waitcnt vmcnt(3)
	s_delay_alu instid0(VALU_DEP_1) | instskip(SKIP_1) | instid1(VALU_DEP_1)
	v_fma_f64 v[10:11], v[99:100], v[113:114], v[10:11]
	s_waitcnt lgkmcnt(0)
	v_fma_f64 v[10:11], v[101:102], v[115:116], v[10:11]
	ds_load_b128 v[95:98], v1 offset:624
	ds_load_b128 v[99:102], v1 offset:640
	s_waitcnt vmcnt(2)
	v_fma_f64 v[10:11], v[103:104], v[117:118], v[10:11]
	s_waitcnt lgkmcnt(1)
	s_delay_alu instid0(VALU_DEP_1) | instskip(SKIP_1) | instid1(VALU_DEP_1)
	v_fma_f64 v[10:11], v[105:106], v[95:96], v[10:11]
	s_waitcnt vmcnt(1)
	v_fma_f64 v[10:11], v[107:108], v[97:98], v[10:11]
	s_waitcnt lgkmcnt(0)
	s_delay_alu instid0(VALU_DEP_1) | instskip(SKIP_1) | instid1(VALU_DEP_1)
	v_fma_f64 v[10:11], v[109:110], v[99:100], v[10:11]
	s_waitcnt vmcnt(0)
	v_fma_f64 v[6:7], v[6:7], v[101:102], v[10:11]
	ds_load_b64 v[10:11], v1 offset:656
	s_waitcnt lgkmcnt(0)
	v_fma_f64 v[6:7], v[8:9], v[10:11], v[6:7]
	s_delay_alu instid0(VALU_DEP_1)
	v_add_f64 v[4:5], v[4:5], -v[6:7]
	scratch_store_b64 off, v[4:5], off offset:56
	v_cmpx_lt_u32_e32 6, v0
	s_cbranch_execz .LBB104_243
; %bb.242:
	scratch_load_b64 v[4:5], off, off offset:48
	v_mov_b32_e32 v2, v1
	scratch_store_b64 off, v[1:2], off offset:48
	s_waitcnt vmcnt(0)
	ds_store_b64 v3, v[4:5]
.LBB104_243:
	s_or_b32 exec_lo, exec_lo, s0
	s_waitcnt lgkmcnt(0)
	s_waitcnt_vscnt null, 0x0
	s_barrier
	buffer_gl0_inv
	s_clause 0x4
	scratch_load_b128 v[4:7], off, off offset:48
	scratch_load_b128 v[8:11], off, off offset:64
	;; [unrolled: 1-line block ×5, first 2 shown]
	ds_load_2addr_b64 v[107:110], v1 offset0:49 offset1:50
	ds_load_2addr_b64 v[111:114], v1 offset0:51 offset1:52
	scratch_load_b128 v[115:118], off, off offset:128
	s_mov_b32 s0, exec_lo
	s_waitcnt vmcnt(5) lgkmcnt(1)
	v_fma_f64 v[6:7], v[6:7], v[107:108], 0
	s_waitcnt vmcnt(4)
	s_delay_alu instid0(VALU_DEP_1) | instskip(SKIP_1) | instid1(VALU_DEP_1)
	v_fma_f64 v[6:7], v[8:9], v[109:110], v[6:7]
	s_waitcnt lgkmcnt(0)
	v_fma_f64 v[10:11], v[10:11], v[111:112], v[6:7]
	scratch_load_b128 v[6:9], off, off offset:144
	s_waitcnt vmcnt(4)
	v_fma_f64 v[10:11], v[95:96], v[113:114], v[10:11]
	ds_load_2addr_b64 v[107:110], v1 offset0:53 offset1:54
	ds_load_2addr_b64 v[111:114], v1 offset0:55 offset1:56
	s_waitcnt lgkmcnt(1)
	v_fma_f64 v[10:11], v[97:98], v[107:108], v[10:11]
	scratch_load_b128 v[95:98], off, off offset:160
	s_waitcnt vmcnt(4)
	v_fma_f64 v[10:11], v[99:100], v[109:110], v[10:11]
	s_waitcnt lgkmcnt(0)
	s_delay_alu instid0(VALU_DEP_1)
	v_fma_f64 v[10:11], v[101:102], v[111:112], v[10:11]
	scratch_load_b128 v[99:102], off, off offset:176
	s_waitcnt vmcnt(4)
	v_fma_f64 v[10:11], v[103:104], v[113:114], v[10:11]
	ds_load_2addr_b64 v[107:110], v1 offset0:57 offset1:58
	ds_load_2addr_b64 v[111:114], v1 offset0:59 offset1:60
	s_waitcnt lgkmcnt(1)
	v_fma_f64 v[10:11], v[105:106], v[107:108], v[10:11]
	scratch_load_b128 v[103:106], off, off offset:192
	s_waitcnt vmcnt(4)
	v_fma_f64 v[10:11], v[115:116], v[109:110], v[10:11]
	scratch_load_b128 v[107:110], off, off offset:208
	s_waitcnt lgkmcnt(0)
	v_fma_f64 v[10:11], v[117:118], v[111:112], v[10:11]
	s_waitcnt vmcnt(4)
	s_delay_alu instid0(VALU_DEP_1)
	v_fma_f64 v[6:7], v[6:7], v[113:114], v[10:11]
	ds_load_2addr_b64 v[111:114], v1 offset0:61 offset1:62
	ds_load_2addr_b64 v[115:118], v1 offset0:63 offset1:64
	s_waitcnt lgkmcnt(1)
	v_fma_f64 v[10:11], v[8:9], v[111:112], v[6:7]
	scratch_load_b128 v[6:9], off, off offset:224
	s_waitcnt vmcnt(4)
	v_fma_f64 v[10:11], v[95:96], v[113:114], v[10:11]
	s_waitcnt lgkmcnt(0)
	s_delay_alu instid0(VALU_DEP_1)
	v_fma_f64 v[10:11], v[97:98], v[115:116], v[10:11]
	scratch_load_b128 v[95:98], off, off offset:240
	s_waitcnt vmcnt(4)
	v_fma_f64 v[10:11], v[99:100], v[117:118], v[10:11]
	ds_load_2addr_b64 v[111:114], v1 offset0:65 offset1:66
	ds_load_2addr_b64 v[115:118], v1 offset0:67 offset1:68
	s_waitcnt lgkmcnt(1)
	v_fma_f64 v[10:11], v[101:102], v[111:112], v[10:11]
	scratch_load_b128 v[99:102], off, off offset:256
	s_waitcnt vmcnt(4)
	v_fma_f64 v[10:11], v[103:104], v[113:114], v[10:11]
	s_waitcnt lgkmcnt(0)
	s_delay_alu instid0(VALU_DEP_1)
	v_fma_f64 v[10:11], v[105:106], v[115:116], v[10:11]
	scratch_load_b128 v[103:106], off, off offset:272
	s_waitcnt vmcnt(4)
	;; [unrolled: 13-line block ×3, first 2 shown]
	v_fma_f64 v[10:11], v[95:96], v[117:118], v[10:11]
	ds_load_2addr_b64 v[111:114], v1 offset0:73 offset1:74
	ds_load_2addr_b64 v[115:118], v1 offset0:75 offset1:76
	s_waitcnt lgkmcnt(1)
	v_fma_f64 v[10:11], v[97:98], v[111:112], v[10:11]
	scratch_load_b64 v[111:112], off, off offset:320
	s_waitcnt vmcnt(4)
	v_fma_f64 v[10:11], v[99:100], v[113:114], v[10:11]
	s_waitcnt lgkmcnt(0)
	s_delay_alu instid0(VALU_DEP_1)
	v_fma_f64 v[10:11], v[101:102], v[115:116], v[10:11]
	ds_load_2addr_b64 v[95:98], v1 offset0:77 offset1:78
	ds_load_2addr_b64 v[99:102], v1 offset0:79 offset1:80
	s_waitcnt vmcnt(3)
	v_fma_f64 v[10:11], v[103:104], v[117:118], v[10:11]
	s_waitcnt lgkmcnt(1)
	s_delay_alu instid0(VALU_DEP_1) | instskip(SKIP_1) | instid1(VALU_DEP_1)
	v_fma_f64 v[10:11], v[105:106], v[95:96], v[10:11]
	s_waitcnt vmcnt(2)
	v_fma_f64 v[10:11], v[107:108], v[97:98], v[10:11]
	ds_load_2addr_b64 v[95:98], v1 offset0:81 offset1:82
	s_waitcnt lgkmcnt(1)
	v_fma_f64 v[10:11], v[109:110], v[99:100], v[10:11]
	s_waitcnt vmcnt(1)
	s_delay_alu instid0(VALU_DEP_1) | instskip(SKIP_1) | instid1(VALU_DEP_1)
	v_fma_f64 v[6:7], v[6:7], v[101:102], v[10:11]
	s_waitcnt lgkmcnt(0)
	v_fma_f64 v[1:2], v[8:9], v[95:96], v[6:7]
	s_waitcnt vmcnt(0)
	s_delay_alu instid0(VALU_DEP_1) | instskip(NEXT) | instid1(VALU_DEP_1)
	v_fma_f64 v[1:2], v[111:112], v[97:98], v[1:2]
	v_add_f64 v[1:2], v[4:5], -v[1:2]
	scratch_store_b64 off, v[1:2], off offset:48
	v_cmpx_lt_u32_e32 5, v0
	s_cbranch_execz .LBB104_245
; %bb.244:
	scratch_load_b64 v[1:2], off, off offset:40
	v_mov_b32_e32 v4, 0
	s_delay_alu instid0(VALU_DEP_1)
	v_mov_b32_e32 v5, v4
	scratch_store_b64 off, v[4:5], off offset:40
	s_waitcnt vmcnt(0)
	ds_store_b64 v3, v[1:2]
.LBB104_245:
	s_or_b32 exec_lo, exec_lo, s0
	s_waitcnt lgkmcnt(0)
	s_waitcnt_vscnt null, 0x0
	s_barrier
	buffer_gl0_inv
	s_clause 0x4
	scratch_load_b128 v[4:7], off, off offset:40
	scratch_load_b128 v[8:11], off, off offset:56
	;; [unrolled: 1-line block ×5, first 2 shown]
	v_mov_b32_e32 v1, 0
	ds_load_b128 v[107:110], v1 offset:384
	ds_load_b128 v[111:114], v1 offset:400
	scratch_load_b128 v[115:118], off, off offset:120
	s_mov_b32 s0, exec_lo
	s_waitcnt vmcnt(5) lgkmcnt(1)
	v_fma_f64 v[6:7], v[6:7], v[107:108], 0
	s_waitcnt vmcnt(4)
	s_delay_alu instid0(VALU_DEP_1) | instskip(SKIP_1) | instid1(VALU_DEP_1)
	v_fma_f64 v[6:7], v[8:9], v[109:110], v[6:7]
	s_waitcnt lgkmcnt(0)
	v_fma_f64 v[10:11], v[10:11], v[111:112], v[6:7]
	scratch_load_b128 v[6:9], off, off offset:136
	s_waitcnt vmcnt(4)
	v_fma_f64 v[10:11], v[95:96], v[113:114], v[10:11]
	ds_load_b128 v[107:110], v1 offset:416
	ds_load_b128 v[111:114], v1 offset:432
	s_waitcnt lgkmcnt(1)
	v_fma_f64 v[10:11], v[97:98], v[107:108], v[10:11]
	scratch_load_b128 v[95:98], off, off offset:152
	s_waitcnt vmcnt(4)
	v_fma_f64 v[10:11], v[99:100], v[109:110], v[10:11]
	s_waitcnt lgkmcnt(0)
	s_delay_alu instid0(VALU_DEP_1)
	v_fma_f64 v[10:11], v[101:102], v[111:112], v[10:11]
	scratch_load_b128 v[99:102], off, off offset:168
	s_waitcnt vmcnt(4)
	v_fma_f64 v[10:11], v[103:104], v[113:114], v[10:11]
	ds_load_b128 v[107:110], v1 offset:448
	ds_load_b128 v[111:114], v1 offset:464
	s_waitcnt lgkmcnt(1)
	v_fma_f64 v[10:11], v[105:106], v[107:108], v[10:11]
	scratch_load_b128 v[103:106], off, off offset:184
	s_waitcnt vmcnt(4)
	v_fma_f64 v[10:11], v[115:116], v[109:110], v[10:11]
	scratch_load_b128 v[107:110], off, off offset:200
	s_waitcnt lgkmcnt(0)
	v_fma_f64 v[10:11], v[117:118], v[111:112], v[10:11]
	s_waitcnt vmcnt(4)
	s_delay_alu instid0(VALU_DEP_1)
	v_fma_f64 v[6:7], v[6:7], v[113:114], v[10:11]
	ds_load_b128 v[111:114], v1 offset:480
	ds_load_b128 v[115:118], v1 offset:496
	s_waitcnt lgkmcnt(1)
	v_fma_f64 v[10:11], v[8:9], v[111:112], v[6:7]
	scratch_load_b128 v[6:9], off, off offset:216
	s_waitcnt vmcnt(4)
	v_fma_f64 v[10:11], v[95:96], v[113:114], v[10:11]
	s_waitcnt lgkmcnt(0)
	s_delay_alu instid0(VALU_DEP_1)
	v_fma_f64 v[10:11], v[97:98], v[115:116], v[10:11]
	scratch_load_b128 v[95:98], off, off offset:232
	s_waitcnt vmcnt(4)
	v_fma_f64 v[10:11], v[99:100], v[117:118], v[10:11]
	ds_load_b128 v[111:114], v1 offset:512
	ds_load_b128 v[115:118], v1 offset:528
	s_waitcnt lgkmcnt(1)
	v_fma_f64 v[10:11], v[101:102], v[111:112], v[10:11]
	scratch_load_b128 v[99:102], off, off offset:248
	s_waitcnt vmcnt(4)
	v_fma_f64 v[10:11], v[103:104], v[113:114], v[10:11]
	s_waitcnt lgkmcnt(0)
	s_delay_alu instid0(VALU_DEP_1)
	v_fma_f64 v[10:11], v[105:106], v[115:116], v[10:11]
	scratch_load_b128 v[103:106], off, off offset:264
	s_waitcnt vmcnt(4)
	;; [unrolled: 13-line block ×3, first 2 shown]
	v_fma_f64 v[10:11], v[95:96], v[117:118], v[10:11]
	ds_load_b128 v[111:114], v1 offset:576
	ds_load_b128 v[115:118], v1 offset:592
	s_waitcnt lgkmcnt(1)
	v_fma_f64 v[10:11], v[97:98], v[111:112], v[10:11]
	scratch_load_b128 v[95:98], off, off offset:312
	s_waitcnt vmcnt(4)
	v_fma_f64 v[10:11], v[99:100], v[113:114], v[10:11]
	s_waitcnt lgkmcnt(0)
	s_delay_alu instid0(VALU_DEP_1)
	v_fma_f64 v[10:11], v[101:102], v[115:116], v[10:11]
	ds_load_b128 v[99:102], v1 offset:608
	ds_load_b128 v[111:114], v1 offset:624
	s_waitcnt vmcnt(3)
	v_fma_f64 v[10:11], v[103:104], v[117:118], v[10:11]
	s_waitcnt lgkmcnt(1)
	s_delay_alu instid0(VALU_DEP_1) | instskip(SKIP_1) | instid1(VALU_DEP_1)
	v_fma_f64 v[10:11], v[105:106], v[99:100], v[10:11]
	s_waitcnt vmcnt(2)
	v_fma_f64 v[10:11], v[107:108], v[101:102], v[10:11]
	s_waitcnt lgkmcnt(0)
	s_delay_alu instid0(VALU_DEP_1) | instskip(SKIP_1) | instid1(VALU_DEP_1)
	v_fma_f64 v[10:11], v[109:110], v[111:112], v[10:11]
	s_waitcnt vmcnt(1)
	v_fma_f64 v[6:7], v[6:7], v[113:114], v[10:11]
	ds_load_b128 v[99:102], v1 offset:640
	ds_load_b64 v[10:11], v1 offset:656
	s_waitcnt lgkmcnt(1)
	v_fma_f64 v[6:7], v[8:9], v[99:100], v[6:7]
	s_waitcnt vmcnt(0)
	s_delay_alu instid0(VALU_DEP_1) | instskip(SKIP_1) | instid1(VALU_DEP_1)
	v_fma_f64 v[6:7], v[95:96], v[101:102], v[6:7]
	s_waitcnt lgkmcnt(0)
	v_fma_f64 v[6:7], v[97:98], v[10:11], v[6:7]
	s_delay_alu instid0(VALU_DEP_1)
	v_add_f64 v[4:5], v[4:5], -v[6:7]
	scratch_store_b64 off, v[4:5], off offset:40
	v_cmpx_lt_u32_e32 4, v0
	s_cbranch_execz .LBB104_247
; %bb.246:
	scratch_load_b64 v[4:5], off, off offset:32
	v_mov_b32_e32 v2, v1
	scratch_store_b64 off, v[1:2], off offset:32
	s_waitcnt vmcnt(0)
	ds_store_b64 v3, v[4:5]
.LBB104_247:
	s_or_b32 exec_lo, exec_lo, s0
	s_waitcnt lgkmcnt(0)
	s_waitcnt_vscnt null, 0x0
	s_barrier
	buffer_gl0_inv
	s_clause 0x4
	scratch_load_b128 v[4:7], off, off offset:32
	scratch_load_b128 v[8:11], off, off offset:48
	scratch_load_b128 v[95:98], off, off offset:64
	scratch_load_b128 v[99:102], off, off offset:80
	scratch_load_b128 v[103:106], off, off offset:96
	ds_load_2addr_b64 v[107:110], v1 offset0:47 offset1:48
	ds_load_2addr_b64 v[111:114], v1 offset0:49 offset1:50
	scratch_load_b128 v[115:118], off, off offset:112
	s_mov_b32 s0, exec_lo
	s_waitcnt vmcnt(5) lgkmcnt(1)
	v_fma_f64 v[6:7], v[6:7], v[107:108], 0
	s_waitcnt vmcnt(4)
	s_delay_alu instid0(VALU_DEP_1) | instskip(SKIP_1) | instid1(VALU_DEP_1)
	v_fma_f64 v[6:7], v[8:9], v[109:110], v[6:7]
	s_waitcnt lgkmcnt(0)
	v_fma_f64 v[10:11], v[10:11], v[111:112], v[6:7]
	scratch_load_b128 v[6:9], off, off offset:128
	s_waitcnt vmcnt(4)
	v_fma_f64 v[10:11], v[95:96], v[113:114], v[10:11]
	ds_load_2addr_b64 v[107:110], v1 offset0:51 offset1:52
	ds_load_2addr_b64 v[111:114], v1 offset0:53 offset1:54
	s_waitcnt lgkmcnt(1)
	v_fma_f64 v[10:11], v[97:98], v[107:108], v[10:11]
	scratch_load_b128 v[95:98], off, off offset:144
	s_waitcnt vmcnt(4)
	v_fma_f64 v[10:11], v[99:100], v[109:110], v[10:11]
	s_waitcnt lgkmcnt(0)
	s_delay_alu instid0(VALU_DEP_1)
	v_fma_f64 v[10:11], v[101:102], v[111:112], v[10:11]
	scratch_load_b128 v[99:102], off, off offset:160
	s_waitcnt vmcnt(4)
	v_fma_f64 v[10:11], v[103:104], v[113:114], v[10:11]
	ds_load_2addr_b64 v[107:110], v1 offset0:55 offset1:56
	ds_load_2addr_b64 v[111:114], v1 offset0:57 offset1:58
	s_waitcnt lgkmcnt(1)
	v_fma_f64 v[10:11], v[105:106], v[107:108], v[10:11]
	scratch_load_b128 v[103:106], off, off offset:176
	s_waitcnt vmcnt(4)
	v_fma_f64 v[10:11], v[115:116], v[109:110], v[10:11]
	scratch_load_b128 v[107:110], off, off offset:192
	s_waitcnt lgkmcnt(0)
	v_fma_f64 v[10:11], v[117:118], v[111:112], v[10:11]
	s_waitcnt vmcnt(4)
	s_delay_alu instid0(VALU_DEP_1)
	v_fma_f64 v[6:7], v[6:7], v[113:114], v[10:11]
	ds_load_2addr_b64 v[111:114], v1 offset0:59 offset1:60
	ds_load_2addr_b64 v[115:118], v1 offset0:61 offset1:62
	s_waitcnt lgkmcnt(1)
	v_fma_f64 v[10:11], v[8:9], v[111:112], v[6:7]
	scratch_load_b128 v[6:9], off, off offset:208
	s_waitcnt vmcnt(4)
	v_fma_f64 v[10:11], v[95:96], v[113:114], v[10:11]
	s_waitcnt lgkmcnt(0)
	s_delay_alu instid0(VALU_DEP_1)
	v_fma_f64 v[10:11], v[97:98], v[115:116], v[10:11]
	scratch_load_b128 v[95:98], off, off offset:224
	s_waitcnt vmcnt(4)
	v_fma_f64 v[10:11], v[99:100], v[117:118], v[10:11]
	ds_load_2addr_b64 v[111:114], v1 offset0:63 offset1:64
	ds_load_2addr_b64 v[115:118], v1 offset0:65 offset1:66
	s_waitcnt lgkmcnt(1)
	v_fma_f64 v[10:11], v[101:102], v[111:112], v[10:11]
	scratch_load_b128 v[99:102], off, off offset:240
	s_waitcnt vmcnt(4)
	v_fma_f64 v[10:11], v[103:104], v[113:114], v[10:11]
	s_waitcnt lgkmcnt(0)
	s_delay_alu instid0(VALU_DEP_1)
	v_fma_f64 v[10:11], v[105:106], v[115:116], v[10:11]
	scratch_load_b128 v[103:106], off, off offset:256
	s_waitcnt vmcnt(4)
	;; [unrolled: 13-line block ×3, first 2 shown]
	v_fma_f64 v[10:11], v[95:96], v[117:118], v[10:11]
	ds_load_2addr_b64 v[111:114], v1 offset0:71 offset1:72
	ds_load_2addr_b64 v[115:118], v1 offset0:73 offset1:74
	s_waitcnt lgkmcnt(1)
	v_fma_f64 v[10:11], v[97:98], v[111:112], v[10:11]
	scratch_load_b128 v[95:98], off, off offset:304
	s_waitcnt vmcnt(4)
	v_fma_f64 v[10:11], v[99:100], v[113:114], v[10:11]
	s_waitcnt lgkmcnt(0)
	s_delay_alu instid0(VALU_DEP_1)
	v_fma_f64 v[10:11], v[101:102], v[115:116], v[10:11]
	scratch_load_b64 v[115:116], off, off offset:320
	ds_load_2addr_b64 v[99:102], v1 offset0:75 offset1:76
	ds_load_2addr_b64 v[111:114], v1 offset0:77 offset1:78
	s_waitcnt vmcnt(4)
	v_fma_f64 v[10:11], v[103:104], v[117:118], v[10:11]
	s_waitcnt lgkmcnt(1)
	s_delay_alu instid0(VALU_DEP_1) | instskip(SKIP_1) | instid1(VALU_DEP_1)
	v_fma_f64 v[10:11], v[105:106], v[99:100], v[10:11]
	s_waitcnt vmcnt(3)
	v_fma_f64 v[10:11], v[107:108], v[101:102], v[10:11]
	ds_load_2addr_b64 v[99:102], v1 offset0:79 offset1:80
	ds_load_2addr_b64 v[103:106], v1 offset0:81 offset1:82
	s_waitcnt lgkmcnt(2)
	v_fma_f64 v[10:11], v[109:110], v[111:112], v[10:11]
	s_waitcnt vmcnt(2)
	s_delay_alu instid0(VALU_DEP_1) | instskip(SKIP_1) | instid1(VALU_DEP_1)
	v_fma_f64 v[6:7], v[6:7], v[113:114], v[10:11]
	s_waitcnt lgkmcnt(1)
	v_fma_f64 v[1:2], v[8:9], v[99:100], v[6:7]
	s_waitcnt vmcnt(1)
	s_delay_alu instid0(VALU_DEP_1) | instskip(SKIP_1) | instid1(VALU_DEP_1)
	v_fma_f64 v[1:2], v[95:96], v[101:102], v[1:2]
	s_waitcnt lgkmcnt(0)
	v_fma_f64 v[1:2], v[97:98], v[103:104], v[1:2]
	s_waitcnt vmcnt(0)
	s_delay_alu instid0(VALU_DEP_1) | instskip(NEXT) | instid1(VALU_DEP_1)
	v_fma_f64 v[1:2], v[115:116], v[105:106], v[1:2]
	v_add_f64 v[1:2], v[4:5], -v[1:2]
	scratch_store_b64 off, v[1:2], off offset:32
	v_cmpx_lt_u32_e32 3, v0
	s_cbranch_execz .LBB104_249
; %bb.248:
	scratch_load_b64 v[1:2], off, off offset:24
	v_mov_b32_e32 v4, 0
	s_delay_alu instid0(VALU_DEP_1)
	v_mov_b32_e32 v5, v4
	scratch_store_b64 off, v[4:5], off offset:24
	s_waitcnt vmcnt(0)
	ds_store_b64 v3, v[1:2]
.LBB104_249:
	s_or_b32 exec_lo, exec_lo, s0
	s_waitcnt lgkmcnt(0)
	s_waitcnt_vscnt null, 0x0
	s_barrier
	buffer_gl0_inv
	s_clause 0x4
	scratch_load_b128 v[4:7], off, off offset:24
	scratch_load_b128 v[8:11], off, off offset:40
	;; [unrolled: 1-line block ×5, first 2 shown]
	v_mov_b32_e32 v1, 0
	ds_load_b128 v[107:110], v1 offset:368
	ds_load_b128 v[111:114], v1 offset:384
	scratch_load_b128 v[115:118], off, off offset:104
	s_mov_b32 s0, exec_lo
	s_waitcnt vmcnt(5) lgkmcnt(1)
	v_fma_f64 v[6:7], v[6:7], v[107:108], 0
	s_waitcnt vmcnt(4)
	s_delay_alu instid0(VALU_DEP_1) | instskip(SKIP_1) | instid1(VALU_DEP_1)
	v_fma_f64 v[6:7], v[8:9], v[109:110], v[6:7]
	s_waitcnt lgkmcnt(0)
	v_fma_f64 v[10:11], v[10:11], v[111:112], v[6:7]
	scratch_load_b128 v[6:9], off, off offset:120
	s_waitcnt vmcnt(4)
	v_fma_f64 v[10:11], v[95:96], v[113:114], v[10:11]
	ds_load_b128 v[107:110], v1 offset:400
	ds_load_b128 v[111:114], v1 offset:416
	s_waitcnt lgkmcnt(1)
	v_fma_f64 v[10:11], v[97:98], v[107:108], v[10:11]
	scratch_load_b128 v[95:98], off, off offset:136
	s_waitcnt vmcnt(4)
	v_fma_f64 v[10:11], v[99:100], v[109:110], v[10:11]
	s_waitcnt lgkmcnt(0)
	s_delay_alu instid0(VALU_DEP_1)
	v_fma_f64 v[10:11], v[101:102], v[111:112], v[10:11]
	scratch_load_b128 v[99:102], off, off offset:152
	s_waitcnt vmcnt(4)
	v_fma_f64 v[10:11], v[103:104], v[113:114], v[10:11]
	ds_load_b128 v[107:110], v1 offset:432
	ds_load_b128 v[111:114], v1 offset:448
	s_waitcnt lgkmcnt(1)
	v_fma_f64 v[10:11], v[105:106], v[107:108], v[10:11]
	scratch_load_b128 v[103:106], off, off offset:168
	s_waitcnt vmcnt(4)
	v_fma_f64 v[10:11], v[115:116], v[109:110], v[10:11]
	scratch_load_b128 v[107:110], off, off offset:184
	s_waitcnt lgkmcnt(0)
	v_fma_f64 v[10:11], v[117:118], v[111:112], v[10:11]
	s_waitcnt vmcnt(4)
	s_delay_alu instid0(VALU_DEP_1)
	v_fma_f64 v[6:7], v[6:7], v[113:114], v[10:11]
	ds_load_b128 v[111:114], v1 offset:464
	ds_load_b128 v[115:118], v1 offset:480
	s_waitcnt lgkmcnt(1)
	v_fma_f64 v[10:11], v[8:9], v[111:112], v[6:7]
	scratch_load_b128 v[6:9], off, off offset:200
	s_waitcnt vmcnt(4)
	v_fma_f64 v[10:11], v[95:96], v[113:114], v[10:11]
	s_waitcnt lgkmcnt(0)
	s_delay_alu instid0(VALU_DEP_1)
	v_fma_f64 v[10:11], v[97:98], v[115:116], v[10:11]
	scratch_load_b128 v[95:98], off, off offset:216
	s_waitcnt vmcnt(4)
	v_fma_f64 v[10:11], v[99:100], v[117:118], v[10:11]
	ds_load_b128 v[111:114], v1 offset:496
	ds_load_b128 v[115:118], v1 offset:512
	s_waitcnt lgkmcnt(1)
	v_fma_f64 v[10:11], v[101:102], v[111:112], v[10:11]
	scratch_load_b128 v[99:102], off, off offset:232
	s_waitcnt vmcnt(4)
	v_fma_f64 v[10:11], v[103:104], v[113:114], v[10:11]
	s_waitcnt lgkmcnt(0)
	s_delay_alu instid0(VALU_DEP_1)
	v_fma_f64 v[10:11], v[105:106], v[115:116], v[10:11]
	scratch_load_b128 v[103:106], off, off offset:248
	s_waitcnt vmcnt(4)
	;; [unrolled: 13-line block ×4, first 2 shown]
	v_fma_f64 v[10:11], v[103:104], v[117:118], v[10:11]
	ds_load_b128 v[111:114], v1 offset:592
	ds_load_b128 v[115:118], v1 offset:608
	s_waitcnt lgkmcnt(1)
	v_fma_f64 v[10:11], v[105:106], v[111:112], v[10:11]
	s_waitcnt vmcnt(3)
	s_delay_alu instid0(VALU_DEP_1) | instskip(SKIP_1) | instid1(VALU_DEP_1)
	v_fma_f64 v[10:11], v[107:108], v[113:114], v[10:11]
	s_waitcnt lgkmcnt(0)
	v_fma_f64 v[10:11], v[109:110], v[115:116], v[10:11]
	ds_load_b128 v[103:106], v1 offset:624
	ds_load_b128 v[107:110], v1 offset:640
	s_waitcnt vmcnt(2)
	v_fma_f64 v[6:7], v[6:7], v[117:118], v[10:11]
	s_waitcnt lgkmcnt(1)
	s_delay_alu instid0(VALU_DEP_1) | instskip(SKIP_4) | instid1(VALU_DEP_1)
	v_fma_f64 v[6:7], v[8:9], v[103:104], v[6:7]
	ds_load_b64 v[8:9], v1 offset:656
	s_waitcnt vmcnt(1)
	v_fma_f64 v[6:7], v[95:96], v[105:106], v[6:7]
	s_waitcnt lgkmcnt(1)
	v_fma_f64 v[6:7], v[97:98], v[107:108], v[6:7]
	s_waitcnt vmcnt(0)
	s_delay_alu instid0(VALU_DEP_1) | instskip(SKIP_1) | instid1(VALU_DEP_1)
	v_fma_f64 v[6:7], v[99:100], v[109:110], v[6:7]
	s_waitcnt lgkmcnt(0)
	v_fma_f64 v[6:7], v[101:102], v[8:9], v[6:7]
	s_delay_alu instid0(VALU_DEP_1)
	v_add_f64 v[4:5], v[4:5], -v[6:7]
	scratch_store_b64 off, v[4:5], off offset:24
	v_cmpx_lt_u32_e32 2, v0
	s_cbranch_execz .LBB104_251
; %bb.250:
	scratch_load_b64 v[4:5], off, off offset:16
	v_mov_b32_e32 v2, v1
	scratch_store_b64 off, v[1:2], off offset:16
	s_waitcnt vmcnt(0)
	ds_store_b64 v3, v[4:5]
.LBB104_251:
	s_or_b32 exec_lo, exec_lo, s0
	s_waitcnt lgkmcnt(0)
	s_waitcnt_vscnt null, 0x0
	s_barrier
	buffer_gl0_inv
	s_clause 0x4
	scratch_load_b128 v[4:7], off, off offset:16
	scratch_load_b128 v[8:11], off, off offset:32
	;; [unrolled: 1-line block ×5, first 2 shown]
	ds_load_2addr_b64 v[107:110], v1 offset0:45 offset1:46
	ds_load_2addr_b64 v[111:114], v1 offset0:47 offset1:48
	scratch_load_b128 v[115:118], off, off offset:96
	s_mov_b32 s0, exec_lo
	s_waitcnt vmcnt(5) lgkmcnt(1)
	v_fma_f64 v[6:7], v[6:7], v[107:108], 0
	s_waitcnt vmcnt(4)
	s_delay_alu instid0(VALU_DEP_1) | instskip(SKIP_1) | instid1(VALU_DEP_1)
	v_fma_f64 v[6:7], v[8:9], v[109:110], v[6:7]
	s_waitcnt lgkmcnt(0)
	v_fma_f64 v[10:11], v[10:11], v[111:112], v[6:7]
	scratch_load_b128 v[6:9], off, off offset:112
	s_waitcnt vmcnt(4)
	v_fma_f64 v[10:11], v[95:96], v[113:114], v[10:11]
	ds_load_2addr_b64 v[107:110], v1 offset0:49 offset1:50
	ds_load_2addr_b64 v[111:114], v1 offset0:51 offset1:52
	s_waitcnt lgkmcnt(1)
	v_fma_f64 v[10:11], v[97:98], v[107:108], v[10:11]
	scratch_load_b128 v[95:98], off, off offset:128
	s_waitcnt vmcnt(4)
	v_fma_f64 v[10:11], v[99:100], v[109:110], v[10:11]
	s_waitcnt lgkmcnt(0)
	s_delay_alu instid0(VALU_DEP_1)
	v_fma_f64 v[10:11], v[101:102], v[111:112], v[10:11]
	scratch_load_b128 v[99:102], off, off offset:144
	s_waitcnt vmcnt(4)
	v_fma_f64 v[10:11], v[103:104], v[113:114], v[10:11]
	ds_load_2addr_b64 v[107:110], v1 offset0:53 offset1:54
	ds_load_2addr_b64 v[111:114], v1 offset0:55 offset1:56
	s_waitcnt lgkmcnt(1)
	v_fma_f64 v[10:11], v[105:106], v[107:108], v[10:11]
	scratch_load_b128 v[103:106], off, off offset:160
	s_waitcnt vmcnt(4)
	v_fma_f64 v[10:11], v[115:116], v[109:110], v[10:11]
	scratch_load_b128 v[107:110], off, off offset:176
	s_waitcnt lgkmcnt(0)
	v_fma_f64 v[10:11], v[117:118], v[111:112], v[10:11]
	s_waitcnt vmcnt(4)
	s_delay_alu instid0(VALU_DEP_1)
	v_fma_f64 v[6:7], v[6:7], v[113:114], v[10:11]
	ds_load_2addr_b64 v[111:114], v1 offset0:57 offset1:58
	ds_load_2addr_b64 v[115:118], v1 offset0:59 offset1:60
	s_waitcnt lgkmcnt(1)
	v_fma_f64 v[10:11], v[8:9], v[111:112], v[6:7]
	scratch_load_b128 v[6:9], off, off offset:192
	s_waitcnt vmcnt(4)
	v_fma_f64 v[10:11], v[95:96], v[113:114], v[10:11]
	s_waitcnt lgkmcnt(0)
	s_delay_alu instid0(VALU_DEP_1)
	v_fma_f64 v[10:11], v[97:98], v[115:116], v[10:11]
	scratch_load_b128 v[95:98], off, off offset:208
	s_waitcnt vmcnt(4)
	v_fma_f64 v[10:11], v[99:100], v[117:118], v[10:11]
	ds_load_2addr_b64 v[111:114], v1 offset0:61 offset1:62
	ds_load_2addr_b64 v[115:118], v1 offset0:63 offset1:64
	s_waitcnt lgkmcnt(1)
	v_fma_f64 v[10:11], v[101:102], v[111:112], v[10:11]
	scratch_load_b128 v[99:102], off, off offset:224
	s_waitcnt vmcnt(4)
	v_fma_f64 v[10:11], v[103:104], v[113:114], v[10:11]
	s_waitcnt lgkmcnt(0)
	s_delay_alu instid0(VALU_DEP_1)
	v_fma_f64 v[10:11], v[105:106], v[115:116], v[10:11]
	scratch_load_b128 v[103:106], off, off offset:240
	s_waitcnt vmcnt(4)
	;; [unrolled: 13-line block ×4, first 2 shown]
	v_fma_f64 v[10:11], v[103:104], v[117:118], v[10:11]
	ds_load_2addr_b64 v[111:114], v1 offset0:73 offset1:74
	ds_load_2addr_b64 v[115:118], v1 offset0:75 offset1:76
	s_waitcnt lgkmcnt(1)
	v_fma_f64 v[10:11], v[105:106], v[111:112], v[10:11]
	scratch_load_b64 v[111:112], off, off offset:320
	s_waitcnt vmcnt(4)
	v_fma_f64 v[10:11], v[107:108], v[113:114], v[10:11]
	s_waitcnt lgkmcnt(0)
	s_delay_alu instid0(VALU_DEP_1)
	v_fma_f64 v[10:11], v[109:110], v[115:116], v[10:11]
	ds_load_2addr_b64 v[103:106], v1 offset0:77 offset1:78
	ds_load_2addr_b64 v[107:110], v1 offset0:79 offset1:80
	s_waitcnt vmcnt(3)
	v_fma_f64 v[6:7], v[6:7], v[117:118], v[10:11]
	s_waitcnt lgkmcnt(1)
	s_delay_alu instid0(VALU_DEP_1) | instskip(SKIP_1) | instid1(VALU_DEP_1)
	v_fma_f64 v[6:7], v[8:9], v[103:104], v[6:7]
	s_waitcnt vmcnt(2)
	v_fma_f64 v[6:7], v[95:96], v[105:106], v[6:7]
	s_waitcnt lgkmcnt(0)
	s_delay_alu instid0(VALU_DEP_1) | instskip(SKIP_1) | instid1(VALU_DEP_1)
	v_fma_f64 v[6:7], v[97:98], v[107:108], v[6:7]
	s_waitcnt vmcnt(1)
	v_fma_f64 v[10:11], v[99:100], v[109:110], v[6:7]
	ds_load_2addr_b64 v[6:9], v1 offset0:81 offset1:82
	s_waitcnt lgkmcnt(0)
	v_fma_f64 v[1:2], v[101:102], v[6:7], v[10:11]
	s_waitcnt vmcnt(0)
	s_delay_alu instid0(VALU_DEP_1) | instskip(NEXT) | instid1(VALU_DEP_1)
	v_fma_f64 v[1:2], v[111:112], v[8:9], v[1:2]
	v_add_f64 v[1:2], v[4:5], -v[1:2]
	scratch_store_b64 off, v[1:2], off offset:16
	v_cmpx_lt_u32_e32 1, v0
	s_cbranch_execz .LBB104_253
; %bb.252:
	scratch_load_b64 v[1:2], off, off offset:8
	v_mov_b32_e32 v4, 0
	s_delay_alu instid0(VALU_DEP_1)
	v_mov_b32_e32 v5, v4
	scratch_store_b64 off, v[4:5], off offset:8
	s_waitcnt vmcnt(0)
	ds_store_b64 v3, v[1:2]
.LBB104_253:
	s_or_b32 exec_lo, exec_lo, s0
	s_waitcnt lgkmcnt(0)
	s_waitcnt_vscnt null, 0x0
	s_barrier
	buffer_gl0_inv
	s_clause 0x4
	scratch_load_b128 v[5:8], off, off offset:8
	scratch_load_b128 v[9:12], off, off offset:24
	;; [unrolled: 1-line block ×5, first 2 shown]
	v_mov_b32_e32 v4, 0
	ds_load_b128 v[107:110], v4 offset:352
	ds_load_b128 v[111:114], v4 offset:368
	scratch_load_b128 v[115:118], off, off offset:88
	s_mov_b32 s0, exec_lo
	s_waitcnt vmcnt(5) lgkmcnt(1)
	v_fma_f64 v[1:2], v[7:8], v[107:108], 0
	s_waitcnt vmcnt(4)
	s_delay_alu instid0(VALU_DEP_1) | instskip(SKIP_4) | instid1(VALU_DEP_1)
	v_fma_f64 v[1:2], v[9:10], v[109:110], v[1:2]
	scratch_load_b128 v[7:10], off, off offset:104
	s_waitcnt lgkmcnt(0)
	v_fma_f64 v[1:2], v[11:12], v[111:112], v[1:2]
	s_waitcnt vmcnt(4)
	v_fma_f64 v[1:2], v[95:96], v[113:114], v[1:2]
	ds_load_b128 v[107:110], v4 offset:384
	ds_load_b128 v[111:114], v4 offset:400
	s_waitcnt lgkmcnt(1)
	v_fma_f64 v[1:2], v[97:98], v[107:108], v[1:2]
	scratch_load_b128 v[95:98], off, off offset:120
	s_waitcnt vmcnt(4)
	v_fma_f64 v[1:2], v[99:100], v[109:110], v[1:2]
	s_waitcnt lgkmcnt(0)
	s_delay_alu instid0(VALU_DEP_1)
	v_fma_f64 v[1:2], v[101:102], v[111:112], v[1:2]
	scratch_load_b128 v[99:102], off, off offset:136
	s_waitcnt vmcnt(4)
	v_fma_f64 v[1:2], v[103:104], v[113:114], v[1:2]
	ds_load_b128 v[107:110], v4 offset:416
	ds_load_b128 v[111:114], v4 offset:432
	s_waitcnt lgkmcnt(1)
	v_fma_f64 v[1:2], v[105:106], v[107:108], v[1:2]
	scratch_load_b128 v[103:106], off, off offset:152
	s_waitcnt vmcnt(4)
	v_fma_f64 v[1:2], v[115:116], v[109:110], v[1:2]
	scratch_load_b128 v[107:110], off, off offset:168
	s_waitcnt lgkmcnt(0)
	v_fma_f64 v[1:2], v[117:118], v[111:112], v[1:2]
	s_waitcnt vmcnt(4)
	s_delay_alu instid0(VALU_DEP_1)
	v_fma_f64 v[1:2], v[7:8], v[113:114], v[1:2]
	ds_load_b128 v[111:114], v4 offset:448
	ds_load_b128 v[115:118], v4 offset:464
	s_waitcnt lgkmcnt(1)
	v_fma_f64 v[1:2], v[9:10], v[111:112], v[1:2]
	scratch_load_b128 v[7:10], off, off offset:184
	s_waitcnt vmcnt(4)
	v_fma_f64 v[1:2], v[95:96], v[113:114], v[1:2]
	s_waitcnt lgkmcnt(0)
	s_delay_alu instid0(VALU_DEP_1)
	v_fma_f64 v[1:2], v[97:98], v[115:116], v[1:2]
	scratch_load_b128 v[95:98], off, off offset:200
	s_waitcnt vmcnt(4)
	v_fma_f64 v[1:2], v[99:100], v[117:118], v[1:2]
	ds_load_b128 v[111:114], v4 offset:480
	ds_load_b128 v[115:118], v4 offset:496
	s_waitcnt lgkmcnt(1)
	v_fma_f64 v[1:2], v[101:102], v[111:112], v[1:2]
	scratch_load_b128 v[99:102], off, off offset:216
	s_waitcnt vmcnt(4)
	v_fma_f64 v[1:2], v[103:104], v[113:114], v[1:2]
	s_waitcnt lgkmcnt(0)
	s_delay_alu instid0(VALU_DEP_1)
	v_fma_f64 v[1:2], v[105:106], v[115:116], v[1:2]
	scratch_load_b128 v[103:106], off, off offset:232
	s_waitcnt vmcnt(4)
	;; [unrolled: 13-line block ×4, first 2 shown]
	v_fma_f64 v[1:2], v[103:104], v[117:118], v[1:2]
	ds_load_b128 v[111:114], v4 offset:576
	ds_load_b128 v[115:118], v4 offset:592
	s_waitcnt lgkmcnt(1)
	v_fma_f64 v[1:2], v[105:106], v[111:112], v[1:2]
	scratch_load_b128 v[103:106], off, off offset:312
	s_waitcnt vmcnt(4)
	v_fma_f64 v[1:2], v[107:108], v[113:114], v[1:2]
	s_waitcnt lgkmcnt(0)
	s_delay_alu instid0(VALU_DEP_1)
	v_fma_f64 v[1:2], v[109:110], v[115:116], v[1:2]
	ds_load_b128 v[107:110], v4 offset:608
	ds_load_b128 v[111:114], v4 offset:624
	s_waitcnt vmcnt(3)
	v_fma_f64 v[1:2], v[7:8], v[117:118], v[1:2]
	s_waitcnt lgkmcnt(1)
	s_delay_alu instid0(VALU_DEP_1)
	v_fma_f64 v[1:2], v[9:10], v[107:108], v[1:2]
	ds_load_b128 v[7:10], v4 offset:640
	ds_load_b64 v[11:12], v4 offset:656
	s_waitcnt vmcnt(2)
	v_fma_f64 v[1:2], v[95:96], v[109:110], v[1:2]
	s_waitcnt lgkmcnt(2)
	s_delay_alu instid0(VALU_DEP_1) | instskip(SKIP_1) | instid1(VALU_DEP_1)
	v_fma_f64 v[1:2], v[97:98], v[111:112], v[1:2]
	s_waitcnt vmcnt(1)
	v_fma_f64 v[1:2], v[99:100], v[113:114], v[1:2]
	s_waitcnt lgkmcnt(1)
	s_delay_alu instid0(VALU_DEP_1) | instskip(SKIP_1) | instid1(VALU_DEP_1)
	v_fma_f64 v[1:2], v[101:102], v[7:8], v[1:2]
	s_waitcnt vmcnt(0)
	v_fma_f64 v[1:2], v[103:104], v[9:10], v[1:2]
	s_waitcnt lgkmcnt(0)
	s_delay_alu instid0(VALU_DEP_1) | instskip(NEXT) | instid1(VALU_DEP_1)
	v_fma_f64 v[1:2], v[105:106], v[11:12], v[1:2]
	v_add_f64 v[1:2], v[5:6], -v[1:2]
	scratch_store_b64 off, v[1:2], off offset:8
	v_cmpx_ne_u32_e32 0, v0
	s_cbranch_execz .LBB104_255
; %bb.254:
	scratch_load_b64 v[0:1], off, off
	v_mov_b32_e32 v5, v4
	scratch_store_b64 off, v[4:5], off
	s_waitcnt vmcnt(0)
	ds_store_b64 v3, v[0:1]
.LBB104_255:
	s_or_b32 exec_lo, exec_lo, s0
	s_waitcnt lgkmcnt(0)
	s_waitcnt_vscnt null, 0x0
	s_barrier
	buffer_gl0_inv
	s_clause 0x4
	scratch_load_b128 v[5:8], off, off
	scratch_load_b128 v[0:3], off, off offset:16
	scratch_load_b128 v[9:12], off, off offset:32
	;; [unrolled: 1-line block ×4, first 2 shown]
	ds_load_2addr_b64 v[103:106], v4 offset0:43 offset1:44
	ds_load_2addr_b64 v[107:110], v4 offset0:45 offset1:46
	scratch_load_b128 v[111:114], off, off offset:80
	s_and_b32 vcc_lo, exec_lo, s12
	s_waitcnt vmcnt(5) lgkmcnt(1)
	v_fma_f64 v[7:8], v[7:8], v[103:104], 0
	s_waitcnt vmcnt(4)
	s_delay_alu instid0(VALU_DEP_1) | instskip(SKIP_1) | instid1(VALU_DEP_1)
	v_fma_f64 v[0:1], v[0:1], v[105:106], v[7:8]
	s_waitcnt lgkmcnt(0)
	v_fma_f64 v[7:8], v[2:3], v[107:108], v[0:1]
	scratch_load_b128 v[0:3], off, off offset:96
	s_waitcnt vmcnt(4)
	v_fma_f64 v[107:108], v[9:10], v[109:110], v[7:8]
	ds_load_2addr_b64 v[7:10], v4 offset0:47 offset1:48
	ds_load_2addr_b64 v[103:106], v4 offset0:49 offset1:50
	s_waitcnt lgkmcnt(1)
	v_fma_f64 v[7:8], v[11:12], v[7:8], v[107:108]
	scratch_load_b128 v[107:110], off, off offset:112
	s_waitcnt vmcnt(4)
	v_fma_f64 v[7:8], v[95:96], v[9:10], v[7:8]
	s_waitcnt lgkmcnt(0)
	s_delay_alu instid0(VALU_DEP_1)
	v_fma_f64 v[11:12], v[97:98], v[103:104], v[7:8]
	scratch_load_b128 v[7:10], off, off offset:128
	s_waitcnt vmcnt(4)
	v_fma_f64 v[11:12], v[99:100], v[105:106], v[11:12]
	ds_load_2addr_b64 v[95:98], v4 offset0:51 offset1:52
	ds_load_2addr_b64 v[103:106], v4 offset0:53 offset1:54
	s_waitcnt lgkmcnt(1)
	v_fma_f64 v[11:12], v[101:102], v[95:96], v[11:12]
	scratch_load_b128 v[99:102], off, off offset:144
	s_waitcnt vmcnt(4)
	v_fma_f64 v[11:12], v[111:112], v[97:98], v[11:12]
	scratch_load_b128 v[95:98], off, off offset:160
	s_waitcnt lgkmcnt(0)
	v_fma_f64 v[11:12], v[113:114], v[103:104], v[11:12]
	s_waitcnt vmcnt(4)
	s_delay_alu instid0(VALU_DEP_1)
	v_fma_f64 v[0:1], v[0:1], v[105:106], v[11:12]
	ds_load_2addr_b64 v[103:106], v4 offset0:55 offset1:56
	ds_load_2addr_b64 v[111:114], v4 offset0:57 offset1:58
	s_waitcnt lgkmcnt(1)
	v_fma_f64 v[11:12], v[2:3], v[103:104], v[0:1]
	scratch_load_b128 v[0:3], off, off offset:176
	s_waitcnt vmcnt(4)
	v_fma_f64 v[11:12], v[107:108], v[105:106], v[11:12]
	scratch_load_b128 v[103:106], off, off offset:192
	s_waitcnt lgkmcnt(0)
	v_fma_f64 v[11:12], v[109:110], v[111:112], v[11:12]
	s_waitcnt vmcnt(4)
	s_delay_alu instid0(VALU_DEP_1)
	v_fma_f64 v[7:8], v[7:8], v[113:114], v[11:12]
	ds_load_2addr_b64 v[107:110], v4 offset0:59 offset1:60
	ds_load_2addr_b64 v[111:114], v4 offset0:61 offset1:62
	s_waitcnt lgkmcnt(1)
	v_fma_f64 v[11:12], v[9:10], v[107:108], v[7:8]
	scratch_load_b128 v[7:10], off, off offset:208
	s_waitcnt vmcnt(4)
	v_fma_f64 v[11:12], v[99:100], v[109:110], v[11:12]
	s_waitcnt lgkmcnt(0)
	s_delay_alu instid0(VALU_DEP_1)
	v_fma_f64 v[11:12], v[101:102], v[111:112], v[11:12]
	scratch_load_b128 v[99:102], off, off offset:224
	s_waitcnt vmcnt(4)
	v_fma_f64 v[11:12], v[95:96], v[113:114], v[11:12]
	ds_load_2addr_b64 v[107:110], v4 offset0:63 offset1:64
	ds_load_2addr_b64 v[111:114], v4 offset0:65 offset1:66
	s_waitcnt lgkmcnt(1)
	v_fma_f64 v[11:12], v[97:98], v[107:108], v[11:12]
	scratch_load_b128 v[95:98], off, off offset:240
	s_waitcnt vmcnt(4)
	v_fma_f64 v[0:1], v[0:1], v[109:110], v[11:12]
	scratch_load_b128 v[107:110], off, off offset:256
	s_waitcnt lgkmcnt(0)
	v_fma_f64 v[0:1], v[2:3], v[111:112], v[0:1]
	s_waitcnt vmcnt(4)
	s_delay_alu instid0(VALU_DEP_1)
	v_fma_f64 v[11:12], v[103:104], v[113:114], v[0:1]
	ds_load_2addr_b64 v[0:3], v4 offset0:67 offset1:68
	ds_load_2addr_b64 v[111:114], v4 offset0:69 offset1:70
	s_waitcnt lgkmcnt(1)
	v_fma_f64 v[0:1], v[105:106], v[0:1], v[11:12]
	scratch_load_b128 v[103:106], off, off offset:272
	s_waitcnt vmcnt(4)
	v_fma_f64 v[0:1], v[7:8], v[2:3], v[0:1]
	s_waitcnt lgkmcnt(0)
	s_delay_alu instid0(VALU_DEP_1)
	v_fma_f64 v[0:1], v[9:10], v[111:112], v[0:1]
	scratch_load_b128 v[7:10], off, off offset:288
	s_waitcnt vmcnt(4)
	v_fma_f64 v[0:1], v[99:100], v[113:114], v[0:1]
	ds_load_2addr_b64 v[111:114], v4 offset0:71 offset1:72
	ds_load_2addr_b64 v[115:118], v4 offset0:73 offset1:74
	s_waitcnt lgkmcnt(1)
	v_fma_f64 v[11:12], v[101:102], v[111:112], v[0:1]
	s_clause 0x1
	scratch_load_b128 v[0:3], off, off offset:304
	scratch_load_b64 v[111:112], off, off offset:320
	s_waitcnt vmcnt(5)
	v_fma_f64 v[11:12], v[95:96], v[113:114], v[11:12]
	s_waitcnt lgkmcnt(0)
	s_delay_alu instid0(VALU_DEP_1)
	v_fma_f64 v[11:12], v[97:98], v[115:116], v[11:12]
	ds_load_2addr_b64 v[95:98], v4 offset0:75 offset1:76
	ds_load_2addr_b64 v[99:102], v4 offset0:77 offset1:78
	s_waitcnt vmcnt(4)
	v_fma_f64 v[11:12], v[107:108], v[117:118], v[11:12]
	s_waitcnt lgkmcnt(1)
	s_delay_alu instid0(VALU_DEP_1) | instskip(SKIP_1) | instid1(VALU_DEP_1)
	v_fma_f64 v[11:12], v[109:110], v[95:96], v[11:12]
	s_waitcnt vmcnt(3)
	v_fma_f64 v[11:12], v[103:104], v[97:98], v[11:12]
	s_waitcnt lgkmcnt(0)
	s_delay_alu instid0(VALU_DEP_1) | instskip(SKIP_1) | instid1(VALU_DEP_1)
	v_fma_f64 v[11:12], v[105:106], v[99:100], v[11:12]
	s_waitcnt vmcnt(2)
	v_fma_f64 v[7:8], v[7:8], v[101:102], v[11:12]
	ds_load_2addr_b64 v[95:98], v4 offset0:79 offset1:80
	ds_load_2addr_b64 v[99:102], v4 offset0:81 offset1:82
	s_waitcnt lgkmcnt(1)
	v_fma_f64 v[7:8], v[9:10], v[95:96], v[7:8]
	s_waitcnt vmcnt(1)
	s_delay_alu instid0(VALU_DEP_1) | instskip(SKIP_1) | instid1(VALU_DEP_1)
	v_fma_f64 v[0:1], v[0:1], v[97:98], v[7:8]
	s_waitcnt lgkmcnt(0)
	v_fma_f64 v[0:1], v[2:3], v[99:100], v[0:1]
	s_waitcnt vmcnt(0)
	s_delay_alu instid0(VALU_DEP_1) | instskip(NEXT) | instid1(VALU_DEP_1)
	v_fma_f64 v[0:1], v[111:112], v[101:102], v[0:1]
	v_add_f64 v[0:1], v[5:6], -v[0:1]
	scratch_store_b64 off, v[0:1], off
	s_cbranch_vccz .LBB104_337
; %bb.256:
	v_dual_mov_b32 v0, s2 :: v_dual_mov_b32 v1, s3
	s_mov_b32 s0, exec_lo
	flat_load_b32 v0, v[0:1] offset:156
	s_waitcnt vmcnt(0) lgkmcnt(0)
	v_cmpx_ne_u32_e32 40, v0
	s_cbranch_execz .LBB104_258
; %bb.257:
	v_lshl_add_u32 v4, v0, 3, 0
	scratch_load_b64 v[0:1], v4, off offset:-8
	s_waitcnt vmcnt(0)
	scratch_store_b64 off, v[0:1], off offset:312
	scratch_store_b64 v4, v[2:3], off offset:-8
.LBB104_258:
	s_or_b32 exec_lo, exec_lo, s0
	v_dual_mov_b32 v0, s2 :: v_dual_mov_b32 v1, s3
	s_mov_b32 s0, exec_lo
	flat_load_b32 v0, v[0:1] offset:152
	s_waitcnt vmcnt(0) lgkmcnt(0)
	v_cmpx_ne_u32_e32 39, v0
	s_cbranch_execz .LBB104_260
; %bb.259:
	v_lshl_add_u32 v4, v0, 3, 0
	scratch_load_b64 v[0:1], v4, off offset:-8
	scratch_load_b64 v[2:3], off, off offset:304
	s_waitcnt vmcnt(1)
	scratch_store_b64 off, v[0:1], off offset:304
	s_waitcnt vmcnt(0)
	scratch_store_b64 v4, v[2:3], off offset:-8
.LBB104_260:
	s_or_b32 exec_lo, exec_lo, s0
	v_dual_mov_b32 v0, s2 :: v_dual_mov_b32 v1, s3
	s_mov_b32 s0, exec_lo
	flat_load_b32 v0, v[0:1] offset:148
	s_waitcnt vmcnt(0) lgkmcnt(0)
	v_cmpx_ne_u32_e32 38, v0
	s_cbranch_execz .LBB104_262
; %bb.261:
	v_lshl_add_u32 v4, v0, 3, 0
	scratch_load_b64 v[0:1], v4, off offset:-8
	scratch_load_b64 v[2:3], off, off offset:296
	s_waitcnt vmcnt(1)
	scratch_store_b64 off, v[0:1], off offset:296
	s_waitcnt vmcnt(0)
	scratch_store_b64 v4, v[2:3], off offset:-8
.LBB104_262:
	;; [unrolled: 16-line block ×38, first 2 shown]
	s_or_b32 exec_lo, exec_lo, s0
	v_dual_mov_b32 v0, s2 :: v_dual_mov_b32 v1, s3
	s_mov_b32 s0, exec_lo
	flat_load_b32 v2, v[0:1]
	scratch_load_b64 v[0:1], off, off
	s_waitcnt vmcnt(1) lgkmcnt(0)
	v_cmpx_ne_u32_e32 1, v2
	s_cbranch_execz .LBB104_336
; %bb.335:
	v_lshl_add_u32 v4, v2, 3, 0
	scratch_load_b64 v[2:3], v4, off offset:-8
	s_waitcnt vmcnt(0)
	scratch_store_b64 off, v[2:3], off
	scratch_store_b64 v4, v[0:1], off offset:-8
	scratch_load_b64 v[0:1], off, off
.LBB104_336:
	s_or_b32 exec_lo, exec_lo, s0
.LBB104_337:
	s_clause 0x6
	scratch_load_b128 v[2:5], off, off offset:8
	scratch_load_b128 v[6:9], off, off offset:24
	;; [unrolled: 1-line block ×7, first 2 shown]
	s_waitcnt vmcnt(7)
	global_store_b64 v[13:14], v[0:1], off
	s_clause 0x2
	scratch_load_b128 v[10:13], off, off offset:120
	scratch_load_b128 v[115:118], off, off offset:200
	scratch_load_b128 v[119:122], off, off offset:296
	s_waitcnt vmcnt(9)
	global_store_b64 v[15:16], v[2:3], off
	scratch_load_b128 v[0:3], off, off offset:136
	global_store_b64 v[17:18], v[4:5], off
	scratch_load_b128 v[14:17], off, off offset:152
	s_waitcnt vmcnt(10)
	global_store_b64 v[19:20], v[6:7], off
	scratch_load_b128 v[4:7], off, off offset:168
	global_store_b64 v[21:22], v[8:9], off
	scratch_load_b128 v[18:21], off, off offset:184
	s_waitcnt vmcnt(11)
	s_clause 0x1
	global_store_b64 v[23:24], v[95:96], off
	global_store_b64 v[25:26], v[97:98], off
	s_clause 0x1
	scratch_load_b128 v[22:25], off, off offset:216
	scratch_load_b128 v[95:98], off, off offset:232
	s_waitcnt vmcnt(12)
	s_clause 0x1
	global_store_b64 v[27:28], v[99:100], off
	global_store_b64 v[29:30], v[101:102], off
	s_clause 0x1
	scratch_load_b128 v[26:29], off, off offset:248
	scratch_load_b128 v[99:102], off, off offset:264
	s_waitcnt vmcnt(13)
	s_clause 0x1
	global_store_b64 v[31:32], v[103:104], off
	global_store_b64 v[45:46], v[105:106], off
	scratch_load_b128 v[103:106], off, off offset:280
	s_waitcnt vmcnt(13)
	s_clause 0x1
	global_store_b64 v[41:42], v[107:108], off
	global_store_b64 v[35:36], v[109:110], off
	;; [unrolled: 5-line block ×3, first 2 shown]
	s_waitcnt vmcnt(12)
	s_clause 0x1
	global_store_b64 v[39:40], v[10:11], off
	global_store_b64 v[43:44], v[12:13], off
	s_waitcnt vmcnt(9)
	s_clause 0x1
	global_store_b64 v[47:48], v[0:1], off
	global_store_b64 v[49:50], v[2:3], off
	;; [unrolled: 4-line block ×5, first 2 shown]
	global_store_b64 v[63:64], v[115:116], off
	global_store_b64 v[65:66], v[117:118], off
	s_waitcnt vmcnt(5)
	s_clause 0x1
	global_store_b64 v[67:68], v[22:23], off
	global_store_b64 v[69:70], v[24:25], off
	s_waitcnt vmcnt(4)
	s_clause 0x1
	;; [unrolled: 4-line block ×5, first 2 shown]
	global_store_b64 v[83:84], v[103:104], off
	global_store_b64 v[85:86], v[105:106], off
	;; [unrolled: 1-line block ×4, first 2 shown]
	s_waitcnt vmcnt(0)
	s_clause 0x1
	global_store_b64 v[87:88], v[107:108], off
	global_store_b64 v[91:92], v[109:110], off
	s_endpgm
	.section	.rodata,"a",@progbits
	.p2align	6, 0x0
	.amdhsa_kernel _ZN9rocsolver6v33100L18getri_kernel_smallILi41EdPKPdEEvT1_iilPiilS6_bb
		.amdhsa_group_segment_fixed_size 664
		.amdhsa_private_segment_fixed_size 336
		.amdhsa_kernarg_size 60
		.amdhsa_user_sgpr_count 15
		.amdhsa_user_sgpr_dispatch_ptr 0
		.amdhsa_user_sgpr_queue_ptr 0
		.amdhsa_user_sgpr_kernarg_segment_ptr 1
		.amdhsa_user_sgpr_dispatch_id 0
		.amdhsa_user_sgpr_private_segment_size 0
		.amdhsa_wavefront_size32 1
		.amdhsa_uses_dynamic_stack 0
		.amdhsa_enable_private_segment 1
		.amdhsa_system_sgpr_workgroup_id_x 1
		.amdhsa_system_sgpr_workgroup_id_y 0
		.amdhsa_system_sgpr_workgroup_id_z 0
		.amdhsa_system_sgpr_workgroup_info 0
		.amdhsa_system_vgpr_workitem_id 0
		.amdhsa_next_free_vgpr 123
		.amdhsa_next_free_sgpr 17
		.amdhsa_reserve_vcc 1
		.amdhsa_float_round_mode_32 0
		.amdhsa_float_round_mode_16_64 0
		.amdhsa_float_denorm_mode_32 3
		.amdhsa_float_denorm_mode_16_64 3
		.amdhsa_dx10_clamp 1
		.amdhsa_ieee_mode 1
		.amdhsa_fp16_overflow 0
		.amdhsa_workgroup_processor_mode 1
		.amdhsa_memory_ordered 1
		.amdhsa_forward_progress 0
		.amdhsa_shared_vgpr_count 0
		.amdhsa_exception_fp_ieee_invalid_op 0
		.amdhsa_exception_fp_denorm_src 0
		.amdhsa_exception_fp_ieee_div_zero 0
		.amdhsa_exception_fp_ieee_overflow 0
		.amdhsa_exception_fp_ieee_underflow 0
		.amdhsa_exception_fp_ieee_inexact 0
		.amdhsa_exception_int_div_zero 0
	.end_amdhsa_kernel
	.section	.text._ZN9rocsolver6v33100L18getri_kernel_smallILi41EdPKPdEEvT1_iilPiilS6_bb,"axG",@progbits,_ZN9rocsolver6v33100L18getri_kernel_smallILi41EdPKPdEEvT1_iilPiilS6_bb,comdat
.Lfunc_end104:
	.size	_ZN9rocsolver6v33100L18getri_kernel_smallILi41EdPKPdEEvT1_iilPiilS6_bb, .Lfunc_end104-_ZN9rocsolver6v33100L18getri_kernel_smallILi41EdPKPdEEvT1_iilPiilS6_bb
                                        ; -- End function
	.section	.AMDGPU.csdata,"",@progbits
; Kernel info:
; codeLenInByte = 35756
; NumSgprs: 19
; NumVgprs: 123
; ScratchSize: 336
; MemoryBound: 0
; FloatMode: 240
; IeeeMode: 1
; LDSByteSize: 664 bytes/workgroup (compile time only)
; SGPRBlocks: 2
; VGPRBlocks: 15
; NumSGPRsForWavesPerEU: 19
; NumVGPRsForWavesPerEU: 123
; Occupancy: 10
; WaveLimiterHint : 1
; COMPUTE_PGM_RSRC2:SCRATCH_EN: 1
; COMPUTE_PGM_RSRC2:USER_SGPR: 15
; COMPUTE_PGM_RSRC2:TRAP_HANDLER: 0
; COMPUTE_PGM_RSRC2:TGID_X_EN: 1
; COMPUTE_PGM_RSRC2:TGID_Y_EN: 0
; COMPUTE_PGM_RSRC2:TGID_Z_EN: 0
; COMPUTE_PGM_RSRC2:TIDIG_COMP_CNT: 0
	.section	.text._ZN9rocsolver6v33100L18getri_kernel_smallILi42EdPKPdEEvT1_iilPiilS6_bb,"axG",@progbits,_ZN9rocsolver6v33100L18getri_kernel_smallILi42EdPKPdEEvT1_iilPiilS6_bb,comdat
	.globl	_ZN9rocsolver6v33100L18getri_kernel_smallILi42EdPKPdEEvT1_iilPiilS6_bb ; -- Begin function _ZN9rocsolver6v33100L18getri_kernel_smallILi42EdPKPdEEvT1_iilPiilS6_bb
	.p2align	8
	.type	_ZN9rocsolver6v33100L18getri_kernel_smallILi42EdPKPdEEvT1_iilPiilS6_bb,@function
_ZN9rocsolver6v33100L18getri_kernel_smallILi42EdPKPdEEvT1_iilPiilS6_bb: ; @_ZN9rocsolver6v33100L18getri_kernel_smallILi42EdPKPdEEvT1_iilPiilS6_bb
; %bb.0:
	s_mov_b32 s2, exec_lo
	v_cmpx_gt_u32_e32 42, v0
	s_cbranch_execz .LBB105_178
; %bb.1:
	s_clause 0x1
	s_load_b32 s13, s[0:1], 0x38
	s_load_b64 s[2:3], s[0:1], 0x0
	s_mov_b32 s8, s15
	s_load_b128 s[4:7], s[0:1], 0x28
	s_waitcnt lgkmcnt(0)
	s_bitcmp1_b32 s13, 8
	s_cselect_b32 s12, -1, 0
	s_ashr_i32 s9, s15, 31
	s_delay_alu instid0(SALU_CYCLE_1) | instskip(NEXT) | instid1(SALU_CYCLE_1)
	s_lshl_b64 s[10:11], s[8:9], 3
	s_add_u32 s2, s2, s10
	s_addc_u32 s3, s3, s11
	s_load_b64 s[10:11], s[2:3], 0x0
	s_bfe_u32 s2, s13, 0x10008
	s_delay_alu instid0(SALU_CYCLE_1)
	s_cmp_eq_u32 s2, 0
                                        ; implicit-def: $sgpr2_sgpr3
	s_cbranch_scc1 .LBB105_3
; %bb.2:
	s_clause 0x1
	s_load_b32 s2, s[0:1], 0x20
	s_load_b64 s[14:15], s[0:1], 0x18
	s_mul_i32 s3, s8, s5
	s_mul_hi_u32 s5, s8, s4
	s_mul_i32 s16, s9, s4
	s_add_i32 s3, s5, s3
	s_mul_i32 s4, s8, s4
	s_add_i32 s5, s3, s16
	s_delay_alu instid0(SALU_CYCLE_1)
	s_lshl_b64 s[4:5], s[4:5], 2
	s_waitcnt lgkmcnt(0)
	s_ashr_i32 s3, s2, 31
	s_add_u32 s4, s14, s4
	s_addc_u32 s5, s15, s5
	s_lshl_b64 s[2:3], s[2:3], 2
	s_delay_alu instid0(SALU_CYCLE_1)
	s_add_u32 s2, s4, s2
	s_addc_u32 s3, s5, s3
.LBB105_3:
	s_load_b64 s[0:1], s[0:1], 0x8
	v_lshlrev_b32_e32 v3, 3, v0
	s_waitcnt lgkmcnt(0)
	s_ashr_i32 s5, s0, 31
	s_mov_b32 s4, s0
	v_add3_u32 v1, s1, s1, v0
	s_lshl_b64 s[4:5], s[4:5], 3
	s_mov_b32 s14, s1
	s_add_u32 s4, s10, s4
	s_addc_u32 s5, s11, s5
	v_add_co_u32 v4, s0, s4, v3
	s_ashr_i32 s15, s1, 31
	v_add_nc_u32_e32 v12, s1, v1
	v_add_co_ci_u32_e64 v5, null, s5, 0, s0
	s_lshl_b64 s[10:11], s[14:15], 3
	v_ashrrev_i32_e32 v2, 31, v1
	v_add_co_u32 v6, vcc_lo, v4, s10
	v_ashrrev_i32_e32 v13, 31, v12
	v_add_co_ci_u32_e32 v7, vcc_lo, s11, v5, vcc_lo
	s_delay_alu instid0(VALU_DEP_4)
	v_lshlrev_b64 v[1:2], 3, v[1:2]
	s_clause 0x1
	global_load_b64 v[24:25], v3, s[4:5]
	global_load_b64 v[26:27], v[6:7], off
	v_lshlrev_b64 v[8:9], 3, v[12:13]
	s_bitcmp0_b32 s13, 0
	v_add_co_u32 v10, vcc_lo, s4, v1
	v_add_co_ci_u32_e32 v11, vcc_lo, s5, v2, vcc_lo
	s_delay_alu instid0(VALU_DEP_3) | instskip(NEXT) | instid1(VALU_DEP_4)
	v_add_co_u32 v8, vcc_lo, s4, v8
	v_add_co_ci_u32_e32 v9, vcc_lo, s5, v9, vcc_lo
	s_clause 0x1
	global_load_b64 v[44:45], v[10:11], off
	global_load_b64 v[46:47], v[8:9], off
	v_add_nc_u32_e32 v1, s1, v12
	s_delay_alu instid0(VALU_DEP_1) | instskip(SKIP_1) | instid1(VALU_DEP_2)
	v_add_nc_u32_e32 v12, s1, v1
	v_ashrrev_i32_e32 v2, 31, v1
	v_add_nc_u32_e32 v14, s1, v12
	v_ashrrev_i32_e32 v13, 31, v12
	s_delay_alu instid0(VALU_DEP_3) | instskip(NEXT) | instid1(VALU_DEP_3)
	v_lshlrev_b64 v[1:2], 3, v[1:2]
	v_add_nc_u32_e32 v16, s1, v14
	v_ashrrev_i32_e32 v15, 31, v14
	s_delay_alu instid0(VALU_DEP_4) | instskip(NEXT) | instid1(VALU_DEP_4)
	v_lshlrev_b64 v[12:13], 3, v[12:13]
	v_add_co_u32 v20, vcc_lo, s4, v1
	s_delay_alu instid0(VALU_DEP_4) | instskip(SKIP_3) | instid1(VALU_DEP_4)
	v_add_nc_u32_e32 v22, s1, v16
	v_add_co_ci_u32_e32 v21, vcc_lo, s5, v2, vcc_lo
	v_lshlrev_b64 v[1:2], 3, v[14:15]
	v_ashrrev_i32_e32 v17, 31, v16
	v_add_nc_u32_e32 v28, s1, v22
	v_add_co_u32 v18, vcc_lo, s4, v12
	v_ashrrev_i32_e32 v23, 31, v22
	v_add_co_ci_u32_e32 v19, vcc_lo, s5, v13, vcc_lo
	s_delay_alu instid0(VALU_DEP_4) | instskip(SKIP_3) | instid1(VALU_DEP_4)
	v_add_nc_u32_e32 v30, s1, v28
	v_lshlrev_b64 v[12:13], 3, v[16:17]
	v_add_co_u32 v16, vcc_lo, s4, v1
	v_ashrrev_i32_e32 v29, 31, v28
	v_add_nc_u32_e32 v32, s1, v30
	v_add_co_ci_u32_e32 v17, vcc_lo, s5, v2, vcc_lo
	v_lshlrev_b64 v[1:2], 3, v[22:23]
	v_add_co_u32 v12, vcc_lo, s4, v12
	s_delay_alu instid0(VALU_DEP_4) | instskip(SKIP_3) | instid1(VALU_DEP_4)
	v_add_nc_u32_e32 v36, s1, v32
	v_lshlrev_b64 v[14:15], 3, v[28:29]
	v_ashrrev_i32_e32 v31, 31, v30
	v_add_co_ci_u32_e32 v13, vcc_lo, s5, v13, vcc_lo
	v_add_nc_u32_e32 v40, s1, v36
	v_add_co_u32 v34, vcc_lo, s4, v1
	v_ashrrev_i32_e32 v33, 31, v32
	s_clause 0x1
	global_load_b64 v[48:49], v[20:21], off
	global_load_b64 v[50:51], v[18:19], off
	v_add_nc_u32_e32 v68, s1, v40
	v_add_co_ci_u32_e32 v35, vcc_lo, s5, v2, vcc_lo
	v_lshlrev_b64 v[1:2], 3, v[30:31]
	v_add_co_u32 v30, vcc_lo, s4, v14
	s_delay_alu instid0(VALU_DEP_4) | instskip(SKIP_3) | instid1(VALU_DEP_4)
	v_add_nc_u32_e32 v70, s1, v68
	v_add_co_ci_u32_e32 v31, vcc_lo, s5, v15, vcc_lo
	v_lshlrev_b64 v[14:15], 3, v[32:33]
	v_ashrrev_i32_e32 v37, 31, v36
	v_add_nc_u32_e32 v72, s1, v70
	v_add_co_u32 v42, vcc_lo, s4, v1
	s_clause 0x2
	global_load_b64 v[52:53], v[16:17], off
	global_load_b64 v[54:55], v[12:13], off
	;; [unrolled: 1-line block ×3, first 2 shown]
	v_add_co_ci_u32_e32 v43, vcc_lo, s5, v2, vcc_lo
	v_add_nc_u32_e32 v74, s1, v72
	v_lshlrev_b64 v[1:2], 3, v[36:37]
	global_load_b64 v[58:59], v[30:31], off
	v_ashrrev_i32_e32 v41, 31, v40
	v_add_co_u32 v38, vcc_lo, s4, v14
	v_add_nc_u32_e32 v76, s1, v74
	v_add_co_ci_u32_e32 v39, vcc_lo, s5, v15, vcc_lo
	s_delay_alu instid0(VALU_DEP_4) | instskip(SKIP_1) | instid1(VALU_DEP_4)
	v_lshlrev_b64 v[32:33], 3, v[40:41]
	v_add_co_u32 v28, vcc_lo, s4, v1
	v_add_nc_u32_e32 v78, s1, v76
	v_ashrrev_i32_e32 v69, 31, v68
	v_add_co_ci_u32_e32 v29, vcc_lo, s5, v2, vcc_lo
	v_ashrrev_i32_e32 v71, 31, v70
	s_delay_alu instid0(VALU_DEP_4) | instskip(NEXT) | instid1(VALU_DEP_4)
	v_add_nc_u32_e32 v80, s1, v78
	v_lshlrev_b64 v[1:2], 3, v[68:69]
	v_ashrrev_i32_e32 v73, 31, v72
	v_ashrrev_i32_e32 v75, 31, v74
	;; [unrolled: 1-line block ×3, first 2 shown]
	v_add_nc_u32_e32 v82, s1, v80
	v_ashrrev_i32_e32 v79, 31, v78
	v_ashrrev_i32_e32 v81, 31, v80
	v_lshlrev_b64 v[36:37], 3, v[74:75]
	s_delay_alu instid0(VALU_DEP_4) | instskip(SKIP_1) | instid1(VALU_DEP_2)
	v_add_nc_u32_e32 v84, s1, v82
	v_ashrrev_i32_e32 v83, 31, v82
	v_add_nc_u32_e32 v86, s1, v84
	v_ashrrev_i32_e32 v85, 31, v84
	s_delay_alu instid0(VALU_DEP_2) | instskip(SKIP_1) | instid1(VALU_DEP_2)
	v_add_nc_u32_e32 v88, s1, v86
	v_ashrrev_i32_e32 v87, 31, v86
	v_add_nc_u32_e32 v92, s1, v88
	v_ashrrev_i32_e32 v89, 31, v88
	s_delay_alu instid0(VALU_DEP_2) | instskip(SKIP_1) | instid1(VALU_DEP_2)
	;; [unrolled: 5-line block ×9, first 2 shown]
	v_add_nc_u32_e32 v124, s1, v122
	v_ashrrev_i32_e32 v123, 31, v122
	v_add_nc_u32_e32 v22, s1, v124
	v_ashrrev_i32_e32 v125, 31, v124
	s_mov_b32 s1, -1
	s_delay_alu instid0(VALU_DEP_2) | instskip(NEXT) | instid1(VALU_DEP_1)
	v_ashrrev_i32_e32 v23, 31, v22
	v_lshlrev_b64 v[14:15], 3, v[22:23]
	s_delay_alu instid0(VALU_DEP_1) | instskip(NEXT) | instid1(VALU_DEP_2)
	v_add_co_u32 v14, vcc_lo, s4, v14
	v_add_co_ci_u32_e32 v15, vcc_lo, s5, v15, vcc_lo
	v_add_co_u32 v22, vcc_lo, s4, v32
	v_add_co_ci_u32_e32 v23, vcc_lo, s5, v33, vcc_lo
	global_load_b64 v[90:91], v[14:15], off
	s_waitcnt vmcnt(9)
	scratch_store_b128 off, v[24:27], off
	s_clause 0x3
	global_load_b64 v[60:61], v[42:43], off
	global_load_b64 v[62:63], v[38:39], off
	;; [unrolled: 1-line block ×4, first 2 shown]
	v_lshlrev_b64 v[26:27], 3, v[70:71]
	v_add_co_u32 v24, vcc_lo, s4, v1
	v_add_co_ci_u32_e32 v25, vcc_lo, s5, v2, vcc_lo
	v_lshlrev_b64 v[1:2], 3, v[72:73]
	s_delay_alu instid0(VALU_DEP_4) | instskip(SKIP_1) | instid1(VALU_DEP_3)
	v_add_co_u32 v26, vcc_lo, s4, v26
	v_add_co_ci_u32_e32 v27, vcc_lo, s5, v27, vcc_lo
	v_add_co_u32 v32, vcc_lo, s4, v1
	s_waitcnt vmcnt(11)
	scratch_store_b128 off, v[44:47], off offset:16
	s_clause 0x1
	global_load_b64 v[68:69], v[24:25], off
	global_load_b64 v[70:71], v[26:27], off
	v_add_co_ci_u32_e32 v33, vcc_lo, s5, v2, vcc_lo
	v_lshlrev_b64 v[1:2], 3, v[76:77]
	v_add_co_u32 v36, vcc_lo, s4, v36
	v_add_co_ci_u32_e32 v37, vcc_lo, s5, v37, vcc_lo
	v_lshlrev_b64 v[44:45], 3, v[78:79]
	s_delay_alu instid0(VALU_DEP_4) | instskip(SKIP_2) | instid1(VALU_DEP_4)
	v_add_co_u32 v40, vcc_lo, s4, v1
	v_add_co_ci_u32_e32 v41, vcc_lo, s5, v2, vcc_lo
	v_lshlrev_b64 v[1:2], 3, v[80:81]
	v_add_co_u32 v44, vcc_lo, s4, v44
	s_clause 0x1
	global_load_b64 v[72:73], v[32:33], off
	global_load_b64 v[74:75], v[36:37], off
	v_add_co_ci_u32_e32 v45, vcc_lo, s5, v45, vcc_lo
	v_add_co_u32 v46, vcc_lo, s4, v1
	v_add_co_ci_u32_e32 v47, vcc_lo, s5, v2, vcc_lo
	v_lshlrev_b64 v[1:2], 3, v[84:85]
	s_waitcnt vmcnt(13)
	scratch_store_b128 off, v[48:51], off offset:32
	v_lshlrev_b64 v[48:49], 3, v[82:83]
	s_waitcnt vmcnt(11)
	scratch_store_b128 off, v[52:55], off offset:48
	s_waitcnt vmcnt(9)
	scratch_store_b128 off, v[56:59], off offset:64
	v_add_co_u32 v48, vcc_lo, s4, v48
	v_add_co_ci_u32_e32 v49, vcc_lo, s5, v49, vcc_lo
	s_clause 0x3
	global_load_b64 v[76:77], v[40:41], off
	global_load_b64 v[78:79], v[44:45], off
	;; [unrolled: 1-line block ×4, first 2 shown]
	v_lshlrev_b64 v[52:53], 3, v[86:87]
	v_add_co_u32 v50, vcc_lo, s4, v1
	v_add_co_ci_u32_e32 v51, vcc_lo, s5, v2, vcc_lo
	v_lshlrev_b64 v[1:2], 3, v[88:89]
	s_delay_alu instid0(VALU_DEP_4) | instskip(SKIP_2) | instid1(VALU_DEP_4)
	v_add_co_u32 v52, vcc_lo, s4, v52
	v_lshlrev_b64 v[56:57], 3, v[92:93]
	v_add_co_ci_u32_e32 v53, vcc_lo, s5, v53, vcc_lo
	v_add_co_u32 v54, vcc_lo, s4, v1
	v_add_co_ci_u32_e32 v55, vcc_lo, s5, v2, vcc_lo
	s_delay_alu instid0(VALU_DEP_4)
	v_add_co_u32 v56, vcc_lo, s4, v56
	v_lshlrev_b64 v[1:2], 3, v[96:97]
	v_add_co_ci_u32_e32 v57, vcc_lo, s5, v57, vcc_lo
	s_waitcnt vmcnt(10)
	scratch_store_b128 off, v[60:63], off offset:80
	s_waitcnt vmcnt(8)
	scratch_store_b128 off, v[64:67], off offset:96
	s_clause 0x3
	global_load_b64 v[84:85], v[50:51], off
	global_load_b64 v[86:87], v[52:53], off
	;; [unrolled: 1-line block ×4, first 2 shown]
	v_lshlrev_b64 v[60:61], 3, v[98:99]
	v_add_co_u32 v58, vcc_lo, s4, v1
	v_add_co_ci_u32_e32 v59, vcc_lo, s5, v2, vcc_lo
	v_lshlrev_b64 v[1:2], 3, v[100:101]
	s_delay_alu instid0(VALU_DEP_4) | instskip(SKIP_2) | instid1(VALU_DEP_4)
	v_add_co_u32 v60, vcc_lo, s4, v60
	v_add_co_ci_u32_e32 v61, vcc_lo, s5, v61, vcc_lo
	v_lshlrev_b64 v[64:65], 3, v[102:103]
	v_add_co_u32 v62, vcc_lo, s4, v1
	s_waitcnt vmcnt(10)
	scratch_store_b128 off, v[68:71], off offset:112
	s_clause 0x1
	global_load_b64 v[96:97], v[58:59], off
	global_load_b64 v[98:99], v[60:61], off
	v_add_co_ci_u32_e32 v63, vcc_lo, s5, v2, vcc_lo
	v_lshlrev_b64 v[1:2], 3, v[104:105]
	v_add_co_u32 v64, vcc_lo, s4, v64
	v_add_co_ci_u32_e32 v65, vcc_lo, s5, v65, vcc_lo
	v_lshlrev_b64 v[68:69], 3, v[106:107]
	s_delay_alu instid0(VALU_DEP_4) | instskip(SKIP_2) | instid1(VALU_DEP_4)
	v_add_co_u32 v66, vcc_lo, s4, v1
	v_add_co_ci_u32_e32 v67, vcc_lo, s5, v2, vcc_lo
	v_lshlrev_b64 v[1:2], 3, v[108:109]
	v_add_co_u32 v68, vcc_lo, s4, v68
	s_waitcnt vmcnt(10)
	scratch_store_b128 off, v[72:75], off offset:128
	v_add_co_ci_u32_e32 v69, vcc_lo, s5, v69, vcc_lo
	v_lshlrev_b64 v[72:73], 3, v[110:111]
	v_add_co_u32 v70, vcc_lo, s4, v1
	v_add_co_ci_u32_e32 v71, vcc_lo, s5, v2, vcc_lo
	v_lshlrev_b64 v[1:2], 3, v[112:113]
	s_delay_alu instid0(VALU_DEP_4)
	v_add_co_u32 v72, vcc_lo, s4, v72
	global_load_b64 v[100:101], v[62:63], off
	v_add_co_ci_u32_e32 v73, vcc_lo, s5, v73, vcc_lo
	s_waitcnt vmcnt(9)
	scratch_store_b128 off, v[76:79], off offset:144
	s_waitcnt vmcnt(7)
	scratch_store_b128 off, v[80:83], off offset:160
	v_lshlrev_b64 v[76:77], 3, v[114:115]
	v_add_co_u32 v74, vcc_lo, s4, v1
	v_add_co_ci_u32_e32 v75, vcc_lo, s5, v2, vcc_lo
	v_lshlrev_b64 v[1:2], 3, v[116:117]
	s_delay_alu instid0(VALU_DEP_4) | instskip(SKIP_2) | instid1(VALU_DEP_4)
	v_add_co_u32 v76, vcc_lo, s4, v76
	v_add_co_ci_u32_e32 v77, vcc_lo, s5, v77, vcc_lo
	v_lshlrev_b64 v[80:81], 3, v[118:119]
	v_add_co_u32 v78, vcc_lo, s4, v1
	v_add_co_ci_u32_e32 v79, vcc_lo, s5, v2, vcc_lo
	v_lshlrev_b64 v[1:2], 3, v[120:121]
	s_delay_alu instid0(VALU_DEP_4)
	v_add_co_u32 v80, vcc_lo, s4, v80
	s_clause 0x3
	global_load_b64 v[102:103], v[64:65], off
	global_load_b64 v[104:105], v[66:67], off
	;; [unrolled: 1-line block ×4, first 2 shown]
	v_add_co_ci_u32_e32 v81, vcc_lo, s5, v81, vcc_lo
	v_add_co_u32 v82, vcc_lo, s4, v1
	v_add_co_ci_u32_e32 v83, vcc_lo, s5, v2, vcc_lo
	v_lshlrev_b64 v[1:2], 3, v[124:125]
	s_waitcnt vmcnt(9)
	scratch_store_b128 off, v[84:87], off offset:176
	s_waitcnt vmcnt(7)
	scratch_store_b128 off, v[92:95], off offset:192
	v_lshlrev_b64 v[84:85], 3, v[122:123]
	s_clause 0x3
	global_load_b64 v[110:111], v[72:73], off
	global_load_b64 v[92:93], v[74:75], off
	;; [unrolled: 1-line block ×4, first 2 shown]
	v_add_co_u32 v84, vcc_lo, s4, v84
	v_add_co_ci_u32_e32 v85, vcc_lo, s5, v85, vcc_lo
	v_add_co_u32 v86, vcc_lo, s4, v1
	v_add_co_ci_u32_e32 v87, vcc_lo, s5, v2, vcc_lo
	s_waitcnt vmcnt(9)
	scratch_store_b128 off, v[96:99], off offset:208
	s_clause 0x3
	global_load_b64 v[114:115], v[80:81], off
	global_load_b64 v[96:97], v[82:83], off
	;; [unrolled: 1-line block ×4, first 2 shown]
	s_waitcnt vmcnt(11)
	scratch_store_b128 off, v[100:103], off offset:224
	s_waitcnt vmcnt(9)
	scratch_store_b128 off, v[104:107], off offset:240
	s_waitcnt vmcnt(7)
	scratch_store_b128 off, v[108:111], off offset:256
	s_waitcnt vmcnt(5)
	scratch_store_b128 off, v[92:95], off offset:272
	s_waitcnt vmcnt(3)
	scratch_store_b128 off, v[112:115], off offset:288
	s_waitcnt vmcnt(1)
	scratch_store_b128 off, v[96:99], off offset:304
	s_waitcnt vmcnt(0)
	scratch_store_b128 off, v[88:91], off offset:320
	s_cbranch_scc1 .LBB105_176
; %bb.4:
	v_cmp_eq_u32_e64 s0, 0, v0
	s_delay_alu instid0(VALU_DEP_1)
	s_and_saveexec_b32 s1, s0
	s_cbranch_execz .LBB105_6
; %bb.5:
	v_mov_b32_e32 v1, 0
	ds_store_b32 v1, v1 offset:672
.LBB105_6:
	s_or_b32 exec_lo, exec_lo, s1
	s_waitcnt lgkmcnt(0)
	s_waitcnt_vscnt null, 0x0
	s_barrier
	buffer_gl0_inv
	scratch_load_b64 v[1:2], v3, off
	s_mov_b32 s4, exec_lo
	s_waitcnt vmcnt(0)
	v_cmpx_eq_f64_e32 0, v[1:2]
	s_cbranch_execz .LBB105_10
; %bb.7:
	v_mov_b32_e32 v1, 0
	s_mov_b32 s5, 0
	ds_load_b32 v2, v1 offset:672
	s_waitcnt lgkmcnt(0)
	v_readfirstlane_b32 s1, v2
	v_add_nc_u32_e32 v2, 1, v0
	s_delay_alu instid0(VALU_DEP_2) | instskip(NEXT) | instid1(VALU_DEP_1)
	s_cmp_eq_u32 s1, 0
	v_cmp_gt_i32_e32 vcc_lo, s1, v2
	s_cselect_b32 s10, -1, 0
	s_delay_alu instid0(SALU_CYCLE_1) | instskip(NEXT) | instid1(SALU_CYCLE_1)
	s_or_b32 s10, s10, vcc_lo
	s_and_b32 exec_lo, exec_lo, s10
	s_cbranch_execz .LBB105_10
; %bb.8:
	v_mov_b32_e32 v88, s1
.LBB105_9:                              ; =>This Inner Loop Header: Depth=1
	ds_cmpstore_rtn_b32 v88, v1, v2, v88 offset:672
	s_waitcnt lgkmcnt(0)
	v_cmp_ne_u32_e32 vcc_lo, 0, v88
	v_cmp_le_i32_e64 s1, v88, v2
	s_delay_alu instid0(VALU_DEP_1) | instskip(NEXT) | instid1(SALU_CYCLE_1)
	s_and_b32 s1, vcc_lo, s1
	s_and_b32 s1, exec_lo, s1
	s_delay_alu instid0(SALU_CYCLE_1) | instskip(NEXT) | instid1(SALU_CYCLE_1)
	s_or_b32 s5, s1, s5
	s_and_not1_b32 exec_lo, exec_lo, s5
	s_cbranch_execnz .LBB105_9
.LBB105_10:
	s_or_b32 exec_lo, exec_lo, s4
	v_mov_b32_e32 v1, 0
	s_barrier
	buffer_gl0_inv
	ds_load_b32 v2, v1 offset:672
	s_and_saveexec_b32 s1, s0
	s_cbranch_execz .LBB105_12
; %bb.11:
	s_lshl_b64 s[4:5], s[8:9], 2
	s_delay_alu instid0(SALU_CYCLE_1)
	s_add_u32 s4, s6, s4
	s_addc_u32 s5, s7, s5
	s_waitcnt lgkmcnt(0)
	global_store_b32 v1, v2, s[4:5]
.LBB105_12:
	s_or_b32 exec_lo, exec_lo, s1
	s_waitcnt lgkmcnt(0)
	v_cmp_ne_u32_e32 vcc_lo, 0, v2
	s_mov_b32 s1, 0
	s_cbranch_vccnz .LBB105_176
; %bb.13:
	v_add_nc_u32_e32 v88, 0, v3
	scratch_load_b64 v[1:2], v88, off
	s_waitcnt vmcnt(0)
	v_div_scale_f64 v[89:90], null, v[1:2], v[1:2], 1.0
	v_div_scale_f64 v[95:96], vcc_lo, 1.0, v[1:2], 1.0
	s_delay_alu instid0(VALU_DEP_2) | instskip(SKIP_2) | instid1(VALU_DEP_1)
	v_rcp_f64_e32 v[91:92], v[89:90]
	s_waitcnt_depctr 0xfff
	v_fma_f64 v[93:94], -v[89:90], v[91:92], 1.0
	v_fma_f64 v[91:92], v[91:92], v[93:94], v[91:92]
	s_delay_alu instid0(VALU_DEP_1) | instskip(NEXT) | instid1(VALU_DEP_1)
	v_fma_f64 v[93:94], -v[89:90], v[91:92], 1.0
	v_fma_f64 v[91:92], v[91:92], v[93:94], v[91:92]
	s_delay_alu instid0(VALU_DEP_1) | instskip(NEXT) | instid1(VALU_DEP_1)
	v_mul_f64 v[93:94], v[95:96], v[91:92]
	v_fma_f64 v[89:90], -v[89:90], v[93:94], v[95:96]
	s_delay_alu instid0(VALU_DEP_1) | instskip(NEXT) | instid1(VALU_DEP_1)
	v_div_fmas_f64 v[89:90], v[89:90], v[91:92], v[93:94]
	v_div_fixup_f64 v[1:2], v[89:90], v[1:2], 1.0
	v_add_nc_u32_e32 v89, 0x150, v3
	scratch_store_b64 v88, v[1:2], off
	scratch_load_b64 v[90:91], off, off offset:8
	v_xor_b32_e32 v2, 0x80000000, v2
	s_waitcnt vmcnt(0)
	ds_store_2addr_b64 v3, v[1:2], v[90:91] offset1:42
	s_waitcnt lgkmcnt(0)
	s_waitcnt_vscnt null, 0x0
	s_barrier
	buffer_gl0_inv
	s_and_saveexec_b32 s1, s0
	s_cbranch_execz .LBB105_15
; %bb.14:
	scratch_load_b64 v[1:2], v88, off
	ds_load_b64 v[90:91], v89
	s_waitcnt vmcnt(0) lgkmcnt(0)
	v_fma_f64 v[1:2], v[1:2], v[90:91], 0
	v_mov_b32_e32 v90, 0
	ds_load_b64 v[90:91], v90 offset:8
	s_waitcnt lgkmcnt(0)
	v_mul_f64 v[1:2], v[1:2], v[90:91]
	scratch_store_b64 off, v[1:2], off offset:8
.LBB105_15:
	s_or_b32 exec_lo, exec_lo, s1
	s_waitcnt_vscnt null, 0x0
	s_barrier
	buffer_gl0_inv
	scratch_load_b64 v[1:2], off, off offset:16
	s_mov_b32 s1, exec_lo
	s_waitcnt vmcnt(0)
	ds_store_b64 v89, v[1:2]
	s_waitcnt lgkmcnt(0)
	s_barrier
	buffer_gl0_inv
	v_cmpx_gt_u32_e32 2, v0
	s_cbranch_execz .LBB105_19
; %bb.16:
	scratch_load_b64 v[1:2], v88, off
	ds_load_b64 v[90:91], v89
	s_waitcnt vmcnt(0) lgkmcnt(0)
	v_fma_f64 v[1:2], v[1:2], v[90:91], 0
	s_and_saveexec_b32 s4, s0
	s_cbranch_execz .LBB105_18
; %bb.17:
	scratch_load_b64 v[90:91], off, off offset:8
	v_mov_b32_e32 v92, 0
	ds_load_b64 v[92:93], v92 offset:344
	s_waitcnt vmcnt(0) lgkmcnt(0)
	v_fma_f64 v[1:2], v[90:91], v[92:93], v[1:2]
.LBB105_18:
	s_or_b32 exec_lo, exec_lo, s4
	v_mov_b32_e32 v90, 0
	ds_load_b64 v[90:91], v90 offset:16
	s_waitcnt lgkmcnt(0)
	v_mul_f64 v[1:2], v[1:2], v[90:91]
	scratch_store_b64 off, v[1:2], off offset:16
.LBB105_19:
	s_or_b32 exec_lo, exec_lo, s1
	s_waitcnt_vscnt null, 0x0
	s_barrier
	buffer_gl0_inv
	scratch_load_b64 v[1:2], off, off offset:24
	v_add_nc_u32_e32 v90, -1, v0
	s_mov_b32 s0, exec_lo
	s_waitcnt vmcnt(0)
	ds_store_b64 v89, v[1:2]
	s_waitcnt lgkmcnt(0)
	s_barrier
	buffer_gl0_inv
	v_cmpx_gt_u32_e32 3, v0
	s_cbranch_execz .LBB105_23
; %bb.20:
	v_dual_mov_b32 v1, 0 :: v_dual_add_nc_u32 v92, 0x150, v3
	v_dual_mov_b32 v2, 0 :: v_dual_add_nc_u32 v91, -1, v0
	v_add_nc_u32_e32 v93, 0, v3
	s_mov_b32 s1, 0
.LBB105_21:                             ; =>This Inner Loop Header: Depth=1
	scratch_load_b64 v[94:95], v93, off
	ds_load_b64 v[96:97], v92
	v_add_nc_u32_e32 v91, 1, v91
	v_add_nc_u32_e32 v92, 8, v92
	v_add_nc_u32_e32 v93, 8, v93
	s_delay_alu instid0(VALU_DEP_3)
	v_cmp_lt_u32_e32 vcc_lo, 1, v91
	s_or_b32 s1, vcc_lo, s1
	s_waitcnt vmcnt(0) lgkmcnt(0)
	v_fma_f64 v[1:2], v[94:95], v[96:97], v[1:2]
	s_and_not1_b32 exec_lo, exec_lo, s1
	s_cbranch_execnz .LBB105_21
; %bb.22:
	s_or_b32 exec_lo, exec_lo, s1
	v_mov_b32_e32 v91, 0
	ds_load_b64 v[91:92], v91 offset:24
	s_waitcnt lgkmcnt(0)
	v_mul_f64 v[1:2], v[1:2], v[91:92]
	scratch_store_b64 off, v[1:2], off offset:24
.LBB105_23:
	s_or_b32 exec_lo, exec_lo, s0
	s_waitcnt_vscnt null, 0x0
	s_barrier
	buffer_gl0_inv
	scratch_load_b64 v[1:2], off, off offset:32
	s_mov_b32 s0, exec_lo
	s_waitcnt vmcnt(0)
	ds_store_b64 v89, v[1:2]
	s_waitcnt lgkmcnt(0)
	s_barrier
	buffer_gl0_inv
	v_cmpx_gt_u32_e32 4, v0
	s_cbranch_execz .LBB105_27
; %bb.24:
	v_dual_mov_b32 v1, 0 :: v_dual_add_nc_u32 v92, 0x150, v3
	v_dual_mov_b32 v2, 0 :: v_dual_add_nc_u32 v91, -1, v0
	v_add_nc_u32_e32 v93, 0, v3
	s_mov_b32 s1, 0
.LBB105_25:                             ; =>This Inner Loop Header: Depth=1
	scratch_load_b64 v[94:95], v93, off
	ds_load_b64 v[96:97], v92
	v_add_nc_u32_e32 v91, 1, v91
	v_add_nc_u32_e32 v92, 8, v92
	v_add_nc_u32_e32 v93, 8, v93
	s_delay_alu instid0(VALU_DEP_3)
	v_cmp_lt_u32_e32 vcc_lo, 2, v91
	s_or_b32 s1, vcc_lo, s1
	s_waitcnt vmcnt(0) lgkmcnt(0)
	v_fma_f64 v[1:2], v[94:95], v[96:97], v[1:2]
	s_and_not1_b32 exec_lo, exec_lo, s1
	s_cbranch_execnz .LBB105_25
; %bb.26:
	s_or_b32 exec_lo, exec_lo, s1
	v_mov_b32_e32 v91, 0
	ds_load_b64 v[91:92], v91 offset:32
	s_waitcnt lgkmcnt(0)
	v_mul_f64 v[1:2], v[1:2], v[91:92]
	scratch_store_b64 off, v[1:2], off offset:32
.LBB105_27:
	s_or_b32 exec_lo, exec_lo, s0
	s_waitcnt_vscnt null, 0x0
	s_barrier
	buffer_gl0_inv
	scratch_load_b64 v[1:2], off, off offset:40
	;; [unrolled: 39-line block ×20, first 2 shown]
	s_mov_b32 s0, exec_lo
	s_waitcnt vmcnt(0)
	ds_store_b64 v89, v[1:2]
	s_waitcnt lgkmcnt(0)
	s_barrier
	buffer_gl0_inv
	v_cmpx_gt_u32_e32 23, v0
	s_cbranch_execz .LBB105_103
; %bb.100:
	v_dual_mov_b32 v1, 0 :: v_dual_add_nc_u32 v92, 0x150, v3
	v_dual_mov_b32 v2, 0 :: v_dual_add_nc_u32 v91, -1, v0
	v_add_nc_u32_e32 v93, 0, v3
	s_mov_b32 s1, 0
.LBB105_101:                            ; =>This Inner Loop Header: Depth=1
	scratch_load_b64 v[94:95], v93, off
	ds_load_b64 v[96:97], v92
	v_add_nc_u32_e32 v91, 1, v91
	v_add_nc_u32_e32 v92, 8, v92
	v_add_nc_u32_e32 v93, 8, v93
	s_delay_alu instid0(VALU_DEP_3)
	v_cmp_lt_u32_e32 vcc_lo, 21, v91
	s_or_b32 s1, vcc_lo, s1
	s_waitcnt vmcnt(0) lgkmcnt(0)
	v_fma_f64 v[1:2], v[94:95], v[96:97], v[1:2]
	s_and_not1_b32 exec_lo, exec_lo, s1
	s_cbranch_execnz .LBB105_101
; %bb.102:
	s_or_b32 exec_lo, exec_lo, s1
	v_mov_b32_e32 v91, 0
	ds_load_b64 v[91:92], v91 offset:184
	s_waitcnt lgkmcnt(0)
	v_mul_f64 v[1:2], v[1:2], v[91:92]
	scratch_store_b64 off, v[1:2], off offset:184
.LBB105_103:
	s_or_b32 exec_lo, exec_lo, s0
	s_waitcnt_vscnt null, 0x0
	s_barrier
	buffer_gl0_inv
	scratch_load_b64 v[1:2], off, off offset:192
	s_mov_b32 s0, exec_lo
	s_waitcnt vmcnt(0)
	ds_store_b64 v89, v[1:2]
	s_waitcnt lgkmcnt(0)
	s_barrier
	buffer_gl0_inv
	v_cmpx_gt_u32_e32 24, v0
	s_cbranch_execz .LBB105_107
; %bb.104:
	v_dual_mov_b32 v1, 0 :: v_dual_add_nc_u32 v92, 0x150, v3
	v_dual_mov_b32 v2, 0 :: v_dual_add_nc_u32 v91, -1, v0
	v_add_nc_u32_e32 v93, 0, v3
	s_mov_b32 s1, 0
.LBB105_105:                            ; =>This Inner Loop Header: Depth=1
	scratch_load_b64 v[94:95], v93, off
	ds_load_b64 v[96:97], v92
	v_add_nc_u32_e32 v91, 1, v91
	v_add_nc_u32_e32 v92, 8, v92
	v_add_nc_u32_e32 v93, 8, v93
	s_delay_alu instid0(VALU_DEP_3)
	v_cmp_lt_u32_e32 vcc_lo, 22, v91
	s_or_b32 s1, vcc_lo, s1
	s_waitcnt vmcnt(0) lgkmcnt(0)
	v_fma_f64 v[1:2], v[94:95], v[96:97], v[1:2]
	s_and_not1_b32 exec_lo, exec_lo, s1
	s_cbranch_execnz .LBB105_105
; %bb.106:
	s_or_b32 exec_lo, exec_lo, s1
	v_mov_b32_e32 v91, 0
	ds_load_b64 v[91:92], v91 offset:192
	s_waitcnt lgkmcnt(0)
	v_mul_f64 v[1:2], v[1:2], v[91:92]
	scratch_store_b64 off, v[1:2], off offset:192
.LBB105_107:
	s_or_b32 exec_lo, exec_lo, s0
	s_waitcnt_vscnt null, 0x0
	s_barrier
	buffer_gl0_inv
	scratch_load_b64 v[1:2], off, off offset:200
	;; [unrolled: 39-line block ×18, first 2 shown]
	s_mov_b32 s0, exec_lo
	s_waitcnt vmcnt(0)
	ds_store_b64 v89, v[1:2]
	s_waitcnt lgkmcnt(0)
	s_barrier
	buffer_gl0_inv
	v_cmpx_ne_u32_e32 41, v0
	s_cbranch_execz .LBB105_175
; %bb.172:
	v_mov_b32_e32 v1, 0
	v_mov_b32_e32 v2, 0
	s_mov_b32 s1, 0
.LBB105_173:                            ; =>This Inner Loop Header: Depth=1
	scratch_load_b64 v[91:92], v88, off
	ds_load_b64 v[93:94], v89
	v_add_nc_u32_e32 v90, 1, v90
	v_add_nc_u32_e32 v89, 8, v89
	;; [unrolled: 1-line block ×3, first 2 shown]
	s_delay_alu instid0(VALU_DEP_3)
	v_cmp_lt_u32_e32 vcc_lo, 39, v90
	s_or_b32 s1, vcc_lo, s1
	s_waitcnt vmcnt(0) lgkmcnt(0)
	v_fma_f64 v[1:2], v[91:92], v[93:94], v[1:2]
	s_and_not1_b32 exec_lo, exec_lo, s1
	s_cbranch_execnz .LBB105_173
; %bb.174:
	s_or_b32 exec_lo, exec_lo, s1
	v_mov_b32_e32 v3, 0
	ds_load_b64 v[88:89], v3 offset:328
	s_waitcnt lgkmcnt(0)
	v_mul_f64 v[1:2], v[1:2], v[88:89]
	scratch_store_b64 off, v[1:2], off offset:328
.LBB105_175:
	s_or_b32 exec_lo, exec_lo, s0
	s_mov_b32 s1, -1
	s_waitcnt_vscnt null, 0x0
	s_barrier
	buffer_gl0_inv
.LBB105_176:
	s_and_b32 vcc_lo, exec_lo, s1
	s_cbranch_vccz .LBB105_178
; %bb.177:
	s_lshl_b64 s[0:1], s[8:9], 2
	v_mov_b32_e32 v1, 0
	s_add_u32 s0, s6, s0
	s_addc_u32 s1, s7, s1
	global_load_b32 v1, v1, s[0:1]
	s_waitcnt vmcnt(0)
	v_cmp_ne_u32_e32 vcc_lo, 0, v1
	s_cbranch_vccz .LBB105_179
.LBB105_178:
	s_endpgm
.LBB105_179:
	v_lshl_add_u32 v3, v0, 3, 0x150
	s_mov_b32 s0, exec_lo
	v_cmpx_eq_u32_e32 41, v0
	s_cbranch_execz .LBB105_181
; %bb.180:
	scratch_load_b64 v[1:2], off, off offset:320
	v_mov_b32_e32 v88, 0
	s_delay_alu instid0(VALU_DEP_1)
	v_mov_b32_e32 v89, v88
	scratch_store_b64 off, v[88:89], off offset:320
	s_waitcnt vmcnt(0)
	ds_store_b64 v3, v[1:2]
.LBB105_181:
	s_or_b32 exec_lo, exec_lo, s0
	s_waitcnt lgkmcnt(0)
	s_waitcnt_vscnt null, 0x0
	s_barrier
	buffer_gl0_inv
	scratch_load_b128 v[88:91], off, off offset:320
	v_mov_b32_e32 v1, 0
	s_mov_b32 s0, exec_lo
	ds_load_b64 v[92:93], v1 offset:664
	s_waitcnt vmcnt(0) lgkmcnt(0)
	v_fma_f64 v[90:91], v[90:91], v[92:93], 0
	s_delay_alu instid0(VALU_DEP_1)
	v_add_f64 v[88:89], v[88:89], -v[90:91]
	scratch_store_b64 off, v[88:89], off offset:320
	v_cmpx_lt_u32_e32 39, v0
	s_cbranch_execz .LBB105_183
; %bb.182:
	scratch_load_b64 v[88:89], off, off offset:312
	v_mov_b32_e32 v2, v1
	scratch_store_b64 off, v[1:2], off offset:312
	s_waitcnt vmcnt(0)
	ds_store_b64 v3, v[88:89]
.LBB105_183:
	s_or_b32 exec_lo, exec_lo, s0
	s_waitcnt lgkmcnt(0)
	s_waitcnt_vscnt null, 0x0
	s_barrier
	buffer_gl0_inv
	s_clause 0x1
	scratch_load_b128 v[88:91], off, off offset:312
	scratch_load_b64 v[96:97], off, off offset:328
	ds_load_b128 v[92:95], v1 offset:656
	s_mov_b32 s0, exec_lo
	s_waitcnt vmcnt(1) lgkmcnt(0)
	v_fma_f64 v[1:2], v[90:91], v[92:93], 0
	s_waitcnt vmcnt(0)
	s_delay_alu instid0(VALU_DEP_1) | instskip(NEXT) | instid1(VALU_DEP_1)
	v_fma_f64 v[1:2], v[96:97], v[94:95], v[1:2]
	v_add_f64 v[1:2], v[88:89], -v[1:2]
	scratch_store_b64 off, v[1:2], off offset:312
	v_cmpx_lt_u32_e32 38, v0
	s_cbranch_execz .LBB105_185
; %bb.184:
	scratch_load_b64 v[1:2], off, off offset:304
	v_mov_b32_e32 v88, 0
	s_delay_alu instid0(VALU_DEP_1)
	v_mov_b32_e32 v89, v88
	scratch_store_b64 off, v[88:89], off offset:304
	s_waitcnt vmcnt(0)
	ds_store_b64 v3, v[1:2]
.LBB105_185:
	s_or_b32 exec_lo, exec_lo, s0
	s_waitcnt lgkmcnt(0)
	s_waitcnt_vscnt null, 0x0
	s_barrier
	buffer_gl0_inv
	s_clause 0x1
	scratch_load_b128 v[88:91], off, off offset:304
	scratch_load_b128 v[92:95], off, off offset:320
	v_mov_b32_e32 v1, 0
	ds_load_2addr_b64 v[96:99], v1 offset0:81 offset1:82
	ds_load_b64 v[100:101], v1 offset:664
	s_mov_b32 s0, exec_lo
	s_waitcnt vmcnt(1) lgkmcnt(1)
	v_fma_f64 v[90:91], v[90:91], v[96:97], 0
	s_waitcnt vmcnt(0)
	s_delay_alu instid0(VALU_DEP_1) | instskip(SKIP_1) | instid1(VALU_DEP_1)
	v_fma_f64 v[90:91], v[92:93], v[98:99], v[90:91]
	s_waitcnt lgkmcnt(0)
	v_fma_f64 v[90:91], v[94:95], v[100:101], v[90:91]
	s_delay_alu instid0(VALU_DEP_1)
	v_add_f64 v[88:89], v[88:89], -v[90:91]
	scratch_store_b64 off, v[88:89], off offset:304
	v_cmpx_lt_u32_e32 37, v0
	s_cbranch_execz .LBB105_187
; %bb.186:
	scratch_load_b64 v[88:89], off, off offset:296
	v_mov_b32_e32 v2, v1
	scratch_store_b64 off, v[1:2], off offset:296
	s_waitcnt vmcnt(0)
	ds_store_b64 v3, v[88:89]
.LBB105_187:
	s_or_b32 exec_lo, exec_lo, s0
	s_waitcnt lgkmcnt(0)
	s_waitcnt_vscnt null, 0x0
	s_barrier
	buffer_gl0_inv
	s_clause 0x2
	scratch_load_b128 v[88:91], off, off offset:296
	scratch_load_b128 v[92:95], off, off offset:312
	scratch_load_b64 v[104:105], off, off offset:328
	ds_load_b128 v[96:99], v1 offset:640
	ds_load_b128 v[100:103], v1 offset:656
	s_mov_b32 s0, exec_lo
	s_waitcnt vmcnt(2) lgkmcnt(1)
	v_fma_f64 v[1:2], v[90:91], v[96:97], 0
	s_waitcnt vmcnt(1)
	s_delay_alu instid0(VALU_DEP_1) | instskip(SKIP_1) | instid1(VALU_DEP_1)
	v_fma_f64 v[1:2], v[92:93], v[98:99], v[1:2]
	s_waitcnt lgkmcnt(0)
	v_fma_f64 v[1:2], v[94:95], v[100:101], v[1:2]
	s_waitcnt vmcnt(0)
	s_delay_alu instid0(VALU_DEP_1) | instskip(NEXT) | instid1(VALU_DEP_1)
	v_fma_f64 v[1:2], v[104:105], v[102:103], v[1:2]
	v_add_f64 v[1:2], v[88:89], -v[1:2]
	scratch_store_b64 off, v[1:2], off offset:296
	v_cmpx_lt_u32_e32 36, v0
	s_cbranch_execz .LBB105_189
; %bb.188:
	scratch_load_b64 v[1:2], off, off offset:288
	v_mov_b32_e32 v88, 0
	s_delay_alu instid0(VALU_DEP_1)
	v_mov_b32_e32 v89, v88
	scratch_store_b64 off, v[88:89], off offset:288
	s_waitcnt vmcnt(0)
	ds_store_b64 v3, v[1:2]
.LBB105_189:
	s_or_b32 exec_lo, exec_lo, s0
	s_waitcnt lgkmcnt(0)
	s_waitcnt_vscnt null, 0x0
	s_barrier
	buffer_gl0_inv
	s_clause 0x2
	scratch_load_b128 v[88:91], off, off offset:288
	scratch_load_b128 v[92:95], off, off offset:304
	;; [unrolled: 1-line block ×3, first 2 shown]
	v_mov_b32_e32 v1, 0
	ds_load_2addr_b64 v[100:103], v1 offset0:79 offset1:80
	ds_load_2addr_b64 v[104:107], v1 offset0:81 offset1:82
	s_mov_b32 s0, exec_lo
	s_waitcnt vmcnt(2) lgkmcnt(1)
	v_fma_f64 v[90:91], v[90:91], v[100:101], 0
	s_waitcnt vmcnt(1)
	s_delay_alu instid0(VALU_DEP_1) | instskip(SKIP_4) | instid1(VALU_DEP_1)
	v_fma_f64 v[90:91], v[92:93], v[102:103], v[90:91]
	ds_load_b64 v[92:93], v1 offset:664
	s_waitcnt lgkmcnt(1)
	v_fma_f64 v[90:91], v[94:95], v[104:105], v[90:91]
	s_waitcnt vmcnt(0)
	v_fma_f64 v[90:91], v[96:97], v[106:107], v[90:91]
	s_waitcnt lgkmcnt(0)
	s_delay_alu instid0(VALU_DEP_1) | instskip(NEXT) | instid1(VALU_DEP_1)
	v_fma_f64 v[90:91], v[98:99], v[92:93], v[90:91]
	v_add_f64 v[88:89], v[88:89], -v[90:91]
	scratch_store_b64 off, v[88:89], off offset:288
	v_cmpx_lt_u32_e32 35, v0
	s_cbranch_execz .LBB105_191
; %bb.190:
	scratch_load_b64 v[88:89], off, off offset:280
	v_mov_b32_e32 v2, v1
	scratch_store_b64 off, v[1:2], off offset:280
	s_waitcnt vmcnt(0)
	ds_store_b64 v3, v[88:89]
.LBB105_191:
	s_or_b32 exec_lo, exec_lo, s0
	s_waitcnt lgkmcnt(0)
	s_waitcnt_vscnt null, 0x0
	s_barrier
	buffer_gl0_inv
	s_clause 0x3
	scratch_load_b128 v[88:91], off, off offset:280
	scratch_load_b128 v[92:95], off, off offset:296
	;; [unrolled: 1-line block ×3, first 2 shown]
	scratch_load_b64 v[108:109], off, off offset:328
	ds_load_b128 v[100:103], v1 offset:624
	ds_load_b128 v[104:107], v1 offset:640
	s_mov_b32 s0, exec_lo
	s_waitcnt vmcnt(3) lgkmcnt(1)
	v_fma_f64 v[90:91], v[90:91], v[100:101], 0
	s_waitcnt vmcnt(2)
	s_delay_alu instid0(VALU_DEP_1) | instskip(SKIP_1) | instid1(VALU_DEP_1)
	v_fma_f64 v[90:91], v[92:93], v[102:103], v[90:91]
	s_waitcnt lgkmcnt(0)
	v_fma_f64 v[90:91], v[94:95], v[104:105], v[90:91]
	s_waitcnt vmcnt(1)
	s_delay_alu instid0(VALU_DEP_1) | instskip(SKIP_4) | instid1(VALU_DEP_1)
	v_fma_f64 v[94:95], v[96:97], v[106:107], v[90:91]
	ds_load_b128 v[90:93], v1 offset:656
	s_waitcnt lgkmcnt(0)
	v_fma_f64 v[1:2], v[98:99], v[90:91], v[94:95]
	s_waitcnt vmcnt(0)
	v_fma_f64 v[1:2], v[108:109], v[92:93], v[1:2]
	s_delay_alu instid0(VALU_DEP_1)
	v_add_f64 v[1:2], v[88:89], -v[1:2]
	scratch_store_b64 off, v[1:2], off offset:280
	v_cmpx_lt_u32_e32 34, v0
	s_cbranch_execz .LBB105_193
; %bb.192:
	scratch_load_b64 v[1:2], off, off offset:272
	v_mov_b32_e32 v88, 0
	s_delay_alu instid0(VALU_DEP_1)
	v_mov_b32_e32 v89, v88
	scratch_store_b64 off, v[88:89], off offset:272
	s_waitcnt vmcnt(0)
	ds_store_b64 v3, v[1:2]
.LBB105_193:
	s_or_b32 exec_lo, exec_lo, s0
	s_waitcnt lgkmcnt(0)
	s_waitcnt_vscnt null, 0x0
	s_barrier
	buffer_gl0_inv
	s_clause 0x3
	scratch_load_b128 v[88:91], off, off offset:272
	scratch_load_b128 v[92:95], off, off offset:288
	;; [unrolled: 1-line block ×4, first 2 shown]
	v_mov_b32_e32 v1, 0
	ds_load_2addr_b64 v[104:107], v1 offset0:77 offset1:78
	ds_load_2addr_b64 v[108:111], v1 offset0:79 offset1:80
	s_mov_b32 s0, exec_lo
	s_waitcnt vmcnt(3) lgkmcnt(1)
	v_fma_f64 v[90:91], v[90:91], v[104:105], 0
	s_waitcnt vmcnt(2)
	s_delay_alu instid0(VALU_DEP_1) | instskip(SKIP_1) | instid1(VALU_DEP_1)
	v_fma_f64 v[90:91], v[92:93], v[106:107], v[90:91]
	s_waitcnt lgkmcnt(0)
	v_fma_f64 v[90:91], v[94:95], v[108:109], v[90:91]
	s_waitcnt vmcnt(1)
	s_delay_alu instid0(VALU_DEP_1)
	v_fma_f64 v[94:95], v[96:97], v[110:111], v[90:91]
	ds_load_2addr_b64 v[90:93], v1 offset0:81 offset1:82
	ds_load_b64 v[96:97], v1 offset:664
	s_waitcnt lgkmcnt(1)
	v_fma_f64 v[90:91], v[98:99], v[90:91], v[94:95]
	s_waitcnt vmcnt(0)
	s_delay_alu instid0(VALU_DEP_1) | instskip(SKIP_1) | instid1(VALU_DEP_1)
	v_fma_f64 v[90:91], v[100:101], v[92:93], v[90:91]
	s_waitcnt lgkmcnt(0)
	v_fma_f64 v[90:91], v[102:103], v[96:97], v[90:91]
	s_delay_alu instid0(VALU_DEP_1)
	v_add_f64 v[88:89], v[88:89], -v[90:91]
	scratch_store_b64 off, v[88:89], off offset:272
	v_cmpx_lt_u32_e32 33, v0
	s_cbranch_execz .LBB105_195
; %bb.194:
	scratch_load_b64 v[88:89], off, off offset:264
	v_mov_b32_e32 v2, v1
	scratch_store_b64 off, v[1:2], off offset:264
	s_waitcnt vmcnt(0)
	ds_store_b64 v3, v[88:89]
.LBB105_195:
	s_or_b32 exec_lo, exec_lo, s0
	s_waitcnt lgkmcnt(0)
	s_waitcnt_vscnt null, 0x0
	s_barrier
	buffer_gl0_inv
	s_clause 0x4
	scratch_load_b128 v[88:91], off, off offset:264
	scratch_load_b128 v[92:95], off, off offset:280
	scratch_load_b128 v[96:99], off, off offset:296
	scratch_load_b128 v[100:103], off, off offset:312
	scratch_load_b64 v[112:113], off, off offset:328
	ds_load_b128 v[104:107], v1 offset:608
	ds_load_b128 v[108:111], v1 offset:624
	s_mov_b32 s0, exec_lo
	s_waitcnt vmcnt(4) lgkmcnt(1)
	v_fma_f64 v[90:91], v[90:91], v[104:105], 0
	s_waitcnt vmcnt(3)
	s_delay_alu instid0(VALU_DEP_1) | instskip(SKIP_1) | instid1(VALU_DEP_1)
	v_fma_f64 v[90:91], v[92:93], v[106:107], v[90:91]
	s_waitcnt lgkmcnt(0)
	v_fma_f64 v[90:91], v[94:95], v[108:109], v[90:91]
	s_waitcnt vmcnt(2)
	s_delay_alu instid0(VALU_DEP_1)
	v_fma_f64 v[104:105], v[96:97], v[110:111], v[90:91]
	ds_load_b128 v[90:93], v1 offset:640
	ds_load_b128 v[94:97], v1 offset:656
	s_waitcnt lgkmcnt(1)
	v_fma_f64 v[1:2], v[98:99], v[90:91], v[104:105]
	s_waitcnt vmcnt(1)
	s_delay_alu instid0(VALU_DEP_1) | instskip(SKIP_1) | instid1(VALU_DEP_1)
	v_fma_f64 v[1:2], v[100:101], v[92:93], v[1:2]
	s_waitcnt lgkmcnt(0)
	v_fma_f64 v[1:2], v[102:103], v[94:95], v[1:2]
	s_waitcnt vmcnt(0)
	s_delay_alu instid0(VALU_DEP_1) | instskip(NEXT) | instid1(VALU_DEP_1)
	v_fma_f64 v[1:2], v[112:113], v[96:97], v[1:2]
	v_add_f64 v[1:2], v[88:89], -v[1:2]
	scratch_store_b64 off, v[1:2], off offset:264
	v_cmpx_lt_u32_e32 32, v0
	s_cbranch_execz .LBB105_197
; %bb.196:
	scratch_load_b64 v[1:2], off, off offset:256
	v_mov_b32_e32 v88, 0
	s_delay_alu instid0(VALU_DEP_1)
	v_mov_b32_e32 v89, v88
	scratch_store_b64 off, v[88:89], off offset:256
	s_waitcnt vmcnt(0)
	ds_store_b64 v3, v[1:2]
.LBB105_197:
	s_or_b32 exec_lo, exec_lo, s0
	s_waitcnt lgkmcnt(0)
	s_waitcnt_vscnt null, 0x0
	s_barrier
	buffer_gl0_inv
	s_clause 0x4
	scratch_load_b128 v[88:91], off, off offset:256
	scratch_load_b128 v[92:95], off, off offset:272
	scratch_load_b128 v[96:99], off, off offset:288
	scratch_load_b128 v[100:103], off, off offset:304
	scratch_load_b128 v[104:107], off, off offset:320
	v_mov_b32_e32 v1, 0
	ds_load_2addr_b64 v[108:111], v1 offset0:75 offset1:76
	ds_load_2addr_b64 v[112:115], v1 offset0:77 offset1:78
	s_mov_b32 s0, exec_lo
	s_waitcnt vmcnt(4) lgkmcnt(1)
	v_fma_f64 v[90:91], v[90:91], v[108:109], 0
	s_waitcnt vmcnt(3)
	s_delay_alu instid0(VALU_DEP_1) | instskip(SKIP_1) | instid1(VALU_DEP_1)
	v_fma_f64 v[90:91], v[92:93], v[110:111], v[90:91]
	s_waitcnt lgkmcnt(0)
	v_fma_f64 v[90:91], v[94:95], v[112:113], v[90:91]
	s_waitcnt vmcnt(2)
	s_delay_alu instid0(VALU_DEP_1)
	v_fma_f64 v[108:109], v[96:97], v[114:115], v[90:91]
	ds_load_2addr_b64 v[90:93], v1 offset0:79 offset1:80
	ds_load_2addr_b64 v[94:97], v1 offset0:81 offset1:82
	s_waitcnt lgkmcnt(1)
	v_fma_f64 v[90:91], v[98:99], v[90:91], v[108:109]
	s_waitcnt vmcnt(1)
	s_delay_alu instid0(VALU_DEP_1) | instskip(SKIP_4) | instid1(VALU_DEP_1)
	v_fma_f64 v[90:91], v[100:101], v[92:93], v[90:91]
	ds_load_b64 v[92:93], v1 offset:664
	s_waitcnt lgkmcnt(1)
	v_fma_f64 v[90:91], v[102:103], v[94:95], v[90:91]
	s_waitcnt vmcnt(0)
	v_fma_f64 v[90:91], v[104:105], v[96:97], v[90:91]
	s_waitcnt lgkmcnt(0)
	s_delay_alu instid0(VALU_DEP_1) | instskip(NEXT) | instid1(VALU_DEP_1)
	v_fma_f64 v[90:91], v[106:107], v[92:93], v[90:91]
	v_add_f64 v[88:89], v[88:89], -v[90:91]
	scratch_store_b64 off, v[88:89], off offset:256
	v_cmpx_lt_u32_e32 31, v0
	s_cbranch_execz .LBB105_199
; %bb.198:
	scratch_load_b64 v[88:89], off, off offset:248
	v_mov_b32_e32 v2, v1
	scratch_store_b64 off, v[1:2], off offset:248
	s_waitcnt vmcnt(0)
	ds_store_b64 v3, v[88:89]
.LBB105_199:
	s_or_b32 exec_lo, exec_lo, s0
	s_waitcnt lgkmcnt(0)
	s_waitcnt_vscnt null, 0x0
	s_barrier
	buffer_gl0_inv
	s_clause 0x4
	scratch_load_b128 v[88:91], off, off offset:248
	scratch_load_b128 v[92:95], off, off offset:264
	;; [unrolled: 1-line block ×5, first 2 shown]
	ds_load_b128 v[108:111], v1 offset:592
	ds_load_b128 v[112:115], v1 offset:608
	s_mov_b32 s0, exec_lo
	s_waitcnt vmcnt(4) lgkmcnt(1)
	v_fma_f64 v[90:91], v[90:91], v[108:109], 0
	scratch_load_b64 v[108:109], off, off offset:328
	s_waitcnt vmcnt(4)
	v_fma_f64 v[90:91], v[92:93], v[110:111], v[90:91]
	s_waitcnt lgkmcnt(0)
	s_delay_alu instid0(VALU_DEP_1) | instskip(SKIP_1) | instid1(VALU_DEP_1)
	v_fma_f64 v[90:91], v[94:95], v[112:113], v[90:91]
	s_waitcnt vmcnt(3)
	v_fma_f64 v[110:111], v[96:97], v[114:115], v[90:91]
	ds_load_b128 v[90:93], v1 offset:624
	ds_load_b128 v[94:97], v1 offset:640
	s_waitcnt lgkmcnt(1)
	v_fma_f64 v[90:91], v[98:99], v[90:91], v[110:111]
	s_waitcnt vmcnt(2)
	s_delay_alu instid0(VALU_DEP_1) | instskip(SKIP_1) | instid1(VALU_DEP_1)
	v_fma_f64 v[90:91], v[100:101], v[92:93], v[90:91]
	s_waitcnt lgkmcnt(0)
	v_fma_f64 v[90:91], v[102:103], v[94:95], v[90:91]
	s_waitcnt vmcnt(1)
	s_delay_alu instid0(VALU_DEP_1) | instskip(SKIP_4) | instid1(VALU_DEP_1)
	v_fma_f64 v[94:95], v[104:105], v[96:97], v[90:91]
	ds_load_b128 v[90:93], v1 offset:656
	s_waitcnt lgkmcnt(0)
	v_fma_f64 v[1:2], v[106:107], v[90:91], v[94:95]
	s_waitcnt vmcnt(0)
	v_fma_f64 v[1:2], v[108:109], v[92:93], v[1:2]
	s_delay_alu instid0(VALU_DEP_1)
	v_add_f64 v[1:2], v[88:89], -v[1:2]
	scratch_store_b64 off, v[1:2], off offset:248
	v_cmpx_lt_u32_e32 30, v0
	s_cbranch_execz .LBB105_201
; %bb.200:
	scratch_load_b64 v[1:2], off, off offset:240
	v_mov_b32_e32 v88, 0
	s_delay_alu instid0(VALU_DEP_1)
	v_mov_b32_e32 v89, v88
	scratch_store_b64 off, v[88:89], off offset:240
	s_waitcnt vmcnt(0)
	ds_store_b64 v3, v[1:2]
.LBB105_201:
	s_or_b32 exec_lo, exec_lo, s0
	s_waitcnt lgkmcnt(0)
	s_waitcnt_vscnt null, 0x0
	s_barrier
	buffer_gl0_inv
	s_clause 0x4
	scratch_load_b128 v[88:91], off, off offset:240
	scratch_load_b128 v[92:95], off, off offset:256
	;; [unrolled: 1-line block ×5, first 2 shown]
	v_mov_b32_e32 v1, 0
	ds_load_2addr_b64 v[108:111], v1 offset0:73 offset1:74
	ds_load_2addr_b64 v[112:115], v1 offset0:75 offset1:76
	scratch_load_b128 v[116:119], off, off offset:320
	s_mov_b32 s0, exec_lo
	s_waitcnt vmcnt(5) lgkmcnt(1)
	v_fma_f64 v[90:91], v[90:91], v[108:109], 0
	s_waitcnt vmcnt(4)
	s_delay_alu instid0(VALU_DEP_1) | instskip(SKIP_1) | instid1(VALU_DEP_1)
	v_fma_f64 v[90:91], v[92:93], v[110:111], v[90:91]
	s_waitcnt lgkmcnt(0)
	v_fma_f64 v[90:91], v[94:95], v[112:113], v[90:91]
	s_waitcnt vmcnt(3)
	s_delay_alu instid0(VALU_DEP_1)
	v_fma_f64 v[108:109], v[96:97], v[114:115], v[90:91]
	ds_load_2addr_b64 v[90:93], v1 offset0:77 offset1:78
	ds_load_2addr_b64 v[94:97], v1 offset0:79 offset1:80
	s_waitcnt lgkmcnt(1)
	v_fma_f64 v[90:91], v[98:99], v[90:91], v[108:109]
	s_waitcnt vmcnt(2)
	s_delay_alu instid0(VALU_DEP_1) | instskip(SKIP_1) | instid1(VALU_DEP_1)
	v_fma_f64 v[90:91], v[100:101], v[92:93], v[90:91]
	s_waitcnt lgkmcnt(0)
	v_fma_f64 v[90:91], v[102:103], v[94:95], v[90:91]
	s_waitcnt vmcnt(1)
	s_delay_alu instid0(VALU_DEP_1)
	v_fma_f64 v[94:95], v[104:105], v[96:97], v[90:91]
	ds_load_2addr_b64 v[90:93], v1 offset0:81 offset1:82
	ds_load_b64 v[96:97], v1 offset:664
	s_waitcnt lgkmcnt(1)
	v_fma_f64 v[90:91], v[106:107], v[90:91], v[94:95]
	s_waitcnt vmcnt(0)
	s_delay_alu instid0(VALU_DEP_1) | instskip(SKIP_1) | instid1(VALU_DEP_1)
	v_fma_f64 v[90:91], v[116:117], v[92:93], v[90:91]
	s_waitcnt lgkmcnt(0)
	v_fma_f64 v[90:91], v[118:119], v[96:97], v[90:91]
	s_delay_alu instid0(VALU_DEP_1)
	v_add_f64 v[88:89], v[88:89], -v[90:91]
	scratch_store_b64 off, v[88:89], off offset:240
	v_cmpx_lt_u32_e32 29, v0
	s_cbranch_execz .LBB105_203
; %bb.202:
	scratch_load_b64 v[88:89], off, off offset:232
	v_mov_b32_e32 v2, v1
	scratch_store_b64 off, v[1:2], off offset:232
	s_waitcnt vmcnt(0)
	ds_store_b64 v3, v[88:89]
.LBB105_203:
	s_or_b32 exec_lo, exec_lo, s0
	s_waitcnt lgkmcnt(0)
	s_waitcnt_vscnt null, 0x0
	s_barrier
	buffer_gl0_inv
	s_clause 0x4
	scratch_load_b128 v[88:91], off, off offset:232
	scratch_load_b128 v[92:95], off, off offset:248
	;; [unrolled: 1-line block ×5, first 2 shown]
	ds_load_b128 v[108:111], v1 offset:576
	ds_load_b128 v[112:115], v1 offset:592
	scratch_load_b128 v[116:119], off, off offset:312
	s_mov_b32 s0, exec_lo
	s_waitcnt vmcnt(5) lgkmcnt(1)
	v_fma_f64 v[90:91], v[90:91], v[108:109], 0
	scratch_load_b64 v[108:109], off, off offset:328
	s_waitcnt vmcnt(5)
	v_fma_f64 v[90:91], v[92:93], v[110:111], v[90:91]
	s_waitcnt lgkmcnt(0)
	s_delay_alu instid0(VALU_DEP_1) | instskip(SKIP_1) | instid1(VALU_DEP_1)
	v_fma_f64 v[90:91], v[94:95], v[112:113], v[90:91]
	s_waitcnt vmcnt(4)
	v_fma_f64 v[110:111], v[96:97], v[114:115], v[90:91]
	ds_load_b128 v[90:93], v1 offset:608
	ds_load_b128 v[94:97], v1 offset:624
	s_waitcnt lgkmcnt(1)
	v_fma_f64 v[90:91], v[98:99], v[90:91], v[110:111]
	s_waitcnt vmcnt(3)
	s_delay_alu instid0(VALU_DEP_1) | instskip(SKIP_1) | instid1(VALU_DEP_1)
	v_fma_f64 v[90:91], v[100:101], v[92:93], v[90:91]
	s_waitcnt lgkmcnt(0)
	v_fma_f64 v[90:91], v[102:103], v[94:95], v[90:91]
	s_waitcnt vmcnt(2)
	s_delay_alu instid0(VALU_DEP_1)
	v_fma_f64 v[98:99], v[104:105], v[96:97], v[90:91]
	ds_load_b128 v[90:93], v1 offset:640
	ds_load_b128 v[94:97], v1 offset:656
	s_waitcnt lgkmcnt(1)
	v_fma_f64 v[1:2], v[106:107], v[90:91], v[98:99]
	s_waitcnt vmcnt(1)
	s_delay_alu instid0(VALU_DEP_1) | instskip(SKIP_1) | instid1(VALU_DEP_1)
	v_fma_f64 v[1:2], v[116:117], v[92:93], v[1:2]
	s_waitcnt lgkmcnt(0)
	v_fma_f64 v[1:2], v[118:119], v[94:95], v[1:2]
	s_waitcnt vmcnt(0)
	s_delay_alu instid0(VALU_DEP_1) | instskip(NEXT) | instid1(VALU_DEP_1)
	v_fma_f64 v[1:2], v[108:109], v[96:97], v[1:2]
	v_add_f64 v[1:2], v[88:89], -v[1:2]
	scratch_store_b64 off, v[1:2], off offset:232
	v_cmpx_lt_u32_e32 28, v0
	s_cbranch_execz .LBB105_205
; %bb.204:
	scratch_load_b64 v[1:2], off, off offset:224
	v_mov_b32_e32 v88, 0
	s_delay_alu instid0(VALU_DEP_1)
	v_mov_b32_e32 v89, v88
	scratch_store_b64 off, v[88:89], off offset:224
	s_waitcnt vmcnt(0)
	ds_store_b64 v3, v[1:2]
.LBB105_205:
	s_or_b32 exec_lo, exec_lo, s0
	s_waitcnt lgkmcnt(0)
	s_waitcnt_vscnt null, 0x0
	s_barrier
	buffer_gl0_inv
	s_clause 0x4
	scratch_load_b128 v[88:91], off, off offset:224
	scratch_load_b128 v[92:95], off, off offset:240
	;; [unrolled: 1-line block ×5, first 2 shown]
	v_mov_b32_e32 v1, 0
	ds_load_2addr_b64 v[108:111], v1 offset0:71 offset1:72
	ds_load_2addr_b64 v[112:115], v1 offset0:73 offset1:74
	scratch_load_b128 v[116:119], off, off offset:304
	s_mov_b32 s0, exec_lo
	s_waitcnt vmcnt(5) lgkmcnt(1)
	v_fma_f64 v[90:91], v[90:91], v[108:109], 0
	s_waitcnt vmcnt(4)
	s_delay_alu instid0(VALU_DEP_1) | instskip(SKIP_1) | instid1(VALU_DEP_1)
	v_fma_f64 v[90:91], v[92:93], v[110:111], v[90:91]
	s_waitcnt lgkmcnt(0)
	v_fma_f64 v[94:95], v[94:95], v[112:113], v[90:91]
	scratch_load_b128 v[90:93], off, off offset:320
	s_waitcnt vmcnt(4)
	v_fma_f64 v[112:113], v[96:97], v[114:115], v[94:95]
	ds_load_2addr_b64 v[94:97], v1 offset0:75 offset1:76
	ds_load_2addr_b64 v[108:111], v1 offset0:77 offset1:78
	s_waitcnt lgkmcnt(1)
	v_fma_f64 v[94:95], v[98:99], v[94:95], v[112:113]
	s_waitcnt vmcnt(3)
	s_delay_alu instid0(VALU_DEP_1) | instskip(SKIP_1) | instid1(VALU_DEP_1)
	v_fma_f64 v[94:95], v[100:101], v[96:97], v[94:95]
	s_waitcnt lgkmcnt(0)
	v_fma_f64 v[94:95], v[102:103], v[108:109], v[94:95]
	s_waitcnt vmcnt(2)
	s_delay_alu instid0(VALU_DEP_1)
	v_fma_f64 v[102:103], v[104:105], v[110:111], v[94:95]
	ds_load_2addr_b64 v[94:97], v1 offset0:79 offset1:80
	ds_load_2addr_b64 v[98:101], v1 offset0:81 offset1:82
	s_waitcnt lgkmcnt(1)
	v_fma_f64 v[94:95], v[106:107], v[94:95], v[102:103]
	s_waitcnt vmcnt(1)
	s_delay_alu instid0(VALU_DEP_1) | instskip(SKIP_1) | instid1(VALU_DEP_1)
	v_fma_f64 v[94:95], v[116:117], v[96:97], v[94:95]
	s_waitcnt lgkmcnt(0)
	v_fma_f64 v[94:95], v[118:119], v[98:99], v[94:95]
	s_waitcnt vmcnt(0)
	s_delay_alu instid0(VALU_DEP_1) | instskip(SKIP_3) | instid1(VALU_DEP_1)
	v_fma_f64 v[90:91], v[90:91], v[100:101], v[94:95]
	ds_load_b64 v[94:95], v1 offset:664
	s_waitcnt lgkmcnt(0)
	v_fma_f64 v[90:91], v[92:93], v[94:95], v[90:91]
	v_add_f64 v[88:89], v[88:89], -v[90:91]
	scratch_store_b64 off, v[88:89], off offset:224
	v_cmpx_lt_u32_e32 27, v0
	s_cbranch_execz .LBB105_207
; %bb.206:
	scratch_load_b64 v[88:89], off, off offset:216
	v_mov_b32_e32 v2, v1
	scratch_store_b64 off, v[1:2], off offset:216
	s_waitcnt vmcnt(0)
	ds_store_b64 v3, v[88:89]
.LBB105_207:
	s_or_b32 exec_lo, exec_lo, s0
	s_waitcnt lgkmcnt(0)
	s_waitcnt_vscnt null, 0x0
	s_barrier
	buffer_gl0_inv
	s_clause 0x4
	scratch_load_b128 v[88:91], off, off offset:216
	scratch_load_b128 v[92:95], off, off offset:232
	;; [unrolled: 1-line block ×5, first 2 shown]
	ds_load_b128 v[108:111], v1 offset:560
	ds_load_b128 v[112:115], v1 offset:576
	scratch_load_b128 v[116:119], off, off offset:296
	s_mov_b32 s0, exec_lo
	s_waitcnt vmcnt(5) lgkmcnt(1)
	v_fma_f64 v[90:91], v[90:91], v[108:109], 0
	s_waitcnt vmcnt(4)
	s_delay_alu instid0(VALU_DEP_1) | instskip(SKIP_1) | instid1(VALU_DEP_1)
	v_fma_f64 v[90:91], v[92:93], v[110:111], v[90:91]
	s_waitcnt lgkmcnt(0)
	v_fma_f64 v[94:95], v[94:95], v[112:113], v[90:91]
	scratch_load_b128 v[90:93], off, off offset:312
	s_waitcnt vmcnt(4)
	v_fma_f64 v[112:113], v[96:97], v[114:115], v[94:95]
	ds_load_b128 v[94:97], v1 offset:592
	ds_load_b128 v[108:111], v1 offset:608
	s_waitcnt lgkmcnt(1)
	v_fma_f64 v[94:95], v[98:99], v[94:95], v[112:113]
	scratch_load_b64 v[112:113], off, off offset:328
	s_waitcnt vmcnt(4)
	v_fma_f64 v[94:95], v[100:101], v[96:97], v[94:95]
	s_waitcnt lgkmcnt(0)
	s_delay_alu instid0(VALU_DEP_1) | instskip(SKIP_1) | instid1(VALU_DEP_1)
	v_fma_f64 v[94:95], v[102:103], v[108:109], v[94:95]
	s_waitcnt vmcnt(3)
	v_fma_f64 v[102:103], v[104:105], v[110:111], v[94:95]
	ds_load_b128 v[94:97], v1 offset:624
	ds_load_b128 v[98:101], v1 offset:640
	s_waitcnt lgkmcnt(1)
	v_fma_f64 v[94:95], v[106:107], v[94:95], v[102:103]
	s_waitcnt vmcnt(2)
	s_delay_alu instid0(VALU_DEP_1) | instskip(SKIP_1) | instid1(VALU_DEP_1)
	v_fma_f64 v[94:95], v[116:117], v[96:97], v[94:95]
	s_waitcnt lgkmcnt(0)
	v_fma_f64 v[94:95], v[118:119], v[98:99], v[94:95]
	s_waitcnt vmcnt(1)
	s_delay_alu instid0(VALU_DEP_1) | instskip(SKIP_4) | instid1(VALU_DEP_1)
	v_fma_f64 v[90:91], v[90:91], v[100:101], v[94:95]
	ds_load_b128 v[94:97], v1 offset:656
	s_waitcnt lgkmcnt(0)
	v_fma_f64 v[1:2], v[92:93], v[94:95], v[90:91]
	s_waitcnt vmcnt(0)
	v_fma_f64 v[1:2], v[112:113], v[96:97], v[1:2]
	s_delay_alu instid0(VALU_DEP_1)
	v_add_f64 v[1:2], v[88:89], -v[1:2]
	scratch_store_b64 off, v[1:2], off offset:216
	v_cmpx_lt_u32_e32 26, v0
	s_cbranch_execz .LBB105_209
; %bb.208:
	scratch_load_b64 v[1:2], off, off offset:208
	v_mov_b32_e32 v88, 0
	s_delay_alu instid0(VALU_DEP_1)
	v_mov_b32_e32 v89, v88
	scratch_store_b64 off, v[88:89], off offset:208
	s_waitcnt vmcnt(0)
	ds_store_b64 v3, v[1:2]
.LBB105_209:
	s_or_b32 exec_lo, exec_lo, s0
	s_waitcnt lgkmcnt(0)
	s_waitcnt_vscnt null, 0x0
	s_barrier
	buffer_gl0_inv
	s_clause 0x4
	scratch_load_b128 v[88:91], off, off offset:208
	scratch_load_b128 v[92:95], off, off offset:224
	;; [unrolled: 1-line block ×5, first 2 shown]
	v_mov_b32_e32 v1, 0
	ds_load_2addr_b64 v[108:111], v1 offset0:69 offset1:70
	ds_load_2addr_b64 v[112:115], v1 offset0:71 offset1:72
	scratch_load_b128 v[116:119], off, off offset:288
	s_mov_b32 s0, exec_lo
	s_waitcnt vmcnt(5) lgkmcnt(1)
	v_fma_f64 v[90:91], v[90:91], v[108:109], 0
	s_waitcnt vmcnt(4)
	s_delay_alu instid0(VALU_DEP_1) | instskip(SKIP_1) | instid1(VALU_DEP_1)
	v_fma_f64 v[90:91], v[92:93], v[110:111], v[90:91]
	s_waitcnt lgkmcnt(0)
	v_fma_f64 v[94:95], v[94:95], v[112:113], v[90:91]
	scratch_load_b128 v[90:93], off, off offset:304
	s_waitcnt vmcnt(4)
	v_fma_f64 v[112:113], v[96:97], v[114:115], v[94:95]
	ds_load_2addr_b64 v[94:97], v1 offset0:73 offset1:74
	ds_load_2addr_b64 v[108:111], v1 offset0:75 offset1:76
	s_waitcnt lgkmcnt(1)
	v_fma_f64 v[94:95], v[98:99], v[94:95], v[112:113]
	scratch_load_b128 v[112:115], off, off offset:320
	s_waitcnt vmcnt(4)
	v_fma_f64 v[94:95], v[100:101], v[96:97], v[94:95]
	s_waitcnt lgkmcnt(0)
	s_delay_alu instid0(VALU_DEP_1) | instskip(SKIP_1) | instid1(VALU_DEP_1)
	v_fma_f64 v[94:95], v[102:103], v[108:109], v[94:95]
	s_waitcnt vmcnt(3)
	v_fma_f64 v[102:103], v[104:105], v[110:111], v[94:95]
	ds_load_2addr_b64 v[94:97], v1 offset0:77 offset1:78
	ds_load_2addr_b64 v[98:101], v1 offset0:79 offset1:80
	s_waitcnt lgkmcnt(1)
	v_fma_f64 v[94:95], v[106:107], v[94:95], v[102:103]
	s_waitcnt vmcnt(2)
	s_delay_alu instid0(VALU_DEP_1) | instskip(SKIP_1) | instid1(VALU_DEP_1)
	v_fma_f64 v[94:95], v[116:117], v[96:97], v[94:95]
	s_waitcnt lgkmcnt(0)
	v_fma_f64 v[94:95], v[118:119], v[98:99], v[94:95]
	s_waitcnt vmcnt(1)
	s_delay_alu instid0(VALU_DEP_1)
	v_fma_f64 v[90:91], v[90:91], v[100:101], v[94:95]
	ds_load_2addr_b64 v[94:97], v1 offset0:81 offset1:82
	ds_load_b64 v[98:99], v1 offset:664
	s_waitcnt lgkmcnt(1)
	v_fma_f64 v[90:91], v[92:93], v[94:95], v[90:91]
	s_waitcnt vmcnt(0)
	s_delay_alu instid0(VALU_DEP_1) | instskip(SKIP_1) | instid1(VALU_DEP_1)
	v_fma_f64 v[90:91], v[112:113], v[96:97], v[90:91]
	s_waitcnt lgkmcnt(0)
	v_fma_f64 v[90:91], v[114:115], v[98:99], v[90:91]
	s_delay_alu instid0(VALU_DEP_1)
	v_add_f64 v[88:89], v[88:89], -v[90:91]
	scratch_store_b64 off, v[88:89], off offset:208
	v_cmpx_lt_u32_e32 25, v0
	s_cbranch_execz .LBB105_211
; %bb.210:
	scratch_load_b64 v[88:89], off, off offset:200
	v_mov_b32_e32 v2, v1
	scratch_store_b64 off, v[1:2], off offset:200
	s_waitcnt vmcnt(0)
	ds_store_b64 v3, v[88:89]
.LBB105_211:
	s_or_b32 exec_lo, exec_lo, s0
	s_waitcnt lgkmcnt(0)
	s_waitcnt_vscnt null, 0x0
	s_barrier
	buffer_gl0_inv
	s_clause 0x4
	scratch_load_b128 v[88:91], off, off offset:200
	scratch_load_b128 v[92:95], off, off offset:216
	;; [unrolled: 1-line block ×5, first 2 shown]
	ds_load_b128 v[108:111], v1 offset:544
	ds_load_b128 v[112:115], v1 offset:560
	scratch_load_b128 v[116:119], off, off offset:280
	s_mov_b32 s0, exec_lo
	s_waitcnt vmcnt(5) lgkmcnt(1)
	v_fma_f64 v[90:91], v[90:91], v[108:109], 0
	s_waitcnt vmcnt(4)
	s_delay_alu instid0(VALU_DEP_1) | instskip(SKIP_1) | instid1(VALU_DEP_1)
	v_fma_f64 v[90:91], v[92:93], v[110:111], v[90:91]
	s_waitcnt lgkmcnt(0)
	v_fma_f64 v[94:95], v[94:95], v[112:113], v[90:91]
	scratch_load_b128 v[90:93], off, off offset:296
	s_waitcnt vmcnt(4)
	v_fma_f64 v[112:113], v[96:97], v[114:115], v[94:95]
	ds_load_b128 v[94:97], v1 offset:576
	ds_load_b128 v[108:111], v1 offset:592
	s_waitcnt lgkmcnt(1)
	v_fma_f64 v[94:95], v[98:99], v[94:95], v[112:113]
	scratch_load_b128 v[112:115], off, off offset:312
	s_waitcnt vmcnt(4)
	v_fma_f64 v[94:95], v[100:101], v[96:97], v[94:95]
	s_waitcnt lgkmcnt(0)
	s_delay_alu instid0(VALU_DEP_1)
	v_fma_f64 v[94:95], v[102:103], v[108:109], v[94:95]
	scratch_load_b64 v[102:103], off, off offset:328
	s_waitcnt vmcnt(4)
	v_fma_f64 v[104:105], v[104:105], v[110:111], v[94:95]
	ds_load_b128 v[94:97], v1 offset:608
	ds_load_b128 v[98:101], v1 offset:624
	s_waitcnt lgkmcnt(1)
	v_fma_f64 v[94:95], v[106:107], v[94:95], v[104:105]
	s_waitcnt vmcnt(3)
	s_delay_alu instid0(VALU_DEP_1) | instskip(SKIP_1) | instid1(VALU_DEP_1)
	v_fma_f64 v[94:95], v[116:117], v[96:97], v[94:95]
	s_waitcnt lgkmcnt(0)
	v_fma_f64 v[94:95], v[118:119], v[98:99], v[94:95]
	s_waitcnt vmcnt(2)
	s_delay_alu instid0(VALU_DEP_1)
	v_fma_f64 v[90:91], v[90:91], v[100:101], v[94:95]
	ds_load_b128 v[94:97], v1 offset:640
	ds_load_b128 v[98:101], v1 offset:656
	s_waitcnt lgkmcnt(1)
	v_fma_f64 v[1:2], v[92:93], v[94:95], v[90:91]
	s_waitcnt vmcnt(1)
	s_delay_alu instid0(VALU_DEP_1) | instskip(SKIP_1) | instid1(VALU_DEP_1)
	v_fma_f64 v[1:2], v[112:113], v[96:97], v[1:2]
	s_waitcnt lgkmcnt(0)
	v_fma_f64 v[1:2], v[114:115], v[98:99], v[1:2]
	s_waitcnt vmcnt(0)
	s_delay_alu instid0(VALU_DEP_1) | instskip(NEXT) | instid1(VALU_DEP_1)
	v_fma_f64 v[1:2], v[102:103], v[100:101], v[1:2]
	v_add_f64 v[1:2], v[88:89], -v[1:2]
	scratch_store_b64 off, v[1:2], off offset:200
	v_cmpx_lt_u32_e32 24, v0
	s_cbranch_execz .LBB105_213
; %bb.212:
	scratch_load_b64 v[1:2], off, off offset:192
	v_mov_b32_e32 v88, 0
	s_delay_alu instid0(VALU_DEP_1)
	v_mov_b32_e32 v89, v88
	scratch_store_b64 off, v[88:89], off offset:192
	s_waitcnt vmcnt(0)
	ds_store_b64 v3, v[1:2]
.LBB105_213:
	s_or_b32 exec_lo, exec_lo, s0
	s_waitcnt lgkmcnt(0)
	s_waitcnt_vscnt null, 0x0
	s_barrier
	buffer_gl0_inv
	s_clause 0x4
	scratch_load_b128 v[88:91], off, off offset:192
	scratch_load_b128 v[92:95], off, off offset:208
	;; [unrolled: 1-line block ×5, first 2 shown]
	v_mov_b32_e32 v1, 0
	ds_load_2addr_b64 v[108:111], v1 offset0:67 offset1:68
	ds_load_2addr_b64 v[112:115], v1 offset0:69 offset1:70
	scratch_load_b128 v[116:119], off, off offset:272
	s_mov_b32 s0, exec_lo
	s_waitcnt vmcnt(5) lgkmcnt(1)
	v_fma_f64 v[90:91], v[90:91], v[108:109], 0
	s_waitcnt vmcnt(4)
	s_delay_alu instid0(VALU_DEP_1) | instskip(SKIP_1) | instid1(VALU_DEP_1)
	v_fma_f64 v[90:91], v[92:93], v[110:111], v[90:91]
	s_waitcnt lgkmcnt(0)
	v_fma_f64 v[94:95], v[94:95], v[112:113], v[90:91]
	scratch_load_b128 v[90:93], off, off offset:288
	s_waitcnt vmcnt(4)
	v_fma_f64 v[112:113], v[96:97], v[114:115], v[94:95]
	ds_load_2addr_b64 v[94:97], v1 offset0:71 offset1:72
	ds_load_2addr_b64 v[108:111], v1 offset0:73 offset1:74
	s_waitcnt lgkmcnt(1)
	v_fma_f64 v[94:95], v[98:99], v[94:95], v[112:113]
	scratch_load_b128 v[112:115], off, off offset:304
	s_waitcnt vmcnt(4)
	v_fma_f64 v[94:95], v[100:101], v[96:97], v[94:95]
	s_waitcnt lgkmcnt(0)
	s_delay_alu instid0(VALU_DEP_1)
	v_fma_f64 v[98:99], v[102:103], v[108:109], v[94:95]
	scratch_load_b128 v[94:97], off, off offset:320
	s_waitcnt vmcnt(4)
	v_fma_f64 v[108:109], v[104:105], v[110:111], v[98:99]
	ds_load_2addr_b64 v[98:101], v1 offset0:75 offset1:76
	ds_load_2addr_b64 v[102:105], v1 offset0:77 offset1:78
	s_waitcnt lgkmcnt(1)
	v_fma_f64 v[98:99], v[106:107], v[98:99], v[108:109]
	s_waitcnt vmcnt(3)
	s_delay_alu instid0(VALU_DEP_1) | instskip(SKIP_1) | instid1(VALU_DEP_1)
	v_fma_f64 v[98:99], v[116:117], v[100:101], v[98:99]
	s_waitcnt lgkmcnt(0)
	v_fma_f64 v[98:99], v[118:119], v[102:103], v[98:99]
	s_waitcnt vmcnt(2)
	s_delay_alu instid0(VALU_DEP_1)
	v_fma_f64 v[90:91], v[90:91], v[104:105], v[98:99]
	ds_load_2addr_b64 v[98:101], v1 offset0:79 offset1:80
	ds_load_2addr_b64 v[102:105], v1 offset0:81 offset1:82
	s_waitcnt lgkmcnt(1)
	v_fma_f64 v[90:91], v[92:93], v[98:99], v[90:91]
	ds_load_b64 v[92:93], v1 offset:664
	s_waitcnt vmcnt(1)
	v_fma_f64 v[90:91], v[112:113], v[100:101], v[90:91]
	s_waitcnt lgkmcnt(1)
	s_delay_alu instid0(VALU_DEP_1) | instskip(SKIP_1) | instid1(VALU_DEP_1)
	v_fma_f64 v[90:91], v[114:115], v[102:103], v[90:91]
	s_waitcnt vmcnt(0)
	v_fma_f64 v[90:91], v[94:95], v[104:105], v[90:91]
	s_waitcnt lgkmcnt(0)
	s_delay_alu instid0(VALU_DEP_1) | instskip(NEXT) | instid1(VALU_DEP_1)
	v_fma_f64 v[90:91], v[96:97], v[92:93], v[90:91]
	v_add_f64 v[88:89], v[88:89], -v[90:91]
	scratch_store_b64 off, v[88:89], off offset:192
	v_cmpx_lt_u32_e32 23, v0
	s_cbranch_execz .LBB105_215
; %bb.214:
	scratch_load_b64 v[88:89], off, off offset:184
	v_mov_b32_e32 v2, v1
	scratch_store_b64 off, v[1:2], off offset:184
	s_waitcnt vmcnt(0)
	ds_store_b64 v3, v[88:89]
.LBB105_215:
	s_or_b32 exec_lo, exec_lo, s0
	s_waitcnt lgkmcnt(0)
	s_waitcnt_vscnt null, 0x0
	s_barrier
	buffer_gl0_inv
	s_clause 0x4
	scratch_load_b128 v[88:91], off, off offset:184
	scratch_load_b128 v[92:95], off, off offset:200
	;; [unrolled: 1-line block ×5, first 2 shown]
	ds_load_b128 v[108:111], v1 offset:528
	ds_load_b128 v[112:115], v1 offset:544
	scratch_load_b128 v[116:119], off, off offset:264
	s_mov_b32 s0, exec_lo
	s_waitcnt vmcnt(5) lgkmcnt(1)
	v_fma_f64 v[90:91], v[90:91], v[108:109], 0
	s_waitcnt vmcnt(4)
	s_delay_alu instid0(VALU_DEP_1) | instskip(SKIP_1) | instid1(VALU_DEP_1)
	v_fma_f64 v[90:91], v[92:93], v[110:111], v[90:91]
	s_waitcnt lgkmcnt(0)
	v_fma_f64 v[94:95], v[94:95], v[112:113], v[90:91]
	scratch_load_b128 v[90:93], off, off offset:280
	s_waitcnt vmcnt(4)
	v_fma_f64 v[112:113], v[96:97], v[114:115], v[94:95]
	ds_load_b128 v[94:97], v1 offset:560
	ds_load_b128 v[108:111], v1 offset:576
	s_waitcnt lgkmcnt(1)
	v_fma_f64 v[94:95], v[98:99], v[94:95], v[112:113]
	scratch_load_b128 v[112:115], off, off offset:296
	s_waitcnt vmcnt(4)
	v_fma_f64 v[94:95], v[100:101], v[96:97], v[94:95]
	s_waitcnt lgkmcnt(0)
	s_delay_alu instid0(VALU_DEP_1)
	v_fma_f64 v[98:99], v[102:103], v[108:109], v[94:95]
	scratch_load_b128 v[94:97], off, off offset:312
	s_waitcnt vmcnt(4)
	v_fma_f64 v[108:109], v[104:105], v[110:111], v[98:99]
	ds_load_b128 v[98:101], v1 offset:592
	ds_load_b128 v[102:105], v1 offset:608
	s_waitcnt lgkmcnt(1)
	v_fma_f64 v[98:99], v[106:107], v[98:99], v[108:109]
	scratch_load_b64 v[106:107], off, off offset:328
	s_waitcnt vmcnt(4)
	v_fma_f64 v[98:99], v[116:117], v[100:101], v[98:99]
	s_waitcnt lgkmcnt(0)
	s_delay_alu instid0(VALU_DEP_1) | instskip(SKIP_1) | instid1(VALU_DEP_1)
	v_fma_f64 v[98:99], v[118:119], v[102:103], v[98:99]
	s_waitcnt vmcnt(3)
	v_fma_f64 v[90:91], v[90:91], v[104:105], v[98:99]
	ds_load_b128 v[98:101], v1 offset:624
	ds_load_b128 v[102:105], v1 offset:640
	s_waitcnt lgkmcnt(1)
	v_fma_f64 v[90:91], v[92:93], v[98:99], v[90:91]
	s_waitcnt vmcnt(2)
	s_delay_alu instid0(VALU_DEP_1) | instskip(SKIP_1) | instid1(VALU_DEP_1)
	v_fma_f64 v[90:91], v[112:113], v[100:101], v[90:91]
	s_waitcnt lgkmcnt(0)
	v_fma_f64 v[90:91], v[114:115], v[102:103], v[90:91]
	s_waitcnt vmcnt(1)
	s_delay_alu instid0(VALU_DEP_1) | instskip(SKIP_4) | instid1(VALU_DEP_1)
	v_fma_f64 v[94:95], v[94:95], v[104:105], v[90:91]
	ds_load_b128 v[90:93], v1 offset:656
	s_waitcnt lgkmcnt(0)
	v_fma_f64 v[1:2], v[96:97], v[90:91], v[94:95]
	s_waitcnt vmcnt(0)
	v_fma_f64 v[1:2], v[106:107], v[92:93], v[1:2]
	s_delay_alu instid0(VALU_DEP_1)
	v_add_f64 v[1:2], v[88:89], -v[1:2]
	scratch_store_b64 off, v[1:2], off offset:184
	v_cmpx_lt_u32_e32 22, v0
	s_cbranch_execz .LBB105_217
; %bb.216:
	scratch_load_b64 v[1:2], off, off offset:176
	v_mov_b32_e32 v88, 0
	s_delay_alu instid0(VALU_DEP_1)
	v_mov_b32_e32 v89, v88
	scratch_store_b64 off, v[88:89], off offset:176
	s_waitcnt vmcnt(0)
	ds_store_b64 v3, v[1:2]
.LBB105_217:
	s_or_b32 exec_lo, exec_lo, s0
	s_waitcnt lgkmcnt(0)
	s_waitcnt_vscnt null, 0x0
	s_barrier
	buffer_gl0_inv
	s_clause 0x4
	scratch_load_b128 v[88:91], off, off offset:176
	scratch_load_b128 v[92:95], off, off offset:192
	;; [unrolled: 1-line block ×5, first 2 shown]
	v_mov_b32_e32 v1, 0
	ds_load_2addr_b64 v[108:111], v1 offset0:65 offset1:66
	ds_load_2addr_b64 v[112:115], v1 offset0:67 offset1:68
	scratch_load_b128 v[116:119], off, off offset:256
	s_mov_b32 s0, exec_lo
	s_waitcnt vmcnt(5) lgkmcnt(1)
	v_fma_f64 v[90:91], v[90:91], v[108:109], 0
	s_waitcnt vmcnt(4)
	s_delay_alu instid0(VALU_DEP_1) | instskip(SKIP_1) | instid1(VALU_DEP_1)
	v_fma_f64 v[90:91], v[92:93], v[110:111], v[90:91]
	s_waitcnt lgkmcnt(0)
	v_fma_f64 v[94:95], v[94:95], v[112:113], v[90:91]
	scratch_load_b128 v[90:93], off, off offset:272
	s_waitcnt vmcnt(4)
	v_fma_f64 v[112:113], v[96:97], v[114:115], v[94:95]
	ds_load_2addr_b64 v[94:97], v1 offset0:69 offset1:70
	ds_load_2addr_b64 v[108:111], v1 offset0:71 offset1:72
	s_waitcnt lgkmcnt(1)
	v_fma_f64 v[94:95], v[98:99], v[94:95], v[112:113]
	scratch_load_b128 v[112:115], off, off offset:288
	s_waitcnt vmcnt(4)
	v_fma_f64 v[94:95], v[100:101], v[96:97], v[94:95]
	s_waitcnt lgkmcnt(0)
	s_delay_alu instid0(VALU_DEP_1)
	v_fma_f64 v[98:99], v[102:103], v[108:109], v[94:95]
	scratch_load_b128 v[94:97], off, off offset:304
	s_waitcnt vmcnt(4)
	v_fma_f64 v[108:109], v[104:105], v[110:111], v[98:99]
	ds_load_2addr_b64 v[98:101], v1 offset0:73 offset1:74
	ds_load_2addr_b64 v[102:105], v1 offset0:75 offset1:76
	s_waitcnt lgkmcnt(1)
	v_fma_f64 v[98:99], v[106:107], v[98:99], v[108:109]
	scratch_load_b128 v[106:109], off, off offset:320
	s_waitcnt vmcnt(4)
	v_fma_f64 v[98:99], v[116:117], v[100:101], v[98:99]
	s_waitcnt lgkmcnt(0)
	s_delay_alu instid0(VALU_DEP_1) | instskip(SKIP_1) | instid1(VALU_DEP_1)
	v_fma_f64 v[98:99], v[118:119], v[102:103], v[98:99]
	s_waitcnt vmcnt(3)
	v_fma_f64 v[90:91], v[90:91], v[104:105], v[98:99]
	ds_load_2addr_b64 v[98:101], v1 offset0:77 offset1:78
	ds_load_2addr_b64 v[102:105], v1 offset0:79 offset1:80
	s_waitcnt lgkmcnt(1)
	v_fma_f64 v[90:91], v[92:93], v[98:99], v[90:91]
	s_waitcnt vmcnt(2)
	s_delay_alu instid0(VALU_DEP_1) | instskip(SKIP_1) | instid1(VALU_DEP_1)
	v_fma_f64 v[90:91], v[112:113], v[100:101], v[90:91]
	s_waitcnt lgkmcnt(0)
	v_fma_f64 v[90:91], v[114:115], v[102:103], v[90:91]
	s_waitcnt vmcnt(1)
	s_delay_alu instid0(VALU_DEP_1)
	v_fma_f64 v[94:95], v[94:95], v[104:105], v[90:91]
	ds_load_2addr_b64 v[90:93], v1 offset0:81 offset1:82
	ds_load_b64 v[98:99], v1 offset:664
	s_waitcnt lgkmcnt(1)
	v_fma_f64 v[90:91], v[96:97], v[90:91], v[94:95]
	s_waitcnt vmcnt(0)
	s_delay_alu instid0(VALU_DEP_1) | instskip(SKIP_1) | instid1(VALU_DEP_1)
	v_fma_f64 v[90:91], v[106:107], v[92:93], v[90:91]
	s_waitcnt lgkmcnt(0)
	v_fma_f64 v[90:91], v[108:109], v[98:99], v[90:91]
	s_delay_alu instid0(VALU_DEP_1)
	v_add_f64 v[88:89], v[88:89], -v[90:91]
	scratch_store_b64 off, v[88:89], off offset:176
	v_cmpx_lt_u32_e32 21, v0
	s_cbranch_execz .LBB105_219
; %bb.218:
	scratch_load_b64 v[88:89], off, off offset:168
	v_mov_b32_e32 v2, v1
	scratch_store_b64 off, v[1:2], off offset:168
	s_waitcnt vmcnt(0)
	ds_store_b64 v3, v[88:89]
.LBB105_219:
	s_or_b32 exec_lo, exec_lo, s0
	s_waitcnt lgkmcnt(0)
	s_waitcnt_vscnt null, 0x0
	s_barrier
	buffer_gl0_inv
	s_clause 0x4
	scratch_load_b128 v[88:91], off, off offset:168
	scratch_load_b128 v[92:95], off, off offset:184
	;; [unrolled: 1-line block ×5, first 2 shown]
	ds_load_b128 v[108:111], v1 offset:512
	ds_load_b128 v[112:115], v1 offset:528
	scratch_load_b128 v[116:119], off, off offset:248
	s_mov_b32 s0, exec_lo
	s_waitcnt vmcnt(5) lgkmcnt(1)
	v_fma_f64 v[90:91], v[90:91], v[108:109], 0
	s_waitcnt vmcnt(4)
	s_delay_alu instid0(VALU_DEP_1) | instskip(SKIP_1) | instid1(VALU_DEP_1)
	v_fma_f64 v[90:91], v[92:93], v[110:111], v[90:91]
	s_waitcnt lgkmcnt(0)
	v_fma_f64 v[94:95], v[94:95], v[112:113], v[90:91]
	scratch_load_b128 v[90:93], off, off offset:264
	s_waitcnt vmcnt(4)
	v_fma_f64 v[112:113], v[96:97], v[114:115], v[94:95]
	ds_load_b128 v[94:97], v1 offset:544
	ds_load_b128 v[108:111], v1 offset:560
	s_waitcnt lgkmcnt(1)
	v_fma_f64 v[94:95], v[98:99], v[94:95], v[112:113]
	scratch_load_b128 v[112:115], off, off offset:280
	s_waitcnt vmcnt(4)
	v_fma_f64 v[94:95], v[100:101], v[96:97], v[94:95]
	s_waitcnt lgkmcnt(0)
	s_delay_alu instid0(VALU_DEP_1)
	v_fma_f64 v[98:99], v[102:103], v[108:109], v[94:95]
	scratch_load_b128 v[94:97], off, off offset:296
	s_waitcnt vmcnt(4)
	v_fma_f64 v[108:109], v[104:105], v[110:111], v[98:99]
	ds_load_b128 v[98:101], v1 offset:576
	ds_load_b128 v[102:105], v1 offset:592
	scratch_load_b64 v[110:111], off, off offset:328
	s_waitcnt lgkmcnt(1)
	v_fma_f64 v[98:99], v[106:107], v[98:99], v[108:109]
	scratch_load_b128 v[106:109], off, off offset:312
	s_waitcnt vmcnt(5)
	v_fma_f64 v[98:99], v[116:117], v[100:101], v[98:99]
	s_waitcnt lgkmcnt(0)
	s_delay_alu instid0(VALU_DEP_1) | instskip(SKIP_1) | instid1(VALU_DEP_1)
	v_fma_f64 v[98:99], v[118:119], v[102:103], v[98:99]
	s_waitcnt vmcnt(4)
	v_fma_f64 v[90:91], v[90:91], v[104:105], v[98:99]
	ds_load_b128 v[98:101], v1 offset:608
	ds_load_b128 v[102:105], v1 offset:624
	s_waitcnt lgkmcnt(1)
	v_fma_f64 v[90:91], v[92:93], v[98:99], v[90:91]
	s_waitcnt vmcnt(3)
	s_delay_alu instid0(VALU_DEP_1) | instskip(SKIP_1) | instid1(VALU_DEP_1)
	v_fma_f64 v[90:91], v[112:113], v[100:101], v[90:91]
	s_waitcnt lgkmcnt(0)
	v_fma_f64 v[90:91], v[114:115], v[102:103], v[90:91]
	s_waitcnt vmcnt(2)
	s_delay_alu instid0(VALU_DEP_1)
	v_fma_f64 v[94:95], v[94:95], v[104:105], v[90:91]
	ds_load_b128 v[90:93], v1 offset:640
	ds_load_b128 v[98:101], v1 offset:656
	s_waitcnt lgkmcnt(1)
	v_fma_f64 v[1:2], v[96:97], v[90:91], v[94:95]
	s_waitcnt vmcnt(0)
	s_delay_alu instid0(VALU_DEP_1) | instskip(SKIP_1) | instid1(VALU_DEP_1)
	v_fma_f64 v[1:2], v[106:107], v[92:93], v[1:2]
	s_waitcnt lgkmcnt(0)
	v_fma_f64 v[1:2], v[108:109], v[98:99], v[1:2]
	s_delay_alu instid0(VALU_DEP_1) | instskip(NEXT) | instid1(VALU_DEP_1)
	v_fma_f64 v[1:2], v[110:111], v[100:101], v[1:2]
	v_add_f64 v[1:2], v[88:89], -v[1:2]
	scratch_store_b64 off, v[1:2], off offset:168
	v_cmpx_lt_u32_e32 20, v0
	s_cbranch_execz .LBB105_221
; %bb.220:
	scratch_load_b64 v[1:2], off, off offset:160
	v_mov_b32_e32 v88, 0
	s_delay_alu instid0(VALU_DEP_1)
	v_mov_b32_e32 v89, v88
	scratch_store_b64 off, v[88:89], off offset:160
	s_waitcnt vmcnt(0)
	ds_store_b64 v3, v[1:2]
.LBB105_221:
	s_or_b32 exec_lo, exec_lo, s0
	s_waitcnt lgkmcnt(0)
	s_waitcnt_vscnt null, 0x0
	s_barrier
	buffer_gl0_inv
	s_clause 0x4
	scratch_load_b128 v[88:91], off, off offset:160
	scratch_load_b128 v[92:95], off, off offset:176
	;; [unrolled: 1-line block ×5, first 2 shown]
	v_mov_b32_e32 v1, 0
	ds_load_2addr_b64 v[108:111], v1 offset0:63 offset1:64
	ds_load_2addr_b64 v[112:115], v1 offset0:65 offset1:66
	scratch_load_b128 v[116:119], off, off offset:240
	s_mov_b32 s0, exec_lo
	s_waitcnt vmcnt(5) lgkmcnt(1)
	v_fma_f64 v[90:91], v[90:91], v[108:109], 0
	s_waitcnt vmcnt(4)
	s_delay_alu instid0(VALU_DEP_1) | instskip(SKIP_1) | instid1(VALU_DEP_1)
	v_fma_f64 v[90:91], v[92:93], v[110:111], v[90:91]
	s_waitcnt lgkmcnt(0)
	v_fma_f64 v[94:95], v[94:95], v[112:113], v[90:91]
	scratch_load_b128 v[90:93], off, off offset:256
	s_waitcnt vmcnt(4)
	v_fma_f64 v[112:113], v[96:97], v[114:115], v[94:95]
	ds_load_2addr_b64 v[94:97], v1 offset0:67 offset1:68
	ds_load_2addr_b64 v[108:111], v1 offset0:69 offset1:70
	s_waitcnt lgkmcnt(1)
	v_fma_f64 v[94:95], v[98:99], v[94:95], v[112:113]
	scratch_load_b128 v[112:115], off, off offset:272
	s_waitcnt vmcnt(4)
	v_fma_f64 v[94:95], v[100:101], v[96:97], v[94:95]
	s_waitcnt lgkmcnt(0)
	s_delay_alu instid0(VALU_DEP_1)
	v_fma_f64 v[98:99], v[102:103], v[108:109], v[94:95]
	scratch_load_b128 v[94:97], off, off offset:288
	s_waitcnt vmcnt(4)
	v_fma_f64 v[108:109], v[104:105], v[110:111], v[98:99]
	ds_load_2addr_b64 v[98:101], v1 offset0:71 offset1:72
	ds_load_2addr_b64 v[102:105], v1 offset0:73 offset1:74
	s_waitcnt lgkmcnt(1)
	v_fma_f64 v[98:99], v[106:107], v[98:99], v[108:109]
	scratch_load_b128 v[106:109], off, off offset:304
	s_waitcnt vmcnt(4)
	v_fma_f64 v[98:99], v[116:117], v[100:101], v[98:99]
	s_waitcnt lgkmcnt(0)
	s_delay_alu instid0(VALU_DEP_1)
	v_fma_f64 v[102:103], v[118:119], v[102:103], v[98:99]
	scratch_load_b128 v[98:101], off, off offset:320
	s_waitcnt vmcnt(4)
	v_fma_f64 v[90:91], v[90:91], v[104:105], v[102:103]
	ds_load_2addr_b64 v[102:105], v1 offset0:75 offset1:76
	ds_load_2addr_b64 v[116:119], v1 offset0:77 offset1:78
	s_waitcnt lgkmcnt(1)
	v_fma_f64 v[90:91], v[92:93], v[102:103], v[90:91]
	s_waitcnt vmcnt(3)
	s_delay_alu instid0(VALU_DEP_1) | instskip(SKIP_1) | instid1(VALU_DEP_1)
	v_fma_f64 v[90:91], v[112:113], v[104:105], v[90:91]
	s_waitcnt lgkmcnt(0)
	v_fma_f64 v[90:91], v[114:115], v[116:117], v[90:91]
	s_waitcnt vmcnt(2)
	s_delay_alu instid0(VALU_DEP_1)
	v_fma_f64 v[94:95], v[94:95], v[118:119], v[90:91]
	ds_load_2addr_b64 v[90:93], v1 offset0:79 offset1:80
	ds_load_2addr_b64 v[102:105], v1 offset0:81 offset1:82
	s_waitcnt lgkmcnt(1)
	v_fma_f64 v[90:91], v[96:97], v[90:91], v[94:95]
	s_waitcnt vmcnt(1)
	s_delay_alu instid0(VALU_DEP_1) | instskip(SKIP_4) | instid1(VALU_DEP_1)
	v_fma_f64 v[90:91], v[106:107], v[92:93], v[90:91]
	ds_load_b64 v[92:93], v1 offset:664
	s_waitcnt lgkmcnt(1)
	v_fma_f64 v[90:91], v[108:109], v[102:103], v[90:91]
	s_waitcnt vmcnt(0)
	v_fma_f64 v[90:91], v[98:99], v[104:105], v[90:91]
	s_waitcnt lgkmcnt(0)
	s_delay_alu instid0(VALU_DEP_1) | instskip(NEXT) | instid1(VALU_DEP_1)
	v_fma_f64 v[90:91], v[100:101], v[92:93], v[90:91]
	v_add_f64 v[88:89], v[88:89], -v[90:91]
	scratch_store_b64 off, v[88:89], off offset:160
	v_cmpx_lt_u32_e32 19, v0
	s_cbranch_execz .LBB105_223
; %bb.222:
	scratch_load_b64 v[88:89], off, off offset:152
	v_mov_b32_e32 v2, v1
	scratch_store_b64 off, v[1:2], off offset:152
	s_waitcnt vmcnt(0)
	ds_store_b64 v3, v[88:89]
.LBB105_223:
	s_or_b32 exec_lo, exec_lo, s0
	s_waitcnt lgkmcnt(0)
	s_waitcnt_vscnt null, 0x0
	s_barrier
	buffer_gl0_inv
	s_clause 0x4
	scratch_load_b128 v[88:91], off, off offset:152
	scratch_load_b128 v[92:95], off, off offset:168
	;; [unrolled: 1-line block ×5, first 2 shown]
	ds_load_b128 v[108:111], v1 offset:496
	ds_load_b128 v[112:115], v1 offset:512
	scratch_load_b128 v[116:119], off, off offset:232
	s_mov_b32 s0, exec_lo
	s_waitcnt vmcnt(5) lgkmcnt(1)
	v_fma_f64 v[90:91], v[90:91], v[108:109], 0
	s_waitcnt vmcnt(4)
	s_delay_alu instid0(VALU_DEP_1) | instskip(SKIP_1) | instid1(VALU_DEP_1)
	v_fma_f64 v[90:91], v[92:93], v[110:111], v[90:91]
	s_waitcnt lgkmcnt(0)
	v_fma_f64 v[94:95], v[94:95], v[112:113], v[90:91]
	scratch_load_b128 v[90:93], off, off offset:248
	s_waitcnt vmcnt(4)
	v_fma_f64 v[112:113], v[96:97], v[114:115], v[94:95]
	ds_load_b128 v[94:97], v1 offset:528
	ds_load_b128 v[108:111], v1 offset:544
	s_waitcnt lgkmcnt(1)
	v_fma_f64 v[94:95], v[98:99], v[94:95], v[112:113]
	scratch_load_b128 v[112:115], off, off offset:264
	s_waitcnt vmcnt(4)
	v_fma_f64 v[94:95], v[100:101], v[96:97], v[94:95]
	s_waitcnt lgkmcnt(0)
	s_delay_alu instid0(VALU_DEP_1)
	v_fma_f64 v[98:99], v[102:103], v[108:109], v[94:95]
	scratch_load_b128 v[94:97], off, off offset:280
	s_waitcnt vmcnt(4)
	v_fma_f64 v[108:109], v[104:105], v[110:111], v[98:99]
	ds_load_b128 v[98:101], v1 offset:560
	ds_load_b128 v[102:105], v1 offset:576
	s_waitcnt lgkmcnt(1)
	v_fma_f64 v[98:99], v[106:107], v[98:99], v[108:109]
	scratch_load_b128 v[106:109], off, off offset:296
	s_waitcnt vmcnt(4)
	v_fma_f64 v[98:99], v[116:117], v[100:101], v[98:99]
	s_waitcnt lgkmcnt(0)
	s_delay_alu instid0(VALU_DEP_1)
	v_fma_f64 v[102:103], v[118:119], v[102:103], v[98:99]
	scratch_load_b128 v[98:101], off, off offset:312
	s_waitcnt vmcnt(4)
	v_fma_f64 v[90:91], v[90:91], v[104:105], v[102:103]
	ds_load_b128 v[102:105], v1 offset:592
	ds_load_b128 v[116:119], v1 offset:608
	scratch_load_b64 v[110:111], off, off offset:328
	s_waitcnt lgkmcnt(1)
	v_fma_f64 v[90:91], v[92:93], v[102:103], v[90:91]
	s_waitcnt vmcnt(4)
	s_delay_alu instid0(VALU_DEP_1) | instskip(SKIP_1) | instid1(VALU_DEP_1)
	v_fma_f64 v[90:91], v[112:113], v[104:105], v[90:91]
	s_waitcnt lgkmcnt(0)
	v_fma_f64 v[90:91], v[114:115], v[116:117], v[90:91]
	s_waitcnt vmcnt(3)
	s_delay_alu instid0(VALU_DEP_1)
	v_fma_f64 v[94:95], v[94:95], v[118:119], v[90:91]
	ds_load_b128 v[90:93], v1 offset:624
	ds_load_b128 v[102:105], v1 offset:640
	s_waitcnt lgkmcnt(1)
	v_fma_f64 v[90:91], v[96:97], v[90:91], v[94:95]
	s_waitcnt vmcnt(2)
	s_delay_alu instid0(VALU_DEP_1) | instskip(SKIP_1) | instid1(VALU_DEP_1)
	v_fma_f64 v[90:91], v[106:107], v[92:93], v[90:91]
	s_waitcnt lgkmcnt(0)
	v_fma_f64 v[90:91], v[108:109], v[102:103], v[90:91]
	s_waitcnt vmcnt(1)
	s_delay_alu instid0(VALU_DEP_1) | instskip(SKIP_4) | instid1(VALU_DEP_1)
	v_fma_f64 v[94:95], v[98:99], v[104:105], v[90:91]
	ds_load_b128 v[90:93], v1 offset:656
	s_waitcnt lgkmcnt(0)
	v_fma_f64 v[1:2], v[100:101], v[90:91], v[94:95]
	s_waitcnt vmcnt(0)
	v_fma_f64 v[1:2], v[110:111], v[92:93], v[1:2]
	s_delay_alu instid0(VALU_DEP_1)
	v_add_f64 v[1:2], v[88:89], -v[1:2]
	scratch_store_b64 off, v[1:2], off offset:152
	v_cmpx_lt_u32_e32 18, v0
	s_cbranch_execz .LBB105_225
; %bb.224:
	scratch_load_b64 v[1:2], off, off offset:144
	v_mov_b32_e32 v88, 0
	s_delay_alu instid0(VALU_DEP_1)
	v_mov_b32_e32 v89, v88
	scratch_store_b64 off, v[88:89], off offset:144
	s_waitcnt vmcnt(0)
	ds_store_b64 v3, v[1:2]
.LBB105_225:
	s_or_b32 exec_lo, exec_lo, s0
	s_waitcnt lgkmcnt(0)
	s_waitcnt_vscnt null, 0x0
	s_barrier
	buffer_gl0_inv
	s_clause 0x4
	scratch_load_b128 v[88:91], off, off offset:144
	scratch_load_b128 v[92:95], off, off offset:160
	;; [unrolled: 1-line block ×5, first 2 shown]
	v_mov_b32_e32 v1, 0
	ds_load_2addr_b64 v[108:111], v1 offset0:61 offset1:62
	ds_load_2addr_b64 v[112:115], v1 offset0:63 offset1:64
	scratch_load_b128 v[116:119], off, off offset:224
	s_mov_b32 s0, exec_lo
	s_waitcnt vmcnt(5) lgkmcnt(1)
	v_fma_f64 v[90:91], v[90:91], v[108:109], 0
	s_waitcnt vmcnt(4)
	s_delay_alu instid0(VALU_DEP_1) | instskip(SKIP_1) | instid1(VALU_DEP_1)
	v_fma_f64 v[90:91], v[92:93], v[110:111], v[90:91]
	s_waitcnt lgkmcnt(0)
	v_fma_f64 v[94:95], v[94:95], v[112:113], v[90:91]
	scratch_load_b128 v[90:93], off, off offset:240
	s_waitcnt vmcnt(4)
	v_fma_f64 v[112:113], v[96:97], v[114:115], v[94:95]
	ds_load_2addr_b64 v[94:97], v1 offset0:65 offset1:66
	ds_load_2addr_b64 v[108:111], v1 offset0:67 offset1:68
	s_waitcnt lgkmcnt(1)
	v_fma_f64 v[94:95], v[98:99], v[94:95], v[112:113]
	scratch_load_b128 v[112:115], off, off offset:256
	s_waitcnt vmcnt(4)
	v_fma_f64 v[94:95], v[100:101], v[96:97], v[94:95]
	s_waitcnt lgkmcnt(0)
	s_delay_alu instid0(VALU_DEP_1)
	v_fma_f64 v[98:99], v[102:103], v[108:109], v[94:95]
	scratch_load_b128 v[94:97], off, off offset:272
	s_waitcnt vmcnt(4)
	v_fma_f64 v[108:109], v[104:105], v[110:111], v[98:99]
	ds_load_2addr_b64 v[98:101], v1 offset0:69 offset1:70
	ds_load_2addr_b64 v[102:105], v1 offset0:71 offset1:72
	s_waitcnt lgkmcnt(1)
	v_fma_f64 v[98:99], v[106:107], v[98:99], v[108:109]
	scratch_load_b128 v[106:109], off, off offset:288
	s_waitcnt vmcnt(4)
	v_fma_f64 v[98:99], v[116:117], v[100:101], v[98:99]
	s_waitcnt lgkmcnt(0)
	s_delay_alu instid0(VALU_DEP_1)
	v_fma_f64 v[102:103], v[118:119], v[102:103], v[98:99]
	scratch_load_b128 v[98:101], off, off offset:304
	s_waitcnt vmcnt(4)
	v_fma_f64 v[90:91], v[90:91], v[104:105], v[102:103]
	ds_load_2addr_b64 v[102:105], v1 offset0:73 offset1:74
	ds_load_2addr_b64 v[116:119], v1 offset0:75 offset1:76
	s_waitcnt lgkmcnt(1)
	v_fma_f64 v[102:103], v[92:93], v[102:103], v[90:91]
	scratch_load_b128 v[90:93], off, off offset:320
	s_waitcnt vmcnt(4)
	v_fma_f64 v[102:103], v[112:113], v[104:105], v[102:103]
	s_waitcnt lgkmcnt(0)
	s_delay_alu instid0(VALU_DEP_1) | instskip(SKIP_1) | instid1(VALU_DEP_1)
	v_fma_f64 v[102:103], v[114:115], v[116:117], v[102:103]
	s_waitcnt vmcnt(3)
	v_fma_f64 v[94:95], v[94:95], v[118:119], v[102:103]
	ds_load_2addr_b64 v[102:105], v1 offset0:77 offset1:78
	ds_load_2addr_b64 v[110:113], v1 offset0:79 offset1:80
	s_waitcnt lgkmcnt(1)
	v_fma_f64 v[94:95], v[96:97], v[102:103], v[94:95]
	s_waitcnt vmcnt(2)
	s_delay_alu instid0(VALU_DEP_1) | instskip(SKIP_1) | instid1(VALU_DEP_1)
	v_fma_f64 v[94:95], v[106:107], v[104:105], v[94:95]
	s_waitcnt lgkmcnt(0)
	v_fma_f64 v[94:95], v[108:109], v[110:111], v[94:95]
	s_waitcnt vmcnt(1)
	s_delay_alu instid0(VALU_DEP_1)
	v_fma_f64 v[98:99], v[98:99], v[112:113], v[94:95]
	ds_load_2addr_b64 v[94:97], v1 offset0:81 offset1:82
	ds_load_b64 v[102:103], v1 offset:664
	s_waitcnt lgkmcnt(1)
	v_fma_f64 v[94:95], v[100:101], v[94:95], v[98:99]
	s_waitcnt vmcnt(0)
	s_delay_alu instid0(VALU_DEP_1) | instskip(SKIP_1) | instid1(VALU_DEP_1)
	v_fma_f64 v[90:91], v[90:91], v[96:97], v[94:95]
	s_waitcnt lgkmcnt(0)
	v_fma_f64 v[90:91], v[92:93], v[102:103], v[90:91]
	s_delay_alu instid0(VALU_DEP_1)
	v_add_f64 v[88:89], v[88:89], -v[90:91]
	scratch_store_b64 off, v[88:89], off offset:144
	v_cmpx_lt_u32_e32 17, v0
	s_cbranch_execz .LBB105_227
; %bb.226:
	scratch_load_b64 v[88:89], off, off offset:136
	v_mov_b32_e32 v2, v1
	scratch_store_b64 off, v[1:2], off offset:136
	s_waitcnt vmcnt(0)
	ds_store_b64 v3, v[88:89]
.LBB105_227:
	s_or_b32 exec_lo, exec_lo, s0
	s_waitcnt lgkmcnt(0)
	s_waitcnt_vscnt null, 0x0
	s_barrier
	buffer_gl0_inv
	s_clause 0x4
	scratch_load_b128 v[88:91], off, off offset:136
	scratch_load_b128 v[92:95], off, off offset:152
	;; [unrolled: 1-line block ×5, first 2 shown]
	ds_load_b128 v[108:111], v1 offset:480
	ds_load_b128 v[112:115], v1 offset:496
	scratch_load_b128 v[116:119], off, off offset:216
	s_mov_b32 s0, exec_lo
	s_waitcnt vmcnt(5) lgkmcnt(1)
	v_fma_f64 v[90:91], v[90:91], v[108:109], 0
	s_waitcnt vmcnt(4)
	s_delay_alu instid0(VALU_DEP_1) | instskip(SKIP_1) | instid1(VALU_DEP_1)
	v_fma_f64 v[90:91], v[92:93], v[110:111], v[90:91]
	s_waitcnt lgkmcnt(0)
	v_fma_f64 v[94:95], v[94:95], v[112:113], v[90:91]
	scratch_load_b128 v[90:93], off, off offset:232
	s_waitcnt vmcnt(4)
	v_fma_f64 v[112:113], v[96:97], v[114:115], v[94:95]
	ds_load_b128 v[94:97], v1 offset:512
	ds_load_b128 v[108:111], v1 offset:528
	s_waitcnt lgkmcnt(1)
	v_fma_f64 v[94:95], v[98:99], v[94:95], v[112:113]
	scratch_load_b128 v[112:115], off, off offset:248
	s_waitcnt vmcnt(4)
	v_fma_f64 v[94:95], v[100:101], v[96:97], v[94:95]
	s_waitcnt lgkmcnt(0)
	s_delay_alu instid0(VALU_DEP_1)
	v_fma_f64 v[98:99], v[102:103], v[108:109], v[94:95]
	scratch_load_b128 v[94:97], off, off offset:264
	s_waitcnt vmcnt(4)
	v_fma_f64 v[108:109], v[104:105], v[110:111], v[98:99]
	ds_load_b128 v[98:101], v1 offset:544
	ds_load_b128 v[102:105], v1 offset:560
	s_waitcnt lgkmcnt(1)
	v_fma_f64 v[98:99], v[106:107], v[98:99], v[108:109]
	scratch_load_b128 v[106:109], off, off offset:280
	s_waitcnt vmcnt(4)
	v_fma_f64 v[98:99], v[116:117], v[100:101], v[98:99]
	s_waitcnt lgkmcnt(0)
	s_delay_alu instid0(VALU_DEP_1)
	v_fma_f64 v[102:103], v[118:119], v[102:103], v[98:99]
	scratch_load_b128 v[98:101], off, off offset:296
	s_waitcnt vmcnt(4)
	v_fma_f64 v[90:91], v[90:91], v[104:105], v[102:103]
	ds_load_b128 v[102:105], v1 offset:576
	ds_load_b128 v[116:119], v1 offset:592
	s_waitcnt lgkmcnt(1)
	v_fma_f64 v[102:103], v[92:93], v[102:103], v[90:91]
	scratch_load_b128 v[90:93], off, off offset:312
	s_waitcnt vmcnt(4)
	v_fma_f64 v[102:103], v[112:113], v[104:105], v[102:103]
	s_waitcnt lgkmcnt(0)
	s_delay_alu instid0(VALU_DEP_1)
	v_fma_f64 v[102:103], v[114:115], v[116:117], v[102:103]
	scratch_load_b64 v[114:115], off, off offset:328
	s_waitcnt vmcnt(4)
	v_fma_f64 v[94:95], v[94:95], v[118:119], v[102:103]
	ds_load_b128 v[102:105], v1 offset:608
	ds_load_b128 v[110:113], v1 offset:624
	s_waitcnt lgkmcnt(1)
	v_fma_f64 v[94:95], v[96:97], v[102:103], v[94:95]
	s_waitcnt vmcnt(3)
	s_delay_alu instid0(VALU_DEP_1) | instskip(SKIP_1) | instid1(VALU_DEP_1)
	v_fma_f64 v[94:95], v[106:107], v[104:105], v[94:95]
	s_waitcnt lgkmcnt(0)
	v_fma_f64 v[94:95], v[108:109], v[110:111], v[94:95]
	s_waitcnt vmcnt(2)
	s_delay_alu instid0(VALU_DEP_1)
	v_fma_f64 v[98:99], v[98:99], v[112:113], v[94:95]
	ds_load_b128 v[94:97], v1 offset:640
	ds_load_b128 v[102:105], v1 offset:656
	s_waitcnt lgkmcnt(1)
	v_fma_f64 v[1:2], v[100:101], v[94:95], v[98:99]
	s_waitcnt vmcnt(1)
	s_delay_alu instid0(VALU_DEP_1) | instskip(SKIP_1) | instid1(VALU_DEP_1)
	v_fma_f64 v[1:2], v[90:91], v[96:97], v[1:2]
	s_waitcnt lgkmcnt(0)
	v_fma_f64 v[1:2], v[92:93], v[102:103], v[1:2]
	s_waitcnt vmcnt(0)
	s_delay_alu instid0(VALU_DEP_1) | instskip(NEXT) | instid1(VALU_DEP_1)
	v_fma_f64 v[1:2], v[114:115], v[104:105], v[1:2]
	v_add_f64 v[1:2], v[88:89], -v[1:2]
	scratch_store_b64 off, v[1:2], off offset:136
	v_cmpx_lt_u32_e32 16, v0
	s_cbranch_execz .LBB105_229
; %bb.228:
	scratch_load_b64 v[1:2], off, off offset:128
	v_mov_b32_e32 v88, 0
	s_delay_alu instid0(VALU_DEP_1)
	v_mov_b32_e32 v89, v88
	scratch_store_b64 off, v[88:89], off offset:128
	s_waitcnt vmcnt(0)
	ds_store_b64 v3, v[1:2]
.LBB105_229:
	s_or_b32 exec_lo, exec_lo, s0
	s_waitcnt lgkmcnt(0)
	s_waitcnt_vscnt null, 0x0
	s_barrier
	buffer_gl0_inv
	s_clause 0x4
	scratch_load_b128 v[88:91], off, off offset:128
	scratch_load_b128 v[92:95], off, off offset:144
	;; [unrolled: 1-line block ×5, first 2 shown]
	v_mov_b32_e32 v1, 0
	ds_load_2addr_b64 v[108:111], v1 offset0:59 offset1:60
	ds_load_2addr_b64 v[112:115], v1 offset0:61 offset1:62
	scratch_load_b128 v[116:119], off, off offset:208
	s_mov_b32 s0, exec_lo
	s_waitcnt vmcnt(5) lgkmcnt(1)
	v_fma_f64 v[90:91], v[90:91], v[108:109], 0
	s_waitcnt vmcnt(4)
	s_delay_alu instid0(VALU_DEP_1) | instskip(SKIP_1) | instid1(VALU_DEP_1)
	v_fma_f64 v[90:91], v[92:93], v[110:111], v[90:91]
	s_waitcnt lgkmcnt(0)
	v_fma_f64 v[94:95], v[94:95], v[112:113], v[90:91]
	scratch_load_b128 v[90:93], off, off offset:224
	s_waitcnt vmcnt(4)
	v_fma_f64 v[112:113], v[96:97], v[114:115], v[94:95]
	ds_load_2addr_b64 v[94:97], v1 offset0:63 offset1:64
	ds_load_2addr_b64 v[108:111], v1 offset0:65 offset1:66
	s_waitcnt lgkmcnt(1)
	v_fma_f64 v[94:95], v[98:99], v[94:95], v[112:113]
	scratch_load_b128 v[112:115], off, off offset:240
	s_waitcnt vmcnt(4)
	v_fma_f64 v[94:95], v[100:101], v[96:97], v[94:95]
	s_waitcnt lgkmcnt(0)
	s_delay_alu instid0(VALU_DEP_1)
	v_fma_f64 v[98:99], v[102:103], v[108:109], v[94:95]
	scratch_load_b128 v[94:97], off, off offset:256
	s_waitcnt vmcnt(4)
	v_fma_f64 v[108:109], v[104:105], v[110:111], v[98:99]
	ds_load_2addr_b64 v[98:101], v1 offset0:67 offset1:68
	ds_load_2addr_b64 v[102:105], v1 offset0:69 offset1:70
	s_waitcnt lgkmcnt(1)
	v_fma_f64 v[98:99], v[106:107], v[98:99], v[108:109]
	scratch_load_b128 v[106:109], off, off offset:272
	s_waitcnt vmcnt(4)
	v_fma_f64 v[98:99], v[116:117], v[100:101], v[98:99]
	s_waitcnt lgkmcnt(0)
	s_delay_alu instid0(VALU_DEP_1)
	;; [unrolled: 13-line block ×3, first 2 shown]
	v_fma_f64 v[110:111], v[114:115], v[116:117], v[102:103]
	scratch_load_b128 v[102:105], off, off offset:320
	s_waitcnt vmcnt(4)
	v_fma_f64 v[94:95], v[94:95], v[118:119], v[110:111]
	ds_load_2addr_b64 v[110:113], v1 offset0:75 offset1:76
	ds_load_2addr_b64 v[114:117], v1 offset0:77 offset1:78
	s_waitcnt lgkmcnt(1)
	v_fma_f64 v[94:95], v[96:97], v[110:111], v[94:95]
	s_waitcnt vmcnt(3)
	s_delay_alu instid0(VALU_DEP_1) | instskip(SKIP_1) | instid1(VALU_DEP_1)
	v_fma_f64 v[94:95], v[106:107], v[112:113], v[94:95]
	s_waitcnt lgkmcnt(0)
	v_fma_f64 v[94:95], v[108:109], v[114:115], v[94:95]
	s_waitcnt vmcnt(2)
	s_delay_alu instid0(VALU_DEP_1)
	v_fma_f64 v[98:99], v[98:99], v[116:117], v[94:95]
	ds_load_2addr_b64 v[94:97], v1 offset0:79 offset1:80
	ds_load_2addr_b64 v[106:109], v1 offset0:81 offset1:82
	s_waitcnt lgkmcnt(1)
	v_fma_f64 v[94:95], v[100:101], v[94:95], v[98:99]
	s_waitcnt vmcnt(1)
	s_delay_alu instid0(VALU_DEP_1) | instskip(SKIP_1) | instid1(VALU_DEP_1)
	v_fma_f64 v[90:91], v[90:91], v[96:97], v[94:95]
	s_waitcnt lgkmcnt(0)
	v_fma_f64 v[90:91], v[92:93], v[106:107], v[90:91]
	ds_load_b64 v[92:93], v1 offset:664
	s_waitcnt vmcnt(0)
	v_fma_f64 v[90:91], v[102:103], v[108:109], v[90:91]
	s_waitcnt lgkmcnt(0)
	s_delay_alu instid0(VALU_DEP_1) | instskip(NEXT) | instid1(VALU_DEP_1)
	v_fma_f64 v[90:91], v[104:105], v[92:93], v[90:91]
	v_add_f64 v[88:89], v[88:89], -v[90:91]
	scratch_store_b64 off, v[88:89], off offset:128
	v_cmpx_lt_u32_e32 15, v0
	s_cbranch_execz .LBB105_231
; %bb.230:
	scratch_load_b64 v[88:89], off, off offset:120
	v_mov_b32_e32 v2, v1
	scratch_store_b64 off, v[1:2], off offset:120
	s_waitcnt vmcnt(0)
	ds_store_b64 v3, v[88:89]
.LBB105_231:
	s_or_b32 exec_lo, exec_lo, s0
	s_waitcnt lgkmcnt(0)
	s_waitcnt_vscnt null, 0x0
	s_barrier
	buffer_gl0_inv
	s_clause 0x4
	scratch_load_b128 v[88:91], off, off offset:120
	scratch_load_b128 v[92:95], off, off offset:136
	scratch_load_b128 v[96:99], off, off offset:152
	scratch_load_b128 v[100:103], off, off offset:168
	scratch_load_b128 v[104:107], off, off offset:184
	ds_load_b128 v[108:111], v1 offset:464
	ds_load_b128 v[112:115], v1 offset:480
	scratch_load_b128 v[116:119], off, off offset:200
	s_mov_b32 s0, exec_lo
	s_waitcnt vmcnt(5) lgkmcnt(1)
	v_fma_f64 v[90:91], v[90:91], v[108:109], 0
	s_waitcnt vmcnt(4)
	s_delay_alu instid0(VALU_DEP_1) | instskip(SKIP_1) | instid1(VALU_DEP_1)
	v_fma_f64 v[90:91], v[92:93], v[110:111], v[90:91]
	s_waitcnt lgkmcnt(0)
	v_fma_f64 v[94:95], v[94:95], v[112:113], v[90:91]
	scratch_load_b128 v[90:93], off, off offset:216
	s_waitcnt vmcnt(4)
	v_fma_f64 v[112:113], v[96:97], v[114:115], v[94:95]
	ds_load_b128 v[94:97], v1 offset:496
	ds_load_b128 v[108:111], v1 offset:512
	s_waitcnt lgkmcnt(1)
	v_fma_f64 v[94:95], v[98:99], v[94:95], v[112:113]
	scratch_load_b128 v[112:115], off, off offset:232
	s_waitcnt vmcnt(4)
	v_fma_f64 v[94:95], v[100:101], v[96:97], v[94:95]
	s_waitcnt lgkmcnt(0)
	s_delay_alu instid0(VALU_DEP_1)
	v_fma_f64 v[98:99], v[102:103], v[108:109], v[94:95]
	scratch_load_b128 v[94:97], off, off offset:248
	s_waitcnt vmcnt(4)
	v_fma_f64 v[108:109], v[104:105], v[110:111], v[98:99]
	ds_load_b128 v[98:101], v1 offset:528
	ds_load_b128 v[102:105], v1 offset:544
	s_waitcnt lgkmcnt(1)
	v_fma_f64 v[98:99], v[106:107], v[98:99], v[108:109]
	scratch_load_b128 v[106:109], off, off offset:264
	s_waitcnt vmcnt(4)
	v_fma_f64 v[98:99], v[116:117], v[100:101], v[98:99]
	s_waitcnt lgkmcnt(0)
	s_delay_alu instid0(VALU_DEP_1)
	;; [unrolled: 13-line block ×3, first 2 shown]
	v_fma_f64 v[110:111], v[114:115], v[116:117], v[102:103]
	scratch_load_b128 v[102:105], off, off offset:312
	s_waitcnt vmcnt(4)
	v_fma_f64 v[94:95], v[94:95], v[118:119], v[110:111]
	ds_load_b128 v[110:113], v1 offset:592
	ds_load_b128 v[114:117], v1 offset:608
	s_waitcnt lgkmcnt(1)
	v_fma_f64 v[94:95], v[96:97], v[110:111], v[94:95]
	scratch_load_b64 v[110:111], off, off offset:328
	s_waitcnt vmcnt(4)
	v_fma_f64 v[94:95], v[106:107], v[112:113], v[94:95]
	s_waitcnt lgkmcnt(0)
	s_delay_alu instid0(VALU_DEP_1) | instskip(SKIP_1) | instid1(VALU_DEP_1)
	v_fma_f64 v[94:95], v[108:109], v[114:115], v[94:95]
	s_waitcnt vmcnt(3)
	v_fma_f64 v[98:99], v[98:99], v[116:117], v[94:95]
	ds_load_b128 v[94:97], v1 offset:624
	ds_load_b128 v[106:109], v1 offset:640
	s_waitcnt lgkmcnt(1)
	v_fma_f64 v[94:95], v[100:101], v[94:95], v[98:99]
	s_waitcnt vmcnt(2)
	s_delay_alu instid0(VALU_DEP_1) | instskip(SKIP_1) | instid1(VALU_DEP_1)
	v_fma_f64 v[90:91], v[90:91], v[96:97], v[94:95]
	s_waitcnt lgkmcnt(0)
	v_fma_f64 v[90:91], v[92:93], v[106:107], v[90:91]
	s_waitcnt vmcnt(1)
	s_delay_alu instid0(VALU_DEP_1) | instskip(SKIP_4) | instid1(VALU_DEP_1)
	v_fma_f64 v[94:95], v[102:103], v[108:109], v[90:91]
	ds_load_b128 v[90:93], v1 offset:656
	s_waitcnt lgkmcnt(0)
	v_fma_f64 v[1:2], v[104:105], v[90:91], v[94:95]
	s_waitcnt vmcnt(0)
	v_fma_f64 v[1:2], v[110:111], v[92:93], v[1:2]
	s_delay_alu instid0(VALU_DEP_1)
	v_add_f64 v[1:2], v[88:89], -v[1:2]
	scratch_store_b64 off, v[1:2], off offset:120
	v_cmpx_lt_u32_e32 14, v0
	s_cbranch_execz .LBB105_233
; %bb.232:
	scratch_load_b64 v[1:2], off, off offset:112
	v_mov_b32_e32 v88, 0
	s_delay_alu instid0(VALU_DEP_1)
	v_mov_b32_e32 v89, v88
	scratch_store_b64 off, v[88:89], off offset:112
	s_waitcnt vmcnt(0)
	ds_store_b64 v3, v[1:2]
.LBB105_233:
	s_or_b32 exec_lo, exec_lo, s0
	s_waitcnt lgkmcnt(0)
	s_waitcnt_vscnt null, 0x0
	s_barrier
	buffer_gl0_inv
	s_clause 0x4
	scratch_load_b128 v[88:91], off, off offset:112
	scratch_load_b128 v[92:95], off, off offset:128
	;; [unrolled: 1-line block ×5, first 2 shown]
	v_mov_b32_e32 v1, 0
	ds_load_2addr_b64 v[108:111], v1 offset0:57 offset1:58
	ds_load_2addr_b64 v[112:115], v1 offset0:59 offset1:60
	scratch_load_b128 v[116:119], off, off offset:192
	s_mov_b32 s0, exec_lo
	s_waitcnt vmcnt(5) lgkmcnt(1)
	v_fma_f64 v[90:91], v[90:91], v[108:109], 0
	s_waitcnt vmcnt(4)
	s_delay_alu instid0(VALU_DEP_1) | instskip(SKIP_1) | instid1(VALU_DEP_1)
	v_fma_f64 v[90:91], v[92:93], v[110:111], v[90:91]
	s_waitcnt lgkmcnt(0)
	v_fma_f64 v[94:95], v[94:95], v[112:113], v[90:91]
	scratch_load_b128 v[90:93], off, off offset:208
	s_waitcnt vmcnt(4)
	v_fma_f64 v[112:113], v[96:97], v[114:115], v[94:95]
	ds_load_2addr_b64 v[94:97], v1 offset0:61 offset1:62
	ds_load_2addr_b64 v[108:111], v1 offset0:63 offset1:64
	s_waitcnt lgkmcnt(1)
	v_fma_f64 v[94:95], v[98:99], v[94:95], v[112:113]
	scratch_load_b128 v[112:115], off, off offset:224
	s_waitcnt vmcnt(4)
	v_fma_f64 v[94:95], v[100:101], v[96:97], v[94:95]
	s_waitcnt lgkmcnt(0)
	s_delay_alu instid0(VALU_DEP_1)
	v_fma_f64 v[98:99], v[102:103], v[108:109], v[94:95]
	scratch_load_b128 v[94:97], off, off offset:240
	s_waitcnt vmcnt(4)
	v_fma_f64 v[108:109], v[104:105], v[110:111], v[98:99]
	ds_load_2addr_b64 v[98:101], v1 offset0:65 offset1:66
	ds_load_2addr_b64 v[102:105], v1 offset0:67 offset1:68
	s_waitcnt lgkmcnt(1)
	v_fma_f64 v[98:99], v[106:107], v[98:99], v[108:109]
	scratch_load_b128 v[106:109], off, off offset:256
	s_waitcnt vmcnt(4)
	v_fma_f64 v[98:99], v[116:117], v[100:101], v[98:99]
	s_waitcnt lgkmcnt(0)
	s_delay_alu instid0(VALU_DEP_1)
	;; [unrolled: 13-line block ×3, first 2 shown]
	v_fma_f64 v[110:111], v[114:115], v[116:117], v[102:103]
	scratch_load_b128 v[102:105], off, off offset:304
	s_waitcnt vmcnt(4)
	v_fma_f64 v[94:95], v[94:95], v[118:119], v[110:111]
	ds_load_2addr_b64 v[110:113], v1 offset0:73 offset1:74
	ds_load_2addr_b64 v[114:117], v1 offset0:75 offset1:76
	s_waitcnt lgkmcnt(1)
	v_fma_f64 v[110:111], v[96:97], v[110:111], v[94:95]
	scratch_load_b128 v[94:97], off, off offset:320
	s_waitcnt vmcnt(4)
	v_fma_f64 v[106:107], v[106:107], v[112:113], v[110:111]
	s_waitcnt lgkmcnt(0)
	s_delay_alu instid0(VALU_DEP_1) | instskip(SKIP_1) | instid1(VALU_DEP_1)
	v_fma_f64 v[106:107], v[108:109], v[114:115], v[106:107]
	s_waitcnt vmcnt(3)
	v_fma_f64 v[98:99], v[98:99], v[116:117], v[106:107]
	ds_load_2addr_b64 v[106:109], v1 offset0:77 offset1:78
	ds_load_2addr_b64 v[110:113], v1 offset0:79 offset1:80
	s_waitcnt lgkmcnt(1)
	v_fma_f64 v[98:99], v[100:101], v[106:107], v[98:99]
	s_waitcnt vmcnt(2)
	s_delay_alu instid0(VALU_DEP_1) | instskip(SKIP_1) | instid1(VALU_DEP_1)
	v_fma_f64 v[90:91], v[90:91], v[108:109], v[98:99]
	s_waitcnt lgkmcnt(0)
	v_fma_f64 v[90:91], v[92:93], v[110:111], v[90:91]
	s_waitcnt vmcnt(1)
	s_delay_alu instid0(VALU_DEP_1)
	v_fma_f64 v[98:99], v[102:103], v[112:113], v[90:91]
	ds_load_2addr_b64 v[90:93], v1 offset0:81 offset1:82
	ds_load_b64 v[100:101], v1 offset:664
	s_waitcnt lgkmcnt(1)
	v_fma_f64 v[90:91], v[104:105], v[90:91], v[98:99]
	s_waitcnt vmcnt(0)
	s_delay_alu instid0(VALU_DEP_1) | instskip(SKIP_1) | instid1(VALU_DEP_1)
	v_fma_f64 v[90:91], v[94:95], v[92:93], v[90:91]
	s_waitcnt lgkmcnt(0)
	v_fma_f64 v[90:91], v[96:97], v[100:101], v[90:91]
	s_delay_alu instid0(VALU_DEP_1)
	v_add_f64 v[88:89], v[88:89], -v[90:91]
	scratch_store_b64 off, v[88:89], off offset:112
	v_cmpx_lt_u32_e32 13, v0
	s_cbranch_execz .LBB105_235
; %bb.234:
	scratch_load_b64 v[88:89], off, off offset:104
	v_mov_b32_e32 v2, v1
	scratch_store_b64 off, v[1:2], off offset:104
	s_waitcnt vmcnt(0)
	ds_store_b64 v3, v[88:89]
.LBB105_235:
	s_or_b32 exec_lo, exec_lo, s0
	s_waitcnt lgkmcnt(0)
	s_waitcnt_vscnt null, 0x0
	s_barrier
	buffer_gl0_inv
	s_clause 0x4
	scratch_load_b128 v[88:91], off, off offset:104
	scratch_load_b128 v[92:95], off, off offset:120
	;; [unrolled: 1-line block ×5, first 2 shown]
	ds_load_b128 v[108:111], v1 offset:448
	ds_load_b128 v[112:115], v1 offset:464
	scratch_load_b128 v[116:119], off, off offset:184
	s_mov_b32 s0, exec_lo
	s_waitcnt vmcnt(5) lgkmcnt(1)
	v_fma_f64 v[90:91], v[90:91], v[108:109], 0
	s_waitcnt vmcnt(4)
	s_delay_alu instid0(VALU_DEP_1) | instskip(SKIP_1) | instid1(VALU_DEP_1)
	v_fma_f64 v[90:91], v[92:93], v[110:111], v[90:91]
	s_waitcnt lgkmcnt(0)
	v_fma_f64 v[94:95], v[94:95], v[112:113], v[90:91]
	scratch_load_b128 v[90:93], off, off offset:200
	s_waitcnt vmcnt(4)
	v_fma_f64 v[112:113], v[96:97], v[114:115], v[94:95]
	ds_load_b128 v[94:97], v1 offset:480
	ds_load_b128 v[108:111], v1 offset:496
	s_waitcnt lgkmcnt(1)
	v_fma_f64 v[94:95], v[98:99], v[94:95], v[112:113]
	scratch_load_b128 v[112:115], off, off offset:216
	s_waitcnt vmcnt(4)
	v_fma_f64 v[94:95], v[100:101], v[96:97], v[94:95]
	s_waitcnt lgkmcnt(0)
	s_delay_alu instid0(VALU_DEP_1)
	v_fma_f64 v[98:99], v[102:103], v[108:109], v[94:95]
	scratch_load_b128 v[94:97], off, off offset:232
	s_waitcnt vmcnt(4)
	v_fma_f64 v[108:109], v[104:105], v[110:111], v[98:99]
	ds_load_b128 v[98:101], v1 offset:512
	ds_load_b128 v[102:105], v1 offset:528
	s_waitcnt lgkmcnt(1)
	v_fma_f64 v[98:99], v[106:107], v[98:99], v[108:109]
	scratch_load_b128 v[106:109], off, off offset:248
	s_waitcnt vmcnt(4)
	v_fma_f64 v[98:99], v[116:117], v[100:101], v[98:99]
	s_waitcnt lgkmcnt(0)
	s_delay_alu instid0(VALU_DEP_1)
	;; [unrolled: 13-line block ×4, first 2 shown]
	v_fma_f64 v[106:107], v[108:109], v[114:115], v[106:107]
	scratch_load_b64 v[114:115], off, off offset:328
	s_waitcnt vmcnt(4)
	v_fma_f64 v[98:99], v[98:99], v[116:117], v[106:107]
	ds_load_b128 v[106:109], v1 offset:608
	ds_load_b128 v[110:113], v1 offset:624
	s_waitcnt lgkmcnt(1)
	v_fma_f64 v[98:99], v[100:101], v[106:107], v[98:99]
	s_waitcnt vmcnt(3)
	s_delay_alu instid0(VALU_DEP_1) | instskip(SKIP_1) | instid1(VALU_DEP_1)
	v_fma_f64 v[90:91], v[90:91], v[108:109], v[98:99]
	s_waitcnt lgkmcnt(0)
	v_fma_f64 v[90:91], v[92:93], v[110:111], v[90:91]
	s_waitcnt vmcnt(2)
	s_delay_alu instid0(VALU_DEP_1)
	v_fma_f64 v[102:103], v[102:103], v[112:113], v[90:91]
	ds_load_b128 v[90:93], v1 offset:640
	ds_load_b128 v[98:101], v1 offset:656
	s_waitcnt lgkmcnt(1)
	v_fma_f64 v[1:2], v[104:105], v[90:91], v[102:103]
	s_waitcnt vmcnt(1)
	s_delay_alu instid0(VALU_DEP_1) | instskip(SKIP_1) | instid1(VALU_DEP_1)
	v_fma_f64 v[1:2], v[94:95], v[92:93], v[1:2]
	s_waitcnt lgkmcnt(0)
	v_fma_f64 v[1:2], v[96:97], v[98:99], v[1:2]
	s_waitcnt vmcnt(0)
	s_delay_alu instid0(VALU_DEP_1) | instskip(NEXT) | instid1(VALU_DEP_1)
	v_fma_f64 v[1:2], v[114:115], v[100:101], v[1:2]
	v_add_f64 v[1:2], v[88:89], -v[1:2]
	scratch_store_b64 off, v[1:2], off offset:104
	v_cmpx_lt_u32_e32 12, v0
	s_cbranch_execz .LBB105_237
; %bb.236:
	scratch_load_b64 v[1:2], off, off offset:96
	v_mov_b32_e32 v88, 0
	s_delay_alu instid0(VALU_DEP_1)
	v_mov_b32_e32 v89, v88
	scratch_store_b64 off, v[88:89], off offset:96
	s_waitcnt vmcnt(0)
	ds_store_b64 v3, v[1:2]
.LBB105_237:
	s_or_b32 exec_lo, exec_lo, s0
	s_waitcnt lgkmcnt(0)
	s_waitcnt_vscnt null, 0x0
	s_barrier
	buffer_gl0_inv
	s_clause 0x4
	scratch_load_b128 v[88:91], off, off offset:96
	scratch_load_b128 v[92:95], off, off offset:112
	;; [unrolled: 1-line block ×5, first 2 shown]
	v_mov_b32_e32 v1, 0
	ds_load_2addr_b64 v[108:111], v1 offset0:55 offset1:56
	ds_load_2addr_b64 v[112:115], v1 offset0:57 offset1:58
	scratch_load_b128 v[116:119], off, off offset:176
	s_mov_b32 s0, exec_lo
	s_waitcnt vmcnt(5) lgkmcnt(1)
	v_fma_f64 v[90:91], v[90:91], v[108:109], 0
	s_waitcnt vmcnt(4)
	s_delay_alu instid0(VALU_DEP_1) | instskip(SKIP_1) | instid1(VALU_DEP_1)
	v_fma_f64 v[90:91], v[92:93], v[110:111], v[90:91]
	s_waitcnt lgkmcnt(0)
	v_fma_f64 v[94:95], v[94:95], v[112:113], v[90:91]
	scratch_load_b128 v[90:93], off, off offset:192
	s_waitcnt vmcnt(4)
	v_fma_f64 v[112:113], v[96:97], v[114:115], v[94:95]
	ds_load_2addr_b64 v[94:97], v1 offset0:59 offset1:60
	ds_load_2addr_b64 v[108:111], v1 offset0:61 offset1:62
	s_waitcnt lgkmcnt(1)
	v_fma_f64 v[94:95], v[98:99], v[94:95], v[112:113]
	scratch_load_b128 v[112:115], off, off offset:208
	s_waitcnt vmcnt(4)
	v_fma_f64 v[94:95], v[100:101], v[96:97], v[94:95]
	s_waitcnt lgkmcnt(0)
	s_delay_alu instid0(VALU_DEP_1)
	v_fma_f64 v[98:99], v[102:103], v[108:109], v[94:95]
	scratch_load_b128 v[94:97], off, off offset:224
	s_waitcnt vmcnt(4)
	v_fma_f64 v[108:109], v[104:105], v[110:111], v[98:99]
	ds_load_2addr_b64 v[98:101], v1 offset0:63 offset1:64
	ds_load_2addr_b64 v[102:105], v1 offset0:65 offset1:66
	s_waitcnt lgkmcnt(1)
	v_fma_f64 v[98:99], v[106:107], v[98:99], v[108:109]
	scratch_load_b128 v[106:109], off, off offset:240
	s_waitcnt vmcnt(4)
	v_fma_f64 v[98:99], v[116:117], v[100:101], v[98:99]
	s_waitcnt lgkmcnt(0)
	s_delay_alu instid0(VALU_DEP_1)
	;; [unrolled: 13-line block ×4, first 2 shown]
	v_fma_f64 v[110:111], v[108:109], v[114:115], v[106:107]
	scratch_load_b128 v[106:109], off, off offset:320
	s_waitcnt vmcnt(4)
	v_fma_f64 v[98:99], v[98:99], v[116:117], v[110:111]
	ds_load_2addr_b64 v[110:113], v1 offset0:75 offset1:76
	ds_load_2addr_b64 v[114:117], v1 offset0:77 offset1:78
	s_waitcnt lgkmcnt(1)
	v_fma_f64 v[98:99], v[100:101], v[110:111], v[98:99]
	s_waitcnt vmcnt(3)
	s_delay_alu instid0(VALU_DEP_1) | instskip(SKIP_1) | instid1(VALU_DEP_1)
	v_fma_f64 v[90:91], v[90:91], v[112:113], v[98:99]
	s_waitcnt lgkmcnt(0)
	v_fma_f64 v[90:91], v[92:93], v[114:115], v[90:91]
	s_waitcnt vmcnt(2)
	s_delay_alu instid0(VALU_DEP_1)
	v_fma_f64 v[102:103], v[102:103], v[116:117], v[90:91]
	ds_load_2addr_b64 v[90:93], v1 offset0:79 offset1:80
	ds_load_2addr_b64 v[98:101], v1 offset0:81 offset1:82
	s_waitcnt lgkmcnt(1)
	v_fma_f64 v[90:91], v[104:105], v[90:91], v[102:103]
	s_waitcnt vmcnt(1)
	s_delay_alu instid0(VALU_DEP_1) | instskip(SKIP_4) | instid1(VALU_DEP_1)
	v_fma_f64 v[90:91], v[94:95], v[92:93], v[90:91]
	ds_load_b64 v[92:93], v1 offset:664
	s_waitcnt lgkmcnt(1)
	v_fma_f64 v[90:91], v[96:97], v[98:99], v[90:91]
	s_waitcnt vmcnt(0)
	v_fma_f64 v[90:91], v[106:107], v[100:101], v[90:91]
	s_waitcnt lgkmcnt(0)
	s_delay_alu instid0(VALU_DEP_1) | instskip(NEXT) | instid1(VALU_DEP_1)
	v_fma_f64 v[90:91], v[108:109], v[92:93], v[90:91]
	v_add_f64 v[88:89], v[88:89], -v[90:91]
	scratch_store_b64 off, v[88:89], off offset:96
	v_cmpx_lt_u32_e32 11, v0
	s_cbranch_execz .LBB105_239
; %bb.238:
	scratch_load_b64 v[88:89], off, off offset:88
	v_mov_b32_e32 v2, v1
	scratch_store_b64 off, v[1:2], off offset:88
	s_waitcnt vmcnt(0)
	ds_store_b64 v3, v[88:89]
.LBB105_239:
	s_or_b32 exec_lo, exec_lo, s0
	s_waitcnt lgkmcnt(0)
	s_waitcnt_vscnt null, 0x0
	s_barrier
	buffer_gl0_inv
	s_clause 0x4
	scratch_load_b128 v[88:91], off, off offset:88
	scratch_load_b128 v[92:95], off, off offset:104
	;; [unrolled: 1-line block ×5, first 2 shown]
	ds_load_b128 v[108:111], v1 offset:432
	ds_load_b128 v[112:115], v1 offset:448
	scratch_load_b128 v[116:119], off, off offset:168
	s_mov_b32 s0, exec_lo
	s_waitcnt vmcnt(5) lgkmcnt(1)
	v_fma_f64 v[90:91], v[90:91], v[108:109], 0
	s_waitcnt vmcnt(4)
	s_delay_alu instid0(VALU_DEP_1) | instskip(SKIP_1) | instid1(VALU_DEP_1)
	v_fma_f64 v[90:91], v[92:93], v[110:111], v[90:91]
	s_waitcnt lgkmcnt(0)
	v_fma_f64 v[94:95], v[94:95], v[112:113], v[90:91]
	scratch_load_b128 v[90:93], off, off offset:184
	s_waitcnt vmcnt(4)
	v_fma_f64 v[112:113], v[96:97], v[114:115], v[94:95]
	ds_load_b128 v[94:97], v1 offset:464
	ds_load_b128 v[108:111], v1 offset:480
	s_waitcnt lgkmcnt(1)
	v_fma_f64 v[94:95], v[98:99], v[94:95], v[112:113]
	scratch_load_b128 v[112:115], off, off offset:200
	s_waitcnt vmcnt(4)
	v_fma_f64 v[94:95], v[100:101], v[96:97], v[94:95]
	s_waitcnt lgkmcnt(0)
	s_delay_alu instid0(VALU_DEP_1)
	v_fma_f64 v[98:99], v[102:103], v[108:109], v[94:95]
	scratch_load_b128 v[94:97], off, off offset:216
	s_waitcnt vmcnt(4)
	v_fma_f64 v[108:109], v[104:105], v[110:111], v[98:99]
	ds_load_b128 v[98:101], v1 offset:496
	ds_load_b128 v[102:105], v1 offset:512
	s_waitcnt lgkmcnt(1)
	v_fma_f64 v[98:99], v[106:107], v[98:99], v[108:109]
	scratch_load_b128 v[106:109], off, off offset:232
	s_waitcnt vmcnt(4)
	v_fma_f64 v[98:99], v[116:117], v[100:101], v[98:99]
	s_waitcnt lgkmcnt(0)
	s_delay_alu instid0(VALU_DEP_1)
	;; [unrolled: 13-line block ×4, first 2 shown]
	v_fma_f64 v[110:111], v[108:109], v[114:115], v[106:107]
	scratch_load_b128 v[106:109], off, off offset:312
	s_waitcnt vmcnt(4)
	v_fma_f64 v[98:99], v[98:99], v[116:117], v[110:111]
	ds_load_b128 v[110:113], v1 offset:592
	ds_load_b128 v[114:117], v1 offset:608
	s_waitcnt lgkmcnt(1)
	v_fma_f64 v[98:99], v[100:101], v[110:111], v[98:99]
	scratch_load_b64 v[110:111], off, off offset:328
	s_waitcnt vmcnt(4)
	v_fma_f64 v[90:91], v[90:91], v[112:113], v[98:99]
	s_waitcnt lgkmcnt(0)
	s_delay_alu instid0(VALU_DEP_1) | instskip(SKIP_1) | instid1(VALU_DEP_1)
	v_fma_f64 v[90:91], v[92:93], v[114:115], v[90:91]
	s_waitcnt vmcnt(3)
	v_fma_f64 v[102:103], v[102:103], v[116:117], v[90:91]
	ds_load_b128 v[90:93], v1 offset:624
	ds_load_b128 v[98:101], v1 offset:640
	s_waitcnt lgkmcnt(1)
	v_fma_f64 v[90:91], v[104:105], v[90:91], v[102:103]
	s_waitcnt vmcnt(2)
	s_delay_alu instid0(VALU_DEP_1) | instskip(SKIP_1) | instid1(VALU_DEP_1)
	v_fma_f64 v[90:91], v[94:95], v[92:93], v[90:91]
	s_waitcnt lgkmcnt(0)
	v_fma_f64 v[90:91], v[96:97], v[98:99], v[90:91]
	s_waitcnt vmcnt(1)
	s_delay_alu instid0(VALU_DEP_1) | instskip(SKIP_4) | instid1(VALU_DEP_1)
	v_fma_f64 v[94:95], v[106:107], v[100:101], v[90:91]
	ds_load_b128 v[90:93], v1 offset:656
	s_waitcnt lgkmcnt(0)
	v_fma_f64 v[1:2], v[108:109], v[90:91], v[94:95]
	s_waitcnt vmcnt(0)
	v_fma_f64 v[1:2], v[110:111], v[92:93], v[1:2]
	s_delay_alu instid0(VALU_DEP_1)
	v_add_f64 v[1:2], v[88:89], -v[1:2]
	scratch_store_b64 off, v[1:2], off offset:88
	v_cmpx_lt_u32_e32 10, v0
	s_cbranch_execz .LBB105_241
; %bb.240:
	scratch_load_b64 v[1:2], off, off offset:80
	v_mov_b32_e32 v88, 0
	s_delay_alu instid0(VALU_DEP_1)
	v_mov_b32_e32 v89, v88
	scratch_store_b64 off, v[88:89], off offset:80
	s_waitcnt vmcnt(0)
	ds_store_b64 v3, v[1:2]
.LBB105_241:
	s_or_b32 exec_lo, exec_lo, s0
	s_waitcnt lgkmcnt(0)
	s_waitcnt_vscnt null, 0x0
	s_barrier
	buffer_gl0_inv
	s_clause 0x4
	scratch_load_b128 v[88:91], off, off offset:80
	scratch_load_b128 v[92:95], off, off offset:96
	;; [unrolled: 1-line block ×5, first 2 shown]
	v_mov_b32_e32 v1, 0
	ds_load_2addr_b64 v[108:111], v1 offset0:53 offset1:54
	ds_load_2addr_b64 v[112:115], v1 offset0:55 offset1:56
	scratch_load_b128 v[116:119], off, off offset:160
	s_mov_b32 s0, exec_lo
	s_waitcnt vmcnt(5) lgkmcnt(1)
	v_fma_f64 v[90:91], v[90:91], v[108:109], 0
	s_waitcnt vmcnt(4)
	s_delay_alu instid0(VALU_DEP_1) | instskip(SKIP_1) | instid1(VALU_DEP_1)
	v_fma_f64 v[90:91], v[92:93], v[110:111], v[90:91]
	s_waitcnt lgkmcnt(0)
	v_fma_f64 v[94:95], v[94:95], v[112:113], v[90:91]
	scratch_load_b128 v[90:93], off, off offset:176
	s_waitcnt vmcnt(4)
	v_fma_f64 v[112:113], v[96:97], v[114:115], v[94:95]
	ds_load_2addr_b64 v[94:97], v1 offset0:57 offset1:58
	ds_load_2addr_b64 v[108:111], v1 offset0:59 offset1:60
	s_waitcnt lgkmcnt(1)
	v_fma_f64 v[94:95], v[98:99], v[94:95], v[112:113]
	scratch_load_b128 v[112:115], off, off offset:192
	s_waitcnt vmcnt(4)
	v_fma_f64 v[94:95], v[100:101], v[96:97], v[94:95]
	s_waitcnt lgkmcnt(0)
	s_delay_alu instid0(VALU_DEP_1)
	v_fma_f64 v[98:99], v[102:103], v[108:109], v[94:95]
	scratch_load_b128 v[94:97], off, off offset:208
	s_waitcnt vmcnt(4)
	v_fma_f64 v[108:109], v[104:105], v[110:111], v[98:99]
	ds_load_2addr_b64 v[98:101], v1 offset0:61 offset1:62
	ds_load_2addr_b64 v[102:105], v1 offset0:63 offset1:64
	s_waitcnt lgkmcnt(1)
	v_fma_f64 v[98:99], v[106:107], v[98:99], v[108:109]
	scratch_load_b128 v[106:109], off, off offset:224
	s_waitcnt vmcnt(4)
	v_fma_f64 v[98:99], v[116:117], v[100:101], v[98:99]
	s_waitcnt lgkmcnt(0)
	s_delay_alu instid0(VALU_DEP_1)
	;; [unrolled: 13-line block ×4, first 2 shown]
	v_fma_f64 v[110:111], v[108:109], v[114:115], v[106:107]
	scratch_load_b128 v[106:109], off, off offset:304
	s_waitcnt vmcnt(4)
	v_fma_f64 v[98:99], v[98:99], v[116:117], v[110:111]
	ds_load_2addr_b64 v[110:113], v1 offset0:73 offset1:74
	ds_load_2addr_b64 v[114:117], v1 offset0:75 offset1:76
	s_waitcnt lgkmcnt(1)
	v_fma_f64 v[110:111], v[100:101], v[110:111], v[98:99]
	scratch_load_b128 v[98:101], off, off offset:320
	s_waitcnt vmcnt(4)
	v_fma_f64 v[90:91], v[90:91], v[112:113], v[110:111]
	s_waitcnt lgkmcnt(0)
	s_delay_alu instid0(VALU_DEP_1) | instskip(SKIP_1) | instid1(VALU_DEP_1)
	v_fma_f64 v[90:91], v[92:93], v[114:115], v[90:91]
	s_waitcnt vmcnt(3)
	v_fma_f64 v[102:103], v[102:103], v[116:117], v[90:91]
	ds_load_2addr_b64 v[90:93], v1 offset0:77 offset1:78
	ds_load_2addr_b64 v[110:113], v1 offset0:79 offset1:80
	s_waitcnt lgkmcnt(1)
	v_fma_f64 v[90:91], v[104:105], v[90:91], v[102:103]
	s_waitcnt vmcnt(2)
	s_delay_alu instid0(VALU_DEP_1) | instskip(SKIP_1) | instid1(VALU_DEP_1)
	v_fma_f64 v[90:91], v[94:95], v[92:93], v[90:91]
	s_waitcnt lgkmcnt(0)
	v_fma_f64 v[90:91], v[96:97], v[110:111], v[90:91]
	s_waitcnt vmcnt(1)
	s_delay_alu instid0(VALU_DEP_1)
	v_fma_f64 v[94:95], v[106:107], v[112:113], v[90:91]
	ds_load_2addr_b64 v[90:93], v1 offset0:81 offset1:82
	ds_load_b64 v[96:97], v1 offset:664
	s_waitcnt lgkmcnt(1)
	v_fma_f64 v[90:91], v[108:109], v[90:91], v[94:95]
	s_waitcnt vmcnt(0)
	s_delay_alu instid0(VALU_DEP_1) | instskip(SKIP_1) | instid1(VALU_DEP_1)
	v_fma_f64 v[90:91], v[98:99], v[92:93], v[90:91]
	s_waitcnt lgkmcnt(0)
	v_fma_f64 v[90:91], v[100:101], v[96:97], v[90:91]
	s_delay_alu instid0(VALU_DEP_1)
	v_add_f64 v[88:89], v[88:89], -v[90:91]
	scratch_store_b64 off, v[88:89], off offset:80
	v_cmpx_lt_u32_e32 9, v0
	s_cbranch_execz .LBB105_243
; %bb.242:
	scratch_load_b64 v[88:89], off, off offset:72
	v_mov_b32_e32 v2, v1
	scratch_store_b64 off, v[1:2], off offset:72
	s_waitcnt vmcnt(0)
	ds_store_b64 v3, v[88:89]
.LBB105_243:
	s_or_b32 exec_lo, exec_lo, s0
	s_waitcnt lgkmcnt(0)
	s_waitcnt_vscnt null, 0x0
	s_barrier
	buffer_gl0_inv
	s_clause 0x4
	scratch_load_b128 v[88:91], off, off offset:72
	scratch_load_b128 v[92:95], off, off offset:88
	;; [unrolled: 1-line block ×5, first 2 shown]
	ds_load_b128 v[108:111], v1 offset:416
	ds_load_b128 v[112:115], v1 offset:432
	scratch_load_b128 v[116:119], off, off offset:152
	s_mov_b32 s0, exec_lo
	s_waitcnt vmcnt(5) lgkmcnt(1)
	v_fma_f64 v[90:91], v[90:91], v[108:109], 0
	s_waitcnt vmcnt(4)
	s_delay_alu instid0(VALU_DEP_1) | instskip(SKIP_1) | instid1(VALU_DEP_1)
	v_fma_f64 v[90:91], v[92:93], v[110:111], v[90:91]
	s_waitcnt lgkmcnt(0)
	v_fma_f64 v[94:95], v[94:95], v[112:113], v[90:91]
	scratch_load_b128 v[90:93], off, off offset:168
	s_waitcnt vmcnt(4)
	v_fma_f64 v[112:113], v[96:97], v[114:115], v[94:95]
	ds_load_b128 v[94:97], v1 offset:448
	ds_load_b128 v[108:111], v1 offset:464
	s_waitcnt lgkmcnt(1)
	v_fma_f64 v[94:95], v[98:99], v[94:95], v[112:113]
	scratch_load_b128 v[112:115], off, off offset:184
	s_waitcnt vmcnt(4)
	v_fma_f64 v[94:95], v[100:101], v[96:97], v[94:95]
	s_waitcnt lgkmcnt(0)
	s_delay_alu instid0(VALU_DEP_1)
	v_fma_f64 v[98:99], v[102:103], v[108:109], v[94:95]
	scratch_load_b128 v[94:97], off, off offset:200
	s_waitcnt vmcnt(4)
	v_fma_f64 v[108:109], v[104:105], v[110:111], v[98:99]
	ds_load_b128 v[98:101], v1 offset:480
	ds_load_b128 v[102:105], v1 offset:496
	s_waitcnt lgkmcnt(1)
	v_fma_f64 v[98:99], v[106:107], v[98:99], v[108:109]
	scratch_load_b128 v[106:109], off, off offset:216
	s_waitcnt vmcnt(4)
	v_fma_f64 v[98:99], v[116:117], v[100:101], v[98:99]
	s_waitcnt lgkmcnt(0)
	s_delay_alu instid0(VALU_DEP_1)
	;; [unrolled: 13-line block ×5, first 2 shown]
	v_fma_f64 v[90:91], v[92:93], v[114:115], v[90:91]
	scratch_load_b64 v[114:115], off, off offset:328
	s_waitcnt vmcnt(4)
	v_fma_f64 v[102:103], v[102:103], v[116:117], v[90:91]
	ds_load_b128 v[90:93], v1 offset:608
	ds_load_b128 v[110:113], v1 offset:624
	s_waitcnt lgkmcnt(1)
	v_fma_f64 v[90:91], v[104:105], v[90:91], v[102:103]
	s_waitcnt vmcnt(3)
	s_delay_alu instid0(VALU_DEP_1) | instskip(SKIP_1) | instid1(VALU_DEP_1)
	v_fma_f64 v[90:91], v[94:95], v[92:93], v[90:91]
	s_waitcnt lgkmcnt(0)
	v_fma_f64 v[90:91], v[96:97], v[110:111], v[90:91]
	s_waitcnt vmcnt(2)
	s_delay_alu instid0(VALU_DEP_1)
	v_fma_f64 v[102:103], v[106:107], v[112:113], v[90:91]
	ds_load_b128 v[90:93], v1 offset:640
	ds_load_b128 v[94:97], v1 offset:656
	s_waitcnt lgkmcnt(1)
	v_fma_f64 v[1:2], v[108:109], v[90:91], v[102:103]
	s_waitcnt vmcnt(1)
	s_delay_alu instid0(VALU_DEP_1) | instskip(SKIP_1) | instid1(VALU_DEP_1)
	v_fma_f64 v[1:2], v[98:99], v[92:93], v[1:2]
	s_waitcnt lgkmcnt(0)
	v_fma_f64 v[1:2], v[100:101], v[94:95], v[1:2]
	s_waitcnt vmcnt(0)
	s_delay_alu instid0(VALU_DEP_1) | instskip(NEXT) | instid1(VALU_DEP_1)
	v_fma_f64 v[1:2], v[114:115], v[96:97], v[1:2]
	v_add_f64 v[1:2], v[88:89], -v[1:2]
	scratch_store_b64 off, v[1:2], off offset:72
	v_cmpx_lt_u32_e32 8, v0
	s_cbranch_execz .LBB105_245
; %bb.244:
	scratch_load_b64 v[1:2], off, off offset:64
	v_mov_b32_e32 v88, 0
	s_delay_alu instid0(VALU_DEP_1)
	v_mov_b32_e32 v89, v88
	scratch_store_b64 off, v[88:89], off offset:64
	s_waitcnt vmcnt(0)
	ds_store_b64 v3, v[1:2]
.LBB105_245:
	s_or_b32 exec_lo, exec_lo, s0
	s_waitcnt lgkmcnt(0)
	s_waitcnt_vscnt null, 0x0
	s_barrier
	buffer_gl0_inv
	s_clause 0x4
	scratch_load_b128 v[88:91], off, off offset:64
	scratch_load_b128 v[92:95], off, off offset:80
	;; [unrolled: 1-line block ×5, first 2 shown]
	v_mov_b32_e32 v1, 0
	ds_load_2addr_b64 v[108:111], v1 offset0:51 offset1:52
	ds_load_2addr_b64 v[112:115], v1 offset0:53 offset1:54
	scratch_load_b128 v[116:119], off, off offset:144
	s_mov_b32 s0, exec_lo
	s_waitcnt vmcnt(5) lgkmcnt(1)
	v_fma_f64 v[90:91], v[90:91], v[108:109], 0
	s_waitcnt vmcnt(4)
	s_delay_alu instid0(VALU_DEP_1) | instskip(SKIP_1) | instid1(VALU_DEP_1)
	v_fma_f64 v[90:91], v[92:93], v[110:111], v[90:91]
	s_waitcnt lgkmcnt(0)
	v_fma_f64 v[94:95], v[94:95], v[112:113], v[90:91]
	scratch_load_b128 v[90:93], off, off offset:160
	s_waitcnt vmcnt(4)
	v_fma_f64 v[112:113], v[96:97], v[114:115], v[94:95]
	ds_load_2addr_b64 v[94:97], v1 offset0:55 offset1:56
	ds_load_2addr_b64 v[108:111], v1 offset0:57 offset1:58
	s_waitcnt lgkmcnt(1)
	v_fma_f64 v[94:95], v[98:99], v[94:95], v[112:113]
	scratch_load_b128 v[112:115], off, off offset:176
	s_waitcnt vmcnt(4)
	v_fma_f64 v[94:95], v[100:101], v[96:97], v[94:95]
	s_waitcnt lgkmcnt(0)
	s_delay_alu instid0(VALU_DEP_1)
	v_fma_f64 v[98:99], v[102:103], v[108:109], v[94:95]
	scratch_load_b128 v[94:97], off, off offset:192
	s_waitcnt vmcnt(4)
	v_fma_f64 v[108:109], v[104:105], v[110:111], v[98:99]
	ds_load_2addr_b64 v[98:101], v1 offset0:59 offset1:60
	ds_load_2addr_b64 v[102:105], v1 offset0:61 offset1:62
	s_waitcnt lgkmcnt(1)
	v_fma_f64 v[98:99], v[106:107], v[98:99], v[108:109]
	scratch_load_b128 v[106:109], off, off offset:208
	s_waitcnt vmcnt(4)
	v_fma_f64 v[98:99], v[116:117], v[100:101], v[98:99]
	s_waitcnt lgkmcnt(0)
	s_delay_alu instid0(VALU_DEP_1)
	;; [unrolled: 13-line block ×5, first 2 shown]
	v_fma_f64 v[110:111], v[92:93], v[114:115], v[90:91]
	scratch_load_b128 v[90:93], off, off offset:320
	s_waitcnt vmcnt(4)
	v_fma_f64 v[102:103], v[102:103], v[116:117], v[110:111]
	ds_load_2addr_b64 v[110:113], v1 offset0:75 offset1:76
	ds_load_2addr_b64 v[114:117], v1 offset0:77 offset1:78
	s_waitcnt lgkmcnt(1)
	v_fma_f64 v[102:103], v[104:105], v[110:111], v[102:103]
	s_waitcnt vmcnt(3)
	s_delay_alu instid0(VALU_DEP_1) | instskip(SKIP_1) | instid1(VALU_DEP_1)
	v_fma_f64 v[94:95], v[94:95], v[112:113], v[102:103]
	s_waitcnt lgkmcnt(0)
	v_fma_f64 v[94:95], v[96:97], v[114:115], v[94:95]
	s_waitcnt vmcnt(2)
	s_delay_alu instid0(VALU_DEP_1)
	v_fma_f64 v[106:107], v[106:107], v[116:117], v[94:95]
	ds_load_2addr_b64 v[94:97], v1 offset0:79 offset1:80
	ds_load_2addr_b64 v[102:105], v1 offset0:81 offset1:82
	s_waitcnt lgkmcnt(1)
	v_fma_f64 v[94:95], v[108:109], v[94:95], v[106:107]
	s_waitcnt vmcnt(1)
	s_delay_alu instid0(VALU_DEP_1) | instskip(SKIP_1) | instid1(VALU_DEP_1)
	v_fma_f64 v[94:95], v[98:99], v[96:97], v[94:95]
	s_waitcnt lgkmcnt(0)
	v_fma_f64 v[94:95], v[100:101], v[102:103], v[94:95]
	s_waitcnt vmcnt(0)
	s_delay_alu instid0(VALU_DEP_1) | instskip(SKIP_3) | instid1(VALU_DEP_1)
	v_fma_f64 v[90:91], v[90:91], v[104:105], v[94:95]
	ds_load_b64 v[94:95], v1 offset:664
	s_waitcnt lgkmcnt(0)
	v_fma_f64 v[90:91], v[92:93], v[94:95], v[90:91]
	v_add_f64 v[88:89], v[88:89], -v[90:91]
	scratch_store_b64 off, v[88:89], off offset:64
	v_cmpx_lt_u32_e32 7, v0
	s_cbranch_execz .LBB105_247
; %bb.246:
	scratch_load_b64 v[88:89], off, off offset:56
	v_mov_b32_e32 v2, v1
	scratch_store_b64 off, v[1:2], off offset:56
	s_waitcnt vmcnt(0)
	ds_store_b64 v3, v[88:89]
.LBB105_247:
	s_or_b32 exec_lo, exec_lo, s0
	s_waitcnt lgkmcnt(0)
	s_waitcnt_vscnt null, 0x0
	s_barrier
	buffer_gl0_inv
	s_clause 0x4
	scratch_load_b128 v[88:91], off, off offset:56
	scratch_load_b128 v[92:95], off, off offset:72
	;; [unrolled: 1-line block ×5, first 2 shown]
	ds_load_b128 v[108:111], v1 offset:400
	ds_load_b128 v[112:115], v1 offset:416
	scratch_load_b128 v[116:119], off, off offset:136
	s_mov_b32 s0, exec_lo
	s_waitcnt vmcnt(5) lgkmcnt(1)
	v_fma_f64 v[90:91], v[90:91], v[108:109], 0
	s_waitcnt vmcnt(4)
	s_delay_alu instid0(VALU_DEP_1) | instskip(SKIP_1) | instid1(VALU_DEP_1)
	v_fma_f64 v[90:91], v[92:93], v[110:111], v[90:91]
	s_waitcnt lgkmcnt(0)
	v_fma_f64 v[94:95], v[94:95], v[112:113], v[90:91]
	scratch_load_b128 v[90:93], off, off offset:152
	s_waitcnt vmcnt(4)
	v_fma_f64 v[112:113], v[96:97], v[114:115], v[94:95]
	ds_load_b128 v[94:97], v1 offset:432
	ds_load_b128 v[108:111], v1 offset:448
	s_waitcnt lgkmcnt(1)
	v_fma_f64 v[94:95], v[98:99], v[94:95], v[112:113]
	scratch_load_b128 v[112:115], off, off offset:168
	s_waitcnt vmcnt(4)
	v_fma_f64 v[94:95], v[100:101], v[96:97], v[94:95]
	s_waitcnt lgkmcnt(0)
	s_delay_alu instid0(VALU_DEP_1)
	v_fma_f64 v[98:99], v[102:103], v[108:109], v[94:95]
	scratch_load_b128 v[94:97], off, off offset:184
	s_waitcnt vmcnt(4)
	v_fma_f64 v[108:109], v[104:105], v[110:111], v[98:99]
	ds_load_b128 v[98:101], v1 offset:464
	ds_load_b128 v[102:105], v1 offset:480
	s_waitcnt lgkmcnt(1)
	v_fma_f64 v[98:99], v[106:107], v[98:99], v[108:109]
	scratch_load_b128 v[106:109], off, off offset:200
	s_waitcnt vmcnt(4)
	v_fma_f64 v[98:99], v[116:117], v[100:101], v[98:99]
	s_waitcnt lgkmcnt(0)
	s_delay_alu instid0(VALU_DEP_1)
	;; [unrolled: 13-line block ×5, first 2 shown]
	v_fma_f64 v[110:111], v[92:93], v[114:115], v[90:91]
	scratch_load_b128 v[90:93], off, off offset:312
	s_waitcnt vmcnt(4)
	v_fma_f64 v[102:103], v[102:103], v[116:117], v[110:111]
	ds_load_b128 v[110:113], v1 offset:592
	ds_load_b128 v[114:117], v1 offset:608
	s_waitcnt lgkmcnt(1)
	v_fma_f64 v[102:103], v[104:105], v[110:111], v[102:103]
	scratch_load_b64 v[110:111], off, off offset:328
	s_waitcnt vmcnt(4)
	v_fma_f64 v[94:95], v[94:95], v[112:113], v[102:103]
	s_waitcnt lgkmcnt(0)
	s_delay_alu instid0(VALU_DEP_1) | instskip(SKIP_1) | instid1(VALU_DEP_1)
	v_fma_f64 v[94:95], v[96:97], v[114:115], v[94:95]
	s_waitcnt vmcnt(3)
	v_fma_f64 v[106:107], v[106:107], v[116:117], v[94:95]
	ds_load_b128 v[94:97], v1 offset:624
	ds_load_b128 v[102:105], v1 offset:640
	s_waitcnt lgkmcnt(1)
	v_fma_f64 v[94:95], v[108:109], v[94:95], v[106:107]
	s_waitcnt vmcnt(2)
	s_delay_alu instid0(VALU_DEP_1) | instskip(SKIP_1) | instid1(VALU_DEP_1)
	v_fma_f64 v[94:95], v[98:99], v[96:97], v[94:95]
	s_waitcnt lgkmcnt(0)
	v_fma_f64 v[94:95], v[100:101], v[102:103], v[94:95]
	s_waitcnt vmcnt(1)
	s_delay_alu instid0(VALU_DEP_1) | instskip(SKIP_4) | instid1(VALU_DEP_1)
	v_fma_f64 v[90:91], v[90:91], v[104:105], v[94:95]
	ds_load_b128 v[94:97], v1 offset:656
	s_waitcnt lgkmcnt(0)
	v_fma_f64 v[1:2], v[92:93], v[94:95], v[90:91]
	s_waitcnt vmcnt(0)
	v_fma_f64 v[1:2], v[110:111], v[96:97], v[1:2]
	s_delay_alu instid0(VALU_DEP_1)
	v_add_f64 v[1:2], v[88:89], -v[1:2]
	scratch_store_b64 off, v[1:2], off offset:56
	v_cmpx_lt_u32_e32 6, v0
	s_cbranch_execz .LBB105_249
; %bb.248:
	scratch_load_b64 v[1:2], off, off offset:48
	v_mov_b32_e32 v88, 0
	s_delay_alu instid0(VALU_DEP_1)
	v_mov_b32_e32 v89, v88
	scratch_store_b64 off, v[88:89], off offset:48
	s_waitcnt vmcnt(0)
	ds_store_b64 v3, v[1:2]
.LBB105_249:
	s_or_b32 exec_lo, exec_lo, s0
	s_waitcnt lgkmcnt(0)
	s_waitcnt_vscnt null, 0x0
	s_barrier
	buffer_gl0_inv
	s_clause 0x4
	scratch_load_b128 v[88:91], off, off offset:48
	scratch_load_b128 v[92:95], off, off offset:64
	;; [unrolled: 1-line block ×5, first 2 shown]
	v_mov_b32_e32 v1, 0
	ds_load_2addr_b64 v[108:111], v1 offset0:49 offset1:50
	ds_load_2addr_b64 v[112:115], v1 offset0:51 offset1:52
	scratch_load_b128 v[116:119], off, off offset:128
	s_mov_b32 s0, exec_lo
	s_waitcnt vmcnt(5) lgkmcnt(1)
	v_fma_f64 v[90:91], v[90:91], v[108:109], 0
	s_waitcnt vmcnt(4)
	s_delay_alu instid0(VALU_DEP_1) | instskip(SKIP_1) | instid1(VALU_DEP_1)
	v_fma_f64 v[90:91], v[92:93], v[110:111], v[90:91]
	s_waitcnt lgkmcnt(0)
	v_fma_f64 v[94:95], v[94:95], v[112:113], v[90:91]
	scratch_load_b128 v[90:93], off, off offset:144
	s_waitcnt vmcnt(4)
	v_fma_f64 v[112:113], v[96:97], v[114:115], v[94:95]
	ds_load_2addr_b64 v[94:97], v1 offset0:53 offset1:54
	ds_load_2addr_b64 v[108:111], v1 offset0:55 offset1:56
	s_waitcnt lgkmcnt(1)
	v_fma_f64 v[94:95], v[98:99], v[94:95], v[112:113]
	scratch_load_b128 v[112:115], off, off offset:160
	s_waitcnt vmcnt(4)
	v_fma_f64 v[94:95], v[100:101], v[96:97], v[94:95]
	s_waitcnt lgkmcnt(0)
	s_delay_alu instid0(VALU_DEP_1)
	v_fma_f64 v[98:99], v[102:103], v[108:109], v[94:95]
	scratch_load_b128 v[94:97], off, off offset:176
	s_waitcnt vmcnt(4)
	v_fma_f64 v[108:109], v[104:105], v[110:111], v[98:99]
	ds_load_2addr_b64 v[98:101], v1 offset0:57 offset1:58
	ds_load_2addr_b64 v[102:105], v1 offset0:59 offset1:60
	s_waitcnt lgkmcnt(1)
	v_fma_f64 v[98:99], v[106:107], v[98:99], v[108:109]
	scratch_load_b128 v[106:109], off, off offset:192
	s_waitcnt vmcnt(4)
	v_fma_f64 v[98:99], v[116:117], v[100:101], v[98:99]
	s_waitcnt lgkmcnt(0)
	s_delay_alu instid0(VALU_DEP_1)
	;; [unrolled: 13-line block ×5, first 2 shown]
	v_fma_f64 v[110:111], v[92:93], v[114:115], v[90:91]
	scratch_load_b128 v[90:93], off, off offset:304
	s_waitcnt vmcnt(4)
	v_fma_f64 v[102:103], v[102:103], v[116:117], v[110:111]
	ds_load_2addr_b64 v[110:113], v1 offset0:73 offset1:74
	ds_load_2addr_b64 v[114:117], v1 offset0:75 offset1:76
	s_waitcnt lgkmcnt(1)
	v_fma_f64 v[110:111], v[104:105], v[110:111], v[102:103]
	scratch_load_b128 v[102:105], off, off offset:320
	s_waitcnt vmcnt(4)
	v_fma_f64 v[94:95], v[94:95], v[112:113], v[110:111]
	s_waitcnt lgkmcnt(0)
	s_delay_alu instid0(VALU_DEP_1) | instskip(SKIP_1) | instid1(VALU_DEP_1)
	v_fma_f64 v[94:95], v[96:97], v[114:115], v[94:95]
	s_waitcnt vmcnt(3)
	v_fma_f64 v[106:107], v[106:107], v[116:117], v[94:95]
	ds_load_2addr_b64 v[94:97], v1 offset0:77 offset1:78
	ds_load_2addr_b64 v[110:113], v1 offset0:79 offset1:80
	s_waitcnt lgkmcnt(1)
	v_fma_f64 v[94:95], v[108:109], v[94:95], v[106:107]
	s_waitcnt vmcnt(2)
	s_delay_alu instid0(VALU_DEP_1) | instskip(SKIP_1) | instid1(VALU_DEP_1)
	v_fma_f64 v[94:95], v[98:99], v[96:97], v[94:95]
	s_waitcnt lgkmcnt(0)
	v_fma_f64 v[94:95], v[100:101], v[110:111], v[94:95]
	s_waitcnt vmcnt(1)
	s_delay_alu instid0(VALU_DEP_1)
	v_fma_f64 v[90:91], v[90:91], v[112:113], v[94:95]
	ds_load_2addr_b64 v[94:97], v1 offset0:81 offset1:82
	ds_load_b64 v[98:99], v1 offset:664
	s_waitcnt lgkmcnt(1)
	v_fma_f64 v[90:91], v[92:93], v[94:95], v[90:91]
	s_waitcnt vmcnt(0)
	s_delay_alu instid0(VALU_DEP_1) | instskip(SKIP_1) | instid1(VALU_DEP_1)
	v_fma_f64 v[90:91], v[102:103], v[96:97], v[90:91]
	s_waitcnt lgkmcnt(0)
	v_fma_f64 v[90:91], v[104:105], v[98:99], v[90:91]
	s_delay_alu instid0(VALU_DEP_1)
	v_add_f64 v[88:89], v[88:89], -v[90:91]
	scratch_store_b64 off, v[88:89], off offset:48
	v_cmpx_lt_u32_e32 5, v0
	s_cbranch_execz .LBB105_251
; %bb.250:
	scratch_load_b64 v[88:89], off, off offset:40
	v_mov_b32_e32 v2, v1
	scratch_store_b64 off, v[1:2], off offset:40
	s_waitcnt vmcnt(0)
	ds_store_b64 v3, v[88:89]
.LBB105_251:
	s_or_b32 exec_lo, exec_lo, s0
	s_waitcnt lgkmcnt(0)
	s_waitcnt_vscnt null, 0x0
	s_barrier
	buffer_gl0_inv
	s_clause 0x4
	scratch_load_b128 v[88:91], off, off offset:40
	scratch_load_b128 v[92:95], off, off offset:56
	;; [unrolled: 1-line block ×5, first 2 shown]
	ds_load_b128 v[108:111], v1 offset:384
	ds_load_b128 v[112:115], v1 offset:400
	scratch_load_b128 v[116:119], off, off offset:120
	s_mov_b32 s0, exec_lo
	s_waitcnt vmcnt(5) lgkmcnt(1)
	v_fma_f64 v[90:91], v[90:91], v[108:109], 0
	s_waitcnt vmcnt(4)
	s_delay_alu instid0(VALU_DEP_1) | instskip(SKIP_1) | instid1(VALU_DEP_1)
	v_fma_f64 v[90:91], v[92:93], v[110:111], v[90:91]
	s_waitcnt lgkmcnt(0)
	v_fma_f64 v[94:95], v[94:95], v[112:113], v[90:91]
	scratch_load_b128 v[90:93], off, off offset:136
	s_waitcnt vmcnt(4)
	v_fma_f64 v[112:113], v[96:97], v[114:115], v[94:95]
	ds_load_b128 v[94:97], v1 offset:416
	ds_load_b128 v[108:111], v1 offset:432
	s_waitcnt lgkmcnt(1)
	v_fma_f64 v[94:95], v[98:99], v[94:95], v[112:113]
	scratch_load_b128 v[112:115], off, off offset:152
	s_waitcnt vmcnt(4)
	v_fma_f64 v[94:95], v[100:101], v[96:97], v[94:95]
	s_waitcnt lgkmcnt(0)
	s_delay_alu instid0(VALU_DEP_1)
	v_fma_f64 v[98:99], v[102:103], v[108:109], v[94:95]
	scratch_load_b128 v[94:97], off, off offset:168
	s_waitcnt vmcnt(4)
	v_fma_f64 v[108:109], v[104:105], v[110:111], v[98:99]
	ds_load_b128 v[98:101], v1 offset:448
	ds_load_b128 v[102:105], v1 offset:464
	s_waitcnt lgkmcnt(1)
	v_fma_f64 v[98:99], v[106:107], v[98:99], v[108:109]
	scratch_load_b128 v[106:109], off, off offset:184
	s_waitcnt vmcnt(4)
	v_fma_f64 v[98:99], v[116:117], v[100:101], v[98:99]
	s_waitcnt lgkmcnt(0)
	s_delay_alu instid0(VALU_DEP_1)
	;; [unrolled: 13-line block ×6, first 2 shown]
	v_fma_f64 v[94:95], v[96:97], v[114:115], v[94:95]
	scratch_load_b64 v[114:115], off, off offset:328
	s_waitcnt vmcnt(4)
	v_fma_f64 v[106:107], v[106:107], v[116:117], v[94:95]
	ds_load_b128 v[94:97], v1 offset:608
	ds_load_b128 v[110:113], v1 offset:624
	s_waitcnt lgkmcnt(1)
	v_fma_f64 v[94:95], v[108:109], v[94:95], v[106:107]
	s_waitcnt vmcnt(3)
	s_delay_alu instid0(VALU_DEP_1) | instskip(SKIP_1) | instid1(VALU_DEP_1)
	v_fma_f64 v[94:95], v[98:99], v[96:97], v[94:95]
	s_waitcnt lgkmcnt(0)
	v_fma_f64 v[94:95], v[100:101], v[110:111], v[94:95]
	s_waitcnt vmcnt(2)
	s_delay_alu instid0(VALU_DEP_1)
	v_fma_f64 v[90:91], v[90:91], v[112:113], v[94:95]
	ds_load_b128 v[94:97], v1 offset:640
	ds_load_b128 v[98:101], v1 offset:656
	s_waitcnt lgkmcnt(1)
	v_fma_f64 v[1:2], v[92:93], v[94:95], v[90:91]
	s_waitcnt vmcnt(1)
	s_delay_alu instid0(VALU_DEP_1) | instskip(SKIP_1) | instid1(VALU_DEP_1)
	v_fma_f64 v[1:2], v[102:103], v[96:97], v[1:2]
	s_waitcnt lgkmcnt(0)
	v_fma_f64 v[1:2], v[104:105], v[98:99], v[1:2]
	s_waitcnt vmcnt(0)
	s_delay_alu instid0(VALU_DEP_1) | instskip(NEXT) | instid1(VALU_DEP_1)
	v_fma_f64 v[1:2], v[114:115], v[100:101], v[1:2]
	v_add_f64 v[1:2], v[88:89], -v[1:2]
	scratch_store_b64 off, v[1:2], off offset:40
	v_cmpx_lt_u32_e32 4, v0
	s_cbranch_execz .LBB105_253
; %bb.252:
	scratch_load_b64 v[1:2], off, off offset:32
	v_mov_b32_e32 v88, 0
	s_delay_alu instid0(VALU_DEP_1)
	v_mov_b32_e32 v89, v88
	scratch_store_b64 off, v[88:89], off offset:32
	s_waitcnt vmcnt(0)
	ds_store_b64 v3, v[1:2]
.LBB105_253:
	s_or_b32 exec_lo, exec_lo, s0
	s_waitcnt lgkmcnt(0)
	s_waitcnt_vscnt null, 0x0
	s_barrier
	buffer_gl0_inv
	s_clause 0x4
	scratch_load_b128 v[88:91], off, off offset:32
	scratch_load_b128 v[92:95], off, off offset:48
	;; [unrolled: 1-line block ×5, first 2 shown]
	v_mov_b32_e32 v1, 0
	ds_load_2addr_b64 v[108:111], v1 offset0:47 offset1:48
	ds_load_2addr_b64 v[112:115], v1 offset0:49 offset1:50
	scratch_load_b128 v[116:119], off, off offset:112
	s_mov_b32 s0, exec_lo
	s_waitcnt vmcnt(5) lgkmcnt(1)
	v_fma_f64 v[90:91], v[90:91], v[108:109], 0
	s_waitcnt vmcnt(4)
	s_delay_alu instid0(VALU_DEP_1) | instskip(SKIP_1) | instid1(VALU_DEP_1)
	v_fma_f64 v[90:91], v[92:93], v[110:111], v[90:91]
	s_waitcnt lgkmcnt(0)
	v_fma_f64 v[94:95], v[94:95], v[112:113], v[90:91]
	scratch_load_b128 v[90:93], off, off offset:128
	s_waitcnt vmcnt(4)
	v_fma_f64 v[112:113], v[96:97], v[114:115], v[94:95]
	ds_load_2addr_b64 v[94:97], v1 offset0:51 offset1:52
	ds_load_2addr_b64 v[108:111], v1 offset0:53 offset1:54
	s_waitcnt lgkmcnt(1)
	v_fma_f64 v[94:95], v[98:99], v[94:95], v[112:113]
	scratch_load_b128 v[112:115], off, off offset:144
	s_waitcnt vmcnt(4)
	v_fma_f64 v[94:95], v[100:101], v[96:97], v[94:95]
	s_waitcnt lgkmcnt(0)
	s_delay_alu instid0(VALU_DEP_1)
	v_fma_f64 v[98:99], v[102:103], v[108:109], v[94:95]
	scratch_load_b128 v[94:97], off, off offset:160
	s_waitcnt vmcnt(4)
	v_fma_f64 v[108:109], v[104:105], v[110:111], v[98:99]
	ds_load_2addr_b64 v[98:101], v1 offset0:55 offset1:56
	ds_load_2addr_b64 v[102:105], v1 offset0:57 offset1:58
	s_waitcnt lgkmcnt(1)
	v_fma_f64 v[98:99], v[106:107], v[98:99], v[108:109]
	scratch_load_b128 v[106:109], off, off offset:176
	s_waitcnt vmcnt(4)
	v_fma_f64 v[98:99], v[116:117], v[100:101], v[98:99]
	s_waitcnt lgkmcnt(0)
	s_delay_alu instid0(VALU_DEP_1)
	;; [unrolled: 13-line block ×6, first 2 shown]
	v_fma_f64 v[110:111], v[96:97], v[114:115], v[94:95]
	scratch_load_b128 v[94:97], off, off offset:320
	s_waitcnt vmcnt(4)
	v_fma_f64 v[106:107], v[106:107], v[116:117], v[110:111]
	ds_load_2addr_b64 v[110:113], v1 offset0:75 offset1:76
	ds_load_2addr_b64 v[114:117], v1 offset0:77 offset1:78
	s_waitcnt lgkmcnt(1)
	v_fma_f64 v[106:107], v[108:109], v[110:111], v[106:107]
	s_waitcnt vmcnt(3)
	s_delay_alu instid0(VALU_DEP_1) | instskip(SKIP_1) | instid1(VALU_DEP_1)
	v_fma_f64 v[98:99], v[98:99], v[112:113], v[106:107]
	s_waitcnt lgkmcnt(0)
	v_fma_f64 v[98:99], v[100:101], v[114:115], v[98:99]
	s_waitcnt vmcnt(2)
	s_delay_alu instid0(VALU_DEP_1)
	v_fma_f64 v[90:91], v[90:91], v[116:117], v[98:99]
	ds_load_2addr_b64 v[98:101], v1 offset0:79 offset1:80
	ds_load_2addr_b64 v[106:109], v1 offset0:81 offset1:82
	s_waitcnt lgkmcnt(1)
	v_fma_f64 v[90:91], v[92:93], v[98:99], v[90:91]
	ds_load_b64 v[92:93], v1 offset:664
	s_waitcnt vmcnt(1)
	v_fma_f64 v[90:91], v[102:103], v[100:101], v[90:91]
	s_waitcnt lgkmcnt(1)
	s_delay_alu instid0(VALU_DEP_1) | instskip(SKIP_1) | instid1(VALU_DEP_1)
	v_fma_f64 v[90:91], v[104:105], v[106:107], v[90:91]
	s_waitcnt vmcnt(0)
	v_fma_f64 v[90:91], v[94:95], v[108:109], v[90:91]
	s_waitcnt lgkmcnt(0)
	s_delay_alu instid0(VALU_DEP_1) | instskip(NEXT) | instid1(VALU_DEP_1)
	v_fma_f64 v[90:91], v[96:97], v[92:93], v[90:91]
	v_add_f64 v[88:89], v[88:89], -v[90:91]
	scratch_store_b64 off, v[88:89], off offset:32
	v_cmpx_lt_u32_e32 3, v0
	s_cbranch_execz .LBB105_255
; %bb.254:
	scratch_load_b64 v[88:89], off, off offset:24
	v_mov_b32_e32 v2, v1
	scratch_store_b64 off, v[1:2], off offset:24
	s_waitcnt vmcnt(0)
	ds_store_b64 v3, v[88:89]
.LBB105_255:
	s_or_b32 exec_lo, exec_lo, s0
	s_waitcnt lgkmcnt(0)
	s_waitcnt_vscnt null, 0x0
	s_barrier
	buffer_gl0_inv
	s_clause 0x4
	scratch_load_b128 v[88:91], off, off offset:24
	scratch_load_b128 v[92:95], off, off offset:40
	;; [unrolled: 1-line block ×5, first 2 shown]
	ds_load_b128 v[108:111], v1 offset:368
	ds_load_b128 v[112:115], v1 offset:384
	scratch_load_b128 v[116:119], off, off offset:104
	s_mov_b32 s0, exec_lo
	s_waitcnt vmcnt(5) lgkmcnt(1)
	v_fma_f64 v[90:91], v[90:91], v[108:109], 0
	s_waitcnt vmcnt(4)
	s_delay_alu instid0(VALU_DEP_1) | instskip(SKIP_1) | instid1(VALU_DEP_1)
	v_fma_f64 v[90:91], v[92:93], v[110:111], v[90:91]
	s_waitcnt lgkmcnt(0)
	v_fma_f64 v[94:95], v[94:95], v[112:113], v[90:91]
	scratch_load_b128 v[90:93], off, off offset:120
	s_waitcnt vmcnt(4)
	v_fma_f64 v[112:113], v[96:97], v[114:115], v[94:95]
	ds_load_b128 v[94:97], v1 offset:400
	ds_load_b128 v[108:111], v1 offset:416
	s_waitcnt lgkmcnt(1)
	v_fma_f64 v[94:95], v[98:99], v[94:95], v[112:113]
	scratch_load_b128 v[112:115], off, off offset:136
	s_waitcnt vmcnt(4)
	v_fma_f64 v[94:95], v[100:101], v[96:97], v[94:95]
	s_waitcnt lgkmcnt(0)
	s_delay_alu instid0(VALU_DEP_1)
	v_fma_f64 v[98:99], v[102:103], v[108:109], v[94:95]
	scratch_load_b128 v[94:97], off, off offset:152
	s_waitcnt vmcnt(4)
	v_fma_f64 v[108:109], v[104:105], v[110:111], v[98:99]
	ds_load_b128 v[98:101], v1 offset:432
	ds_load_b128 v[102:105], v1 offset:448
	s_waitcnt lgkmcnt(1)
	v_fma_f64 v[98:99], v[106:107], v[98:99], v[108:109]
	scratch_load_b128 v[106:109], off, off offset:168
	s_waitcnt vmcnt(4)
	v_fma_f64 v[98:99], v[116:117], v[100:101], v[98:99]
	s_waitcnt lgkmcnt(0)
	s_delay_alu instid0(VALU_DEP_1)
	;; [unrolled: 13-line block ×6, first 2 shown]
	v_fma_f64 v[110:111], v[96:97], v[114:115], v[94:95]
	scratch_load_b128 v[94:97], off, off offset:312
	s_waitcnt vmcnt(4)
	v_fma_f64 v[106:107], v[106:107], v[116:117], v[110:111]
	ds_load_b128 v[110:113], v1 offset:592
	ds_load_b128 v[114:117], v1 offset:608
	s_waitcnt lgkmcnt(1)
	v_fma_f64 v[106:107], v[108:109], v[110:111], v[106:107]
	scratch_load_b64 v[110:111], off, off offset:328
	s_waitcnt vmcnt(4)
	v_fma_f64 v[98:99], v[98:99], v[112:113], v[106:107]
	s_waitcnt lgkmcnt(0)
	s_delay_alu instid0(VALU_DEP_1) | instskip(SKIP_1) | instid1(VALU_DEP_1)
	v_fma_f64 v[98:99], v[100:101], v[114:115], v[98:99]
	s_waitcnt vmcnt(3)
	v_fma_f64 v[90:91], v[90:91], v[116:117], v[98:99]
	ds_load_b128 v[98:101], v1 offset:624
	ds_load_b128 v[106:109], v1 offset:640
	s_waitcnt lgkmcnt(1)
	v_fma_f64 v[90:91], v[92:93], v[98:99], v[90:91]
	s_waitcnt vmcnt(2)
	s_delay_alu instid0(VALU_DEP_1) | instskip(SKIP_1) | instid1(VALU_DEP_1)
	v_fma_f64 v[90:91], v[102:103], v[100:101], v[90:91]
	s_waitcnt lgkmcnt(0)
	v_fma_f64 v[90:91], v[104:105], v[106:107], v[90:91]
	s_waitcnt vmcnt(1)
	s_delay_alu instid0(VALU_DEP_1) | instskip(SKIP_4) | instid1(VALU_DEP_1)
	v_fma_f64 v[94:95], v[94:95], v[108:109], v[90:91]
	ds_load_b128 v[90:93], v1 offset:656
	s_waitcnt lgkmcnt(0)
	v_fma_f64 v[1:2], v[96:97], v[90:91], v[94:95]
	s_waitcnt vmcnt(0)
	v_fma_f64 v[1:2], v[110:111], v[92:93], v[1:2]
	s_delay_alu instid0(VALU_DEP_1)
	v_add_f64 v[1:2], v[88:89], -v[1:2]
	scratch_store_b64 off, v[1:2], off offset:24
	v_cmpx_lt_u32_e32 2, v0
	s_cbranch_execz .LBB105_257
; %bb.256:
	scratch_load_b64 v[1:2], off, off offset:16
	v_mov_b32_e32 v88, 0
	s_delay_alu instid0(VALU_DEP_1)
	v_mov_b32_e32 v89, v88
	scratch_store_b64 off, v[88:89], off offset:16
	s_waitcnt vmcnt(0)
	ds_store_b64 v3, v[1:2]
.LBB105_257:
	s_or_b32 exec_lo, exec_lo, s0
	s_waitcnt lgkmcnt(0)
	s_waitcnt_vscnt null, 0x0
	s_barrier
	buffer_gl0_inv
	s_clause 0x4
	scratch_load_b128 v[88:91], off, off offset:16
	scratch_load_b128 v[92:95], off, off offset:32
	;; [unrolled: 1-line block ×5, first 2 shown]
	v_mov_b32_e32 v1, 0
	ds_load_2addr_b64 v[108:111], v1 offset0:45 offset1:46
	ds_load_2addr_b64 v[112:115], v1 offset0:47 offset1:48
	scratch_load_b128 v[116:119], off, off offset:96
	s_mov_b32 s0, exec_lo
	s_waitcnt vmcnt(5) lgkmcnt(1)
	v_fma_f64 v[90:91], v[90:91], v[108:109], 0
	s_waitcnt vmcnt(4)
	s_delay_alu instid0(VALU_DEP_1) | instskip(SKIP_1) | instid1(VALU_DEP_1)
	v_fma_f64 v[90:91], v[92:93], v[110:111], v[90:91]
	s_waitcnt lgkmcnt(0)
	v_fma_f64 v[94:95], v[94:95], v[112:113], v[90:91]
	scratch_load_b128 v[90:93], off, off offset:112
	s_waitcnt vmcnt(4)
	v_fma_f64 v[112:113], v[96:97], v[114:115], v[94:95]
	ds_load_2addr_b64 v[94:97], v1 offset0:49 offset1:50
	ds_load_2addr_b64 v[108:111], v1 offset0:51 offset1:52
	s_waitcnt lgkmcnt(1)
	v_fma_f64 v[94:95], v[98:99], v[94:95], v[112:113]
	scratch_load_b128 v[112:115], off, off offset:128
	s_waitcnt vmcnt(4)
	v_fma_f64 v[94:95], v[100:101], v[96:97], v[94:95]
	s_waitcnt lgkmcnt(0)
	s_delay_alu instid0(VALU_DEP_1)
	v_fma_f64 v[98:99], v[102:103], v[108:109], v[94:95]
	scratch_load_b128 v[94:97], off, off offset:144
	s_waitcnt vmcnt(4)
	v_fma_f64 v[108:109], v[104:105], v[110:111], v[98:99]
	ds_load_2addr_b64 v[98:101], v1 offset0:53 offset1:54
	ds_load_2addr_b64 v[102:105], v1 offset0:55 offset1:56
	s_waitcnt lgkmcnt(1)
	v_fma_f64 v[98:99], v[106:107], v[98:99], v[108:109]
	scratch_load_b128 v[106:109], off, off offset:160
	s_waitcnt vmcnt(4)
	v_fma_f64 v[98:99], v[116:117], v[100:101], v[98:99]
	s_waitcnt lgkmcnt(0)
	s_delay_alu instid0(VALU_DEP_1)
	;; [unrolled: 13-line block ×6, first 2 shown]
	v_fma_f64 v[110:111], v[96:97], v[114:115], v[94:95]
	scratch_load_b128 v[94:97], off, off offset:304
	s_waitcnt vmcnt(4)
	v_fma_f64 v[106:107], v[106:107], v[116:117], v[110:111]
	ds_load_2addr_b64 v[110:113], v1 offset0:73 offset1:74
	ds_load_2addr_b64 v[114:117], v1 offset0:75 offset1:76
	s_waitcnt lgkmcnt(1)
	v_fma_f64 v[110:111], v[108:109], v[110:111], v[106:107]
	scratch_load_b128 v[106:109], off, off offset:320
	s_waitcnt vmcnt(4)
	v_fma_f64 v[98:99], v[98:99], v[112:113], v[110:111]
	s_waitcnt lgkmcnt(0)
	s_delay_alu instid0(VALU_DEP_1) | instskip(SKIP_1) | instid1(VALU_DEP_1)
	v_fma_f64 v[98:99], v[100:101], v[114:115], v[98:99]
	s_waitcnt vmcnt(3)
	v_fma_f64 v[90:91], v[90:91], v[116:117], v[98:99]
	ds_load_2addr_b64 v[98:101], v1 offset0:77 offset1:78
	ds_load_2addr_b64 v[110:113], v1 offset0:79 offset1:80
	s_waitcnt lgkmcnt(1)
	v_fma_f64 v[90:91], v[92:93], v[98:99], v[90:91]
	s_waitcnt vmcnt(2)
	s_delay_alu instid0(VALU_DEP_1) | instskip(SKIP_1) | instid1(VALU_DEP_1)
	v_fma_f64 v[90:91], v[102:103], v[100:101], v[90:91]
	s_waitcnt lgkmcnt(0)
	v_fma_f64 v[90:91], v[104:105], v[110:111], v[90:91]
	s_waitcnt vmcnt(1)
	s_delay_alu instid0(VALU_DEP_1)
	v_fma_f64 v[94:95], v[94:95], v[112:113], v[90:91]
	ds_load_2addr_b64 v[90:93], v1 offset0:81 offset1:82
	ds_load_b64 v[98:99], v1 offset:664
	s_waitcnt lgkmcnt(1)
	v_fma_f64 v[90:91], v[96:97], v[90:91], v[94:95]
	s_waitcnt vmcnt(0)
	s_delay_alu instid0(VALU_DEP_1) | instskip(SKIP_1) | instid1(VALU_DEP_1)
	v_fma_f64 v[90:91], v[106:107], v[92:93], v[90:91]
	s_waitcnt lgkmcnt(0)
	v_fma_f64 v[90:91], v[108:109], v[98:99], v[90:91]
	s_delay_alu instid0(VALU_DEP_1)
	v_add_f64 v[88:89], v[88:89], -v[90:91]
	scratch_store_b64 off, v[88:89], off offset:16
	v_cmpx_lt_u32_e32 1, v0
	s_cbranch_execz .LBB105_259
; %bb.258:
	scratch_load_b64 v[88:89], off, off offset:8
	v_mov_b32_e32 v2, v1
	scratch_store_b64 off, v[1:2], off offset:8
	s_waitcnt vmcnt(0)
	ds_store_b64 v3, v[88:89]
.LBB105_259:
	s_or_b32 exec_lo, exec_lo, s0
	s_waitcnt lgkmcnt(0)
	s_waitcnt_vscnt null, 0x0
	s_barrier
	buffer_gl0_inv
	s_clause 0x4
	scratch_load_b128 v[88:91], off, off offset:8
	scratch_load_b128 v[92:95], off, off offset:24
	;; [unrolled: 1-line block ×5, first 2 shown]
	ds_load_b128 v[108:111], v1 offset:352
	ds_load_b128 v[112:115], v1 offset:368
	scratch_load_b128 v[116:119], off, off offset:88
	s_mov_b32 s0, exec_lo
	s_waitcnt vmcnt(5) lgkmcnt(1)
	v_fma_f64 v[90:91], v[90:91], v[108:109], 0
	s_waitcnt vmcnt(4)
	s_delay_alu instid0(VALU_DEP_1) | instskip(SKIP_1) | instid1(VALU_DEP_1)
	v_fma_f64 v[90:91], v[92:93], v[110:111], v[90:91]
	s_waitcnt lgkmcnt(0)
	v_fma_f64 v[94:95], v[94:95], v[112:113], v[90:91]
	scratch_load_b128 v[90:93], off, off offset:104
	s_waitcnt vmcnt(4)
	v_fma_f64 v[112:113], v[96:97], v[114:115], v[94:95]
	ds_load_b128 v[94:97], v1 offset:384
	ds_load_b128 v[108:111], v1 offset:400
	s_waitcnt lgkmcnt(1)
	v_fma_f64 v[94:95], v[98:99], v[94:95], v[112:113]
	scratch_load_b128 v[112:115], off, off offset:120
	s_waitcnt vmcnt(4)
	v_fma_f64 v[94:95], v[100:101], v[96:97], v[94:95]
	s_waitcnt lgkmcnt(0)
	s_delay_alu instid0(VALU_DEP_1)
	v_fma_f64 v[98:99], v[102:103], v[108:109], v[94:95]
	scratch_load_b128 v[94:97], off, off offset:136
	s_waitcnt vmcnt(4)
	v_fma_f64 v[108:109], v[104:105], v[110:111], v[98:99]
	ds_load_b128 v[98:101], v1 offset:416
	ds_load_b128 v[102:105], v1 offset:432
	s_waitcnt lgkmcnt(1)
	v_fma_f64 v[98:99], v[106:107], v[98:99], v[108:109]
	scratch_load_b128 v[106:109], off, off offset:152
	s_waitcnt vmcnt(4)
	v_fma_f64 v[98:99], v[116:117], v[100:101], v[98:99]
	s_waitcnt lgkmcnt(0)
	s_delay_alu instid0(VALU_DEP_1)
	v_fma_f64 v[102:103], v[118:119], v[102:103], v[98:99]
	scratch_load_b128 v[98:101], off, off offset:168
	s_waitcnt vmcnt(4)
	v_fma_f64 v[90:91], v[90:91], v[104:105], v[102:103]
	ds_load_b128 v[102:105], v1 offset:448
	ds_load_b128 v[116:119], v1 offset:464
	s_waitcnt lgkmcnt(1)
	v_fma_f64 v[102:103], v[92:93], v[102:103], v[90:91]
	scratch_load_b128 v[90:93], off, off offset:184
	s_waitcnt vmcnt(4)
	v_fma_f64 v[102:103], v[112:113], v[104:105], v[102:103]
	s_waitcnt lgkmcnt(0)
	s_delay_alu instid0(VALU_DEP_1)
	v_fma_f64 v[110:111], v[114:115], v[116:117], v[102:103]
	scratch_load_b128 v[102:105], off, off offset:200
	s_waitcnt vmcnt(4)
	v_fma_f64 v[94:95], v[94:95], v[118:119], v[110:111]
	ds_load_b128 v[110:113], v1 offset:480
	ds_load_b128 v[114:117], v1 offset:496
	s_waitcnt lgkmcnt(1)
	v_fma_f64 v[110:111], v[96:97], v[110:111], v[94:95]
	scratch_load_b128 v[94:97], off, off offset:216
	s_waitcnt vmcnt(4)
	v_fma_f64 v[106:107], v[106:107], v[112:113], v[110:111]
	s_waitcnt lgkmcnt(0)
	s_delay_alu instid0(VALU_DEP_1)
	v_fma_f64 v[110:111], v[108:109], v[114:115], v[106:107]
	scratch_load_b128 v[106:109], off, off offset:232
	s_waitcnt vmcnt(4)
	v_fma_f64 v[98:99], v[98:99], v[116:117], v[110:111]
	ds_load_b128 v[110:113], v1 offset:512
	ds_load_b128 v[114:117], v1 offset:528
	s_waitcnt lgkmcnt(1)
	v_fma_f64 v[110:111], v[100:101], v[110:111], v[98:99]
	scratch_load_b128 v[98:101], off, off offset:248
	s_waitcnt vmcnt(4)
	v_fma_f64 v[90:91], v[90:91], v[112:113], v[110:111]
	s_waitcnt lgkmcnt(0)
	s_delay_alu instid0(VALU_DEP_1)
	v_fma_f64 v[110:111], v[92:93], v[114:115], v[90:91]
	scratch_load_b128 v[90:93], off, off offset:264
	s_waitcnt vmcnt(4)
	v_fma_f64 v[102:103], v[102:103], v[116:117], v[110:111]
	ds_load_b128 v[110:113], v1 offset:544
	ds_load_b128 v[114:117], v1 offset:560
	s_waitcnt lgkmcnt(1)
	v_fma_f64 v[110:111], v[104:105], v[110:111], v[102:103]
	scratch_load_b128 v[102:105], off, off offset:280
	s_waitcnt vmcnt(4)
	v_fma_f64 v[94:95], v[94:95], v[112:113], v[110:111]
	s_waitcnt lgkmcnt(0)
	s_delay_alu instid0(VALU_DEP_1)
	v_fma_f64 v[110:111], v[96:97], v[114:115], v[94:95]
	scratch_load_b128 v[94:97], off, off offset:296
	s_waitcnt vmcnt(4)
	v_fma_f64 v[106:107], v[106:107], v[116:117], v[110:111]
	ds_load_b128 v[110:113], v1 offset:576
	ds_load_b128 v[114:117], v1 offset:592
	s_waitcnt lgkmcnt(1)
	v_fma_f64 v[110:111], v[108:109], v[110:111], v[106:107]
	scratch_load_b128 v[106:109], off, off offset:312
	s_waitcnt vmcnt(4)
	v_fma_f64 v[98:99], v[98:99], v[112:113], v[110:111]
	s_waitcnt lgkmcnt(0)
	s_delay_alu instid0(VALU_DEP_1)
	v_fma_f64 v[98:99], v[100:101], v[114:115], v[98:99]
	scratch_load_b64 v[114:115], off, off offset:328
	s_waitcnt vmcnt(4)
	v_fma_f64 v[90:91], v[90:91], v[116:117], v[98:99]
	ds_load_b128 v[98:101], v1 offset:608
	ds_load_b128 v[110:113], v1 offset:624
	s_waitcnt lgkmcnt(1)
	v_fma_f64 v[90:91], v[92:93], v[98:99], v[90:91]
	s_waitcnt vmcnt(3)
	s_delay_alu instid0(VALU_DEP_1) | instskip(SKIP_1) | instid1(VALU_DEP_1)
	v_fma_f64 v[90:91], v[102:103], v[100:101], v[90:91]
	s_waitcnt lgkmcnt(0)
	v_fma_f64 v[90:91], v[104:105], v[110:111], v[90:91]
	s_waitcnt vmcnt(2)
	s_delay_alu instid0(VALU_DEP_1)
	v_fma_f64 v[94:95], v[94:95], v[112:113], v[90:91]
	ds_load_b128 v[90:93], v1 offset:640
	ds_load_b128 v[98:101], v1 offset:656
	s_waitcnt lgkmcnt(1)
	v_fma_f64 v[1:2], v[96:97], v[90:91], v[94:95]
	s_waitcnt vmcnt(1)
	s_delay_alu instid0(VALU_DEP_1) | instskip(SKIP_1) | instid1(VALU_DEP_1)
	v_fma_f64 v[1:2], v[106:107], v[92:93], v[1:2]
	s_waitcnt lgkmcnt(0)
	v_fma_f64 v[1:2], v[108:109], v[98:99], v[1:2]
	s_waitcnt vmcnt(0)
	s_delay_alu instid0(VALU_DEP_1) | instskip(NEXT) | instid1(VALU_DEP_1)
	v_fma_f64 v[1:2], v[114:115], v[100:101], v[1:2]
	v_add_f64 v[1:2], v[88:89], -v[1:2]
	scratch_store_b64 off, v[1:2], off offset:8
	v_cmpx_ne_u32_e32 0, v0
	s_cbranch_execz .LBB105_261
; %bb.260:
	scratch_load_b64 v[0:1], off, off
	v_mov_b32_e32 v88, 0
	s_delay_alu instid0(VALU_DEP_1)
	v_mov_b32_e32 v89, v88
	scratch_store_b64 off, v[88:89], off
	s_waitcnt vmcnt(0)
	ds_store_b64 v3, v[0:1]
.LBB105_261:
	s_or_b32 exec_lo, exec_lo, s0
	s_waitcnt lgkmcnt(0)
	s_waitcnt_vscnt null, 0x0
	s_barrier
	buffer_gl0_inv
	s_clause 0x4
	scratch_load_b128 v[88:91], off, off
	scratch_load_b128 v[0:3], off, off offset:16
	scratch_load_b128 v[92:95], off, off offset:32
	;; [unrolled: 1-line block ×4, first 2 shown]
	v_mov_b32_e32 v116, 0
	ds_load_2addr_b64 v[104:107], v116 offset0:43 offset1:44
	ds_load_2addr_b64 v[108:111], v116 offset0:45 offset1:46
	scratch_load_b128 v[112:115], off, off offset:80
	s_and_b32 vcc_lo, exec_lo, s12
	s_waitcnt vmcnt(5) lgkmcnt(1)
	v_fma_f64 v[90:91], v[90:91], v[104:105], 0
	s_waitcnt vmcnt(4)
	s_delay_alu instid0(VALU_DEP_1) | instskip(SKIP_1) | instid1(VALU_DEP_1)
	v_fma_f64 v[0:1], v[0:1], v[106:107], v[90:91]
	s_waitcnt lgkmcnt(0)
	v_fma_f64 v[90:91], v[2:3], v[108:109], v[0:1]
	scratch_load_b128 v[0:3], off, off offset:96
	s_waitcnt vmcnt(4)
	v_fma_f64 v[108:109], v[92:93], v[110:111], v[90:91]
	ds_load_2addr_b64 v[90:93], v116 offset0:47 offset1:48
	ds_load_2addr_b64 v[104:107], v116 offset0:49 offset1:50
	s_waitcnt lgkmcnt(1)
	v_fma_f64 v[90:91], v[94:95], v[90:91], v[108:109]
	scratch_load_b128 v[108:111], off, off offset:112
	s_waitcnt vmcnt(4)
	v_fma_f64 v[90:91], v[96:97], v[92:93], v[90:91]
	s_waitcnt lgkmcnt(0)
	s_delay_alu instid0(VALU_DEP_1)
	v_fma_f64 v[94:95], v[98:99], v[104:105], v[90:91]
	scratch_load_b128 v[90:93], off, off offset:128
	s_waitcnt vmcnt(4)
	v_fma_f64 v[104:105], v[100:101], v[106:107], v[94:95]
	ds_load_2addr_b64 v[94:97], v116 offset0:51 offset1:52
	ds_load_2addr_b64 v[98:101], v116 offset0:53 offset1:54
	s_waitcnt lgkmcnt(1)
	v_fma_f64 v[94:95], v[102:103], v[94:95], v[104:105]
	scratch_load_b128 v[102:105], off, off offset:144
	s_waitcnt vmcnt(4)
	v_fma_f64 v[94:95], v[112:113], v[96:97], v[94:95]
	s_waitcnt lgkmcnt(0)
	s_delay_alu instid0(VALU_DEP_1)
	;; [unrolled: 13-line block ×4, first 2 shown]
	v_fma_f64 v[106:107], v[104:105], v[110:111], v[102:103]
	scratch_load_b128 v[102:105], off, off offset:224
	s_waitcnt vmcnt(4)
	v_fma_f64 v[94:95], v[94:95], v[112:113], v[106:107]
	ds_load_2addr_b64 v[106:109], v116 offset0:63 offset1:64
	ds_load_2addr_b64 v[110:113], v116 offset0:65 offset1:66
	s_waitcnt lgkmcnt(1)
	v_fma_f64 v[106:107], v[96:97], v[106:107], v[94:95]
	scratch_load_b128 v[94:97], off, off offset:240
	s_waitcnt vmcnt(4)
	v_fma_f64 v[0:1], v[0:1], v[108:109], v[106:107]
	scratch_load_b128 v[106:109], off, off offset:256
	s_waitcnt lgkmcnt(0)
	v_fma_f64 v[0:1], v[2:3], v[110:111], v[0:1]
	s_waitcnt vmcnt(4)
	s_delay_alu instid0(VALU_DEP_1)
	v_fma_f64 v[98:99], v[98:99], v[112:113], v[0:1]
	ds_load_2addr_b64 v[0:3], v116 offset0:67 offset1:68
	ds_load_2addr_b64 v[110:113], v116 offset0:69 offset1:70
	s_waitcnt lgkmcnt(1)
	v_fma_f64 v[0:1], v[100:101], v[0:1], v[98:99]
	scratch_load_b128 v[98:101], off, off offset:272
	s_waitcnt vmcnt(4)
	v_fma_f64 v[0:1], v[90:91], v[2:3], v[0:1]
	s_waitcnt lgkmcnt(0)
	s_delay_alu instid0(VALU_DEP_1)
	v_fma_f64 v[0:1], v[92:93], v[110:111], v[0:1]
	scratch_load_b128 v[90:93], off, off offset:288
	s_waitcnt vmcnt(4)
	v_fma_f64 v[102:103], v[102:103], v[112:113], v[0:1]
	ds_load_2addr_b64 v[0:3], v116 offset0:71 offset1:72
	ds_load_2addr_b64 v[110:113], v116 offset0:73 offset1:74
	s_waitcnt lgkmcnt(1)
	v_fma_f64 v[0:1], v[104:105], v[0:1], v[102:103]
	scratch_load_b128 v[102:105], off, off offset:304
	s_waitcnt vmcnt(4)
	v_fma_f64 v[0:1], v[94:95], v[2:3], v[0:1]
	s_waitcnt lgkmcnt(0)
	s_delay_alu instid0(VALU_DEP_1)
	v_fma_f64 v[94:95], v[96:97], v[110:111], v[0:1]
	scratch_load_b128 v[0:3], off, off offset:320
	s_waitcnt vmcnt(4)
	v_fma_f64 v[106:107], v[106:107], v[112:113], v[94:95]
	ds_load_2addr_b64 v[94:97], v116 offset0:75 offset1:76
	ds_load_2addr_b64 v[110:113], v116 offset0:77 offset1:78
	s_waitcnt lgkmcnt(1)
	v_fma_f64 v[94:95], v[108:109], v[94:95], v[106:107]
	s_waitcnt vmcnt(3)
	s_delay_alu instid0(VALU_DEP_1) | instskip(SKIP_1) | instid1(VALU_DEP_1)
	v_fma_f64 v[94:95], v[98:99], v[96:97], v[94:95]
	s_waitcnt lgkmcnt(0)
	v_fma_f64 v[94:95], v[100:101], v[110:111], v[94:95]
	s_waitcnt vmcnt(2)
	s_delay_alu instid0(VALU_DEP_1)
	v_fma_f64 v[90:91], v[90:91], v[112:113], v[94:95]
	ds_load_2addr_b64 v[94:97], v116 offset0:79 offset1:80
	ds_load_2addr_b64 v[98:101], v116 offset0:81 offset1:82
	s_waitcnt lgkmcnt(1)
	v_fma_f64 v[90:91], v[92:93], v[94:95], v[90:91]
	ds_load_b64 v[92:93], v116 offset:664
	s_waitcnt vmcnt(1)
	v_fma_f64 v[90:91], v[102:103], v[96:97], v[90:91]
	s_waitcnt lgkmcnt(1)
	s_delay_alu instid0(VALU_DEP_1) | instskip(SKIP_1) | instid1(VALU_DEP_1)
	v_fma_f64 v[90:91], v[104:105], v[98:99], v[90:91]
	s_waitcnt vmcnt(0)
	v_fma_f64 v[90:91], v[0:1], v[100:101], v[90:91]
	s_waitcnt lgkmcnt(0)
	s_delay_alu instid0(VALU_DEP_1) | instskip(NEXT) | instid1(VALU_DEP_1)
	v_fma_f64 v[2:3], v[2:3], v[92:93], v[90:91]
	v_add_f64 v[2:3], v[88:89], -v[2:3]
	scratch_store_b64 off, v[2:3], off
	s_cbranch_vccz .LBB105_345
; %bb.262:
	v_dual_mov_b32 v2, s2 :: v_dual_mov_b32 v3, s3
	s_mov_b32 s0, exec_lo
	flat_load_b32 v2, v[2:3] offset:160
	s_waitcnt vmcnt(0) lgkmcnt(0)
	v_cmpx_ne_u32_e32 41, v2
	s_cbranch_execz .LBB105_264
; %bb.263:
	v_lshl_add_u32 v88, v2, 3, 0
	scratch_load_b64 v[2:3], v88, off offset:-8
	s_waitcnt vmcnt(0)
	scratch_store_b64 off, v[2:3], off offset:320
	scratch_store_b64 v88, v[0:1], off offset:-8
.LBB105_264:
	s_or_b32 exec_lo, exec_lo, s0
	v_dual_mov_b32 v0, s2 :: v_dual_mov_b32 v1, s3
	s_mov_b32 s0, exec_lo
	flat_load_b32 v0, v[0:1] offset:156
	s_waitcnt vmcnt(0) lgkmcnt(0)
	v_cmpx_ne_u32_e32 40, v0
	s_cbranch_execz .LBB105_266
; %bb.265:
	v_lshl_add_u32 v88, v0, 3, 0
	scratch_load_b64 v[0:1], v88, off offset:-8
	scratch_load_b64 v[2:3], off, off offset:312
	s_waitcnt vmcnt(1)
	scratch_store_b64 off, v[0:1], off offset:312
	s_waitcnt vmcnt(0)
	scratch_store_b64 v88, v[2:3], off offset:-8
.LBB105_266:
	s_or_b32 exec_lo, exec_lo, s0
	v_dual_mov_b32 v0, s2 :: v_dual_mov_b32 v1, s3
	s_mov_b32 s0, exec_lo
	flat_load_b32 v0, v[0:1] offset:152
	s_waitcnt vmcnt(0) lgkmcnt(0)
	v_cmpx_ne_u32_e32 39, v0
	s_cbranch_execz .LBB105_268
; %bb.267:
	v_lshl_add_u32 v88, v0, 3, 0
	scratch_load_b64 v[0:1], v88, off offset:-8
	scratch_load_b64 v[2:3], off, off offset:304
	s_waitcnt vmcnt(1)
	scratch_store_b64 off, v[0:1], off offset:304
	s_waitcnt vmcnt(0)
	scratch_store_b64 v88, v[2:3], off offset:-8
.LBB105_268:
	;; [unrolled: 16-line block ×39, first 2 shown]
	s_or_b32 exec_lo, exec_lo, s0
	v_dual_mov_b32 v0, s2 :: v_dual_mov_b32 v1, s3
	s_mov_b32 s0, exec_lo
	flat_load_b32 v0, v[0:1]
	scratch_load_b64 v[2:3], off, off
	s_waitcnt vmcnt(1) lgkmcnt(0)
	v_cmpx_ne_u32_e32 1, v0
	s_cbranch_execz .LBB105_344
; %bb.343:
	v_lshl_add_u32 v88, v0, 3, 0
	scratch_load_b64 v[0:1], v88, off offset:-8
	s_waitcnt vmcnt(0)
	scratch_store_b64 off, v[0:1], off
	scratch_store_b64 v88, v[2:3], off offset:-8
	scratch_load_b64 v[2:3], off, off
.LBB105_344:
	s_or_b32 exec_lo, exec_lo, s0
.LBB105_345:
	s_clause 0x6
	scratch_load_b128 v[88:91], off, off offset:8
	scratch_load_b128 v[92:95], off, off offset:24
	scratch_load_b128 v[96:99], off, off offset:40
	scratch_load_b128 v[100:103], off, off offset:56
	scratch_load_b128 v[104:107], off, off offset:72
	scratch_load_b128 v[108:111], off, off offset:88
	scratch_load_b128 v[112:115], off, off offset:104
	s_waitcnt vmcnt(7)
	global_store_b64 v[4:5], v[2:3], off
	s_clause 0x3
	scratch_load_b128 v[0:3], off, off offset:120
	scratch_load_b128 v[116:119], off, off offset:232
	;; [unrolled: 1-line block ×4, first 2 shown]
	s_waitcnt vmcnt(10)
	global_store_b64 v[6:7], v[88:89], off
	scratch_load_b128 v[4:7], off, off offset:136
	global_store_b64 v[10:11], v[90:91], off
	s_waitcnt vmcnt(10)
	s_clause 0x1
	global_store_b64 v[8:9], v[92:93], off
	global_store_b64 v[20:21], v[94:95], off
	s_waitcnt vmcnt(9)
	s_clause 0x1
	global_store_b64 v[18:19], v[96:97], off
	;; [unrolled: 4-line block ×5, first 2 shown]
	global_store_b64 v[28:29], v[110:111], off
	s_clause 0x8
	scratch_load_b128 v[88:91], off, off offset:152
	scratch_load_b128 v[8:11], off, off offset:168
	;; [unrolled: 1-line block ×8, first 2 shown]
	scratch_load_b64 v[12:13], off, off offset:328
	s_waitcnt vmcnt(14)
	s_clause 0x1
	global_store_b64 v[22:23], v[112:113], off
	global_store_b64 v[24:25], v[114:115], off
	s_waitcnt vmcnt(13)
	s_clause 0x1
	global_store_b64 v[26:27], v[0:1], off
	global_store_b64 v[32:33], v[2:3], off
	;; [unrolled: 4-line block ×8, first 2 shown]
	global_store_b64 v[64:65], v[116:117], off
	global_store_b64 v[66:67], v[118:119], off
	s_waitcnt vmcnt(3)
	s_clause 0x3
	global_store_b64 v[68:69], v[100:101], off
	global_store_b64 v[70:71], v[102:103], off
	global_store_b64 v[72:73], v[120:121], off
	global_store_b64 v[74:75], v[122:123], off
	s_waitcnt vmcnt(2)
	s_clause 0x3
	global_store_b64 v[76:77], v[104:105], off
	global_store_b64 v[78:79], v[106:107], off
	;; [unrolled: 6-line block ×3, first 2 shown]
	s_waitcnt vmcnt(0)
	global_store_b64 v[14:15], v[12:13], off
	s_endpgm
	.section	.rodata,"a",@progbits
	.p2align	6, 0x0
	.amdhsa_kernel _ZN9rocsolver6v33100L18getri_kernel_smallILi42EdPKPdEEvT1_iilPiilS6_bb
		.amdhsa_group_segment_fixed_size 680
		.amdhsa_private_segment_fixed_size 352
		.amdhsa_kernarg_size 60
		.amdhsa_user_sgpr_count 15
		.amdhsa_user_sgpr_dispatch_ptr 0
		.amdhsa_user_sgpr_queue_ptr 0
		.amdhsa_user_sgpr_kernarg_segment_ptr 1
		.amdhsa_user_sgpr_dispatch_id 0
		.amdhsa_user_sgpr_private_segment_size 0
		.amdhsa_wavefront_size32 1
		.amdhsa_uses_dynamic_stack 0
		.amdhsa_enable_private_segment 1
		.amdhsa_system_sgpr_workgroup_id_x 1
		.amdhsa_system_sgpr_workgroup_id_y 0
		.amdhsa_system_sgpr_workgroup_id_z 0
		.amdhsa_system_sgpr_workgroup_info 0
		.amdhsa_system_vgpr_workitem_id 0
		.amdhsa_next_free_vgpr 128
		.amdhsa_next_free_sgpr 17
		.amdhsa_reserve_vcc 1
		.amdhsa_float_round_mode_32 0
		.amdhsa_float_round_mode_16_64 0
		.amdhsa_float_denorm_mode_32 3
		.amdhsa_float_denorm_mode_16_64 3
		.amdhsa_dx10_clamp 1
		.amdhsa_ieee_mode 1
		.amdhsa_fp16_overflow 0
		.amdhsa_workgroup_processor_mode 1
		.amdhsa_memory_ordered 1
		.amdhsa_forward_progress 0
		.amdhsa_shared_vgpr_count 0
		.amdhsa_exception_fp_ieee_invalid_op 0
		.amdhsa_exception_fp_denorm_src 0
		.amdhsa_exception_fp_ieee_div_zero 0
		.amdhsa_exception_fp_ieee_overflow 0
		.amdhsa_exception_fp_ieee_underflow 0
		.amdhsa_exception_fp_ieee_inexact 0
		.amdhsa_exception_int_div_zero 0
	.end_amdhsa_kernel
	.section	.text._ZN9rocsolver6v33100L18getri_kernel_smallILi42EdPKPdEEvT1_iilPiilS6_bb,"axG",@progbits,_ZN9rocsolver6v33100L18getri_kernel_smallILi42EdPKPdEEvT1_iilPiilS6_bb,comdat
.Lfunc_end105:
	.size	_ZN9rocsolver6v33100L18getri_kernel_smallILi42EdPKPdEEvT1_iilPiilS6_bb, .Lfunc_end105-_ZN9rocsolver6v33100L18getri_kernel_smallILi42EdPKPdEEvT1_iilPiilS6_bb
                                        ; -- End function
	.section	.AMDGPU.csdata,"",@progbits
; Kernel info:
; codeLenInByte = 37092
; NumSgprs: 19
; NumVgprs: 128
; ScratchSize: 352
; MemoryBound: 0
; FloatMode: 240
; IeeeMode: 1
; LDSByteSize: 680 bytes/workgroup (compile time only)
; SGPRBlocks: 2
; VGPRBlocks: 15
; NumSGPRsForWavesPerEU: 19
; NumVGPRsForWavesPerEU: 128
; Occupancy: 10
; WaveLimiterHint : 1
; COMPUTE_PGM_RSRC2:SCRATCH_EN: 1
; COMPUTE_PGM_RSRC2:USER_SGPR: 15
; COMPUTE_PGM_RSRC2:TRAP_HANDLER: 0
; COMPUTE_PGM_RSRC2:TGID_X_EN: 1
; COMPUTE_PGM_RSRC2:TGID_Y_EN: 0
; COMPUTE_PGM_RSRC2:TGID_Z_EN: 0
; COMPUTE_PGM_RSRC2:TIDIG_COMP_CNT: 0
	.section	.text._ZN9rocsolver6v33100L18getri_kernel_smallILi43EdPKPdEEvT1_iilPiilS6_bb,"axG",@progbits,_ZN9rocsolver6v33100L18getri_kernel_smallILi43EdPKPdEEvT1_iilPiilS6_bb,comdat
	.globl	_ZN9rocsolver6v33100L18getri_kernel_smallILi43EdPKPdEEvT1_iilPiilS6_bb ; -- Begin function _ZN9rocsolver6v33100L18getri_kernel_smallILi43EdPKPdEEvT1_iilPiilS6_bb
	.p2align	8
	.type	_ZN9rocsolver6v33100L18getri_kernel_smallILi43EdPKPdEEvT1_iilPiilS6_bb,@function
_ZN9rocsolver6v33100L18getri_kernel_smallILi43EdPKPdEEvT1_iilPiilS6_bb: ; @_ZN9rocsolver6v33100L18getri_kernel_smallILi43EdPKPdEEvT1_iilPiilS6_bb
; %bb.0:
	s_mov_b32 s2, exec_lo
	v_cmpx_gt_u32_e32 43, v0
	s_cbranch_execz .LBB106_182
; %bb.1:
	s_clause 0x1
	s_load_b32 s13, s[0:1], 0x38
	s_load_b64 s[2:3], s[0:1], 0x0
	s_mov_b32 s8, s15
	s_load_b128 s[4:7], s[0:1], 0x28
	s_waitcnt lgkmcnt(0)
	s_bitcmp1_b32 s13, 8
	s_cselect_b32 s12, -1, 0
	s_ashr_i32 s9, s15, 31
	s_delay_alu instid0(SALU_CYCLE_1) | instskip(NEXT) | instid1(SALU_CYCLE_1)
	s_lshl_b64 s[10:11], s[8:9], 3
	s_add_u32 s2, s2, s10
	s_addc_u32 s3, s3, s11
	s_load_b64 s[10:11], s[2:3], 0x0
	s_bfe_u32 s2, s13, 0x10008
	s_delay_alu instid0(SALU_CYCLE_1)
	s_cmp_eq_u32 s2, 0
                                        ; implicit-def: $sgpr2_sgpr3
	s_cbranch_scc1 .LBB106_3
; %bb.2:
	s_clause 0x1
	s_load_b32 s2, s[0:1], 0x20
	s_load_b64 s[14:15], s[0:1], 0x18
	s_mul_i32 s3, s8, s5
	s_mul_hi_u32 s5, s8, s4
	s_mul_i32 s16, s9, s4
	s_add_i32 s3, s5, s3
	s_mul_i32 s4, s8, s4
	s_add_i32 s5, s3, s16
	s_delay_alu instid0(SALU_CYCLE_1)
	s_lshl_b64 s[4:5], s[4:5], 2
	s_waitcnt lgkmcnt(0)
	s_ashr_i32 s3, s2, 31
	s_add_u32 s4, s14, s4
	s_addc_u32 s5, s15, s5
	s_lshl_b64 s[2:3], s[2:3], 2
	s_delay_alu instid0(SALU_CYCLE_1)
	s_add_u32 s2, s4, s2
	s_addc_u32 s3, s5, s3
.LBB106_3:
	s_load_b64 s[0:1], s[0:1], 0x8
	v_lshlrev_b32_e32 v3, 3, v0
	s_waitcnt lgkmcnt(0)
	s_ashr_i32 s5, s0, 31
	s_mov_b32 s4, s0
	v_add3_u32 v1, s1, s1, v0
	s_lshl_b64 s[4:5], s[4:5], 3
	s_mov_b32 s14, s1
	s_add_u32 s4, s10, s4
	s_addc_u32 s5, s11, s5
	v_add_nc_u32_e32 v8, s1, v1
	v_add_co_u32 v4, s0, s4, v3
	s_ashr_i32 s15, s1, 31
	v_add_co_ci_u32_e64 v5, null, s5, 0, s0
	s_lshl_b64 s[10:11], s[14:15], 3
	v_ashrrev_i32_e32 v2, 31, v1
	v_add_co_u32 v6, vcc_lo, v4, s10
	v_add_nc_u32_e32 v10, s1, v8
	v_add_co_ci_u32_e32 v7, vcc_lo, s11, v5, vcc_lo
	v_ashrrev_i32_e32 v9, 31, v8
	v_lshlrev_b64 v[1:2], 3, v[1:2]
	s_delay_alu instid0(VALU_DEP_4)
	v_add_nc_u32_e32 v16, s1, v10
	s_clause 0x1
	global_load_b64 v[34:35], v3, s[4:5]
	global_load_b64 v[36:37], v[6:7], off
	v_lshlrev_b64 v[8:9], 3, v[8:9]
	v_ashrrev_i32_e32 v11, 31, v10
	v_add_co_u32 v18, vcc_lo, s4, v1
	v_ashrrev_i32_e32 v17, 31, v16
	v_add_co_ci_u32_e32 v19, vcc_lo, s5, v2, vcc_lo
	s_delay_alu instid0(VALU_DEP_4) | instskip(SKIP_3) | instid1(VALU_DEP_4)
	v_lshlrev_b64 v[1:2], 3, v[10:11]
	v_add_co_u32 v12, vcc_lo, s4, v8
	v_add_co_ci_u32_e32 v13, vcc_lo, s5, v9, vcc_lo
	v_lshlrev_b64 v[8:9], 3, v[16:17]
	v_add_co_u32 v14, vcc_lo, s4, v1
	v_add_co_ci_u32_e32 v15, vcc_lo, s5, v2, vcc_lo
	v_add_nc_u32_e32 v1, s1, v16
	s_delay_alu instid0(VALU_DEP_4)
	v_add_co_u32 v8, vcc_lo, s4, v8
	v_add_co_ci_u32_e32 v9, vcc_lo, s5, v9, vcc_lo
	s_clause 0x3
	global_load_b64 v[42:43], v[18:19], off
	global_load_b64 v[44:45], v[12:13], off
	;; [unrolled: 1-line block ×4, first 2 shown]
	v_add_nc_u32_e32 v10, s1, v1
	v_ashrrev_i32_e32 v2, 31, v1
	s_bitcmp0_b32 s13, 0
	s_delay_alu instid0(VALU_DEP_2) | instskip(SKIP_1) | instid1(VALU_DEP_3)
	v_add_nc_u32_e32 v16, s1, v10
	v_ashrrev_i32_e32 v11, 31, v10
	v_lshlrev_b64 v[1:2], 3, v[1:2]
	s_delay_alu instid0(VALU_DEP_3) | instskip(NEXT) | instid1(VALU_DEP_3)
	v_add_nc_u32_e32 v20, s1, v16
	v_lshlrev_b64 v[10:11], 3, v[10:11]
	v_ashrrev_i32_e32 v17, 31, v16
	s_delay_alu instid0(VALU_DEP_4) | instskip(NEXT) | instid1(VALU_DEP_4)
	v_add_co_u32 v28, vcc_lo, s4, v1
	v_add_nc_u32_e32 v24, s1, v20
	v_ashrrev_i32_e32 v21, 31, v20
	v_add_co_ci_u32_e32 v29, vcc_lo, s5, v2, vcc_lo
	v_lshlrev_b64 v[1:2], 3, v[16:17]
	s_delay_alu instid0(VALU_DEP_4) | instskip(SKIP_2) | instid1(VALU_DEP_3)
	v_add_nc_u32_e32 v26, s1, v24
	v_add_co_u32 v16, vcc_lo, s4, v10
	v_add_co_ci_u32_e32 v17, vcc_lo, s5, v11, vcc_lo
	v_add_nc_u32_e32 v30, s1, v26
	v_lshlrev_b64 v[10:11], 3, v[20:21]
	v_ashrrev_i32_e32 v25, 31, v24
	v_add_co_u32 v22, vcc_lo, s4, v1
	s_delay_alu instid0(VALU_DEP_4) | instskip(SKIP_3) | instid1(VALU_DEP_4)
	v_add_nc_u32_e32 v32, s1, v30
	v_ashrrev_i32_e32 v27, 31, v26
	v_add_co_ci_u32_e32 v23, vcc_lo, s5, v2, vcc_lo
	v_lshlrev_b64 v[1:2], 3, v[24:25]
	v_add_nc_u32_e32 v38, s1, v32
	v_add_co_u32 v20, vcc_lo, s4, v10
	v_add_co_ci_u32_e32 v21, vcc_lo, s5, v11, vcc_lo
	s_delay_alu instid0(VALU_DEP_3) | instskip(SKIP_3) | instid1(VALU_DEP_4)
	v_add_nc_u32_e32 v40, s1, v38
	v_lshlrev_b64 v[10:11], 3, v[26:27]
	v_ashrrev_i32_e32 v31, 31, v30
	v_add_co_u32 v24, vcc_lo, s4, v1
	v_add_nc_u32_e32 v66, s1, v40
	v_add_co_ci_u32_e32 v25, vcc_lo, s5, v2, vcc_lo
	s_delay_alu instid0(VALU_DEP_4) | instskip(SKIP_1) | instid1(VALU_DEP_4)
	v_lshlrev_b64 v[1:2], 3, v[30:31]
	v_ashrrev_i32_e32 v33, 31, v32
	v_add_nc_u32_e32 v68, s1, v66
	v_add_co_u32 v26, vcc_lo, s4, v10
	s_clause 0x2
	global_load_b64 v[50:51], v[28:29], off
	global_load_b64 v[52:53], v[16:17], off
	;; [unrolled: 1-line block ×3, first 2 shown]
	v_add_co_ci_u32_e32 v27, vcc_lo, s5, v11, vcc_lo
	v_add_nc_u32_e32 v74, s1, v68
	global_load_b64 v[56:57], v[20:21], off
	v_lshlrev_b64 v[32:33], 3, v[32:33]
	v_add_co_u32 v30, vcc_lo, s4, v1
	v_add_nc_u32_e32 v76, s1, v74
	v_add_co_ci_u32_e32 v31, vcc_lo, s5, v2, vcc_lo
	v_ashrrev_i32_e32 v39, 31, v38
	v_ashrrev_i32_e32 v41, 31, v40
	s_delay_alu instid0(VALU_DEP_4)
	v_add_nc_u32_e32 v78, s1, v76
	v_ashrrev_i32_e32 v67, 31, v66
	v_ashrrev_i32_e32 v69, 31, v68
	;; [unrolled: 1-line block ×4, first 2 shown]
	v_add_nc_u32_e32 v80, s1, v78
	v_ashrrev_i32_e32 v79, 31, v78
	s_delay_alu instid0(VALU_DEP_2) | instskip(SKIP_1) | instid1(VALU_DEP_2)
	v_add_nc_u32_e32 v82, s1, v80
	v_ashrrev_i32_e32 v81, 31, v80
	v_add_nc_u32_e32 v84, s1, v82
	v_ashrrev_i32_e32 v83, 31, v82
	s_delay_alu instid0(VALU_DEP_2) | instskip(SKIP_1) | instid1(VALU_DEP_3)
	v_add_nc_u32_e32 v86, s1, v84
	v_ashrrev_i32_e32 v85, 31, v84
	v_lshlrev_b64 v[82:83], 3, v[82:83]
	s_delay_alu instid0(VALU_DEP_3) | instskip(SKIP_1) | instid1(VALU_DEP_2)
	v_add_nc_u32_e32 v88, s1, v86
	v_ashrrev_i32_e32 v87, 31, v86
	v_add_nc_u32_e32 v90, s1, v88
	v_ashrrev_i32_e32 v89, 31, v88
	s_delay_alu instid0(VALU_DEP_2) | instskip(SKIP_1) | instid1(VALU_DEP_2)
	v_add_nc_u32_e32 v92, s1, v90
	v_ashrrev_i32_e32 v91, 31, v90
	v_add_nc_u32_e32 v94, s1, v92
	v_ashrrev_i32_e32 v93, 31, v92
	s_delay_alu instid0(VALU_DEP_2) | instskip(SKIP_1) | instid1(VALU_DEP_2)
	;; [unrolled: 5-line block ×8, first 2 shown]
	v_add_nc_u32_e32 v120, s1, v118
	v_ashrrev_i32_e32 v119, 31, v118
	v_add_nc_u32_e32 v58, s1, v120
	v_ashrrev_i32_e32 v121, 31, v120
	s_mov_b32 s1, -1
	s_delay_alu instid0(VALU_DEP_2) | instskip(NEXT) | instid1(VALU_DEP_1)
	v_ashrrev_i32_e32 v59, 31, v58
	v_lshlrev_b64 v[10:11], 3, v[58:59]
	s_delay_alu instid0(VALU_DEP_1) | instskip(NEXT) | instid1(VALU_DEP_2)
	v_add_co_u32 v10, vcc_lo, s4, v10
	v_add_co_ci_u32_e32 v11, vcc_lo, s5, v11, vcc_lo
	v_add_co_u32 v32, vcc_lo, s4, v32
	v_add_co_ci_u32_e32 v33, vcc_lo, s5, v33, vcc_lo
	global_load_b64 v[1:2], v[10:11], off
	s_waitcnt vmcnt(9)
	scratch_store_b128 off, v[34:37], off
	v_lshlrev_b64 v[34:35], 3, v[38:39]
	s_clause 0x3
	global_load_b64 v[58:59], v[24:25], off
	global_load_b64 v[60:61], v[26:27], off
	;; [unrolled: 1-line block ×4, first 2 shown]
	v_lshlrev_b64 v[36:37], 3, v[40:41]
	v_lshlrev_b64 v[38:39], 3, v[66:67]
	;; [unrolled: 1-line block ×3, first 2 shown]
	s_waitcnt vmcnt(11)
	scratch_store_b128 off, v[42:45], off offset:16
	s_waitcnt vmcnt(9)
	scratch_store_b128 off, v[46:49], off offset:32
	v_add_co_u32 v34, vcc_lo, s4, v34
	v_add_co_ci_u32_e32 v35, vcc_lo, s5, v35, vcc_lo
	v_add_co_u32 v36, vcc_lo, s4, v36
	v_add_co_ci_u32_e32 v37, vcc_lo, s5, v37, vcc_lo
	;; [unrolled: 2-line block ×4, first 2 shown]
	s_clause 0x3
	global_load_b64 v[66:67], v[34:35], off
	global_load_b64 v[68:69], v[36:37], off
	;; [unrolled: 1-line block ×4, first 2 shown]
	v_lshlrev_b64 v[42:43], 3, v[74:75]
	v_lshlrev_b64 v[44:45], 3, v[76:77]
	v_lshlrev_b64 v[46:47], 3, v[78:79]
	v_lshlrev_b64 v[48:49], 3, v[80:81]
	s_waitcnt vmcnt(11)
	scratch_store_b128 off, v[50:53], off offset:48
	s_waitcnt vmcnt(9)
	scratch_store_b128 off, v[54:57], off offset:64
	v_add_co_u32 v42, vcc_lo, s4, v42
	v_add_co_ci_u32_e32 v43, vcc_lo, s5, v43, vcc_lo
	v_add_co_u32 v44, vcc_lo, s4, v44
	v_add_co_ci_u32_e32 v45, vcc_lo, s5, v45, vcc_lo
	;; [unrolled: 2-line block ×3, first 2 shown]
	v_add_co_u32 v48, vcc_lo, s4, v48
	v_lshlrev_b64 v[52:53], 3, v[84:85]
	v_add_co_ci_u32_e32 v49, vcc_lo, s5, v49, vcc_lo
	v_add_co_u32 v50, vcc_lo, s4, v82
	v_lshlrev_b64 v[54:55], 3, v[86:87]
	s_clause 0x3
	global_load_b64 v[74:75], v[42:43], off
	global_load_b64 v[76:77], v[44:45], off
	;; [unrolled: 1-line block ×4, first 2 shown]
	v_add_co_ci_u32_e32 v51, vcc_lo, s5, v83, vcc_lo
	v_add_co_u32 v52, vcc_lo, s4, v52
	v_lshlrev_b64 v[56:57], 3, v[88:89]
	v_add_co_ci_u32_e32 v53, vcc_lo, s5, v53, vcc_lo
	v_add_co_u32 v54, vcc_lo, s4, v54
	v_add_co_ci_u32_e32 v55, vcc_lo, s5, v55, vcc_lo
	s_delay_alu instid0(VALU_DEP_4)
	v_add_co_u32 v56, vcc_lo, s4, v56
	v_add_co_ci_u32_e32 v57, vcc_lo, s5, v57, vcc_lo
	s_waitcnt vmcnt(10)
	scratch_store_b128 off, v[58:61], off offset:80
	s_waitcnt vmcnt(8)
	scratch_store_b128 off, v[62:65], off offset:96
	v_lshlrev_b64 v[58:59], 3, v[90:91]
	s_clause 0x3
	global_load_b64 v[82:83], v[50:51], off
	global_load_b64 v[84:85], v[52:53], off
	;; [unrolled: 1-line block ×4, first 2 shown]
	v_lshlrev_b64 v[60:61], 3, v[92:93]
	v_lshlrev_b64 v[62:63], 3, v[94:95]
	;; [unrolled: 1-line block ×3, first 2 shown]
	s_waitcnt vmcnt(10)
	scratch_store_b128 off, v[66:69], off offset:112
	s_waitcnt vmcnt(8)
	scratch_store_b128 off, v[70:73], off offset:128
	v_add_co_u32 v58, vcc_lo, s4, v58
	v_add_co_ci_u32_e32 v59, vcc_lo, s5, v59, vcc_lo
	v_add_co_u32 v60, vcc_lo, s4, v60
	v_add_co_ci_u32_e32 v61, vcc_lo, s5, v61, vcc_lo
	;; [unrolled: 2-line block ×4, first 2 shown]
	s_clause 0x3
	global_load_b64 v[90:91], v[58:59], off
	global_load_b64 v[92:93], v[60:61], off
	;; [unrolled: 1-line block ×4, first 2 shown]
	v_lshlrev_b64 v[66:67], 3, v[98:99]
	v_lshlrev_b64 v[68:69], 3, v[100:101]
	;; [unrolled: 1-line block ×5, first 2 shown]
	s_waitcnt vmcnt(10)
	scratch_store_b128 off, v[74:77], off offset:144
	s_waitcnt vmcnt(8)
	scratch_store_b128 off, v[78:81], off offset:160
	v_add_co_u32 v66, vcc_lo, s4, v66
	v_add_co_ci_u32_e32 v67, vcc_lo, s5, v67, vcc_lo
	v_add_co_u32 v68, vcc_lo, s4, v68
	v_add_co_ci_u32_e32 v69, vcc_lo, s5, v69, vcc_lo
	;; [unrolled: 2-line block ×3, first 2 shown]
	v_add_co_u32 v72, vcc_lo, s4, v72
	v_lshlrev_b64 v[76:77], 3, v[108:109]
	v_add_co_ci_u32_e32 v73, vcc_lo, s5, v73, vcc_lo
	v_add_co_u32 v74, vcc_lo, s4, v104
	v_lshlrev_b64 v[78:79], 3, v[110:111]
	v_add_co_ci_u32_e32 v75, vcc_lo, s5, v105, vcc_lo
	;; [unrolled: 3-line block ×4, first 2 shown]
	s_clause 0x2
	global_load_b64 v[98:99], v[66:67], off
	global_load_b64 v[100:101], v[68:69], off
	global_load_b64 v[102:103], v[70:71], off
	v_add_co_u32 v80, vcc_lo, s4, v80
	v_add_co_ci_u32_e32 v81, vcc_lo, s5, v81, vcc_lo
	s_waitcnt vmcnt(9)
	scratch_store_b128 off, v[82:85], off offset:176
	s_waitcnt vmcnt(7)
	scratch_store_b128 off, v[86:89], off offset:192
	v_lshlrev_b64 v[84:85], 3, v[116:117]
	v_add_co_u32 v82, vcc_lo, s4, v112
	v_add_co_ci_u32_e32 v83, vcc_lo, s5, v113, vcc_lo
	v_lshlrev_b64 v[88:89], 3, v[118:119]
	s_delay_alu instid0(VALU_DEP_4) | instskip(SKIP_2) | instid1(VALU_DEP_4)
	v_add_co_u32 v86, vcc_lo, s4, v84
	v_add_co_ci_u32_e32 v87, vcc_lo, s5, v85, vcc_lo
	v_lshlrev_b64 v[84:85], 3, v[120:121]
	v_add_co_u32 v88, vcc_lo, s4, v88
	v_add_co_ci_u32_e32 v89, vcc_lo, s5, v89, vcc_lo
	s_clause 0x3
	global_load_b64 v[104:105], v[72:73], off
	global_load_b64 v[106:107], v[74:75], off
	;; [unrolled: 1-line block ×4, first 2 shown]
	v_add_co_u32 v84, vcc_lo, s4, v84
	v_add_co_ci_u32_e32 v85, vcc_lo, s5, v85, vcc_lo
	s_waitcnt vmcnt(9)
	scratch_store_b128 off, v[90:93], off offset:208
	s_waitcnt vmcnt(7)
	scratch_store_b128 off, v[94:97], off offset:224
	s_clause 0x4
	global_load_b64 v[112:113], v[80:81], off
	global_load_b64 v[90:91], v[82:83], off
	;; [unrolled: 1-line block ×5, first 2 shown]
	s_waitcnt vmcnt(10)
	scratch_store_b128 off, v[98:101], off offset:240
	s_waitcnt vmcnt(8)
	scratch_store_b128 off, v[102:105], off offset:256
	s_waitcnt vmcnt(6)
	scratch_store_b128 off, v[106:109], off offset:272
	s_waitcnt vmcnt(4)
	scratch_store_b128 off, v[110:113], off offset:288
	s_waitcnt vmcnt(2)
	scratch_store_b128 off, v[90:93], off offset:304
	s_waitcnt vmcnt(0)
	s_clause 0x1
	scratch_store_b128 off, v[94:97], off offset:320
	scratch_store_b64 off, v[1:2], off offset:336
	s_cbranch_scc1 .LBB106_180
; %bb.4:
	v_cmp_eq_u32_e64 s0, 0, v0
	s_delay_alu instid0(VALU_DEP_1)
	s_and_saveexec_b32 s1, s0
	s_cbranch_execz .LBB106_6
; %bb.5:
	v_mov_b32_e32 v1, 0
	ds_store_b32 v1, v1 offset:344
.LBB106_6:
	s_or_b32 exec_lo, exec_lo, s1
	s_waitcnt lgkmcnt(0)
	s_waitcnt_vscnt null, 0x0
	s_barrier
	buffer_gl0_inv
	scratch_load_b64 v[1:2], v3, off
	s_mov_b32 s4, exec_lo
	s_waitcnt vmcnt(0)
	v_cmpx_eq_f64_e32 0, v[1:2]
	s_cbranch_execz .LBB106_10
; %bb.7:
	v_mov_b32_e32 v1, 0
	s_mov_b32 s5, 0
	ds_load_b32 v2, v1 offset:344
	s_waitcnt lgkmcnt(0)
	v_readfirstlane_b32 s1, v2
	v_add_nc_u32_e32 v2, 1, v0
	s_delay_alu instid0(VALU_DEP_2) | instskip(NEXT) | instid1(VALU_DEP_1)
	s_cmp_eq_u32 s1, 0
	v_cmp_gt_i32_e32 vcc_lo, s1, v2
	s_cselect_b32 s10, -1, 0
	s_delay_alu instid0(SALU_CYCLE_1) | instskip(NEXT) | instid1(SALU_CYCLE_1)
	s_or_b32 s10, s10, vcc_lo
	s_and_b32 exec_lo, exec_lo, s10
	s_cbranch_execz .LBB106_10
; %bb.8:
	v_mov_b32_e32 v90, s1
.LBB106_9:                              ; =>This Inner Loop Header: Depth=1
	ds_cmpstore_rtn_b32 v90, v1, v2, v90 offset:344
	s_waitcnt lgkmcnt(0)
	v_cmp_ne_u32_e32 vcc_lo, 0, v90
	v_cmp_le_i32_e64 s1, v90, v2
	s_delay_alu instid0(VALU_DEP_1) | instskip(NEXT) | instid1(SALU_CYCLE_1)
	s_and_b32 s1, vcc_lo, s1
	s_and_b32 s1, exec_lo, s1
	s_delay_alu instid0(SALU_CYCLE_1) | instskip(NEXT) | instid1(SALU_CYCLE_1)
	s_or_b32 s5, s1, s5
	s_and_not1_b32 exec_lo, exec_lo, s5
	s_cbranch_execnz .LBB106_9
.LBB106_10:
	s_or_b32 exec_lo, exec_lo, s4
	v_mov_b32_e32 v1, 0
	s_barrier
	buffer_gl0_inv
	ds_load_b32 v2, v1 offset:344
	s_and_saveexec_b32 s1, s0
	s_cbranch_execz .LBB106_12
; %bb.11:
	s_lshl_b64 s[4:5], s[8:9], 2
	s_delay_alu instid0(SALU_CYCLE_1)
	s_add_u32 s4, s6, s4
	s_addc_u32 s5, s7, s5
	s_waitcnt lgkmcnt(0)
	global_store_b32 v1, v2, s[4:5]
.LBB106_12:
	s_or_b32 exec_lo, exec_lo, s1
	s_waitcnt lgkmcnt(0)
	v_cmp_ne_u32_e32 vcc_lo, 0, v2
	s_mov_b32 s1, 0
	s_cbranch_vccnz .LBB106_180
; %bb.13:
	v_add_nc_u32_e32 v90, 0, v3
	scratch_load_b64 v[1:2], v90, off
	s_waitcnt vmcnt(0)
	v_div_scale_f64 v[91:92], null, v[1:2], v[1:2], 1.0
	v_div_scale_f64 v[97:98], vcc_lo, 1.0, v[1:2], 1.0
	s_delay_alu instid0(VALU_DEP_2) | instskip(SKIP_2) | instid1(VALU_DEP_1)
	v_rcp_f64_e32 v[93:94], v[91:92]
	s_waitcnt_depctr 0xfff
	v_fma_f64 v[95:96], -v[91:92], v[93:94], 1.0
	v_fma_f64 v[93:94], v[93:94], v[95:96], v[93:94]
	s_delay_alu instid0(VALU_DEP_1) | instskip(NEXT) | instid1(VALU_DEP_1)
	v_fma_f64 v[95:96], -v[91:92], v[93:94], 1.0
	v_fma_f64 v[93:94], v[93:94], v[95:96], v[93:94]
	s_delay_alu instid0(VALU_DEP_1) | instskip(NEXT) | instid1(VALU_DEP_1)
	v_mul_f64 v[95:96], v[97:98], v[93:94]
	v_fma_f64 v[91:92], -v[91:92], v[95:96], v[97:98]
	s_delay_alu instid0(VALU_DEP_1) | instskip(NEXT) | instid1(VALU_DEP_1)
	v_div_fmas_f64 v[91:92], v[91:92], v[93:94], v[95:96]
	v_div_fixup_f64 v[1:2], v[91:92], v[1:2], 1.0
	v_add_nc_u32_e32 v91, 0x160, v3
	scratch_store_b64 v90, v[1:2], off
	scratch_load_b64 v[92:93], off, off offset:8
	v_xor_b32_e32 v2, 0x80000000, v2
	s_waitcnt vmcnt(0)
	ds_store_2addr_b64 v3, v[1:2], v[92:93] offset1:44
	s_waitcnt lgkmcnt(0)
	s_waitcnt_vscnt null, 0x0
	s_barrier
	buffer_gl0_inv
	s_and_saveexec_b32 s1, s0
	s_cbranch_execz .LBB106_15
; %bb.14:
	scratch_load_b64 v[1:2], v90, off
	ds_load_b64 v[92:93], v91
	s_waitcnt vmcnt(0) lgkmcnt(0)
	v_fma_f64 v[1:2], v[1:2], v[92:93], 0
	v_mov_b32_e32 v92, 0
	ds_load_b64 v[92:93], v92 offset:8
	s_waitcnt lgkmcnt(0)
	v_mul_f64 v[1:2], v[1:2], v[92:93]
	scratch_store_b64 off, v[1:2], off offset:8
.LBB106_15:
	s_or_b32 exec_lo, exec_lo, s1
	s_waitcnt_vscnt null, 0x0
	s_barrier
	buffer_gl0_inv
	scratch_load_b64 v[1:2], off, off offset:16
	s_mov_b32 s1, exec_lo
	s_waitcnt vmcnt(0)
	ds_store_b64 v91, v[1:2]
	s_waitcnt lgkmcnt(0)
	s_barrier
	buffer_gl0_inv
	v_cmpx_gt_u32_e32 2, v0
	s_cbranch_execz .LBB106_19
; %bb.16:
	scratch_load_b64 v[1:2], v90, off
	ds_load_b64 v[92:93], v91
	s_waitcnt vmcnt(0) lgkmcnt(0)
	v_fma_f64 v[1:2], v[1:2], v[92:93], 0
	s_and_saveexec_b32 s4, s0
	s_cbranch_execz .LBB106_18
; %bb.17:
	scratch_load_b64 v[92:93], off, off offset:8
	v_mov_b32_e32 v94, 0
	ds_load_b64 v[94:95], v94 offset:360
	s_waitcnt vmcnt(0) lgkmcnt(0)
	v_fma_f64 v[1:2], v[92:93], v[94:95], v[1:2]
.LBB106_18:
	s_or_b32 exec_lo, exec_lo, s4
	v_mov_b32_e32 v92, 0
	ds_load_b64 v[92:93], v92 offset:16
	s_waitcnt lgkmcnt(0)
	v_mul_f64 v[1:2], v[1:2], v[92:93]
	scratch_store_b64 off, v[1:2], off offset:16
.LBB106_19:
	s_or_b32 exec_lo, exec_lo, s1
	s_waitcnt_vscnt null, 0x0
	s_barrier
	buffer_gl0_inv
	scratch_load_b64 v[1:2], off, off offset:24
	v_add_nc_u32_e32 v92, -1, v0
	s_mov_b32 s0, exec_lo
	s_waitcnt vmcnt(0)
	ds_store_b64 v91, v[1:2]
	s_waitcnt lgkmcnt(0)
	s_barrier
	buffer_gl0_inv
	v_cmpx_gt_u32_e32 3, v0
	s_cbranch_execz .LBB106_23
; %bb.20:
	v_dual_mov_b32 v1, 0 :: v_dual_add_nc_u32 v94, 0x160, v3
	v_dual_mov_b32 v2, 0 :: v_dual_add_nc_u32 v93, -1, v0
	v_add_nc_u32_e32 v95, 0, v3
	s_mov_b32 s1, 0
.LBB106_21:                             ; =>This Inner Loop Header: Depth=1
	scratch_load_b64 v[96:97], v95, off
	ds_load_b64 v[98:99], v94
	v_add_nc_u32_e32 v93, 1, v93
	v_add_nc_u32_e32 v94, 8, v94
	v_add_nc_u32_e32 v95, 8, v95
	s_delay_alu instid0(VALU_DEP_3)
	v_cmp_lt_u32_e32 vcc_lo, 1, v93
	s_or_b32 s1, vcc_lo, s1
	s_waitcnt vmcnt(0) lgkmcnt(0)
	v_fma_f64 v[1:2], v[96:97], v[98:99], v[1:2]
	s_and_not1_b32 exec_lo, exec_lo, s1
	s_cbranch_execnz .LBB106_21
; %bb.22:
	s_or_b32 exec_lo, exec_lo, s1
	v_mov_b32_e32 v93, 0
	ds_load_b64 v[93:94], v93 offset:24
	s_waitcnt lgkmcnt(0)
	v_mul_f64 v[1:2], v[1:2], v[93:94]
	scratch_store_b64 off, v[1:2], off offset:24
.LBB106_23:
	s_or_b32 exec_lo, exec_lo, s0
	s_waitcnt_vscnt null, 0x0
	s_barrier
	buffer_gl0_inv
	scratch_load_b64 v[1:2], off, off offset:32
	s_mov_b32 s0, exec_lo
	s_waitcnt vmcnt(0)
	ds_store_b64 v91, v[1:2]
	s_waitcnt lgkmcnt(0)
	s_barrier
	buffer_gl0_inv
	v_cmpx_gt_u32_e32 4, v0
	s_cbranch_execz .LBB106_27
; %bb.24:
	v_dual_mov_b32 v1, 0 :: v_dual_add_nc_u32 v94, 0x160, v3
	v_dual_mov_b32 v2, 0 :: v_dual_add_nc_u32 v93, -1, v0
	v_add_nc_u32_e32 v95, 0, v3
	s_mov_b32 s1, 0
.LBB106_25:                             ; =>This Inner Loop Header: Depth=1
	scratch_load_b64 v[96:97], v95, off
	ds_load_b64 v[98:99], v94
	v_add_nc_u32_e32 v93, 1, v93
	v_add_nc_u32_e32 v94, 8, v94
	v_add_nc_u32_e32 v95, 8, v95
	s_delay_alu instid0(VALU_DEP_3)
	v_cmp_lt_u32_e32 vcc_lo, 2, v93
	s_or_b32 s1, vcc_lo, s1
	s_waitcnt vmcnt(0) lgkmcnt(0)
	v_fma_f64 v[1:2], v[96:97], v[98:99], v[1:2]
	s_and_not1_b32 exec_lo, exec_lo, s1
	s_cbranch_execnz .LBB106_25
; %bb.26:
	s_or_b32 exec_lo, exec_lo, s1
	v_mov_b32_e32 v93, 0
	ds_load_b64 v[93:94], v93 offset:32
	s_waitcnt lgkmcnt(0)
	v_mul_f64 v[1:2], v[1:2], v[93:94]
	scratch_store_b64 off, v[1:2], off offset:32
.LBB106_27:
	s_or_b32 exec_lo, exec_lo, s0
	s_waitcnt_vscnt null, 0x0
	s_barrier
	buffer_gl0_inv
	scratch_load_b64 v[1:2], off, off offset:40
	;; [unrolled: 39-line block ×20, first 2 shown]
	s_mov_b32 s0, exec_lo
	s_waitcnt vmcnt(0)
	ds_store_b64 v91, v[1:2]
	s_waitcnt lgkmcnt(0)
	s_barrier
	buffer_gl0_inv
	v_cmpx_gt_u32_e32 23, v0
	s_cbranch_execz .LBB106_103
; %bb.100:
	v_dual_mov_b32 v1, 0 :: v_dual_add_nc_u32 v94, 0x160, v3
	v_dual_mov_b32 v2, 0 :: v_dual_add_nc_u32 v93, -1, v0
	v_add_nc_u32_e32 v95, 0, v3
	s_mov_b32 s1, 0
.LBB106_101:                            ; =>This Inner Loop Header: Depth=1
	scratch_load_b64 v[96:97], v95, off
	ds_load_b64 v[98:99], v94
	v_add_nc_u32_e32 v93, 1, v93
	v_add_nc_u32_e32 v94, 8, v94
	v_add_nc_u32_e32 v95, 8, v95
	s_delay_alu instid0(VALU_DEP_3)
	v_cmp_lt_u32_e32 vcc_lo, 21, v93
	s_or_b32 s1, vcc_lo, s1
	s_waitcnt vmcnt(0) lgkmcnt(0)
	v_fma_f64 v[1:2], v[96:97], v[98:99], v[1:2]
	s_and_not1_b32 exec_lo, exec_lo, s1
	s_cbranch_execnz .LBB106_101
; %bb.102:
	s_or_b32 exec_lo, exec_lo, s1
	v_mov_b32_e32 v93, 0
	ds_load_b64 v[93:94], v93 offset:184
	s_waitcnt lgkmcnt(0)
	v_mul_f64 v[1:2], v[1:2], v[93:94]
	scratch_store_b64 off, v[1:2], off offset:184
.LBB106_103:
	s_or_b32 exec_lo, exec_lo, s0
	s_waitcnt_vscnt null, 0x0
	s_barrier
	buffer_gl0_inv
	scratch_load_b64 v[1:2], off, off offset:192
	s_mov_b32 s0, exec_lo
	s_waitcnt vmcnt(0)
	ds_store_b64 v91, v[1:2]
	s_waitcnt lgkmcnt(0)
	s_barrier
	buffer_gl0_inv
	v_cmpx_gt_u32_e32 24, v0
	s_cbranch_execz .LBB106_107
; %bb.104:
	v_dual_mov_b32 v1, 0 :: v_dual_add_nc_u32 v94, 0x160, v3
	v_dual_mov_b32 v2, 0 :: v_dual_add_nc_u32 v93, -1, v0
	v_add_nc_u32_e32 v95, 0, v3
	s_mov_b32 s1, 0
.LBB106_105:                            ; =>This Inner Loop Header: Depth=1
	scratch_load_b64 v[96:97], v95, off
	ds_load_b64 v[98:99], v94
	v_add_nc_u32_e32 v93, 1, v93
	v_add_nc_u32_e32 v94, 8, v94
	v_add_nc_u32_e32 v95, 8, v95
	s_delay_alu instid0(VALU_DEP_3)
	v_cmp_lt_u32_e32 vcc_lo, 22, v93
	s_or_b32 s1, vcc_lo, s1
	s_waitcnt vmcnt(0) lgkmcnt(0)
	v_fma_f64 v[1:2], v[96:97], v[98:99], v[1:2]
	s_and_not1_b32 exec_lo, exec_lo, s1
	s_cbranch_execnz .LBB106_105
; %bb.106:
	s_or_b32 exec_lo, exec_lo, s1
	v_mov_b32_e32 v93, 0
	ds_load_b64 v[93:94], v93 offset:192
	s_waitcnt lgkmcnt(0)
	v_mul_f64 v[1:2], v[1:2], v[93:94]
	scratch_store_b64 off, v[1:2], off offset:192
.LBB106_107:
	s_or_b32 exec_lo, exec_lo, s0
	s_waitcnt_vscnt null, 0x0
	s_barrier
	buffer_gl0_inv
	scratch_load_b64 v[1:2], off, off offset:200
	;; [unrolled: 39-line block ×19, first 2 shown]
	s_mov_b32 s0, exec_lo
	s_waitcnt vmcnt(0)
	ds_store_b64 v91, v[1:2]
	s_waitcnt lgkmcnt(0)
	s_barrier
	buffer_gl0_inv
	v_cmpx_ne_u32_e32 42, v0
	s_cbranch_execz .LBB106_179
; %bb.176:
	v_mov_b32_e32 v1, 0
	v_mov_b32_e32 v2, 0
	s_mov_b32 s1, 0
.LBB106_177:                            ; =>This Inner Loop Header: Depth=1
	scratch_load_b64 v[93:94], v90, off
	ds_load_b64 v[95:96], v91
	v_add_nc_u32_e32 v92, 1, v92
	v_add_nc_u32_e32 v91, 8, v91
	v_add_nc_u32_e32 v90, 8, v90
	s_delay_alu instid0(VALU_DEP_3)
	v_cmp_lt_u32_e32 vcc_lo, 40, v92
	s_or_b32 s1, vcc_lo, s1
	s_waitcnt vmcnt(0) lgkmcnt(0)
	v_fma_f64 v[1:2], v[93:94], v[95:96], v[1:2]
	s_and_not1_b32 exec_lo, exec_lo, s1
	s_cbranch_execnz .LBB106_177
; %bb.178:
	s_or_b32 exec_lo, exec_lo, s1
	v_mov_b32_e32 v3, 0
	ds_load_b64 v[90:91], v3 offset:336
	s_waitcnt lgkmcnt(0)
	v_mul_f64 v[1:2], v[1:2], v[90:91]
	scratch_store_b64 off, v[1:2], off offset:336
.LBB106_179:
	s_or_b32 exec_lo, exec_lo, s0
	s_mov_b32 s1, -1
	s_waitcnt_vscnt null, 0x0
	s_barrier
	buffer_gl0_inv
.LBB106_180:
	s_and_b32 vcc_lo, exec_lo, s1
	s_cbranch_vccz .LBB106_182
; %bb.181:
	s_lshl_b64 s[0:1], s[8:9], 2
	v_mov_b32_e32 v1, 0
	s_add_u32 s0, s6, s0
	s_addc_u32 s1, s7, s1
	global_load_b32 v1, v1, s[0:1]
	s_waitcnt vmcnt(0)
	v_cmp_ne_u32_e32 vcc_lo, 0, v1
	s_cbranch_vccz .LBB106_183
.LBB106_182:
	s_endpgm
.LBB106_183:
	v_lshl_add_u32 v3, v0, 3, 0x160
	s_mov_b32 s0, exec_lo
	v_cmpx_eq_u32_e32 42, v0
	s_cbranch_execz .LBB106_185
; %bb.184:
	scratch_load_b64 v[1:2], off, off offset:328
	v_mov_b32_e32 v90, 0
	s_delay_alu instid0(VALU_DEP_1)
	v_mov_b32_e32 v91, v90
	scratch_store_b64 off, v[90:91], off offset:328
	s_waitcnt vmcnt(0)
	ds_store_b64 v3, v[1:2]
.LBB106_185:
	s_or_b32 exec_lo, exec_lo, s0
	s_waitcnt lgkmcnt(0)
	s_waitcnt_vscnt null, 0x0
	s_barrier
	buffer_gl0_inv
	scratch_load_b128 v[90:93], off, off offset:328
	v_mov_b32_e32 v1, 0
	s_mov_b32 s0, exec_lo
	ds_load_b64 v[94:95], v1 offset:688
	s_waitcnt vmcnt(0) lgkmcnt(0)
	v_fma_f64 v[92:93], v[92:93], v[94:95], 0
	s_delay_alu instid0(VALU_DEP_1)
	v_add_f64 v[90:91], v[90:91], -v[92:93]
	scratch_store_b64 off, v[90:91], off offset:328
	v_cmpx_lt_u32_e32 40, v0
	s_cbranch_execz .LBB106_187
; %bb.186:
	scratch_load_b64 v[90:91], off, off offset:320
	v_mov_b32_e32 v2, v1
	scratch_store_b64 off, v[1:2], off offset:320
	s_waitcnt vmcnt(0)
	ds_store_b64 v3, v[90:91]
.LBB106_187:
	s_or_b32 exec_lo, exec_lo, s0
	s_waitcnt lgkmcnt(0)
	s_waitcnt_vscnt null, 0x0
	s_barrier
	buffer_gl0_inv
	s_clause 0x1
	scratch_load_b128 v[90:93], off, off offset:320
	scratch_load_b64 v[98:99], off, off offset:336
	ds_load_2addr_b64 v[94:97], v1 offset0:85 offset1:86
	s_mov_b32 s0, exec_lo
	s_waitcnt vmcnt(1) lgkmcnt(0)
	v_fma_f64 v[1:2], v[92:93], v[94:95], 0
	s_waitcnt vmcnt(0)
	s_delay_alu instid0(VALU_DEP_1) | instskip(NEXT) | instid1(VALU_DEP_1)
	v_fma_f64 v[1:2], v[98:99], v[96:97], v[1:2]
	v_add_f64 v[1:2], v[90:91], -v[1:2]
	scratch_store_b64 off, v[1:2], off offset:320
	v_cmpx_lt_u32_e32 39, v0
	s_cbranch_execz .LBB106_189
; %bb.188:
	scratch_load_b64 v[1:2], off, off offset:312
	v_mov_b32_e32 v90, 0
	s_delay_alu instid0(VALU_DEP_1)
	v_mov_b32_e32 v91, v90
	scratch_store_b64 off, v[90:91], off offset:312
	s_waitcnt vmcnt(0)
	ds_store_b64 v3, v[1:2]
.LBB106_189:
	s_or_b32 exec_lo, exec_lo, s0
	s_waitcnt lgkmcnt(0)
	s_waitcnt_vscnt null, 0x0
	s_barrier
	buffer_gl0_inv
	s_clause 0x1
	scratch_load_b128 v[90:93], off, off offset:312
	scratch_load_b128 v[94:97], off, off offset:328
	v_mov_b32_e32 v1, 0
	ds_load_b128 v[98:101], v1 offset:672
	ds_load_b64 v[102:103], v1 offset:688
	s_mov_b32 s0, exec_lo
	s_waitcnt vmcnt(1) lgkmcnt(1)
	v_fma_f64 v[92:93], v[92:93], v[98:99], 0
	s_waitcnt vmcnt(0)
	s_delay_alu instid0(VALU_DEP_1) | instskip(SKIP_1) | instid1(VALU_DEP_1)
	v_fma_f64 v[92:93], v[94:95], v[100:101], v[92:93]
	s_waitcnt lgkmcnt(0)
	v_fma_f64 v[92:93], v[96:97], v[102:103], v[92:93]
	s_delay_alu instid0(VALU_DEP_1)
	v_add_f64 v[90:91], v[90:91], -v[92:93]
	scratch_store_b64 off, v[90:91], off offset:312
	v_cmpx_lt_u32_e32 38, v0
	s_cbranch_execz .LBB106_191
; %bb.190:
	scratch_load_b64 v[90:91], off, off offset:304
	v_mov_b32_e32 v2, v1
	scratch_store_b64 off, v[1:2], off offset:304
	s_waitcnt vmcnt(0)
	ds_store_b64 v3, v[90:91]
.LBB106_191:
	s_or_b32 exec_lo, exec_lo, s0
	s_waitcnt lgkmcnt(0)
	s_waitcnt_vscnt null, 0x0
	s_barrier
	buffer_gl0_inv
	s_clause 0x2
	scratch_load_b128 v[90:93], off, off offset:304
	scratch_load_b128 v[94:97], off, off offset:320
	scratch_load_b64 v[106:107], off, off offset:336
	ds_load_2addr_b64 v[98:101], v1 offset0:83 offset1:84
	ds_load_2addr_b64 v[102:105], v1 offset0:85 offset1:86
	s_mov_b32 s0, exec_lo
	s_waitcnt vmcnt(2) lgkmcnt(1)
	v_fma_f64 v[1:2], v[92:93], v[98:99], 0
	s_waitcnt vmcnt(1)
	s_delay_alu instid0(VALU_DEP_1) | instskip(SKIP_1) | instid1(VALU_DEP_1)
	v_fma_f64 v[1:2], v[94:95], v[100:101], v[1:2]
	s_waitcnt lgkmcnt(0)
	v_fma_f64 v[1:2], v[96:97], v[102:103], v[1:2]
	s_waitcnt vmcnt(0)
	s_delay_alu instid0(VALU_DEP_1) | instskip(NEXT) | instid1(VALU_DEP_1)
	v_fma_f64 v[1:2], v[106:107], v[104:105], v[1:2]
	v_add_f64 v[1:2], v[90:91], -v[1:2]
	scratch_store_b64 off, v[1:2], off offset:304
	v_cmpx_lt_u32_e32 37, v0
	s_cbranch_execz .LBB106_193
; %bb.192:
	scratch_load_b64 v[1:2], off, off offset:296
	v_mov_b32_e32 v90, 0
	s_delay_alu instid0(VALU_DEP_1)
	v_mov_b32_e32 v91, v90
	scratch_store_b64 off, v[90:91], off offset:296
	s_waitcnt vmcnt(0)
	ds_store_b64 v3, v[1:2]
.LBB106_193:
	s_or_b32 exec_lo, exec_lo, s0
	s_waitcnt lgkmcnt(0)
	s_waitcnt_vscnt null, 0x0
	s_barrier
	buffer_gl0_inv
	s_clause 0x2
	scratch_load_b128 v[90:93], off, off offset:296
	scratch_load_b128 v[94:97], off, off offset:312
	;; [unrolled: 1-line block ×3, first 2 shown]
	v_mov_b32_e32 v1, 0
	ds_load_b128 v[102:105], v1 offset:656
	ds_load_b128 v[106:109], v1 offset:672
	s_mov_b32 s0, exec_lo
	s_waitcnt vmcnt(2) lgkmcnt(1)
	v_fma_f64 v[92:93], v[92:93], v[102:103], 0
	s_waitcnt vmcnt(1)
	s_delay_alu instid0(VALU_DEP_1) | instskip(SKIP_4) | instid1(VALU_DEP_1)
	v_fma_f64 v[92:93], v[94:95], v[104:105], v[92:93]
	ds_load_b64 v[94:95], v1 offset:688
	s_waitcnt lgkmcnt(1)
	v_fma_f64 v[92:93], v[96:97], v[106:107], v[92:93]
	s_waitcnt vmcnt(0)
	v_fma_f64 v[92:93], v[98:99], v[108:109], v[92:93]
	s_waitcnt lgkmcnt(0)
	s_delay_alu instid0(VALU_DEP_1) | instskip(NEXT) | instid1(VALU_DEP_1)
	v_fma_f64 v[92:93], v[100:101], v[94:95], v[92:93]
	v_add_f64 v[90:91], v[90:91], -v[92:93]
	scratch_store_b64 off, v[90:91], off offset:296
	v_cmpx_lt_u32_e32 36, v0
	s_cbranch_execz .LBB106_195
; %bb.194:
	scratch_load_b64 v[90:91], off, off offset:288
	v_mov_b32_e32 v2, v1
	scratch_store_b64 off, v[1:2], off offset:288
	s_waitcnt vmcnt(0)
	ds_store_b64 v3, v[90:91]
.LBB106_195:
	s_or_b32 exec_lo, exec_lo, s0
	s_waitcnt lgkmcnt(0)
	s_waitcnt_vscnt null, 0x0
	s_barrier
	buffer_gl0_inv
	s_clause 0x3
	scratch_load_b128 v[90:93], off, off offset:288
	scratch_load_b128 v[94:97], off, off offset:304
	scratch_load_b128 v[98:101], off, off offset:320
	scratch_load_b64 v[110:111], off, off offset:336
	ds_load_2addr_b64 v[102:105], v1 offset0:81 offset1:82
	ds_load_2addr_b64 v[106:109], v1 offset0:83 offset1:84
	s_mov_b32 s0, exec_lo
	s_waitcnt vmcnt(3) lgkmcnt(1)
	v_fma_f64 v[92:93], v[92:93], v[102:103], 0
	s_waitcnt vmcnt(2)
	s_delay_alu instid0(VALU_DEP_1) | instskip(SKIP_1) | instid1(VALU_DEP_1)
	v_fma_f64 v[92:93], v[94:95], v[104:105], v[92:93]
	s_waitcnt lgkmcnt(0)
	v_fma_f64 v[92:93], v[96:97], v[106:107], v[92:93]
	s_waitcnt vmcnt(1)
	s_delay_alu instid0(VALU_DEP_1) | instskip(SKIP_4) | instid1(VALU_DEP_1)
	v_fma_f64 v[96:97], v[98:99], v[108:109], v[92:93]
	ds_load_2addr_b64 v[92:95], v1 offset0:85 offset1:86
	s_waitcnt lgkmcnt(0)
	v_fma_f64 v[1:2], v[100:101], v[92:93], v[96:97]
	s_waitcnt vmcnt(0)
	v_fma_f64 v[1:2], v[110:111], v[94:95], v[1:2]
	s_delay_alu instid0(VALU_DEP_1)
	v_add_f64 v[1:2], v[90:91], -v[1:2]
	scratch_store_b64 off, v[1:2], off offset:288
	v_cmpx_lt_u32_e32 35, v0
	s_cbranch_execz .LBB106_197
; %bb.196:
	scratch_load_b64 v[1:2], off, off offset:280
	v_mov_b32_e32 v90, 0
	s_delay_alu instid0(VALU_DEP_1)
	v_mov_b32_e32 v91, v90
	scratch_store_b64 off, v[90:91], off offset:280
	s_waitcnt vmcnt(0)
	ds_store_b64 v3, v[1:2]
.LBB106_197:
	s_or_b32 exec_lo, exec_lo, s0
	s_waitcnt lgkmcnt(0)
	s_waitcnt_vscnt null, 0x0
	s_barrier
	buffer_gl0_inv
	s_clause 0x3
	scratch_load_b128 v[90:93], off, off offset:280
	scratch_load_b128 v[94:97], off, off offset:296
	;; [unrolled: 1-line block ×4, first 2 shown]
	v_mov_b32_e32 v1, 0
	ds_load_b128 v[106:109], v1 offset:640
	ds_load_b128 v[110:113], v1 offset:656
	s_mov_b32 s0, exec_lo
	s_waitcnt vmcnt(3) lgkmcnt(1)
	v_fma_f64 v[92:93], v[92:93], v[106:107], 0
	s_waitcnt vmcnt(2)
	s_delay_alu instid0(VALU_DEP_1) | instskip(SKIP_1) | instid1(VALU_DEP_1)
	v_fma_f64 v[92:93], v[94:95], v[108:109], v[92:93]
	s_waitcnt lgkmcnt(0)
	v_fma_f64 v[92:93], v[96:97], v[110:111], v[92:93]
	s_waitcnt vmcnt(1)
	s_delay_alu instid0(VALU_DEP_1)
	v_fma_f64 v[96:97], v[98:99], v[112:113], v[92:93]
	ds_load_b128 v[92:95], v1 offset:672
	ds_load_b64 v[98:99], v1 offset:688
	s_waitcnt lgkmcnt(1)
	v_fma_f64 v[92:93], v[100:101], v[92:93], v[96:97]
	s_waitcnt vmcnt(0)
	s_delay_alu instid0(VALU_DEP_1) | instskip(SKIP_1) | instid1(VALU_DEP_1)
	v_fma_f64 v[92:93], v[102:103], v[94:95], v[92:93]
	s_waitcnt lgkmcnt(0)
	v_fma_f64 v[92:93], v[104:105], v[98:99], v[92:93]
	s_delay_alu instid0(VALU_DEP_1)
	v_add_f64 v[90:91], v[90:91], -v[92:93]
	scratch_store_b64 off, v[90:91], off offset:280
	v_cmpx_lt_u32_e32 34, v0
	s_cbranch_execz .LBB106_199
; %bb.198:
	scratch_load_b64 v[90:91], off, off offset:272
	v_mov_b32_e32 v2, v1
	scratch_store_b64 off, v[1:2], off offset:272
	s_waitcnt vmcnt(0)
	ds_store_b64 v3, v[90:91]
.LBB106_199:
	s_or_b32 exec_lo, exec_lo, s0
	s_waitcnt lgkmcnt(0)
	s_waitcnt_vscnt null, 0x0
	s_barrier
	buffer_gl0_inv
	s_clause 0x4
	scratch_load_b128 v[90:93], off, off offset:272
	scratch_load_b128 v[94:97], off, off offset:288
	;; [unrolled: 1-line block ×4, first 2 shown]
	scratch_load_b64 v[114:115], off, off offset:336
	ds_load_2addr_b64 v[106:109], v1 offset0:79 offset1:80
	ds_load_2addr_b64 v[110:113], v1 offset0:81 offset1:82
	s_mov_b32 s0, exec_lo
	s_waitcnt vmcnt(4) lgkmcnt(1)
	v_fma_f64 v[92:93], v[92:93], v[106:107], 0
	s_waitcnt vmcnt(3)
	s_delay_alu instid0(VALU_DEP_1) | instskip(SKIP_1) | instid1(VALU_DEP_1)
	v_fma_f64 v[92:93], v[94:95], v[108:109], v[92:93]
	s_waitcnt lgkmcnt(0)
	v_fma_f64 v[92:93], v[96:97], v[110:111], v[92:93]
	s_waitcnt vmcnt(2)
	s_delay_alu instid0(VALU_DEP_1)
	v_fma_f64 v[106:107], v[98:99], v[112:113], v[92:93]
	ds_load_2addr_b64 v[92:95], v1 offset0:83 offset1:84
	ds_load_2addr_b64 v[96:99], v1 offset0:85 offset1:86
	s_waitcnt lgkmcnt(1)
	v_fma_f64 v[1:2], v[100:101], v[92:93], v[106:107]
	s_waitcnt vmcnt(1)
	s_delay_alu instid0(VALU_DEP_1) | instskip(SKIP_1) | instid1(VALU_DEP_1)
	v_fma_f64 v[1:2], v[102:103], v[94:95], v[1:2]
	s_waitcnt lgkmcnt(0)
	v_fma_f64 v[1:2], v[104:105], v[96:97], v[1:2]
	s_waitcnt vmcnt(0)
	s_delay_alu instid0(VALU_DEP_1) | instskip(NEXT) | instid1(VALU_DEP_1)
	v_fma_f64 v[1:2], v[114:115], v[98:99], v[1:2]
	v_add_f64 v[1:2], v[90:91], -v[1:2]
	scratch_store_b64 off, v[1:2], off offset:272
	v_cmpx_lt_u32_e32 33, v0
	s_cbranch_execz .LBB106_201
; %bb.200:
	scratch_load_b64 v[1:2], off, off offset:264
	v_mov_b32_e32 v90, 0
	s_delay_alu instid0(VALU_DEP_1)
	v_mov_b32_e32 v91, v90
	scratch_store_b64 off, v[90:91], off offset:264
	s_waitcnt vmcnt(0)
	ds_store_b64 v3, v[1:2]
.LBB106_201:
	s_or_b32 exec_lo, exec_lo, s0
	s_waitcnt lgkmcnt(0)
	s_waitcnt_vscnt null, 0x0
	s_barrier
	buffer_gl0_inv
	s_clause 0x4
	scratch_load_b128 v[90:93], off, off offset:264
	scratch_load_b128 v[94:97], off, off offset:280
	;; [unrolled: 1-line block ×5, first 2 shown]
	v_mov_b32_e32 v1, 0
	ds_load_b128 v[110:113], v1 offset:624
	ds_load_b128 v[114:117], v1 offset:640
	s_mov_b32 s0, exec_lo
	s_waitcnt vmcnt(4) lgkmcnt(1)
	v_fma_f64 v[92:93], v[92:93], v[110:111], 0
	s_waitcnt vmcnt(3)
	s_delay_alu instid0(VALU_DEP_1) | instskip(SKIP_1) | instid1(VALU_DEP_1)
	v_fma_f64 v[92:93], v[94:95], v[112:113], v[92:93]
	s_waitcnt lgkmcnt(0)
	v_fma_f64 v[92:93], v[96:97], v[114:115], v[92:93]
	s_waitcnt vmcnt(2)
	s_delay_alu instid0(VALU_DEP_1)
	v_fma_f64 v[110:111], v[98:99], v[116:117], v[92:93]
	ds_load_b128 v[92:95], v1 offset:656
	ds_load_b128 v[96:99], v1 offset:672
	s_waitcnt lgkmcnt(1)
	v_fma_f64 v[92:93], v[100:101], v[92:93], v[110:111]
	s_waitcnt vmcnt(1)
	s_delay_alu instid0(VALU_DEP_1) | instskip(SKIP_4) | instid1(VALU_DEP_1)
	v_fma_f64 v[92:93], v[102:103], v[94:95], v[92:93]
	ds_load_b64 v[94:95], v1 offset:688
	s_waitcnt lgkmcnt(1)
	v_fma_f64 v[92:93], v[104:105], v[96:97], v[92:93]
	s_waitcnt vmcnt(0)
	v_fma_f64 v[92:93], v[106:107], v[98:99], v[92:93]
	s_waitcnt lgkmcnt(0)
	s_delay_alu instid0(VALU_DEP_1) | instskip(NEXT) | instid1(VALU_DEP_1)
	v_fma_f64 v[92:93], v[108:109], v[94:95], v[92:93]
	v_add_f64 v[90:91], v[90:91], -v[92:93]
	scratch_store_b64 off, v[90:91], off offset:264
	v_cmpx_lt_u32_e32 32, v0
	s_cbranch_execz .LBB106_203
; %bb.202:
	scratch_load_b64 v[90:91], off, off offset:256
	v_mov_b32_e32 v2, v1
	scratch_store_b64 off, v[1:2], off offset:256
	s_waitcnt vmcnt(0)
	ds_store_b64 v3, v[90:91]
.LBB106_203:
	s_or_b32 exec_lo, exec_lo, s0
	s_waitcnt lgkmcnt(0)
	s_waitcnt_vscnt null, 0x0
	s_barrier
	buffer_gl0_inv
	s_clause 0x4
	scratch_load_b128 v[90:93], off, off offset:256
	scratch_load_b128 v[94:97], off, off offset:272
	;; [unrolled: 1-line block ×5, first 2 shown]
	ds_load_2addr_b64 v[110:113], v1 offset0:77 offset1:78
	ds_load_2addr_b64 v[114:117], v1 offset0:79 offset1:80
	s_mov_b32 s0, exec_lo
	s_waitcnt vmcnt(4) lgkmcnt(1)
	v_fma_f64 v[92:93], v[92:93], v[110:111], 0
	scratch_load_b64 v[110:111], off, off offset:336
	s_waitcnt vmcnt(4)
	v_fma_f64 v[92:93], v[94:95], v[112:113], v[92:93]
	s_waitcnt lgkmcnt(0)
	s_delay_alu instid0(VALU_DEP_1) | instskip(SKIP_1) | instid1(VALU_DEP_1)
	v_fma_f64 v[92:93], v[96:97], v[114:115], v[92:93]
	s_waitcnt vmcnt(3)
	v_fma_f64 v[112:113], v[98:99], v[116:117], v[92:93]
	ds_load_2addr_b64 v[92:95], v1 offset0:81 offset1:82
	ds_load_2addr_b64 v[96:99], v1 offset0:83 offset1:84
	s_waitcnt lgkmcnt(1)
	v_fma_f64 v[92:93], v[100:101], v[92:93], v[112:113]
	s_waitcnt vmcnt(2)
	s_delay_alu instid0(VALU_DEP_1) | instskip(SKIP_1) | instid1(VALU_DEP_1)
	v_fma_f64 v[92:93], v[102:103], v[94:95], v[92:93]
	s_waitcnt lgkmcnt(0)
	v_fma_f64 v[92:93], v[104:105], v[96:97], v[92:93]
	s_waitcnt vmcnt(1)
	s_delay_alu instid0(VALU_DEP_1) | instskip(SKIP_4) | instid1(VALU_DEP_1)
	v_fma_f64 v[96:97], v[106:107], v[98:99], v[92:93]
	ds_load_2addr_b64 v[92:95], v1 offset0:85 offset1:86
	s_waitcnt lgkmcnt(0)
	v_fma_f64 v[1:2], v[108:109], v[92:93], v[96:97]
	s_waitcnt vmcnt(0)
	v_fma_f64 v[1:2], v[110:111], v[94:95], v[1:2]
	s_delay_alu instid0(VALU_DEP_1)
	v_add_f64 v[1:2], v[90:91], -v[1:2]
	scratch_store_b64 off, v[1:2], off offset:256
	v_cmpx_lt_u32_e32 31, v0
	s_cbranch_execz .LBB106_205
; %bb.204:
	scratch_load_b64 v[1:2], off, off offset:248
	v_mov_b32_e32 v90, 0
	s_delay_alu instid0(VALU_DEP_1)
	v_mov_b32_e32 v91, v90
	scratch_store_b64 off, v[90:91], off offset:248
	s_waitcnt vmcnt(0)
	ds_store_b64 v3, v[1:2]
.LBB106_205:
	s_or_b32 exec_lo, exec_lo, s0
	s_waitcnt lgkmcnt(0)
	s_waitcnt_vscnt null, 0x0
	s_barrier
	buffer_gl0_inv
	s_clause 0x4
	scratch_load_b128 v[90:93], off, off offset:248
	scratch_load_b128 v[94:97], off, off offset:264
	;; [unrolled: 1-line block ×5, first 2 shown]
	v_mov_b32_e32 v1, 0
	scratch_load_b128 v[114:117], off, off offset:328
	s_mov_b32 s0, exec_lo
	ds_load_b128 v[110:113], v1 offset:608
	s_waitcnt vmcnt(5) lgkmcnt(0)
	v_fma_f64 v[92:93], v[92:93], v[110:111], 0
	s_waitcnt vmcnt(4)
	s_delay_alu instid0(VALU_DEP_1) | instskip(SKIP_4) | instid1(VALU_DEP_1)
	v_fma_f64 v[110:111], v[94:95], v[112:113], v[92:93]
	ds_load_b128 v[92:95], v1 offset:624
	s_waitcnt lgkmcnt(0)
	v_fma_f64 v[92:93], v[96:97], v[92:93], v[110:111]
	s_waitcnt vmcnt(3)
	v_fma_f64 v[96:97], v[98:99], v[94:95], v[92:93]
	ds_load_b128 v[92:95], v1 offset:640
	s_waitcnt lgkmcnt(0)
	v_fma_f64 v[92:93], v[100:101], v[92:93], v[96:97]
	s_waitcnt vmcnt(2)
	s_delay_alu instid0(VALU_DEP_1) | instskip(SKIP_4) | instid1(VALU_DEP_1)
	v_fma_f64 v[96:97], v[102:103], v[94:95], v[92:93]
	ds_load_b128 v[92:95], v1 offset:656
	s_waitcnt lgkmcnt(0)
	v_fma_f64 v[92:93], v[104:105], v[92:93], v[96:97]
	s_waitcnt vmcnt(1)
	v_fma_f64 v[96:97], v[106:107], v[94:95], v[92:93]
	ds_load_b128 v[92:95], v1 offset:672
	s_waitcnt lgkmcnt(0)
	v_fma_f64 v[92:93], v[108:109], v[92:93], v[96:97]
	s_waitcnt vmcnt(0)
	s_delay_alu instid0(VALU_DEP_1) | instskip(SKIP_3) | instid1(VALU_DEP_1)
	v_fma_f64 v[92:93], v[114:115], v[94:95], v[92:93]
	ds_load_b64 v[94:95], v1 offset:688
	s_waitcnt lgkmcnt(0)
	v_fma_f64 v[92:93], v[116:117], v[94:95], v[92:93]
	v_add_f64 v[90:91], v[90:91], -v[92:93]
	scratch_store_b64 off, v[90:91], off offset:248
	v_cmpx_lt_u32_e32 30, v0
	s_cbranch_execz .LBB106_207
; %bb.206:
	scratch_load_b64 v[90:91], off, off offset:240
	v_mov_b32_e32 v2, v1
	scratch_store_b64 off, v[1:2], off offset:240
	s_waitcnt vmcnt(0)
	ds_store_b64 v3, v[90:91]
.LBB106_207:
	s_or_b32 exec_lo, exec_lo, s0
	s_waitcnt lgkmcnt(0)
	s_waitcnt_vscnt null, 0x0
	s_barrier
	buffer_gl0_inv
	s_clause 0x4
	scratch_load_b128 v[90:93], off, off offset:240
	scratch_load_b128 v[94:97], off, off offset:256
	;; [unrolled: 1-line block ×5, first 2 shown]
	ds_load_2addr_b64 v[110:113], v1 offset0:75 offset1:76
	scratch_load_b128 v[114:117], off, off offset:320
	s_mov_b32 s0, exec_lo
	s_waitcnt vmcnt(5) lgkmcnt(0)
	v_fma_f64 v[92:93], v[92:93], v[110:111], 0
	s_waitcnt vmcnt(4)
	s_delay_alu instid0(VALU_DEP_1)
	v_fma_f64 v[110:111], v[94:95], v[112:113], v[92:93]
	ds_load_2addr_b64 v[92:95], v1 offset0:77 offset1:78
	s_waitcnt lgkmcnt(0)
	v_fma_f64 v[92:93], v[96:97], v[92:93], v[110:111]
	scratch_load_b64 v[96:97], off, off offset:336
	s_waitcnt vmcnt(4)
	v_fma_f64 v[98:99], v[98:99], v[94:95], v[92:93]
	ds_load_2addr_b64 v[92:95], v1 offset0:79 offset1:80
	s_waitcnt lgkmcnt(0)
	v_fma_f64 v[92:93], v[100:101], v[92:93], v[98:99]
	s_waitcnt vmcnt(3)
	s_delay_alu instid0(VALU_DEP_1) | instskip(SKIP_4) | instid1(VALU_DEP_1)
	v_fma_f64 v[98:99], v[102:103], v[94:95], v[92:93]
	ds_load_2addr_b64 v[92:95], v1 offset0:81 offset1:82
	s_waitcnt lgkmcnt(0)
	v_fma_f64 v[92:93], v[104:105], v[92:93], v[98:99]
	s_waitcnt vmcnt(2)
	v_fma_f64 v[98:99], v[106:107], v[94:95], v[92:93]
	ds_load_2addr_b64 v[92:95], v1 offset0:83 offset1:84
	s_waitcnt lgkmcnt(0)
	v_fma_f64 v[92:93], v[108:109], v[92:93], v[98:99]
	s_waitcnt vmcnt(1)
	s_delay_alu instid0(VALU_DEP_1) | instskip(SKIP_4) | instid1(VALU_DEP_1)
	v_fma_f64 v[98:99], v[114:115], v[94:95], v[92:93]
	ds_load_2addr_b64 v[92:95], v1 offset0:85 offset1:86
	s_waitcnt lgkmcnt(0)
	v_fma_f64 v[1:2], v[116:117], v[92:93], v[98:99]
	s_waitcnt vmcnt(0)
	v_fma_f64 v[1:2], v[96:97], v[94:95], v[1:2]
	s_delay_alu instid0(VALU_DEP_1)
	v_add_f64 v[1:2], v[90:91], -v[1:2]
	scratch_store_b64 off, v[1:2], off offset:240
	v_cmpx_lt_u32_e32 29, v0
	s_cbranch_execz .LBB106_209
; %bb.208:
	scratch_load_b64 v[1:2], off, off offset:232
	v_mov_b32_e32 v90, 0
	s_delay_alu instid0(VALU_DEP_1)
	v_mov_b32_e32 v91, v90
	scratch_store_b64 off, v[90:91], off offset:232
	s_waitcnt vmcnt(0)
	ds_store_b64 v3, v[1:2]
.LBB106_209:
	s_or_b32 exec_lo, exec_lo, s0
	s_waitcnt lgkmcnt(0)
	s_waitcnt_vscnt null, 0x0
	s_barrier
	buffer_gl0_inv
	s_clause 0x4
	scratch_load_b128 v[90:93], off, off offset:232
	scratch_load_b128 v[94:97], off, off offset:248
	;; [unrolled: 1-line block ×5, first 2 shown]
	v_mov_b32_e32 v1, 0
	scratch_load_b128 v[114:117], off, off offset:312
	s_mov_b32 s0, exec_lo
	ds_load_b128 v[110:113], v1 offset:592
	s_waitcnt vmcnt(5) lgkmcnt(0)
	v_fma_f64 v[92:93], v[92:93], v[110:111], 0
	s_waitcnt vmcnt(4)
	s_delay_alu instid0(VALU_DEP_1)
	v_fma_f64 v[110:111], v[94:95], v[112:113], v[92:93]
	ds_load_b128 v[92:95], v1 offset:608
	s_waitcnt lgkmcnt(0)
	v_fma_f64 v[92:93], v[96:97], v[92:93], v[110:111]
	scratch_load_b128 v[110:113], off, off offset:328
	s_waitcnt vmcnt(4)
	v_fma_f64 v[96:97], v[98:99], v[94:95], v[92:93]
	ds_load_b128 v[92:95], v1 offset:624
	s_waitcnt lgkmcnt(0)
	v_fma_f64 v[92:93], v[100:101], v[92:93], v[96:97]
	s_waitcnt vmcnt(3)
	s_delay_alu instid0(VALU_DEP_1) | instskip(SKIP_4) | instid1(VALU_DEP_1)
	v_fma_f64 v[96:97], v[102:103], v[94:95], v[92:93]
	ds_load_b128 v[92:95], v1 offset:640
	s_waitcnt lgkmcnt(0)
	v_fma_f64 v[92:93], v[104:105], v[92:93], v[96:97]
	s_waitcnt vmcnt(2)
	v_fma_f64 v[96:97], v[106:107], v[94:95], v[92:93]
	ds_load_b128 v[92:95], v1 offset:656
	s_waitcnt lgkmcnt(0)
	v_fma_f64 v[92:93], v[108:109], v[92:93], v[96:97]
	s_waitcnt vmcnt(1)
	s_delay_alu instid0(VALU_DEP_1) | instskip(SKIP_4) | instid1(VALU_DEP_1)
	v_fma_f64 v[96:97], v[114:115], v[94:95], v[92:93]
	ds_load_b128 v[92:95], v1 offset:672
	s_waitcnt lgkmcnt(0)
	v_fma_f64 v[92:93], v[116:117], v[92:93], v[96:97]
	s_waitcnt vmcnt(0)
	v_fma_f64 v[92:93], v[110:111], v[94:95], v[92:93]
	ds_load_b64 v[94:95], v1 offset:688
	s_waitcnt lgkmcnt(0)
	v_fma_f64 v[92:93], v[112:113], v[94:95], v[92:93]
	s_delay_alu instid0(VALU_DEP_1)
	v_add_f64 v[90:91], v[90:91], -v[92:93]
	scratch_store_b64 off, v[90:91], off offset:232
	v_cmpx_lt_u32_e32 28, v0
	s_cbranch_execz .LBB106_211
; %bb.210:
	scratch_load_b64 v[90:91], off, off offset:224
	v_mov_b32_e32 v2, v1
	scratch_store_b64 off, v[1:2], off offset:224
	s_waitcnt vmcnt(0)
	ds_store_b64 v3, v[90:91]
.LBB106_211:
	s_or_b32 exec_lo, exec_lo, s0
	s_waitcnt lgkmcnt(0)
	s_waitcnt_vscnt null, 0x0
	s_barrier
	buffer_gl0_inv
	s_clause 0x4
	scratch_load_b128 v[90:93], off, off offset:224
	scratch_load_b128 v[94:97], off, off offset:240
	;; [unrolled: 1-line block ×5, first 2 shown]
	ds_load_2addr_b64 v[110:113], v1 offset0:73 offset1:74
	scratch_load_b128 v[114:117], off, off offset:304
	s_mov_b32 s0, exec_lo
	s_waitcnt vmcnt(5) lgkmcnt(0)
	v_fma_f64 v[92:93], v[92:93], v[110:111], 0
	s_waitcnt vmcnt(4)
	s_delay_alu instid0(VALU_DEP_1)
	v_fma_f64 v[110:111], v[94:95], v[112:113], v[92:93]
	ds_load_2addr_b64 v[92:95], v1 offset0:75 offset1:76
	s_waitcnt lgkmcnt(0)
	v_fma_f64 v[92:93], v[96:97], v[92:93], v[110:111]
	scratch_load_b128 v[110:113], off, off offset:320
	s_waitcnt vmcnt(4)
	v_fma_f64 v[96:97], v[98:99], v[94:95], v[92:93]
	ds_load_2addr_b64 v[92:95], v1 offset0:77 offset1:78
	s_waitcnt lgkmcnt(0)
	v_fma_f64 v[92:93], v[100:101], v[92:93], v[96:97]
	scratch_load_b64 v[96:97], off, off offset:336
	s_waitcnt vmcnt(4)
	v_fma_f64 v[98:99], v[102:103], v[94:95], v[92:93]
	ds_load_2addr_b64 v[92:95], v1 offset0:79 offset1:80
	s_waitcnt lgkmcnt(0)
	v_fma_f64 v[92:93], v[104:105], v[92:93], v[98:99]
	s_waitcnt vmcnt(3)
	s_delay_alu instid0(VALU_DEP_1) | instskip(SKIP_4) | instid1(VALU_DEP_1)
	v_fma_f64 v[98:99], v[106:107], v[94:95], v[92:93]
	ds_load_2addr_b64 v[92:95], v1 offset0:81 offset1:82
	s_waitcnt lgkmcnt(0)
	v_fma_f64 v[92:93], v[108:109], v[92:93], v[98:99]
	s_waitcnt vmcnt(2)
	v_fma_f64 v[98:99], v[114:115], v[94:95], v[92:93]
	ds_load_2addr_b64 v[92:95], v1 offset0:83 offset1:84
	s_waitcnt lgkmcnt(0)
	v_fma_f64 v[92:93], v[116:117], v[92:93], v[98:99]
	s_waitcnt vmcnt(1)
	s_delay_alu instid0(VALU_DEP_1) | instskip(SKIP_4) | instid1(VALU_DEP_1)
	v_fma_f64 v[98:99], v[110:111], v[94:95], v[92:93]
	ds_load_2addr_b64 v[92:95], v1 offset0:85 offset1:86
	s_waitcnt lgkmcnt(0)
	v_fma_f64 v[1:2], v[112:113], v[92:93], v[98:99]
	s_waitcnt vmcnt(0)
	v_fma_f64 v[1:2], v[96:97], v[94:95], v[1:2]
	s_delay_alu instid0(VALU_DEP_1)
	v_add_f64 v[1:2], v[90:91], -v[1:2]
	scratch_store_b64 off, v[1:2], off offset:224
	v_cmpx_lt_u32_e32 27, v0
	s_cbranch_execz .LBB106_213
; %bb.212:
	scratch_load_b64 v[1:2], off, off offset:216
	v_mov_b32_e32 v90, 0
	s_delay_alu instid0(VALU_DEP_1)
	v_mov_b32_e32 v91, v90
	scratch_store_b64 off, v[90:91], off offset:216
	s_waitcnt vmcnt(0)
	ds_store_b64 v3, v[1:2]
.LBB106_213:
	s_or_b32 exec_lo, exec_lo, s0
	s_waitcnt lgkmcnt(0)
	s_waitcnt_vscnt null, 0x0
	s_barrier
	buffer_gl0_inv
	s_clause 0x4
	scratch_load_b128 v[90:93], off, off offset:216
	scratch_load_b128 v[94:97], off, off offset:232
	;; [unrolled: 1-line block ×5, first 2 shown]
	v_mov_b32_e32 v1, 0
	scratch_load_b128 v[114:117], off, off offset:296
	s_mov_b32 s0, exec_lo
	ds_load_b128 v[110:113], v1 offset:576
	s_waitcnt vmcnt(5) lgkmcnt(0)
	v_fma_f64 v[92:93], v[92:93], v[110:111], 0
	s_waitcnt vmcnt(4)
	s_delay_alu instid0(VALU_DEP_1)
	v_fma_f64 v[110:111], v[94:95], v[112:113], v[92:93]
	ds_load_b128 v[92:95], v1 offset:592
	s_waitcnt lgkmcnt(0)
	v_fma_f64 v[92:93], v[96:97], v[92:93], v[110:111]
	scratch_load_b128 v[110:113], off, off offset:312
	s_waitcnt vmcnt(4)
	v_fma_f64 v[96:97], v[98:99], v[94:95], v[92:93]
	ds_load_b128 v[92:95], v1 offset:608
	s_waitcnt lgkmcnt(0)
	v_fma_f64 v[92:93], v[100:101], v[92:93], v[96:97]
	scratch_load_b128 v[96:99], off, off offset:328
	s_waitcnt vmcnt(4)
	v_fma_f64 v[100:101], v[102:103], v[94:95], v[92:93]
	ds_load_b128 v[92:95], v1 offset:624
	s_waitcnt lgkmcnt(0)
	v_fma_f64 v[92:93], v[104:105], v[92:93], v[100:101]
	s_waitcnt vmcnt(3)
	s_delay_alu instid0(VALU_DEP_1) | instskip(SKIP_4) | instid1(VALU_DEP_1)
	v_fma_f64 v[100:101], v[106:107], v[94:95], v[92:93]
	ds_load_b128 v[92:95], v1 offset:640
	s_waitcnt lgkmcnt(0)
	v_fma_f64 v[92:93], v[108:109], v[92:93], v[100:101]
	s_waitcnt vmcnt(2)
	v_fma_f64 v[100:101], v[114:115], v[94:95], v[92:93]
	ds_load_b128 v[92:95], v1 offset:656
	s_waitcnt lgkmcnt(0)
	v_fma_f64 v[92:93], v[116:117], v[92:93], v[100:101]
	s_waitcnt vmcnt(1)
	s_delay_alu instid0(VALU_DEP_1) | instskip(SKIP_4) | instid1(VALU_DEP_1)
	v_fma_f64 v[100:101], v[110:111], v[94:95], v[92:93]
	ds_load_b128 v[92:95], v1 offset:672
	s_waitcnt lgkmcnt(0)
	v_fma_f64 v[92:93], v[112:113], v[92:93], v[100:101]
	s_waitcnt vmcnt(0)
	v_fma_f64 v[92:93], v[96:97], v[94:95], v[92:93]
	ds_load_b64 v[94:95], v1 offset:688
	s_waitcnt lgkmcnt(0)
	v_fma_f64 v[92:93], v[98:99], v[94:95], v[92:93]
	s_delay_alu instid0(VALU_DEP_1)
	v_add_f64 v[90:91], v[90:91], -v[92:93]
	scratch_store_b64 off, v[90:91], off offset:216
	v_cmpx_lt_u32_e32 26, v0
	s_cbranch_execz .LBB106_215
; %bb.214:
	scratch_load_b64 v[90:91], off, off offset:208
	v_mov_b32_e32 v2, v1
	scratch_store_b64 off, v[1:2], off offset:208
	s_waitcnt vmcnt(0)
	ds_store_b64 v3, v[90:91]
.LBB106_215:
	s_or_b32 exec_lo, exec_lo, s0
	s_waitcnt lgkmcnt(0)
	s_waitcnt_vscnt null, 0x0
	s_barrier
	buffer_gl0_inv
	s_clause 0x4
	scratch_load_b128 v[90:93], off, off offset:208
	scratch_load_b128 v[94:97], off, off offset:224
	;; [unrolled: 1-line block ×5, first 2 shown]
	ds_load_2addr_b64 v[110:113], v1 offset0:71 offset1:72
	scratch_load_b128 v[114:117], off, off offset:288
	s_mov_b32 s0, exec_lo
	s_waitcnt vmcnt(5) lgkmcnt(0)
	v_fma_f64 v[92:93], v[92:93], v[110:111], 0
	s_waitcnt vmcnt(4)
	s_delay_alu instid0(VALU_DEP_1)
	v_fma_f64 v[110:111], v[94:95], v[112:113], v[92:93]
	ds_load_2addr_b64 v[92:95], v1 offset0:73 offset1:74
	s_waitcnt lgkmcnt(0)
	v_fma_f64 v[92:93], v[96:97], v[92:93], v[110:111]
	scratch_load_b128 v[110:113], off, off offset:304
	s_waitcnt vmcnt(4)
	v_fma_f64 v[96:97], v[98:99], v[94:95], v[92:93]
	ds_load_2addr_b64 v[92:95], v1 offset0:75 offset1:76
	s_waitcnt lgkmcnt(0)
	v_fma_f64 v[92:93], v[100:101], v[92:93], v[96:97]
	scratch_load_b128 v[96:99], off, off offset:320
	s_waitcnt vmcnt(4)
	v_fma_f64 v[100:101], v[102:103], v[94:95], v[92:93]
	ds_load_2addr_b64 v[92:95], v1 offset0:77 offset1:78
	s_waitcnt lgkmcnt(0)
	v_fma_f64 v[92:93], v[104:105], v[92:93], v[100:101]
	scratch_load_b64 v[100:101], off, off offset:336
	s_waitcnt vmcnt(4)
	v_fma_f64 v[102:103], v[106:107], v[94:95], v[92:93]
	ds_load_2addr_b64 v[92:95], v1 offset0:79 offset1:80
	s_waitcnt lgkmcnt(0)
	v_fma_f64 v[92:93], v[108:109], v[92:93], v[102:103]
	s_waitcnt vmcnt(3)
	s_delay_alu instid0(VALU_DEP_1) | instskip(SKIP_4) | instid1(VALU_DEP_1)
	v_fma_f64 v[102:103], v[114:115], v[94:95], v[92:93]
	ds_load_2addr_b64 v[92:95], v1 offset0:81 offset1:82
	s_waitcnt lgkmcnt(0)
	v_fma_f64 v[92:93], v[116:117], v[92:93], v[102:103]
	s_waitcnt vmcnt(2)
	v_fma_f64 v[102:103], v[110:111], v[94:95], v[92:93]
	ds_load_2addr_b64 v[92:95], v1 offset0:83 offset1:84
	s_waitcnt lgkmcnt(0)
	v_fma_f64 v[92:93], v[112:113], v[92:93], v[102:103]
	s_waitcnt vmcnt(1)
	s_delay_alu instid0(VALU_DEP_1) | instskip(SKIP_4) | instid1(VALU_DEP_1)
	v_fma_f64 v[96:97], v[96:97], v[94:95], v[92:93]
	ds_load_2addr_b64 v[92:95], v1 offset0:85 offset1:86
	s_waitcnt lgkmcnt(0)
	v_fma_f64 v[1:2], v[98:99], v[92:93], v[96:97]
	s_waitcnt vmcnt(0)
	v_fma_f64 v[1:2], v[100:101], v[94:95], v[1:2]
	s_delay_alu instid0(VALU_DEP_1)
	v_add_f64 v[1:2], v[90:91], -v[1:2]
	scratch_store_b64 off, v[1:2], off offset:208
	v_cmpx_lt_u32_e32 25, v0
	s_cbranch_execz .LBB106_217
; %bb.216:
	scratch_load_b64 v[1:2], off, off offset:200
	v_mov_b32_e32 v90, 0
	s_delay_alu instid0(VALU_DEP_1)
	v_mov_b32_e32 v91, v90
	scratch_store_b64 off, v[90:91], off offset:200
	s_waitcnt vmcnt(0)
	ds_store_b64 v3, v[1:2]
.LBB106_217:
	s_or_b32 exec_lo, exec_lo, s0
	s_waitcnt lgkmcnt(0)
	s_waitcnt_vscnt null, 0x0
	s_barrier
	buffer_gl0_inv
	s_clause 0x4
	scratch_load_b128 v[90:93], off, off offset:200
	scratch_load_b128 v[94:97], off, off offset:216
	;; [unrolled: 1-line block ×5, first 2 shown]
	v_mov_b32_e32 v1, 0
	scratch_load_b128 v[114:117], off, off offset:280
	s_mov_b32 s0, exec_lo
	ds_load_b128 v[110:113], v1 offset:560
	s_waitcnt vmcnt(5) lgkmcnt(0)
	v_fma_f64 v[92:93], v[92:93], v[110:111], 0
	s_waitcnt vmcnt(4)
	s_delay_alu instid0(VALU_DEP_1)
	v_fma_f64 v[110:111], v[94:95], v[112:113], v[92:93]
	ds_load_b128 v[92:95], v1 offset:576
	s_waitcnt lgkmcnt(0)
	v_fma_f64 v[92:93], v[96:97], v[92:93], v[110:111]
	scratch_load_b128 v[110:113], off, off offset:296
	s_waitcnt vmcnt(4)
	v_fma_f64 v[96:97], v[98:99], v[94:95], v[92:93]
	ds_load_b128 v[92:95], v1 offset:592
	s_waitcnt lgkmcnt(0)
	v_fma_f64 v[92:93], v[100:101], v[92:93], v[96:97]
	scratch_load_b128 v[96:99], off, off offset:312
	s_waitcnt vmcnt(4)
	;; [unrolled: 6-line block ×3, first 2 shown]
	v_fma_f64 v[104:105], v[106:107], v[94:95], v[92:93]
	ds_load_b128 v[92:95], v1 offset:624
	s_waitcnt lgkmcnt(0)
	v_fma_f64 v[92:93], v[108:109], v[92:93], v[104:105]
	s_waitcnt vmcnt(3)
	s_delay_alu instid0(VALU_DEP_1) | instskip(SKIP_4) | instid1(VALU_DEP_1)
	v_fma_f64 v[104:105], v[114:115], v[94:95], v[92:93]
	ds_load_b128 v[92:95], v1 offset:640
	s_waitcnt lgkmcnt(0)
	v_fma_f64 v[92:93], v[116:117], v[92:93], v[104:105]
	s_waitcnt vmcnt(2)
	v_fma_f64 v[104:105], v[110:111], v[94:95], v[92:93]
	ds_load_b128 v[92:95], v1 offset:656
	s_waitcnt lgkmcnt(0)
	v_fma_f64 v[92:93], v[112:113], v[92:93], v[104:105]
	s_waitcnt vmcnt(1)
	s_delay_alu instid0(VALU_DEP_1) | instskip(SKIP_4) | instid1(VALU_DEP_1)
	v_fma_f64 v[96:97], v[96:97], v[94:95], v[92:93]
	ds_load_b128 v[92:95], v1 offset:672
	s_waitcnt lgkmcnt(0)
	v_fma_f64 v[92:93], v[98:99], v[92:93], v[96:97]
	s_waitcnt vmcnt(0)
	v_fma_f64 v[92:93], v[100:101], v[94:95], v[92:93]
	ds_load_b64 v[94:95], v1 offset:688
	s_waitcnt lgkmcnt(0)
	v_fma_f64 v[92:93], v[102:103], v[94:95], v[92:93]
	s_delay_alu instid0(VALU_DEP_1)
	v_add_f64 v[90:91], v[90:91], -v[92:93]
	scratch_store_b64 off, v[90:91], off offset:200
	v_cmpx_lt_u32_e32 24, v0
	s_cbranch_execz .LBB106_219
; %bb.218:
	scratch_load_b64 v[90:91], off, off offset:192
	v_mov_b32_e32 v2, v1
	scratch_store_b64 off, v[1:2], off offset:192
	s_waitcnt vmcnt(0)
	ds_store_b64 v3, v[90:91]
.LBB106_219:
	s_or_b32 exec_lo, exec_lo, s0
	s_waitcnt lgkmcnt(0)
	s_waitcnt_vscnt null, 0x0
	s_barrier
	buffer_gl0_inv
	s_clause 0x4
	scratch_load_b128 v[90:93], off, off offset:192
	scratch_load_b128 v[94:97], off, off offset:208
	;; [unrolled: 1-line block ×5, first 2 shown]
	ds_load_2addr_b64 v[110:113], v1 offset0:69 offset1:70
	scratch_load_b128 v[114:117], off, off offset:272
	s_mov_b32 s0, exec_lo
	s_waitcnt vmcnt(5) lgkmcnt(0)
	v_fma_f64 v[92:93], v[92:93], v[110:111], 0
	s_waitcnt vmcnt(4)
	s_delay_alu instid0(VALU_DEP_1)
	v_fma_f64 v[110:111], v[94:95], v[112:113], v[92:93]
	ds_load_2addr_b64 v[92:95], v1 offset0:71 offset1:72
	s_waitcnt lgkmcnt(0)
	v_fma_f64 v[92:93], v[96:97], v[92:93], v[110:111]
	scratch_load_b128 v[110:113], off, off offset:288
	s_waitcnt vmcnt(4)
	v_fma_f64 v[96:97], v[98:99], v[94:95], v[92:93]
	ds_load_2addr_b64 v[92:95], v1 offset0:73 offset1:74
	s_waitcnt lgkmcnt(0)
	v_fma_f64 v[92:93], v[100:101], v[92:93], v[96:97]
	scratch_load_b128 v[96:99], off, off offset:304
	s_waitcnt vmcnt(4)
	;; [unrolled: 6-line block ×3, first 2 shown]
	v_fma_f64 v[104:105], v[106:107], v[94:95], v[92:93]
	ds_load_2addr_b64 v[92:95], v1 offset0:77 offset1:78
	s_waitcnt lgkmcnt(0)
	v_fma_f64 v[92:93], v[108:109], v[92:93], v[104:105]
	scratch_load_b64 v[104:105], off, off offset:336
	s_waitcnt vmcnt(4)
	v_fma_f64 v[106:107], v[114:115], v[94:95], v[92:93]
	ds_load_2addr_b64 v[92:95], v1 offset0:79 offset1:80
	s_waitcnt lgkmcnt(0)
	v_fma_f64 v[92:93], v[116:117], v[92:93], v[106:107]
	s_waitcnt vmcnt(3)
	s_delay_alu instid0(VALU_DEP_1) | instskip(SKIP_4) | instid1(VALU_DEP_1)
	v_fma_f64 v[106:107], v[110:111], v[94:95], v[92:93]
	ds_load_2addr_b64 v[92:95], v1 offset0:81 offset1:82
	s_waitcnt lgkmcnt(0)
	v_fma_f64 v[92:93], v[112:113], v[92:93], v[106:107]
	s_waitcnt vmcnt(2)
	v_fma_f64 v[96:97], v[96:97], v[94:95], v[92:93]
	ds_load_2addr_b64 v[92:95], v1 offset0:83 offset1:84
	s_waitcnt lgkmcnt(0)
	v_fma_f64 v[92:93], v[98:99], v[92:93], v[96:97]
	s_waitcnt vmcnt(1)
	s_delay_alu instid0(VALU_DEP_1) | instskip(SKIP_4) | instid1(VALU_DEP_1)
	v_fma_f64 v[96:97], v[100:101], v[94:95], v[92:93]
	ds_load_2addr_b64 v[92:95], v1 offset0:85 offset1:86
	s_waitcnt lgkmcnt(0)
	v_fma_f64 v[1:2], v[102:103], v[92:93], v[96:97]
	s_waitcnt vmcnt(0)
	v_fma_f64 v[1:2], v[104:105], v[94:95], v[1:2]
	s_delay_alu instid0(VALU_DEP_1)
	v_add_f64 v[1:2], v[90:91], -v[1:2]
	scratch_store_b64 off, v[1:2], off offset:192
	v_cmpx_lt_u32_e32 23, v0
	s_cbranch_execz .LBB106_221
; %bb.220:
	scratch_load_b64 v[1:2], off, off offset:184
	v_mov_b32_e32 v90, 0
	s_delay_alu instid0(VALU_DEP_1)
	v_mov_b32_e32 v91, v90
	scratch_store_b64 off, v[90:91], off offset:184
	s_waitcnt vmcnt(0)
	ds_store_b64 v3, v[1:2]
.LBB106_221:
	s_or_b32 exec_lo, exec_lo, s0
	s_waitcnt lgkmcnt(0)
	s_waitcnt_vscnt null, 0x0
	s_barrier
	buffer_gl0_inv
	s_clause 0x4
	scratch_load_b128 v[90:93], off, off offset:184
	scratch_load_b128 v[94:97], off, off offset:200
	;; [unrolled: 1-line block ×5, first 2 shown]
	v_mov_b32_e32 v1, 0
	scratch_load_b128 v[114:117], off, off offset:264
	s_mov_b32 s0, exec_lo
	ds_load_b128 v[110:113], v1 offset:544
	s_waitcnt vmcnt(5) lgkmcnt(0)
	v_fma_f64 v[92:93], v[92:93], v[110:111], 0
	s_waitcnt vmcnt(4)
	s_delay_alu instid0(VALU_DEP_1)
	v_fma_f64 v[110:111], v[94:95], v[112:113], v[92:93]
	ds_load_b128 v[92:95], v1 offset:560
	s_waitcnt lgkmcnt(0)
	v_fma_f64 v[92:93], v[96:97], v[92:93], v[110:111]
	scratch_load_b128 v[110:113], off, off offset:280
	s_waitcnt vmcnt(4)
	v_fma_f64 v[96:97], v[98:99], v[94:95], v[92:93]
	ds_load_b128 v[92:95], v1 offset:576
	s_waitcnt lgkmcnt(0)
	v_fma_f64 v[92:93], v[100:101], v[92:93], v[96:97]
	scratch_load_b128 v[96:99], off, off offset:296
	s_waitcnt vmcnt(4)
	;; [unrolled: 6-line block ×4, first 2 shown]
	v_fma_f64 v[108:109], v[114:115], v[94:95], v[92:93]
	ds_load_b128 v[92:95], v1 offset:624
	s_waitcnt lgkmcnt(0)
	v_fma_f64 v[92:93], v[116:117], v[92:93], v[108:109]
	s_waitcnt vmcnt(3)
	s_delay_alu instid0(VALU_DEP_1) | instskip(SKIP_4) | instid1(VALU_DEP_1)
	v_fma_f64 v[108:109], v[110:111], v[94:95], v[92:93]
	ds_load_b128 v[92:95], v1 offset:640
	s_waitcnt lgkmcnt(0)
	v_fma_f64 v[92:93], v[112:113], v[92:93], v[108:109]
	s_waitcnt vmcnt(2)
	v_fma_f64 v[96:97], v[96:97], v[94:95], v[92:93]
	ds_load_b128 v[92:95], v1 offset:656
	s_waitcnt lgkmcnt(0)
	v_fma_f64 v[92:93], v[98:99], v[92:93], v[96:97]
	s_waitcnt vmcnt(1)
	s_delay_alu instid0(VALU_DEP_1) | instskip(SKIP_4) | instid1(VALU_DEP_1)
	v_fma_f64 v[96:97], v[100:101], v[94:95], v[92:93]
	ds_load_b128 v[92:95], v1 offset:672
	s_waitcnt lgkmcnt(0)
	v_fma_f64 v[92:93], v[102:103], v[92:93], v[96:97]
	s_waitcnt vmcnt(0)
	v_fma_f64 v[92:93], v[104:105], v[94:95], v[92:93]
	ds_load_b64 v[94:95], v1 offset:688
	s_waitcnt lgkmcnt(0)
	v_fma_f64 v[92:93], v[106:107], v[94:95], v[92:93]
	s_delay_alu instid0(VALU_DEP_1)
	v_add_f64 v[90:91], v[90:91], -v[92:93]
	scratch_store_b64 off, v[90:91], off offset:184
	v_cmpx_lt_u32_e32 22, v0
	s_cbranch_execz .LBB106_223
; %bb.222:
	scratch_load_b64 v[90:91], off, off offset:176
	v_mov_b32_e32 v2, v1
	scratch_store_b64 off, v[1:2], off offset:176
	s_waitcnt vmcnt(0)
	ds_store_b64 v3, v[90:91]
.LBB106_223:
	s_or_b32 exec_lo, exec_lo, s0
	s_waitcnt lgkmcnt(0)
	s_waitcnt_vscnt null, 0x0
	s_barrier
	buffer_gl0_inv
	s_clause 0x4
	scratch_load_b128 v[90:93], off, off offset:176
	scratch_load_b128 v[94:97], off, off offset:192
	;; [unrolled: 1-line block ×5, first 2 shown]
	ds_load_2addr_b64 v[110:113], v1 offset0:67 offset1:68
	scratch_load_b128 v[114:117], off, off offset:256
	s_mov_b32 s0, exec_lo
	s_waitcnt vmcnt(5) lgkmcnt(0)
	v_fma_f64 v[92:93], v[92:93], v[110:111], 0
	s_waitcnt vmcnt(4)
	s_delay_alu instid0(VALU_DEP_1)
	v_fma_f64 v[110:111], v[94:95], v[112:113], v[92:93]
	ds_load_2addr_b64 v[92:95], v1 offset0:69 offset1:70
	s_waitcnt lgkmcnt(0)
	v_fma_f64 v[92:93], v[96:97], v[92:93], v[110:111]
	scratch_load_b128 v[110:113], off, off offset:272
	s_waitcnt vmcnt(4)
	v_fma_f64 v[96:97], v[98:99], v[94:95], v[92:93]
	ds_load_2addr_b64 v[92:95], v1 offset0:71 offset1:72
	s_waitcnt lgkmcnt(0)
	v_fma_f64 v[92:93], v[100:101], v[92:93], v[96:97]
	scratch_load_b128 v[96:99], off, off offset:288
	s_waitcnt vmcnt(4)
	;; [unrolled: 6-line block ×4, first 2 shown]
	v_fma_f64 v[108:109], v[114:115], v[94:95], v[92:93]
	ds_load_2addr_b64 v[92:95], v1 offset0:77 offset1:78
	s_waitcnt lgkmcnt(0)
	v_fma_f64 v[92:93], v[116:117], v[92:93], v[108:109]
	scratch_load_b64 v[108:109], off, off offset:336
	s_waitcnt vmcnt(4)
	v_fma_f64 v[110:111], v[110:111], v[94:95], v[92:93]
	ds_load_2addr_b64 v[92:95], v1 offset0:79 offset1:80
	s_waitcnt lgkmcnt(0)
	v_fma_f64 v[92:93], v[112:113], v[92:93], v[110:111]
	s_waitcnt vmcnt(3)
	s_delay_alu instid0(VALU_DEP_1) | instskip(SKIP_4) | instid1(VALU_DEP_1)
	v_fma_f64 v[96:97], v[96:97], v[94:95], v[92:93]
	ds_load_2addr_b64 v[92:95], v1 offset0:81 offset1:82
	s_waitcnt lgkmcnt(0)
	v_fma_f64 v[92:93], v[98:99], v[92:93], v[96:97]
	s_waitcnt vmcnt(2)
	v_fma_f64 v[96:97], v[100:101], v[94:95], v[92:93]
	ds_load_2addr_b64 v[92:95], v1 offset0:83 offset1:84
	s_waitcnt lgkmcnt(0)
	v_fma_f64 v[92:93], v[102:103], v[92:93], v[96:97]
	s_waitcnt vmcnt(1)
	s_delay_alu instid0(VALU_DEP_1) | instskip(SKIP_4) | instid1(VALU_DEP_1)
	v_fma_f64 v[96:97], v[104:105], v[94:95], v[92:93]
	ds_load_2addr_b64 v[92:95], v1 offset0:85 offset1:86
	s_waitcnt lgkmcnt(0)
	v_fma_f64 v[1:2], v[106:107], v[92:93], v[96:97]
	s_waitcnt vmcnt(0)
	v_fma_f64 v[1:2], v[108:109], v[94:95], v[1:2]
	s_delay_alu instid0(VALU_DEP_1)
	v_add_f64 v[1:2], v[90:91], -v[1:2]
	scratch_store_b64 off, v[1:2], off offset:176
	v_cmpx_lt_u32_e32 21, v0
	s_cbranch_execz .LBB106_225
; %bb.224:
	scratch_load_b64 v[1:2], off, off offset:168
	v_mov_b32_e32 v90, 0
	s_delay_alu instid0(VALU_DEP_1)
	v_mov_b32_e32 v91, v90
	scratch_store_b64 off, v[90:91], off offset:168
	s_waitcnt vmcnt(0)
	ds_store_b64 v3, v[1:2]
.LBB106_225:
	s_or_b32 exec_lo, exec_lo, s0
	s_waitcnt lgkmcnt(0)
	s_waitcnt_vscnt null, 0x0
	s_barrier
	buffer_gl0_inv
	s_clause 0x4
	scratch_load_b128 v[90:93], off, off offset:168
	scratch_load_b128 v[94:97], off, off offset:184
	;; [unrolled: 1-line block ×5, first 2 shown]
	v_mov_b32_e32 v1, 0
	scratch_load_b128 v[114:117], off, off offset:248
	s_mov_b32 s0, exec_lo
	ds_load_b128 v[110:113], v1 offset:528
	s_waitcnt vmcnt(5) lgkmcnt(0)
	v_fma_f64 v[92:93], v[92:93], v[110:111], 0
	s_waitcnt vmcnt(4)
	s_delay_alu instid0(VALU_DEP_1)
	v_fma_f64 v[110:111], v[94:95], v[112:113], v[92:93]
	ds_load_b128 v[92:95], v1 offset:544
	s_waitcnt lgkmcnt(0)
	v_fma_f64 v[92:93], v[96:97], v[92:93], v[110:111]
	scratch_load_b128 v[110:113], off, off offset:264
	s_waitcnt vmcnt(4)
	v_fma_f64 v[96:97], v[98:99], v[94:95], v[92:93]
	ds_load_b128 v[92:95], v1 offset:560
	s_waitcnt lgkmcnt(0)
	v_fma_f64 v[92:93], v[100:101], v[92:93], v[96:97]
	scratch_load_b128 v[96:99], off, off offset:280
	s_waitcnt vmcnt(4)
	;; [unrolled: 6-line block ×5, first 2 shown]
	v_fma_f64 v[108:109], v[110:111], v[94:95], v[92:93]
	ds_load_b128 v[92:95], v1 offset:624
	s_waitcnt lgkmcnt(0)
	v_fma_f64 v[92:93], v[112:113], v[92:93], v[108:109]
	s_waitcnt vmcnt(3)
	s_delay_alu instid0(VALU_DEP_1) | instskip(SKIP_4) | instid1(VALU_DEP_1)
	v_fma_f64 v[96:97], v[96:97], v[94:95], v[92:93]
	ds_load_b128 v[92:95], v1 offset:640
	s_waitcnt lgkmcnt(0)
	v_fma_f64 v[92:93], v[98:99], v[92:93], v[96:97]
	s_waitcnt vmcnt(2)
	v_fma_f64 v[96:97], v[100:101], v[94:95], v[92:93]
	ds_load_b128 v[92:95], v1 offset:656
	s_waitcnt lgkmcnt(0)
	v_fma_f64 v[92:93], v[102:103], v[92:93], v[96:97]
	s_waitcnt vmcnt(1)
	s_delay_alu instid0(VALU_DEP_1) | instskip(SKIP_4) | instid1(VALU_DEP_1)
	v_fma_f64 v[96:97], v[104:105], v[94:95], v[92:93]
	ds_load_b128 v[92:95], v1 offset:672
	s_waitcnt lgkmcnt(0)
	v_fma_f64 v[92:93], v[106:107], v[92:93], v[96:97]
	s_waitcnt vmcnt(0)
	v_fma_f64 v[92:93], v[114:115], v[94:95], v[92:93]
	ds_load_b64 v[94:95], v1 offset:688
	s_waitcnt lgkmcnt(0)
	v_fma_f64 v[92:93], v[116:117], v[94:95], v[92:93]
	s_delay_alu instid0(VALU_DEP_1)
	v_add_f64 v[90:91], v[90:91], -v[92:93]
	scratch_store_b64 off, v[90:91], off offset:168
	v_cmpx_lt_u32_e32 20, v0
	s_cbranch_execz .LBB106_227
; %bb.226:
	scratch_load_b64 v[90:91], off, off offset:160
	v_mov_b32_e32 v2, v1
	scratch_store_b64 off, v[1:2], off offset:160
	s_waitcnt vmcnt(0)
	ds_store_b64 v3, v[90:91]
.LBB106_227:
	s_or_b32 exec_lo, exec_lo, s0
	s_waitcnt lgkmcnt(0)
	s_waitcnt_vscnt null, 0x0
	s_barrier
	buffer_gl0_inv
	s_clause 0x4
	scratch_load_b128 v[90:93], off, off offset:160
	scratch_load_b128 v[94:97], off, off offset:176
	;; [unrolled: 1-line block ×5, first 2 shown]
	ds_load_2addr_b64 v[110:113], v1 offset0:65 offset1:66
	scratch_load_b128 v[114:117], off, off offset:240
	s_mov_b32 s0, exec_lo
	s_waitcnt vmcnt(5) lgkmcnt(0)
	v_fma_f64 v[92:93], v[92:93], v[110:111], 0
	s_waitcnt vmcnt(4)
	s_delay_alu instid0(VALU_DEP_1)
	v_fma_f64 v[110:111], v[94:95], v[112:113], v[92:93]
	ds_load_2addr_b64 v[92:95], v1 offset0:67 offset1:68
	s_waitcnt lgkmcnt(0)
	v_fma_f64 v[92:93], v[96:97], v[92:93], v[110:111]
	scratch_load_b128 v[110:113], off, off offset:256
	s_waitcnt vmcnt(4)
	v_fma_f64 v[96:97], v[98:99], v[94:95], v[92:93]
	ds_load_2addr_b64 v[92:95], v1 offset0:69 offset1:70
	s_waitcnt lgkmcnt(0)
	v_fma_f64 v[92:93], v[100:101], v[92:93], v[96:97]
	scratch_load_b128 v[96:99], off, off offset:272
	s_waitcnt vmcnt(4)
	;; [unrolled: 6-line block ×5, first 2 shown]
	v_fma_f64 v[108:109], v[110:111], v[94:95], v[92:93]
	ds_load_2addr_b64 v[92:95], v1 offset0:77 offset1:78
	s_waitcnt lgkmcnt(0)
	v_fma_f64 v[92:93], v[112:113], v[92:93], v[108:109]
	scratch_load_b64 v[108:109], off, off offset:336
	s_waitcnt vmcnt(4)
	v_fma_f64 v[96:97], v[96:97], v[94:95], v[92:93]
	ds_load_2addr_b64 v[92:95], v1 offset0:79 offset1:80
	s_waitcnt lgkmcnt(0)
	v_fma_f64 v[92:93], v[98:99], v[92:93], v[96:97]
	s_waitcnt vmcnt(3)
	s_delay_alu instid0(VALU_DEP_1) | instskip(SKIP_4) | instid1(VALU_DEP_1)
	v_fma_f64 v[96:97], v[100:101], v[94:95], v[92:93]
	ds_load_2addr_b64 v[92:95], v1 offset0:81 offset1:82
	s_waitcnt lgkmcnt(0)
	v_fma_f64 v[92:93], v[102:103], v[92:93], v[96:97]
	s_waitcnt vmcnt(2)
	v_fma_f64 v[96:97], v[104:105], v[94:95], v[92:93]
	ds_load_2addr_b64 v[92:95], v1 offset0:83 offset1:84
	s_waitcnt lgkmcnt(0)
	v_fma_f64 v[92:93], v[106:107], v[92:93], v[96:97]
	s_waitcnt vmcnt(1)
	s_delay_alu instid0(VALU_DEP_1) | instskip(SKIP_4) | instid1(VALU_DEP_1)
	v_fma_f64 v[96:97], v[114:115], v[94:95], v[92:93]
	ds_load_2addr_b64 v[92:95], v1 offset0:85 offset1:86
	s_waitcnt lgkmcnt(0)
	v_fma_f64 v[1:2], v[116:117], v[92:93], v[96:97]
	s_waitcnt vmcnt(0)
	v_fma_f64 v[1:2], v[108:109], v[94:95], v[1:2]
	s_delay_alu instid0(VALU_DEP_1)
	v_add_f64 v[1:2], v[90:91], -v[1:2]
	scratch_store_b64 off, v[1:2], off offset:160
	v_cmpx_lt_u32_e32 19, v0
	s_cbranch_execz .LBB106_229
; %bb.228:
	scratch_load_b64 v[1:2], off, off offset:152
	v_mov_b32_e32 v90, 0
	s_delay_alu instid0(VALU_DEP_1)
	v_mov_b32_e32 v91, v90
	scratch_store_b64 off, v[90:91], off offset:152
	s_waitcnt vmcnt(0)
	ds_store_b64 v3, v[1:2]
.LBB106_229:
	s_or_b32 exec_lo, exec_lo, s0
	s_waitcnt lgkmcnt(0)
	s_waitcnt_vscnt null, 0x0
	s_barrier
	buffer_gl0_inv
	s_clause 0x4
	scratch_load_b128 v[90:93], off, off offset:152
	scratch_load_b128 v[94:97], off, off offset:168
	;; [unrolled: 1-line block ×5, first 2 shown]
	v_mov_b32_e32 v1, 0
	scratch_load_b128 v[114:117], off, off offset:232
	s_mov_b32 s0, exec_lo
	ds_load_b128 v[110:113], v1 offset:512
	s_waitcnt vmcnt(5) lgkmcnt(0)
	v_fma_f64 v[92:93], v[92:93], v[110:111], 0
	s_waitcnt vmcnt(4)
	s_delay_alu instid0(VALU_DEP_1)
	v_fma_f64 v[110:111], v[94:95], v[112:113], v[92:93]
	ds_load_b128 v[92:95], v1 offset:528
	s_waitcnt lgkmcnt(0)
	v_fma_f64 v[92:93], v[96:97], v[92:93], v[110:111]
	scratch_load_b128 v[110:113], off, off offset:248
	s_waitcnt vmcnt(4)
	v_fma_f64 v[96:97], v[98:99], v[94:95], v[92:93]
	ds_load_b128 v[92:95], v1 offset:544
	s_waitcnt lgkmcnt(0)
	v_fma_f64 v[92:93], v[100:101], v[92:93], v[96:97]
	scratch_load_b128 v[96:99], off, off offset:264
	s_waitcnt vmcnt(4)
	;; [unrolled: 6-line block ×6, first 2 shown]
	v_fma_f64 v[96:97], v[96:97], v[94:95], v[92:93]
	ds_load_b128 v[92:95], v1 offset:624
	s_waitcnt lgkmcnt(0)
	v_fma_f64 v[92:93], v[98:99], v[92:93], v[96:97]
	s_waitcnt vmcnt(3)
	s_delay_alu instid0(VALU_DEP_1) | instskip(SKIP_4) | instid1(VALU_DEP_1)
	v_fma_f64 v[96:97], v[100:101], v[94:95], v[92:93]
	ds_load_b128 v[92:95], v1 offset:640
	s_waitcnt lgkmcnt(0)
	v_fma_f64 v[92:93], v[102:103], v[92:93], v[96:97]
	s_waitcnt vmcnt(2)
	v_fma_f64 v[96:97], v[104:105], v[94:95], v[92:93]
	ds_load_b128 v[92:95], v1 offset:656
	s_waitcnt lgkmcnt(0)
	v_fma_f64 v[92:93], v[106:107], v[92:93], v[96:97]
	s_waitcnt vmcnt(1)
	s_delay_alu instid0(VALU_DEP_1) | instskip(SKIP_4) | instid1(VALU_DEP_1)
	v_fma_f64 v[96:97], v[114:115], v[94:95], v[92:93]
	ds_load_b128 v[92:95], v1 offset:672
	s_waitcnt lgkmcnt(0)
	v_fma_f64 v[92:93], v[116:117], v[92:93], v[96:97]
	s_waitcnt vmcnt(0)
	v_fma_f64 v[92:93], v[108:109], v[94:95], v[92:93]
	ds_load_b64 v[94:95], v1 offset:688
	s_waitcnt lgkmcnt(0)
	v_fma_f64 v[92:93], v[110:111], v[94:95], v[92:93]
	s_delay_alu instid0(VALU_DEP_1)
	v_add_f64 v[90:91], v[90:91], -v[92:93]
	scratch_store_b64 off, v[90:91], off offset:152
	v_cmpx_lt_u32_e32 18, v0
	s_cbranch_execz .LBB106_231
; %bb.230:
	scratch_load_b64 v[90:91], off, off offset:144
	v_mov_b32_e32 v2, v1
	scratch_store_b64 off, v[1:2], off offset:144
	s_waitcnt vmcnt(0)
	ds_store_b64 v3, v[90:91]
.LBB106_231:
	s_or_b32 exec_lo, exec_lo, s0
	s_waitcnt lgkmcnt(0)
	s_waitcnt_vscnt null, 0x0
	s_barrier
	buffer_gl0_inv
	s_clause 0x4
	scratch_load_b128 v[90:93], off, off offset:144
	scratch_load_b128 v[94:97], off, off offset:160
	;; [unrolled: 1-line block ×5, first 2 shown]
	ds_load_2addr_b64 v[110:113], v1 offset0:63 offset1:64
	scratch_load_b128 v[114:117], off, off offset:224
	s_mov_b32 s0, exec_lo
	s_waitcnt vmcnt(5) lgkmcnt(0)
	v_fma_f64 v[92:93], v[92:93], v[110:111], 0
	s_waitcnt vmcnt(4)
	s_delay_alu instid0(VALU_DEP_1)
	v_fma_f64 v[110:111], v[94:95], v[112:113], v[92:93]
	ds_load_2addr_b64 v[92:95], v1 offset0:65 offset1:66
	s_waitcnt lgkmcnt(0)
	v_fma_f64 v[92:93], v[96:97], v[92:93], v[110:111]
	scratch_load_b128 v[110:113], off, off offset:240
	s_waitcnt vmcnt(4)
	v_fma_f64 v[96:97], v[98:99], v[94:95], v[92:93]
	ds_load_2addr_b64 v[92:95], v1 offset0:67 offset1:68
	s_waitcnt lgkmcnt(0)
	v_fma_f64 v[92:93], v[100:101], v[92:93], v[96:97]
	scratch_load_b128 v[96:99], off, off offset:256
	s_waitcnt vmcnt(4)
	v_fma_f64 v[100:101], v[102:103], v[94:95], v[92:93]
	ds_load_2addr_b64 v[92:95], v1 offset0:69 offset1:70
	s_waitcnt lgkmcnt(0)
	v_fma_f64 v[92:93], v[104:105], v[92:93], v[100:101]
	scratch_load_b128 v[100:103], off, off offset:272
	s_waitcnt vmcnt(4)
	v_fma_f64 v[104:105], v[106:107], v[94:95], v[92:93]
	ds_load_2addr_b64 v[92:95], v1 offset0:71 offset1:72
	s_waitcnt lgkmcnt(0)
	v_fma_f64 v[92:93], v[108:109], v[92:93], v[104:105]
	scratch_load_b128 v[104:107], off, off offset:288
	s_waitcnt vmcnt(4)
	v_fma_f64 v[108:109], v[114:115], v[94:95], v[92:93]
	ds_load_2addr_b64 v[92:95], v1 offset0:73 offset1:74
	s_waitcnt lgkmcnt(0)
	v_fma_f64 v[92:93], v[116:117], v[92:93], v[108:109]
	scratch_load_b128 v[114:117], off, off offset:304
	s_waitcnt vmcnt(4)
	v_fma_f64 v[108:109], v[110:111], v[94:95], v[92:93]
	ds_load_2addr_b64 v[92:95], v1 offset0:75 offset1:76
	s_waitcnt lgkmcnt(0)
	v_fma_f64 v[92:93], v[112:113], v[92:93], v[108:109]
	scratch_load_b128 v[108:111], off, off offset:320
	s_waitcnt vmcnt(4)
	v_fma_f64 v[96:97], v[96:97], v[94:95], v[92:93]
	ds_load_2addr_b64 v[92:95], v1 offset0:77 offset1:78
	s_waitcnt lgkmcnt(0)
	v_fma_f64 v[92:93], v[98:99], v[92:93], v[96:97]
	scratch_load_b64 v[96:97], off, off offset:336
	s_waitcnt vmcnt(4)
	v_fma_f64 v[98:99], v[100:101], v[94:95], v[92:93]
	ds_load_2addr_b64 v[92:95], v1 offset0:79 offset1:80
	s_waitcnt lgkmcnt(0)
	v_fma_f64 v[92:93], v[102:103], v[92:93], v[98:99]
	s_waitcnt vmcnt(3)
	s_delay_alu instid0(VALU_DEP_1) | instskip(SKIP_4) | instid1(VALU_DEP_1)
	v_fma_f64 v[98:99], v[104:105], v[94:95], v[92:93]
	ds_load_2addr_b64 v[92:95], v1 offset0:81 offset1:82
	s_waitcnt lgkmcnt(0)
	v_fma_f64 v[92:93], v[106:107], v[92:93], v[98:99]
	s_waitcnt vmcnt(2)
	v_fma_f64 v[98:99], v[114:115], v[94:95], v[92:93]
	ds_load_2addr_b64 v[92:95], v1 offset0:83 offset1:84
	s_waitcnt lgkmcnt(0)
	v_fma_f64 v[92:93], v[116:117], v[92:93], v[98:99]
	s_waitcnt vmcnt(1)
	s_delay_alu instid0(VALU_DEP_1) | instskip(SKIP_4) | instid1(VALU_DEP_1)
	v_fma_f64 v[98:99], v[108:109], v[94:95], v[92:93]
	ds_load_2addr_b64 v[92:95], v1 offset0:85 offset1:86
	s_waitcnt lgkmcnt(0)
	v_fma_f64 v[1:2], v[110:111], v[92:93], v[98:99]
	s_waitcnt vmcnt(0)
	v_fma_f64 v[1:2], v[96:97], v[94:95], v[1:2]
	s_delay_alu instid0(VALU_DEP_1)
	v_add_f64 v[1:2], v[90:91], -v[1:2]
	scratch_store_b64 off, v[1:2], off offset:144
	v_cmpx_lt_u32_e32 17, v0
	s_cbranch_execz .LBB106_233
; %bb.232:
	scratch_load_b64 v[1:2], off, off offset:136
	v_mov_b32_e32 v90, 0
	s_delay_alu instid0(VALU_DEP_1)
	v_mov_b32_e32 v91, v90
	scratch_store_b64 off, v[90:91], off offset:136
	s_waitcnt vmcnt(0)
	ds_store_b64 v3, v[1:2]
.LBB106_233:
	s_or_b32 exec_lo, exec_lo, s0
	s_waitcnt lgkmcnt(0)
	s_waitcnt_vscnt null, 0x0
	s_barrier
	buffer_gl0_inv
	s_clause 0x4
	scratch_load_b128 v[90:93], off, off offset:136
	scratch_load_b128 v[94:97], off, off offset:152
	;; [unrolled: 1-line block ×5, first 2 shown]
	v_mov_b32_e32 v1, 0
	scratch_load_b128 v[114:117], off, off offset:216
	s_mov_b32 s0, exec_lo
	ds_load_b128 v[110:113], v1 offset:496
	s_waitcnt vmcnt(5) lgkmcnt(0)
	v_fma_f64 v[92:93], v[92:93], v[110:111], 0
	s_waitcnt vmcnt(4)
	s_delay_alu instid0(VALU_DEP_1)
	v_fma_f64 v[110:111], v[94:95], v[112:113], v[92:93]
	ds_load_b128 v[92:95], v1 offset:512
	s_waitcnt lgkmcnt(0)
	v_fma_f64 v[92:93], v[96:97], v[92:93], v[110:111]
	scratch_load_b128 v[110:113], off, off offset:232
	s_waitcnt vmcnt(4)
	v_fma_f64 v[96:97], v[98:99], v[94:95], v[92:93]
	ds_load_b128 v[92:95], v1 offset:528
	s_waitcnt lgkmcnt(0)
	v_fma_f64 v[92:93], v[100:101], v[92:93], v[96:97]
	scratch_load_b128 v[96:99], off, off offset:248
	s_waitcnt vmcnt(4)
	;; [unrolled: 6-line block ×7, first 2 shown]
	v_fma_f64 v[100:101], v[100:101], v[94:95], v[92:93]
	ds_load_b128 v[92:95], v1 offset:624
	s_waitcnt lgkmcnt(0)
	v_fma_f64 v[92:93], v[102:103], v[92:93], v[100:101]
	s_waitcnt vmcnt(3)
	s_delay_alu instid0(VALU_DEP_1) | instskip(SKIP_4) | instid1(VALU_DEP_1)
	v_fma_f64 v[100:101], v[104:105], v[94:95], v[92:93]
	ds_load_b128 v[92:95], v1 offset:640
	s_waitcnt lgkmcnt(0)
	v_fma_f64 v[92:93], v[106:107], v[92:93], v[100:101]
	s_waitcnt vmcnt(2)
	v_fma_f64 v[100:101], v[114:115], v[94:95], v[92:93]
	ds_load_b128 v[92:95], v1 offset:656
	s_waitcnt lgkmcnt(0)
	v_fma_f64 v[92:93], v[116:117], v[92:93], v[100:101]
	s_waitcnt vmcnt(1)
	s_delay_alu instid0(VALU_DEP_1) | instskip(SKIP_4) | instid1(VALU_DEP_1)
	v_fma_f64 v[100:101], v[108:109], v[94:95], v[92:93]
	ds_load_b128 v[92:95], v1 offset:672
	s_waitcnt lgkmcnt(0)
	v_fma_f64 v[92:93], v[110:111], v[92:93], v[100:101]
	s_waitcnt vmcnt(0)
	v_fma_f64 v[92:93], v[96:97], v[94:95], v[92:93]
	ds_load_b64 v[94:95], v1 offset:688
	s_waitcnt lgkmcnt(0)
	v_fma_f64 v[92:93], v[98:99], v[94:95], v[92:93]
	s_delay_alu instid0(VALU_DEP_1)
	v_add_f64 v[90:91], v[90:91], -v[92:93]
	scratch_store_b64 off, v[90:91], off offset:136
	v_cmpx_lt_u32_e32 16, v0
	s_cbranch_execz .LBB106_235
; %bb.234:
	scratch_load_b64 v[90:91], off, off offset:128
	v_mov_b32_e32 v2, v1
	scratch_store_b64 off, v[1:2], off offset:128
	s_waitcnt vmcnt(0)
	ds_store_b64 v3, v[90:91]
.LBB106_235:
	s_or_b32 exec_lo, exec_lo, s0
	s_waitcnt lgkmcnt(0)
	s_waitcnt_vscnt null, 0x0
	s_barrier
	buffer_gl0_inv
	s_clause 0x4
	scratch_load_b128 v[90:93], off, off offset:128
	scratch_load_b128 v[94:97], off, off offset:144
	;; [unrolled: 1-line block ×5, first 2 shown]
	ds_load_2addr_b64 v[110:113], v1 offset0:61 offset1:62
	scratch_load_b128 v[114:117], off, off offset:208
	s_mov_b32 s0, exec_lo
	s_waitcnt vmcnt(5) lgkmcnt(0)
	v_fma_f64 v[92:93], v[92:93], v[110:111], 0
	s_waitcnt vmcnt(4)
	s_delay_alu instid0(VALU_DEP_1)
	v_fma_f64 v[110:111], v[94:95], v[112:113], v[92:93]
	ds_load_2addr_b64 v[92:95], v1 offset0:63 offset1:64
	s_waitcnt lgkmcnt(0)
	v_fma_f64 v[92:93], v[96:97], v[92:93], v[110:111]
	scratch_load_b128 v[110:113], off, off offset:224
	s_waitcnt vmcnt(4)
	v_fma_f64 v[96:97], v[98:99], v[94:95], v[92:93]
	ds_load_2addr_b64 v[92:95], v1 offset0:65 offset1:66
	s_waitcnt lgkmcnt(0)
	v_fma_f64 v[92:93], v[100:101], v[92:93], v[96:97]
	scratch_load_b128 v[96:99], off, off offset:240
	s_waitcnt vmcnt(4)
	v_fma_f64 v[100:101], v[102:103], v[94:95], v[92:93]
	ds_load_2addr_b64 v[92:95], v1 offset0:67 offset1:68
	s_waitcnt lgkmcnt(0)
	v_fma_f64 v[92:93], v[104:105], v[92:93], v[100:101]
	scratch_load_b128 v[100:103], off, off offset:256
	s_waitcnt vmcnt(4)
	v_fma_f64 v[104:105], v[106:107], v[94:95], v[92:93]
	ds_load_2addr_b64 v[92:95], v1 offset0:69 offset1:70
	s_waitcnt lgkmcnt(0)
	v_fma_f64 v[92:93], v[108:109], v[92:93], v[104:105]
	scratch_load_b128 v[104:107], off, off offset:272
	s_waitcnt vmcnt(4)
	v_fma_f64 v[108:109], v[114:115], v[94:95], v[92:93]
	ds_load_2addr_b64 v[92:95], v1 offset0:71 offset1:72
	s_waitcnt lgkmcnt(0)
	v_fma_f64 v[92:93], v[116:117], v[92:93], v[108:109]
	scratch_load_b128 v[114:117], off, off offset:288
	s_waitcnt vmcnt(4)
	v_fma_f64 v[108:109], v[110:111], v[94:95], v[92:93]
	ds_load_2addr_b64 v[92:95], v1 offset0:73 offset1:74
	s_waitcnt lgkmcnt(0)
	v_fma_f64 v[92:93], v[112:113], v[92:93], v[108:109]
	scratch_load_b128 v[108:111], off, off offset:304
	s_waitcnt vmcnt(4)
	v_fma_f64 v[96:97], v[96:97], v[94:95], v[92:93]
	ds_load_2addr_b64 v[92:95], v1 offset0:75 offset1:76
	s_waitcnt lgkmcnt(0)
	v_fma_f64 v[92:93], v[98:99], v[92:93], v[96:97]
	scratch_load_b128 v[96:99], off, off offset:320
	s_waitcnt vmcnt(4)
	v_fma_f64 v[100:101], v[100:101], v[94:95], v[92:93]
	ds_load_2addr_b64 v[92:95], v1 offset0:77 offset1:78
	s_waitcnt lgkmcnt(0)
	v_fma_f64 v[92:93], v[102:103], v[92:93], v[100:101]
	scratch_load_b64 v[100:101], off, off offset:336
	s_waitcnt vmcnt(4)
	v_fma_f64 v[102:103], v[104:105], v[94:95], v[92:93]
	ds_load_2addr_b64 v[92:95], v1 offset0:79 offset1:80
	s_waitcnt lgkmcnt(0)
	v_fma_f64 v[92:93], v[106:107], v[92:93], v[102:103]
	s_waitcnt vmcnt(3)
	s_delay_alu instid0(VALU_DEP_1) | instskip(SKIP_4) | instid1(VALU_DEP_1)
	v_fma_f64 v[102:103], v[114:115], v[94:95], v[92:93]
	ds_load_2addr_b64 v[92:95], v1 offset0:81 offset1:82
	s_waitcnt lgkmcnt(0)
	v_fma_f64 v[92:93], v[116:117], v[92:93], v[102:103]
	s_waitcnt vmcnt(2)
	v_fma_f64 v[102:103], v[108:109], v[94:95], v[92:93]
	ds_load_2addr_b64 v[92:95], v1 offset0:83 offset1:84
	s_waitcnt lgkmcnt(0)
	v_fma_f64 v[92:93], v[110:111], v[92:93], v[102:103]
	s_waitcnt vmcnt(1)
	s_delay_alu instid0(VALU_DEP_1) | instskip(SKIP_4) | instid1(VALU_DEP_1)
	v_fma_f64 v[96:97], v[96:97], v[94:95], v[92:93]
	ds_load_2addr_b64 v[92:95], v1 offset0:85 offset1:86
	s_waitcnt lgkmcnt(0)
	v_fma_f64 v[1:2], v[98:99], v[92:93], v[96:97]
	s_waitcnt vmcnt(0)
	v_fma_f64 v[1:2], v[100:101], v[94:95], v[1:2]
	s_delay_alu instid0(VALU_DEP_1)
	v_add_f64 v[1:2], v[90:91], -v[1:2]
	scratch_store_b64 off, v[1:2], off offset:128
	v_cmpx_lt_u32_e32 15, v0
	s_cbranch_execz .LBB106_237
; %bb.236:
	scratch_load_b64 v[1:2], off, off offset:120
	v_mov_b32_e32 v90, 0
	s_delay_alu instid0(VALU_DEP_1)
	v_mov_b32_e32 v91, v90
	scratch_store_b64 off, v[90:91], off offset:120
	s_waitcnt vmcnt(0)
	ds_store_b64 v3, v[1:2]
.LBB106_237:
	s_or_b32 exec_lo, exec_lo, s0
	s_waitcnt lgkmcnt(0)
	s_waitcnt_vscnt null, 0x0
	s_barrier
	buffer_gl0_inv
	s_clause 0x4
	scratch_load_b128 v[90:93], off, off offset:120
	scratch_load_b128 v[94:97], off, off offset:136
	scratch_load_b128 v[98:101], off, off offset:152
	scratch_load_b128 v[102:105], off, off offset:168
	scratch_load_b128 v[106:109], off, off offset:184
	v_mov_b32_e32 v1, 0
	scratch_load_b128 v[114:117], off, off offset:200
	s_mov_b32 s0, exec_lo
	ds_load_b128 v[110:113], v1 offset:480
	s_waitcnt vmcnt(5) lgkmcnt(0)
	v_fma_f64 v[92:93], v[92:93], v[110:111], 0
	s_waitcnt vmcnt(4)
	s_delay_alu instid0(VALU_DEP_1)
	v_fma_f64 v[110:111], v[94:95], v[112:113], v[92:93]
	ds_load_b128 v[92:95], v1 offset:496
	s_waitcnt lgkmcnt(0)
	v_fma_f64 v[92:93], v[96:97], v[92:93], v[110:111]
	scratch_load_b128 v[110:113], off, off offset:216
	s_waitcnt vmcnt(4)
	v_fma_f64 v[96:97], v[98:99], v[94:95], v[92:93]
	ds_load_b128 v[92:95], v1 offset:512
	s_waitcnt lgkmcnt(0)
	v_fma_f64 v[92:93], v[100:101], v[92:93], v[96:97]
	scratch_load_b128 v[96:99], off, off offset:232
	s_waitcnt vmcnt(4)
	;; [unrolled: 6-line block ×8, first 2 shown]
	v_fma_f64 v[104:105], v[104:105], v[94:95], v[92:93]
	ds_load_b128 v[92:95], v1 offset:624
	s_waitcnt lgkmcnt(0)
	v_fma_f64 v[92:93], v[106:107], v[92:93], v[104:105]
	s_waitcnt vmcnt(3)
	s_delay_alu instid0(VALU_DEP_1) | instskip(SKIP_4) | instid1(VALU_DEP_1)
	v_fma_f64 v[104:105], v[114:115], v[94:95], v[92:93]
	ds_load_b128 v[92:95], v1 offset:640
	s_waitcnt lgkmcnt(0)
	v_fma_f64 v[92:93], v[116:117], v[92:93], v[104:105]
	s_waitcnt vmcnt(2)
	v_fma_f64 v[104:105], v[108:109], v[94:95], v[92:93]
	ds_load_b128 v[92:95], v1 offset:656
	s_waitcnt lgkmcnt(0)
	v_fma_f64 v[92:93], v[110:111], v[92:93], v[104:105]
	s_waitcnt vmcnt(1)
	s_delay_alu instid0(VALU_DEP_1) | instskip(SKIP_4) | instid1(VALU_DEP_1)
	v_fma_f64 v[96:97], v[96:97], v[94:95], v[92:93]
	ds_load_b128 v[92:95], v1 offset:672
	s_waitcnt lgkmcnt(0)
	v_fma_f64 v[92:93], v[98:99], v[92:93], v[96:97]
	s_waitcnt vmcnt(0)
	v_fma_f64 v[92:93], v[100:101], v[94:95], v[92:93]
	ds_load_b64 v[94:95], v1 offset:688
	s_waitcnt lgkmcnt(0)
	v_fma_f64 v[92:93], v[102:103], v[94:95], v[92:93]
	s_delay_alu instid0(VALU_DEP_1)
	v_add_f64 v[90:91], v[90:91], -v[92:93]
	scratch_store_b64 off, v[90:91], off offset:120
	v_cmpx_lt_u32_e32 14, v0
	s_cbranch_execz .LBB106_239
; %bb.238:
	scratch_load_b64 v[90:91], off, off offset:112
	v_mov_b32_e32 v2, v1
	scratch_store_b64 off, v[1:2], off offset:112
	s_waitcnt vmcnt(0)
	ds_store_b64 v3, v[90:91]
.LBB106_239:
	s_or_b32 exec_lo, exec_lo, s0
	s_waitcnt lgkmcnt(0)
	s_waitcnt_vscnt null, 0x0
	s_barrier
	buffer_gl0_inv
	s_clause 0x4
	scratch_load_b128 v[90:93], off, off offset:112
	scratch_load_b128 v[94:97], off, off offset:128
	;; [unrolled: 1-line block ×5, first 2 shown]
	ds_load_2addr_b64 v[110:113], v1 offset0:59 offset1:60
	scratch_load_b128 v[114:117], off, off offset:192
	s_mov_b32 s0, exec_lo
	s_waitcnt vmcnt(5) lgkmcnt(0)
	v_fma_f64 v[92:93], v[92:93], v[110:111], 0
	s_waitcnt vmcnt(4)
	s_delay_alu instid0(VALU_DEP_1)
	v_fma_f64 v[110:111], v[94:95], v[112:113], v[92:93]
	ds_load_2addr_b64 v[92:95], v1 offset0:61 offset1:62
	s_waitcnt lgkmcnt(0)
	v_fma_f64 v[92:93], v[96:97], v[92:93], v[110:111]
	scratch_load_b128 v[110:113], off, off offset:208
	s_waitcnt vmcnt(4)
	v_fma_f64 v[96:97], v[98:99], v[94:95], v[92:93]
	ds_load_2addr_b64 v[92:95], v1 offset0:63 offset1:64
	s_waitcnt lgkmcnt(0)
	v_fma_f64 v[92:93], v[100:101], v[92:93], v[96:97]
	scratch_load_b128 v[96:99], off, off offset:224
	s_waitcnt vmcnt(4)
	v_fma_f64 v[100:101], v[102:103], v[94:95], v[92:93]
	ds_load_2addr_b64 v[92:95], v1 offset0:65 offset1:66
	s_waitcnt lgkmcnt(0)
	v_fma_f64 v[92:93], v[104:105], v[92:93], v[100:101]
	scratch_load_b128 v[100:103], off, off offset:240
	s_waitcnt vmcnt(4)
	v_fma_f64 v[104:105], v[106:107], v[94:95], v[92:93]
	ds_load_2addr_b64 v[92:95], v1 offset0:67 offset1:68
	s_waitcnt lgkmcnt(0)
	v_fma_f64 v[92:93], v[108:109], v[92:93], v[104:105]
	scratch_load_b128 v[104:107], off, off offset:256
	s_waitcnt vmcnt(4)
	v_fma_f64 v[108:109], v[114:115], v[94:95], v[92:93]
	ds_load_2addr_b64 v[92:95], v1 offset0:69 offset1:70
	s_waitcnt lgkmcnt(0)
	v_fma_f64 v[92:93], v[116:117], v[92:93], v[108:109]
	scratch_load_b128 v[114:117], off, off offset:272
	s_waitcnt vmcnt(4)
	v_fma_f64 v[108:109], v[110:111], v[94:95], v[92:93]
	ds_load_2addr_b64 v[92:95], v1 offset0:71 offset1:72
	s_waitcnt lgkmcnt(0)
	v_fma_f64 v[92:93], v[112:113], v[92:93], v[108:109]
	scratch_load_b128 v[108:111], off, off offset:288
	s_waitcnt vmcnt(4)
	v_fma_f64 v[96:97], v[96:97], v[94:95], v[92:93]
	ds_load_2addr_b64 v[92:95], v1 offset0:73 offset1:74
	s_waitcnt lgkmcnt(0)
	v_fma_f64 v[92:93], v[98:99], v[92:93], v[96:97]
	scratch_load_b128 v[96:99], off, off offset:304
	s_waitcnt vmcnt(4)
	v_fma_f64 v[100:101], v[100:101], v[94:95], v[92:93]
	ds_load_2addr_b64 v[92:95], v1 offset0:75 offset1:76
	s_waitcnt lgkmcnt(0)
	v_fma_f64 v[92:93], v[102:103], v[92:93], v[100:101]
	scratch_load_b128 v[100:103], off, off offset:320
	s_waitcnt vmcnt(4)
	v_fma_f64 v[104:105], v[104:105], v[94:95], v[92:93]
	ds_load_2addr_b64 v[92:95], v1 offset0:77 offset1:78
	s_waitcnt lgkmcnt(0)
	v_fma_f64 v[92:93], v[106:107], v[92:93], v[104:105]
	scratch_load_b64 v[104:105], off, off offset:336
	s_waitcnt vmcnt(4)
	v_fma_f64 v[106:107], v[114:115], v[94:95], v[92:93]
	ds_load_2addr_b64 v[92:95], v1 offset0:79 offset1:80
	s_waitcnt lgkmcnt(0)
	v_fma_f64 v[92:93], v[116:117], v[92:93], v[106:107]
	s_waitcnt vmcnt(3)
	s_delay_alu instid0(VALU_DEP_1) | instskip(SKIP_4) | instid1(VALU_DEP_1)
	v_fma_f64 v[106:107], v[108:109], v[94:95], v[92:93]
	ds_load_2addr_b64 v[92:95], v1 offset0:81 offset1:82
	s_waitcnt lgkmcnt(0)
	v_fma_f64 v[92:93], v[110:111], v[92:93], v[106:107]
	s_waitcnt vmcnt(2)
	v_fma_f64 v[96:97], v[96:97], v[94:95], v[92:93]
	ds_load_2addr_b64 v[92:95], v1 offset0:83 offset1:84
	s_waitcnt lgkmcnt(0)
	v_fma_f64 v[92:93], v[98:99], v[92:93], v[96:97]
	s_waitcnt vmcnt(1)
	s_delay_alu instid0(VALU_DEP_1) | instskip(SKIP_4) | instid1(VALU_DEP_1)
	v_fma_f64 v[96:97], v[100:101], v[94:95], v[92:93]
	ds_load_2addr_b64 v[92:95], v1 offset0:85 offset1:86
	s_waitcnt lgkmcnt(0)
	v_fma_f64 v[1:2], v[102:103], v[92:93], v[96:97]
	s_waitcnt vmcnt(0)
	v_fma_f64 v[1:2], v[104:105], v[94:95], v[1:2]
	s_delay_alu instid0(VALU_DEP_1)
	v_add_f64 v[1:2], v[90:91], -v[1:2]
	scratch_store_b64 off, v[1:2], off offset:112
	v_cmpx_lt_u32_e32 13, v0
	s_cbranch_execz .LBB106_241
; %bb.240:
	scratch_load_b64 v[1:2], off, off offset:104
	v_mov_b32_e32 v90, 0
	s_delay_alu instid0(VALU_DEP_1)
	v_mov_b32_e32 v91, v90
	scratch_store_b64 off, v[90:91], off offset:104
	s_waitcnt vmcnt(0)
	ds_store_b64 v3, v[1:2]
.LBB106_241:
	s_or_b32 exec_lo, exec_lo, s0
	s_waitcnt lgkmcnt(0)
	s_waitcnt_vscnt null, 0x0
	s_barrier
	buffer_gl0_inv
	s_clause 0x4
	scratch_load_b128 v[90:93], off, off offset:104
	scratch_load_b128 v[94:97], off, off offset:120
	;; [unrolled: 1-line block ×5, first 2 shown]
	v_mov_b32_e32 v1, 0
	scratch_load_b128 v[114:117], off, off offset:184
	s_mov_b32 s0, exec_lo
	ds_load_b128 v[110:113], v1 offset:464
	s_waitcnt vmcnt(5) lgkmcnt(0)
	v_fma_f64 v[92:93], v[92:93], v[110:111], 0
	s_waitcnt vmcnt(4)
	s_delay_alu instid0(VALU_DEP_1)
	v_fma_f64 v[110:111], v[94:95], v[112:113], v[92:93]
	ds_load_b128 v[92:95], v1 offset:480
	s_waitcnt lgkmcnt(0)
	v_fma_f64 v[92:93], v[96:97], v[92:93], v[110:111]
	scratch_load_b128 v[110:113], off, off offset:200
	s_waitcnt vmcnt(4)
	v_fma_f64 v[96:97], v[98:99], v[94:95], v[92:93]
	ds_load_b128 v[92:95], v1 offset:496
	s_waitcnt lgkmcnt(0)
	v_fma_f64 v[92:93], v[100:101], v[92:93], v[96:97]
	scratch_load_b128 v[96:99], off, off offset:216
	s_waitcnt vmcnt(4)
	;; [unrolled: 6-line block ×9, first 2 shown]
	v_fma_f64 v[112:113], v[114:115], v[94:95], v[92:93]
	ds_load_b128 v[92:95], v1 offset:624
	s_waitcnt lgkmcnt(0)
	v_fma_f64 v[92:93], v[116:117], v[92:93], v[112:113]
	s_waitcnt vmcnt(3)
	s_delay_alu instid0(VALU_DEP_1) | instskip(SKIP_4) | instid1(VALU_DEP_1)
	v_fma_f64 v[108:109], v[108:109], v[94:95], v[92:93]
	ds_load_b128 v[92:95], v1 offset:640
	s_waitcnt lgkmcnt(0)
	v_fma_f64 v[92:93], v[110:111], v[92:93], v[108:109]
	s_waitcnt vmcnt(2)
	v_fma_f64 v[96:97], v[96:97], v[94:95], v[92:93]
	ds_load_b128 v[92:95], v1 offset:656
	s_waitcnt lgkmcnt(0)
	v_fma_f64 v[92:93], v[98:99], v[92:93], v[96:97]
	s_waitcnt vmcnt(1)
	s_delay_alu instid0(VALU_DEP_1) | instskip(SKIP_4) | instid1(VALU_DEP_1)
	v_fma_f64 v[96:97], v[100:101], v[94:95], v[92:93]
	ds_load_b128 v[92:95], v1 offset:672
	s_waitcnt lgkmcnt(0)
	v_fma_f64 v[92:93], v[102:103], v[92:93], v[96:97]
	s_waitcnt vmcnt(0)
	v_fma_f64 v[92:93], v[104:105], v[94:95], v[92:93]
	ds_load_b64 v[94:95], v1 offset:688
	s_waitcnt lgkmcnt(0)
	v_fma_f64 v[92:93], v[106:107], v[94:95], v[92:93]
	s_delay_alu instid0(VALU_DEP_1)
	v_add_f64 v[90:91], v[90:91], -v[92:93]
	scratch_store_b64 off, v[90:91], off offset:104
	v_cmpx_lt_u32_e32 12, v0
	s_cbranch_execz .LBB106_243
; %bb.242:
	scratch_load_b64 v[90:91], off, off offset:96
	v_mov_b32_e32 v2, v1
	scratch_store_b64 off, v[1:2], off offset:96
	s_waitcnt vmcnt(0)
	ds_store_b64 v3, v[90:91]
.LBB106_243:
	s_or_b32 exec_lo, exec_lo, s0
	s_waitcnt lgkmcnt(0)
	s_waitcnt_vscnt null, 0x0
	s_barrier
	buffer_gl0_inv
	s_clause 0x4
	scratch_load_b128 v[90:93], off, off offset:96
	scratch_load_b128 v[94:97], off, off offset:112
	;; [unrolled: 1-line block ×5, first 2 shown]
	ds_load_2addr_b64 v[110:113], v1 offset0:57 offset1:58
	scratch_load_b128 v[114:117], off, off offset:176
	s_mov_b32 s0, exec_lo
	s_waitcnt vmcnt(5) lgkmcnt(0)
	v_fma_f64 v[92:93], v[92:93], v[110:111], 0
	s_waitcnt vmcnt(4)
	s_delay_alu instid0(VALU_DEP_1)
	v_fma_f64 v[110:111], v[94:95], v[112:113], v[92:93]
	ds_load_2addr_b64 v[92:95], v1 offset0:59 offset1:60
	s_waitcnt lgkmcnt(0)
	v_fma_f64 v[92:93], v[96:97], v[92:93], v[110:111]
	scratch_load_b128 v[110:113], off, off offset:192
	s_waitcnt vmcnt(4)
	v_fma_f64 v[96:97], v[98:99], v[94:95], v[92:93]
	ds_load_2addr_b64 v[92:95], v1 offset0:61 offset1:62
	s_waitcnt lgkmcnt(0)
	v_fma_f64 v[92:93], v[100:101], v[92:93], v[96:97]
	scratch_load_b128 v[96:99], off, off offset:208
	s_waitcnt vmcnt(4)
	;; [unrolled: 6-line block ×9, first 2 shown]
	v_fma_f64 v[112:113], v[114:115], v[94:95], v[92:93]
	ds_load_2addr_b64 v[92:95], v1 offset0:77 offset1:78
	s_waitcnt lgkmcnt(0)
	v_fma_f64 v[92:93], v[116:117], v[92:93], v[112:113]
	scratch_load_b64 v[112:113], off, off offset:336
	s_waitcnt vmcnt(4)
	v_fma_f64 v[108:109], v[108:109], v[94:95], v[92:93]
	ds_load_2addr_b64 v[92:95], v1 offset0:79 offset1:80
	s_waitcnt lgkmcnt(0)
	v_fma_f64 v[92:93], v[110:111], v[92:93], v[108:109]
	s_waitcnt vmcnt(3)
	s_delay_alu instid0(VALU_DEP_1) | instskip(SKIP_4) | instid1(VALU_DEP_1)
	v_fma_f64 v[96:97], v[96:97], v[94:95], v[92:93]
	ds_load_2addr_b64 v[92:95], v1 offset0:81 offset1:82
	s_waitcnt lgkmcnt(0)
	v_fma_f64 v[92:93], v[98:99], v[92:93], v[96:97]
	s_waitcnt vmcnt(2)
	v_fma_f64 v[96:97], v[100:101], v[94:95], v[92:93]
	ds_load_2addr_b64 v[92:95], v1 offset0:83 offset1:84
	s_waitcnt lgkmcnt(0)
	v_fma_f64 v[92:93], v[102:103], v[92:93], v[96:97]
	s_waitcnt vmcnt(1)
	s_delay_alu instid0(VALU_DEP_1) | instskip(SKIP_4) | instid1(VALU_DEP_1)
	v_fma_f64 v[96:97], v[104:105], v[94:95], v[92:93]
	ds_load_2addr_b64 v[92:95], v1 offset0:85 offset1:86
	s_waitcnt lgkmcnt(0)
	v_fma_f64 v[1:2], v[106:107], v[92:93], v[96:97]
	s_waitcnt vmcnt(0)
	v_fma_f64 v[1:2], v[112:113], v[94:95], v[1:2]
	s_delay_alu instid0(VALU_DEP_1)
	v_add_f64 v[1:2], v[90:91], -v[1:2]
	scratch_store_b64 off, v[1:2], off offset:96
	v_cmpx_lt_u32_e32 11, v0
	s_cbranch_execz .LBB106_245
; %bb.244:
	scratch_load_b64 v[1:2], off, off offset:88
	v_mov_b32_e32 v90, 0
	s_delay_alu instid0(VALU_DEP_1)
	v_mov_b32_e32 v91, v90
	scratch_store_b64 off, v[90:91], off offset:88
	s_waitcnt vmcnt(0)
	ds_store_b64 v3, v[1:2]
.LBB106_245:
	s_or_b32 exec_lo, exec_lo, s0
	s_waitcnt lgkmcnt(0)
	s_waitcnt_vscnt null, 0x0
	s_barrier
	buffer_gl0_inv
	s_clause 0x4
	scratch_load_b128 v[90:93], off, off offset:88
	scratch_load_b128 v[94:97], off, off offset:104
	;; [unrolled: 1-line block ×5, first 2 shown]
	v_mov_b32_e32 v1, 0
	scratch_load_b128 v[114:117], off, off offset:168
	s_mov_b32 s0, exec_lo
	ds_load_b128 v[110:113], v1 offset:448
	s_waitcnt vmcnt(5) lgkmcnt(0)
	v_fma_f64 v[92:93], v[92:93], v[110:111], 0
	s_waitcnt vmcnt(4)
	s_delay_alu instid0(VALU_DEP_1)
	v_fma_f64 v[110:111], v[94:95], v[112:113], v[92:93]
	ds_load_b128 v[92:95], v1 offset:464
	s_waitcnt lgkmcnt(0)
	v_fma_f64 v[92:93], v[96:97], v[92:93], v[110:111]
	scratch_load_b128 v[110:113], off, off offset:184
	s_waitcnt vmcnt(4)
	v_fma_f64 v[96:97], v[98:99], v[94:95], v[92:93]
	ds_load_b128 v[92:95], v1 offset:480
	s_waitcnt lgkmcnt(0)
	v_fma_f64 v[92:93], v[100:101], v[92:93], v[96:97]
	scratch_load_b128 v[96:99], off, off offset:200
	s_waitcnt vmcnt(4)
	;; [unrolled: 6-line block ×10, first 2 shown]
	v_fma_f64 v[108:109], v[108:109], v[94:95], v[92:93]
	ds_load_b128 v[92:95], v1 offset:624
	s_waitcnt lgkmcnt(0)
	v_fma_f64 v[92:93], v[110:111], v[92:93], v[108:109]
	s_waitcnt vmcnt(3)
	s_delay_alu instid0(VALU_DEP_1) | instskip(SKIP_4) | instid1(VALU_DEP_1)
	v_fma_f64 v[96:97], v[96:97], v[94:95], v[92:93]
	ds_load_b128 v[92:95], v1 offset:640
	s_waitcnt lgkmcnt(0)
	v_fma_f64 v[92:93], v[98:99], v[92:93], v[96:97]
	s_waitcnt vmcnt(2)
	v_fma_f64 v[96:97], v[100:101], v[94:95], v[92:93]
	ds_load_b128 v[92:95], v1 offset:656
	s_waitcnt lgkmcnt(0)
	v_fma_f64 v[92:93], v[102:103], v[92:93], v[96:97]
	s_waitcnt vmcnt(1)
	s_delay_alu instid0(VALU_DEP_1) | instskip(SKIP_4) | instid1(VALU_DEP_1)
	v_fma_f64 v[96:97], v[104:105], v[94:95], v[92:93]
	ds_load_b128 v[92:95], v1 offset:672
	s_waitcnt lgkmcnt(0)
	v_fma_f64 v[92:93], v[106:107], v[92:93], v[96:97]
	s_waitcnt vmcnt(0)
	v_fma_f64 v[92:93], v[112:113], v[94:95], v[92:93]
	ds_load_b64 v[94:95], v1 offset:688
	s_waitcnt lgkmcnt(0)
	v_fma_f64 v[92:93], v[114:115], v[94:95], v[92:93]
	s_delay_alu instid0(VALU_DEP_1)
	v_add_f64 v[90:91], v[90:91], -v[92:93]
	scratch_store_b64 off, v[90:91], off offset:88
	v_cmpx_lt_u32_e32 10, v0
	s_cbranch_execz .LBB106_247
; %bb.246:
	scratch_load_b64 v[90:91], off, off offset:80
	v_mov_b32_e32 v2, v1
	scratch_store_b64 off, v[1:2], off offset:80
	s_waitcnt vmcnt(0)
	ds_store_b64 v3, v[90:91]
.LBB106_247:
	s_or_b32 exec_lo, exec_lo, s0
	s_waitcnt lgkmcnt(0)
	s_waitcnt_vscnt null, 0x0
	s_barrier
	buffer_gl0_inv
	s_clause 0x4
	scratch_load_b128 v[90:93], off, off offset:80
	scratch_load_b128 v[94:97], off, off offset:96
	;; [unrolled: 1-line block ×5, first 2 shown]
	ds_load_2addr_b64 v[110:113], v1 offset0:55 offset1:56
	scratch_load_b128 v[114:117], off, off offset:160
	s_mov_b32 s0, exec_lo
	s_waitcnt vmcnt(5) lgkmcnt(0)
	v_fma_f64 v[92:93], v[92:93], v[110:111], 0
	s_waitcnt vmcnt(4)
	s_delay_alu instid0(VALU_DEP_1)
	v_fma_f64 v[110:111], v[94:95], v[112:113], v[92:93]
	ds_load_2addr_b64 v[92:95], v1 offset0:57 offset1:58
	s_waitcnt lgkmcnt(0)
	v_fma_f64 v[92:93], v[96:97], v[92:93], v[110:111]
	scratch_load_b128 v[110:113], off, off offset:176
	s_waitcnt vmcnt(4)
	v_fma_f64 v[96:97], v[98:99], v[94:95], v[92:93]
	ds_load_2addr_b64 v[92:95], v1 offset0:59 offset1:60
	s_waitcnt lgkmcnt(0)
	v_fma_f64 v[92:93], v[100:101], v[92:93], v[96:97]
	scratch_load_b128 v[96:99], off, off offset:192
	s_waitcnt vmcnt(4)
	;; [unrolled: 6-line block ×10, first 2 shown]
	v_fma_f64 v[108:109], v[108:109], v[94:95], v[92:93]
	ds_load_2addr_b64 v[92:95], v1 offset0:77 offset1:78
	s_waitcnt lgkmcnt(0)
	v_fma_f64 v[92:93], v[110:111], v[92:93], v[108:109]
	scratch_load_b64 v[108:109], off, off offset:336
	s_waitcnt vmcnt(4)
	v_fma_f64 v[96:97], v[96:97], v[94:95], v[92:93]
	ds_load_2addr_b64 v[92:95], v1 offset0:79 offset1:80
	s_waitcnt lgkmcnt(0)
	v_fma_f64 v[92:93], v[98:99], v[92:93], v[96:97]
	s_waitcnt vmcnt(3)
	s_delay_alu instid0(VALU_DEP_1) | instskip(SKIP_4) | instid1(VALU_DEP_1)
	v_fma_f64 v[96:97], v[100:101], v[94:95], v[92:93]
	ds_load_2addr_b64 v[92:95], v1 offset0:81 offset1:82
	s_waitcnt lgkmcnt(0)
	v_fma_f64 v[92:93], v[102:103], v[92:93], v[96:97]
	s_waitcnt vmcnt(2)
	v_fma_f64 v[96:97], v[104:105], v[94:95], v[92:93]
	ds_load_2addr_b64 v[92:95], v1 offset0:83 offset1:84
	s_waitcnt lgkmcnt(0)
	v_fma_f64 v[92:93], v[106:107], v[92:93], v[96:97]
	s_waitcnt vmcnt(1)
	s_delay_alu instid0(VALU_DEP_1) | instskip(SKIP_4) | instid1(VALU_DEP_1)
	v_fma_f64 v[96:97], v[112:113], v[94:95], v[92:93]
	ds_load_2addr_b64 v[92:95], v1 offset0:85 offset1:86
	s_waitcnt lgkmcnt(0)
	v_fma_f64 v[1:2], v[114:115], v[92:93], v[96:97]
	s_waitcnt vmcnt(0)
	v_fma_f64 v[1:2], v[108:109], v[94:95], v[1:2]
	s_delay_alu instid0(VALU_DEP_1)
	v_add_f64 v[1:2], v[90:91], -v[1:2]
	scratch_store_b64 off, v[1:2], off offset:80
	v_cmpx_lt_u32_e32 9, v0
	s_cbranch_execz .LBB106_249
; %bb.248:
	scratch_load_b64 v[1:2], off, off offset:72
	v_mov_b32_e32 v90, 0
	s_delay_alu instid0(VALU_DEP_1)
	v_mov_b32_e32 v91, v90
	scratch_store_b64 off, v[90:91], off offset:72
	s_waitcnt vmcnt(0)
	ds_store_b64 v3, v[1:2]
.LBB106_249:
	s_or_b32 exec_lo, exec_lo, s0
	s_waitcnt lgkmcnt(0)
	s_waitcnt_vscnt null, 0x0
	s_barrier
	buffer_gl0_inv
	s_clause 0x4
	scratch_load_b128 v[90:93], off, off offset:72
	scratch_load_b128 v[94:97], off, off offset:88
	;; [unrolled: 1-line block ×5, first 2 shown]
	v_mov_b32_e32 v1, 0
	scratch_load_b128 v[114:117], off, off offset:152
	s_mov_b32 s0, exec_lo
	ds_load_b128 v[110:113], v1 offset:432
	s_waitcnt vmcnt(5) lgkmcnt(0)
	v_fma_f64 v[92:93], v[92:93], v[110:111], 0
	s_waitcnt vmcnt(4)
	s_delay_alu instid0(VALU_DEP_1)
	v_fma_f64 v[110:111], v[94:95], v[112:113], v[92:93]
	ds_load_b128 v[92:95], v1 offset:448
	s_waitcnt lgkmcnt(0)
	v_fma_f64 v[92:93], v[96:97], v[92:93], v[110:111]
	scratch_load_b128 v[110:113], off, off offset:168
	s_waitcnt vmcnt(4)
	v_fma_f64 v[96:97], v[98:99], v[94:95], v[92:93]
	ds_load_b128 v[92:95], v1 offset:464
	s_waitcnt lgkmcnt(0)
	v_fma_f64 v[92:93], v[100:101], v[92:93], v[96:97]
	scratch_load_b128 v[96:99], off, off offset:184
	s_waitcnt vmcnt(4)
	;; [unrolled: 6-line block ×11, first 2 shown]
	v_fma_f64 v[96:97], v[96:97], v[94:95], v[92:93]
	ds_load_b128 v[92:95], v1 offset:624
	s_waitcnt lgkmcnt(0)
	v_fma_f64 v[92:93], v[98:99], v[92:93], v[96:97]
	s_waitcnt vmcnt(3)
	s_delay_alu instid0(VALU_DEP_1) | instskip(SKIP_4) | instid1(VALU_DEP_1)
	v_fma_f64 v[96:97], v[100:101], v[94:95], v[92:93]
	ds_load_b128 v[92:95], v1 offset:640
	s_waitcnt lgkmcnt(0)
	v_fma_f64 v[92:93], v[102:103], v[92:93], v[96:97]
	s_waitcnt vmcnt(2)
	v_fma_f64 v[96:97], v[104:105], v[94:95], v[92:93]
	ds_load_b128 v[92:95], v1 offset:656
	s_waitcnt lgkmcnt(0)
	v_fma_f64 v[92:93], v[106:107], v[92:93], v[96:97]
	s_waitcnt vmcnt(1)
	s_delay_alu instid0(VALU_DEP_1) | instskip(SKIP_4) | instid1(VALU_DEP_1)
	v_fma_f64 v[96:97], v[112:113], v[94:95], v[92:93]
	ds_load_b128 v[92:95], v1 offset:672
	s_waitcnt lgkmcnt(0)
	v_fma_f64 v[92:93], v[114:115], v[92:93], v[96:97]
	s_waitcnt vmcnt(0)
	v_fma_f64 v[92:93], v[108:109], v[94:95], v[92:93]
	ds_load_b64 v[94:95], v1 offset:688
	s_waitcnt lgkmcnt(0)
	v_fma_f64 v[92:93], v[110:111], v[94:95], v[92:93]
	s_delay_alu instid0(VALU_DEP_1)
	v_add_f64 v[90:91], v[90:91], -v[92:93]
	scratch_store_b64 off, v[90:91], off offset:72
	v_cmpx_lt_u32_e32 8, v0
	s_cbranch_execz .LBB106_251
; %bb.250:
	scratch_load_b64 v[90:91], off, off offset:64
	v_mov_b32_e32 v2, v1
	scratch_store_b64 off, v[1:2], off offset:64
	s_waitcnt vmcnt(0)
	ds_store_b64 v3, v[90:91]
.LBB106_251:
	s_or_b32 exec_lo, exec_lo, s0
	s_waitcnt lgkmcnt(0)
	s_waitcnt_vscnt null, 0x0
	s_barrier
	buffer_gl0_inv
	s_clause 0x4
	scratch_load_b128 v[90:93], off, off offset:64
	scratch_load_b128 v[94:97], off, off offset:80
	;; [unrolled: 1-line block ×5, first 2 shown]
	ds_load_2addr_b64 v[110:113], v1 offset0:53 offset1:54
	scratch_load_b128 v[114:117], off, off offset:144
	s_mov_b32 s0, exec_lo
	s_waitcnt vmcnt(5) lgkmcnt(0)
	v_fma_f64 v[92:93], v[92:93], v[110:111], 0
	s_waitcnt vmcnt(4)
	s_delay_alu instid0(VALU_DEP_1)
	v_fma_f64 v[110:111], v[94:95], v[112:113], v[92:93]
	ds_load_2addr_b64 v[92:95], v1 offset0:55 offset1:56
	s_waitcnt lgkmcnt(0)
	v_fma_f64 v[92:93], v[96:97], v[92:93], v[110:111]
	scratch_load_b128 v[110:113], off, off offset:160
	s_waitcnt vmcnt(4)
	v_fma_f64 v[96:97], v[98:99], v[94:95], v[92:93]
	ds_load_2addr_b64 v[92:95], v1 offset0:57 offset1:58
	s_waitcnt lgkmcnt(0)
	v_fma_f64 v[92:93], v[100:101], v[92:93], v[96:97]
	scratch_load_b128 v[96:99], off, off offset:176
	s_waitcnt vmcnt(4)
	;; [unrolled: 6-line block ×11, first 2 shown]
	v_fma_f64 v[96:97], v[96:97], v[94:95], v[92:93]
	ds_load_2addr_b64 v[92:95], v1 offset0:77 offset1:78
	s_waitcnt lgkmcnt(0)
	v_fma_f64 v[92:93], v[98:99], v[92:93], v[96:97]
	scratch_load_b64 v[96:97], off, off offset:336
	s_waitcnt vmcnt(4)
	v_fma_f64 v[98:99], v[100:101], v[94:95], v[92:93]
	ds_load_2addr_b64 v[92:95], v1 offset0:79 offset1:80
	s_waitcnt lgkmcnt(0)
	v_fma_f64 v[92:93], v[102:103], v[92:93], v[98:99]
	s_waitcnt vmcnt(3)
	s_delay_alu instid0(VALU_DEP_1) | instskip(SKIP_4) | instid1(VALU_DEP_1)
	v_fma_f64 v[98:99], v[104:105], v[94:95], v[92:93]
	ds_load_2addr_b64 v[92:95], v1 offset0:81 offset1:82
	s_waitcnt lgkmcnt(0)
	v_fma_f64 v[92:93], v[106:107], v[92:93], v[98:99]
	s_waitcnt vmcnt(2)
	v_fma_f64 v[98:99], v[112:113], v[94:95], v[92:93]
	ds_load_2addr_b64 v[92:95], v1 offset0:83 offset1:84
	s_waitcnt lgkmcnt(0)
	v_fma_f64 v[92:93], v[114:115], v[92:93], v[98:99]
	s_waitcnt vmcnt(1)
	s_delay_alu instid0(VALU_DEP_1) | instskip(SKIP_4) | instid1(VALU_DEP_1)
	v_fma_f64 v[98:99], v[108:109], v[94:95], v[92:93]
	ds_load_2addr_b64 v[92:95], v1 offset0:85 offset1:86
	s_waitcnt lgkmcnt(0)
	v_fma_f64 v[1:2], v[110:111], v[92:93], v[98:99]
	s_waitcnt vmcnt(0)
	v_fma_f64 v[1:2], v[96:97], v[94:95], v[1:2]
	s_delay_alu instid0(VALU_DEP_1)
	v_add_f64 v[1:2], v[90:91], -v[1:2]
	scratch_store_b64 off, v[1:2], off offset:64
	v_cmpx_lt_u32_e32 7, v0
	s_cbranch_execz .LBB106_253
; %bb.252:
	scratch_load_b64 v[1:2], off, off offset:56
	v_mov_b32_e32 v90, 0
	s_delay_alu instid0(VALU_DEP_1)
	v_mov_b32_e32 v91, v90
	scratch_store_b64 off, v[90:91], off offset:56
	s_waitcnt vmcnt(0)
	ds_store_b64 v3, v[1:2]
.LBB106_253:
	s_or_b32 exec_lo, exec_lo, s0
	s_waitcnt lgkmcnt(0)
	s_waitcnt_vscnt null, 0x0
	s_barrier
	buffer_gl0_inv
	s_clause 0x4
	scratch_load_b128 v[90:93], off, off offset:56
	scratch_load_b128 v[94:97], off, off offset:72
	scratch_load_b128 v[98:101], off, off offset:88
	scratch_load_b128 v[102:105], off, off offset:104
	scratch_load_b128 v[106:109], off, off offset:120
	v_mov_b32_e32 v1, 0
	scratch_load_b128 v[114:117], off, off offset:136
	s_mov_b32 s0, exec_lo
	ds_load_b128 v[110:113], v1 offset:416
	s_waitcnt vmcnt(5) lgkmcnt(0)
	v_fma_f64 v[92:93], v[92:93], v[110:111], 0
	s_waitcnt vmcnt(4)
	s_delay_alu instid0(VALU_DEP_1)
	v_fma_f64 v[110:111], v[94:95], v[112:113], v[92:93]
	ds_load_b128 v[92:95], v1 offset:432
	s_waitcnt lgkmcnt(0)
	v_fma_f64 v[92:93], v[96:97], v[92:93], v[110:111]
	scratch_load_b128 v[110:113], off, off offset:152
	s_waitcnt vmcnt(4)
	v_fma_f64 v[96:97], v[98:99], v[94:95], v[92:93]
	ds_load_b128 v[92:95], v1 offset:448
	s_waitcnt lgkmcnt(0)
	v_fma_f64 v[92:93], v[100:101], v[92:93], v[96:97]
	scratch_load_b128 v[96:99], off, off offset:168
	s_waitcnt vmcnt(4)
	;; [unrolled: 6-line block ×12, first 2 shown]
	v_fma_f64 v[100:101], v[100:101], v[94:95], v[92:93]
	ds_load_b128 v[92:95], v1 offset:624
	s_waitcnt lgkmcnt(0)
	v_fma_f64 v[92:93], v[102:103], v[92:93], v[100:101]
	s_waitcnt vmcnt(3)
	s_delay_alu instid0(VALU_DEP_1) | instskip(SKIP_4) | instid1(VALU_DEP_1)
	v_fma_f64 v[100:101], v[104:105], v[94:95], v[92:93]
	ds_load_b128 v[92:95], v1 offset:640
	s_waitcnt lgkmcnt(0)
	v_fma_f64 v[92:93], v[106:107], v[92:93], v[100:101]
	s_waitcnt vmcnt(2)
	v_fma_f64 v[100:101], v[112:113], v[94:95], v[92:93]
	ds_load_b128 v[92:95], v1 offset:656
	s_waitcnt lgkmcnt(0)
	v_fma_f64 v[92:93], v[114:115], v[92:93], v[100:101]
	s_waitcnt vmcnt(1)
	s_delay_alu instid0(VALU_DEP_1) | instskip(SKIP_4) | instid1(VALU_DEP_1)
	v_fma_f64 v[100:101], v[108:109], v[94:95], v[92:93]
	ds_load_b128 v[92:95], v1 offset:672
	s_waitcnt lgkmcnt(0)
	v_fma_f64 v[92:93], v[110:111], v[92:93], v[100:101]
	s_waitcnt vmcnt(0)
	v_fma_f64 v[92:93], v[96:97], v[94:95], v[92:93]
	ds_load_b64 v[94:95], v1 offset:688
	s_waitcnt lgkmcnt(0)
	v_fma_f64 v[92:93], v[98:99], v[94:95], v[92:93]
	s_delay_alu instid0(VALU_DEP_1)
	v_add_f64 v[90:91], v[90:91], -v[92:93]
	scratch_store_b64 off, v[90:91], off offset:56
	v_cmpx_lt_u32_e32 6, v0
	s_cbranch_execz .LBB106_255
; %bb.254:
	scratch_load_b64 v[90:91], off, off offset:48
	v_mov_b32_e32 v2, v1
	scratch_store_b64 off, v[1:2], off offset:48
	s_waitcnt vmcnt(0)
	ds_store_b64 v3, v[90:91]
.LBB106_255:
	s_or_b32 exec_lo, exec_lo, s0
	s_waitcnt lgkmcnt(0)
	s_waitcnt_vscnt null, 0x0
	s_barrier
	buffer_gl0_inv
	s_clause 0x4
	scratch_load_b128 v[90:93], off, off offset:48
	scratch_load_b128 v[94:97], off, off offset:64
	;; [unrolled: 1-line block ×5, first 2 shown]
	ds_load_2addr_b64 v[110:113], v1 offset0:51 offset1:52
	scratch_load_b128 v[114:117], off, off offset:128
	s_mov_b32 s0, exec_lo
	s_waitcnt vmcnt(5) lgkmcnt(0)
	v_fma_f64 v[92:93], v[92:93], v[110:111], 0
	s_waitcnt vmcnt(4)
	s_delay_alu instid0(VALU_DEP_1)
	v_fma_f64 v[110:111], v[94:95], v[112:113], v[92:93]
	ds_load_2addr_b64 v[92:95], v1 offset0:53 offset1:54
	s_waitcnt lgkmcnt(0)
	v_fma_f64 v[92:93], v[96:97], v[92:93], v[110:111]
	scratch_load_b128 v[110:113], off, off offset:144
	s_waitcnt vmcnt(4)
	v_fma_f64 v[96:97], v[98:99], v[94:95], v[92:93]
	ds_load_2addr_b64 v[92:95], v1 offset0:55 offset1:56
	s_waitcnt lgkmcnt(0)
	v_fma_f64 v[92:93], v[100:101], v[92:93], v[96:97]
	scratch_load_b128 v[96:99], off, off offset:160
	s_waitcnt vmcnt(4)
	;; [unrolled: 6-line block ×12, first 2 shown]
	v_fma_f64 v[100:101], v[100:101], v[94:95], v[92:93]
	ds_load_2addr_b64 v[92:95], v1 offset0:77 offset1:78
	s_waitcnt lgkmcnt(0)
	v_fma_f64 v[92:93], v[102:103], v[92:93], v[100:101]
	scratch_load_b64 v[100:101], off, off offset:336
	s_waitcnt vmcnt(4)
	v_fma_f64 v[102:103], v[104:105], v[94:95], v[92:93]
	ds_load_2addr_b64 v[92:95], v1 offset0:79 offset1:80
	s_waitcnt lgkmcnt(0)
	v_fma_f64 v[92:93], v[106:107], v[92:93], v[102:103]
	s_waitcnt vmcnt(3)
	s_delay_alu instid0(VALU_DEP_1) | instskip(SKIP_4) | instid1(VALU_DEP_1)
	v_fma_f64 v[102:103], v[112:113], v[94:95], v[92:93]
	ds_load_2addr_b64 v[92:95], v1 offset0:81 offset1:82
	s_waitcnt lgkmcnt(0)
	v_fma_f64 v[92:93], v[114:115], v[92:93], v[102:103]
	s_waitcnt vmcnt(2)
	v_fma_f64 v[102:103], v[108:109], v[94:95], v[92:93]
	ds_load_2addr_b64 v[92:95], v1 offset0:83 offset1:84
	s_waitcnt lgkmcnt(0)
	v_fma_f64 v[92:93], v[110:111], v[92:93], v[102:103]
	s_waitcnt vmcnt(1)
	s_delay_alu instid0(VALU_DEP_1) | instskip(SKIP_4) | instid1(VALU_DEP_1)
	v_fma_f64 v[96:97], v[96:97], v[94:95], v[92:93]
	ds_load_2addr_b64 v[92:95], v1 offset0:85 offset1:86
	s_waitcnt lgkmcnt(0)
	v_fma_f64 v[1:2], v[98:99], v[92:93], v[96:97]
	s_waitcnt vmcnt(0)
	v_fma_f64 v[1:2], v[100:101], v[94:95], v[1:2]
	s_delay_alu instid0(VALU_DEP_1)
	v_add_f64 v[1:2], v[90:91], -v[1:2]
	scratch_store_b64 off, v[1:2], off offset:48
	v_cmpx_lt_u32_e32 5, v0
	s_cbranch_execz .LBB106_257
; %bb.256:
	scratch_load_b64 v[1:2], off, off offset:40
	v_mov_b32_e32 v90, 0
	s_delay_alu instid0(VALU_DEP_1)
	v_mov_b32_e32 v91, v90
	scratch_store_b64 off, v[90:91], off offset:40
	s_waitcnt vmcnt(0)
	ds_store_b64 v3, v[1:2]
.LBB106_257:
	s_or_b32 exec_lo, exec_lo, s0
	s_waitcnt lgkmcnt(0)
	s_waitcnt_vscnt null, 0x0
	s_barrier
	buffer_gl0_inv
	s_clause 0x4
	scratch_load_b128 v[90:93], off, off offset:40
	scratch_load_b128 v[94:97], off, off offset:56
	;; [unrolled: 1-line block ×5, first 2 shown]
	v_mov_b32_e32 v1, 0
	scratch_load_b128 v[114:117], off, off offset:120
	s_mov_b32 s0, exec_lo
	ds_load_b128 v[110:113], v1 offset:400
	s_waitcnt vmcnt(5) lgkmcnt(0)
	v_fma_f64 v[92:93], v[92:93], v[110:111], 0
	s_waitcnt vmcnt(4)
	s_delay_alu instid0(VALU_DEP_1)
	v_fma_f64 v[110:111], v[94:95], v[112:113], v[92:93]
	ds_load_b128 v[92:95], v1 offset:416
	s_waitcnt lgkmcnt(0)
	v_fma_f64 v[92:93], v[96:97], v[92:93], v[110:111]
	scratch_load_b128 v[110:113], off, off offset:136
	s_waitcnt vmcnt(4)
	v_fma_f64 v[96:97], v[98:99], v[94:95], v[92:93]
	ds_load_b128 v[92:95], v1 offset:432
	s_waitcnt lgkmcnt(0)
	v_fma_f64 v[92:93], v[100:101], v[92:93], v[96:97]
	scratch_load_b128 v[96:99], off, off offset:152
	s_waitcnt vmcnt(4)
	;; [unrolled: 6-line block ×13, first 2 shown]
	v_fma_f64 v[104:105], v[104:105], v[94:95], v[92:93]
	ds_load_b128 v[92:95], v1 offset:624
	s_waitcnt lgkmcnt(0)
	v_fma_f64 v[92:93], v[106:107], v[92:93], v[104:105]
	s_waitcnt vmcnt(3)
	s_delay_alu instid0(VALU_DEP_1) | instskip(SKIP_4) | instid1(VALU_DEP_1)
	v_fma_f64 v[104:105], v[112:113], v[94:95], v[92:93]
	ds_load_b128 v[92:95], v1 offset:640
	s_waitcnt lgkmcnt(0)
	v_fma_f64 v[92:93], v[114:115], v[92:93], v[104:105]
	s_waitcnt vmcnt(2)
	v_fma_f64 v[104:105], v[108:109], v[94:95], v[92:93]
	ds_load_b128 v[92:95], v1 offset:656
	s_waitcnt lgkmcnt(0)
	v_fma_f64 v[92:93], v[110:111], v[92:93], v[104:105]
	s_waitcnt vmcnt(1)
	s_delay_alu instid0(VALU_DEP_1) | instskip(SKIP_4) | instid1(VALU_DEP_1)
	v_fma_f64 v[96:97], v[96:97], v[94:95], v[92:93]
	ds_load_b128 v[92:95], v1 offset:672
	s_waitcnt lgkmcnt(0)
	v_fma_f64 v[92:93], v[98:99], v[92:93], v[96:97]
	s_waitcnt vmcnt(0)
	v_fma_f64 v[92:93], v[100:101], v[94:95], v[92:93]
	ds_load_b64 v[94:95], v1 offset:688
	s_waitcnt lgkmcnt(0)
	v_fma_f64 v[92:93], v[102:103], v[94:95], v[92:93]
	s_delay_alu instid0(VALU_DEP_1)
	v_add_f64 v[90:91], v[90:91], -v[92:93]
	scratch_store_b64 off, v[90:91], off offset:40
	v_cmpx_lt_u32_e32 4, v0
	s_cbranch_execz .LBB106_259
; %bb.258:
	scratch_load_b64 v[90:91], off, off offset:32
	v_mov_b32_e32 v2, v1
	scratch_store_b64 off, v[1:2], off offset:32
	s_waitcnt vmcnt(0)
	ds_store_b64 v3, v[90:91]
.LBB106_259:
	s_or_b32 exec_lo, exec_lo, s0
	s_waitcnt lgkmcnt(0)
	s_waitcnt_vscnt null, 0x0
	s_barrier
	buffer_gl0_inv
	s_clause 0x4
	scratch_load_b128 v[90:93], off, off offset:32
	scratch_load_b128 v[94:97], off, off offset:48
	;; [unrolled: 1-line block ×5, first 2 shown]
	ds_load_2addr_b64 v[110:113], v1 offset0:49 offset1:50
	scratch_load_b128 v[114:117], off, off offset:112
	s_mov_b32 s0, exec_lo
	s_waitcnt vmcnt(5) lgkmcnt(0)
	v_fma_f64 v[92:93], v[92:93], v[110:111], 0
	s_waitcnt vmcnt(4)
	s_delay_alu instid0(VALU_DEP_1)
	v_fma_f64 v[110:111], v[94:95], v[112:113], v[92:93]
	ds_load_2addr_b64 v[92:95], v1 offset0:51 offset1:52
	s_waitcnt lgkmcnt(0)
	v_fma_f64 v[92:93], v[96:97], v[92:93], v[110:111]
	scratch_load_b128 v[110:113], off, off offset:128
	s_waitcnt vmcnt(4)
	v_fma_f64 v[96:97], v[98:99], v[94:95], v[92:93]
	ds_load_2addr_b64 v[92:95], v1 offset0:53 offset1:54
	s_waitcnt lgkmcnt(0)
	v_fma_f64 v[92:93], v[100:101], v[92:93], v[96:97]
	scratch_load_b128 v[96:99], off, off offset:144
	s_waitcnt vmcnt(4)
	;; [unrolled: 6-line block ×13, first 2 shown]
	v_fma_f64 v[104:105], v[104:105], v[94:95], v[92:93]
	ds_load_2addr_b64 v[92:95], v1 offset0:77 offset1:78
	s_waitcnt lgkmcnt(0)
	v_fma_f64 v[92:93], v[106:107], v[92:93], v[104:105]
	scratch_load_b64 v[104:105], off, off offset:336
	s_waitcnt vmcnt(4)
	v_fma_f64 v[106:107], v[112:113], v[94:95], v[92:93]
	ds_load_2addr_b64 v[92:95], v1 offset0:79 offset1:80
	s_waitcnt lgkmcnt(0)
	v_fma_f64 v[92:93], v[114:115], v[92:93], v[106:107]
	s_waitcnt vmcnt(3)
	s_delay_alu instid0(VALU_DEP_1) | instskip(SKIP_4) | instid1(VALU_DEP_1)
	v_fma_f64 v[106:107], v[108:109], v[94:95], v[92:93]
	ds_load_2addr_b64 v[92:95], v1 offset0:81 offset1:82
	s_waitcnt lgkmcnt(0)
	v_fma_f64 v[92:93], v[110:111], v[92:93], v[106:107]
	s_waitcnt vmcnt(2)
	v_fma_f64 v[96:97], v[96:97], v[94:95], v[92:93]
	ds_load_2addr_b64 v[92:95], v1 offset0:83 offset1:84
	s_waitcnt lgkmcnt(0)
	v_fma_f64 v[92:93], v[98:99], v[92:93], v[96:97]
	s_waitcnt vmcnt(1)
	s_delay_alu instid0(VALU_DEP_1) | instskip(SKIP_4) | instid1(VALU_DEP_1)
	v_fma_f64 v[96:97], v[100:101], v[94:95], v[92:93]
	ds_load_2addr_b64 v[92:95], v1 offset0:85 offset1:86
	s_waitcnt lgkmcnt(0)
	v_fma_f64 v[1:2], v[102:103], v[92:93], v[96:97]
	s_waitcnt vmcnt(0)
	v_fma_f64 v[1:2], v[104:105], v[94:95], v[1:2]
	s_delay_alu instid0(VALU_DEP_1)
	v_add_f64 v[1:2], v[90:91], -v[1:2]
	scratch_store_b64 off, v[1:2], off offset:32
	v_cmpx_lt_u32_e32 3, v0
	s_cbranch_execz .LBB106_261
; %bb.260:
	scratch_load_b64 v[1:2], off, off offset:24
	v_mov_b32_e32 v90, 0
	s_delay_alu instid0(VALU_DEP_1)
	v_mov_b32_e32 v91, v90
	scratch_store_b64 off, v[90:91], off offset:24
	s_waitcnt vmcnt(0)
	ds_store_b64 v3, v[1:2]
.LBB106_261:
	s_or_b32 exec_lo, exec_lo, s0
	s_waitcnt lgkmcnt(0)
	s_waitcnt_vscnt null, 0x0
	s_barrier
	buffer_gl0_inv
	s_clause 0x4
	scratch_load_b128 v[90:93], off, off offset:24
	scratch_load_b128 v[94:97], off, off offset:40
	;; [unrolled: 1-line block ×5, first 2 shown]
	v_mov_b32_e32 v1, 0
	scratch_load_b128 v[114:117], off, off offset:104
	s_mov_b32 s0, exec_lo
	ds_load_b128 v[110:113], v1 offset:384
	s_waitcnt vmcnt(5) lgkmcnt(0)
	v_fma_f64 v[92:93], v[92:93], v[110:111], 0
	s_waitcnt vmcnt(4)
	s_delay_alu instid0(VALU_DEP_1)
	v_fma_f64 v[110:111], v[94:95], v[112:113], v[92:93]
	ds_load_b128 v[92:95], v1 offset:400
	s_waitcnt lgkmcnt(0)
	v_fma_f64 v[92:93], v[96:97], v[92:93], v[110:111]
	scratch_load_b128 v[110:113], off, off offset:120
	s_waitcnt vmcnt(4)
	v_fma_f64 v[96:97], v[98:99], v[94:95], v[92:93]
	ds_load_b128 v[92:95], v1 offset:416
	s_waitcnt lgkmcnt(0)
	v_fma_f64 v[92:93], v[100:101], v[92:93], v[96:97]
	scratch_load_b128 v[96:99], off, off offset:136
	s_waitcnt vmcnt(4)
	;; [unrolled: 6-line block ×14, first 2 shown]
	v_fma_f64 v[112:113], v[112:113], v[94:95], v[92:93]
	ds_load_b128 v[92:95], v1 offset:624
	s_waitcnt lgkmcnt(0)
	v_fma_f64 v[92:93], v[114:115], v[92:93], v[112:113]
	s_waitcnt vmcnt(3)
	s_delay_alu instid0(VALU_DEP_1) | instskip(SKIP_4) | instid1(VALU_DEP_1)
	v_fma_f64 v[108:109], v[108:109], v[94:95], v[92:93]
	ds_load_b128 v[92:95], v1 offset:640
	s_waitcnt lgkmcnt(0)
	v_fma_f64 v[92:93], v[110:111], v[92:93], v[108:109]
	s_waitcnt vmcnt(2)
	v_fma_f64 v[96:97], v[96:97], v[94:95], v[92:93]
	ds_load_b128 v[92:95], v1 offset:656
	s_waitcnt lgkmcnt(0)
	v_fma_f64 v[92:93], v[98:99], v[92:93], v[96:97]
	s_waitcnt vmcnt(1)
	s_delay_alu instid0(VALU_DEP_1) | instskip(SKIP_4) | instid1(VALU_DEP_1)
	v_fma_f64 v[96:97], v[100:101], v[94:95], v[92:93]
	ds_load_b128 v[92:95], v1 offset:672
	s_waitcnt lgkmcnt(0)
	v_fma_f64 v[92:93], v[102:103], v[92:93], v[96:97]
	s_waitcnt vmcnt(0)
	v_fma_f64 v[92:93], v[104:105], v[94:95], v[92:93]
	ds_load_b64 v[94:95], v1 offset:688
	s_waitcnt lgkmcnt(0)
	v_fma_f64 v[92:93], v[106:107], v[94:95], v[92:93]
	s_delay_alu instid0(VALU_DEP_1)
	v_add_f64 v[90:91], v[90:91], -v[92:93]
	scratch_store_b64 off, v[90:91], off offset:24
	v_cmpx_lt_u32_e32 2, v0
	s_cbranch_execz .LBB106_263
; %bb.262:
	scratch_load_b64 v[90:91], off, off offset:16
	v_mov_b32_e32 v2, v1
	scratch_store_b64 off, v[1:2], off offset:16
	s_waitcnt vmcnt(0)
	ds_store_b64 v3, v[90:91]
.LBB106_263:
	s_or_b32 exec_lo, exec_lo, s0
	s_waitcnt lgkmcnt(0)
	s_waitcnt_vscnt null, 0x0
	s_barrier
	buffer_gl0_inv
	s_clause 0x4
	scratch_load_b128 v[90:93], off, off offset:16
	scratch_load_b128 v[94:97], off, off offset:32
	;; [unrolled: 1-line block ×5, first 2 shown]
	ds_load_2addr_b64 v[110:113], v1 offset0:47 offset1:48
	scratch_load_b128 v[114:117], off, off offset:96
	s_mov_b32 s0, exec_lo
	s_waitcnt vmcnt(5) lgkmcnt(0)
	v_fma_f64 v[92:93], v[92:93], v[110:111], 0
	s_waitcnt vmcnt(4)
	s_delay_alu instid0(VALU_DEP_1)
	v_fma_f64 v[110:111], v[94:95], v[112:113], v[92:93]
	ds_load_2addr_b64 v[92:95], v1 offset0:49 offset1:50
	s_waitcnt lgkmcnt(0)
	v_fma_f64 v[92:93], v[96:97], v[92:93], v[110:111]
	scratch_load_b128 v[110:113], off, off offset:112
	s_waitcnt vmcnt(4)
	v_fma_f64 v[96:97], v[98:99], v[94:95], v[92:93]
	ds_load_2addr_b64 v[92:95], v1 offset0:51 offset1:52
	s_waitcnt lgkmcnt(0)
	v_fma_f64 v[92:93], v[100:101], v[92:93], v[96:97]
	scratch_load_b128 v[96:99], off, off offset:128
	s_waitcnt vmcnt(4)
	;; [unrolled: 6-line block ×14, first 2 shown]
	v_fma_f64 v[112:113], v[112:113], v[94:95], v[92:93]
	ds_load_2addr_b64 v[92:95], v1 offset0:77 offset1:78
	s_waitcnt lgkmcnt(0)
	v_fma_f64 v[92:93], v[114:115], v[92:93], v[112:113]
	scratch_load_b64 v[112:113], off, off offset:336
	s_waitcnt vmcnt(4)
	v_fma_f64 v[108:109], v[108:109], v[94:95], v[92:93]
	ds_load_2addr_b64 v[92:95], v1 offset0:79 offset1:80
	s_waitcnt lgkmcnt(0)
	v_fma_f64 v[92:93], v[110:111], v[92:93], v[108:109]
	s_waitcnt vmcnt(3)
	s_delay_alu instid0(VALU_DEP_1) | instskip(SKIP_4) | instid1(VALU_DEP_1)
	v_fma_f64 v[96:97], v[96:97], v[94:95], v[92:93]
	ds_load_2addr_b64 v[92:95], v1 offset0:81 offset1:82
	s_waitcnt lgkmcnt(0)
	v_fma_f64 v[92:93], v[98:99], v[92:93], v[96:97]
	s_waitcnt vmcnt(2)
	v_fma_f64 v[96:97], v[100:101], v[94:95], v[92:93]
	ds_load_2addr_b64 v[92:95], v1 offset0:83 offset1:84
	s_waitcnt lgkmcnt(0)
	v_fma_f64 v[92:93], v[102:103], v[92:93], v[96:97]
	s_waitcnt vmcnt(1)
	s_delay_alu instid0(VALU_DEP_1) | instskip(SKIP_4) | instid1(VALU_DEP_1)
	v_fma_f64 v[96:97], v[104:105], v[94:95], v[92:93]
	ds_load_2addr_b64 v[92:95], v1 offset0:85 offset1:86
	s_waitcnt lgkmcnt(0)
	v_fma_f64 v[1:2], v[106:107], v[92:93], v[96:97]
	s_waitcnt vmcnt(0)
	v_fma_f64 v[1:2], v[112:113], v[94:95], v[1:2]
	s_delay_alu instid0(VALU_DEP_1)
	v_add_f64 v[1:2], v[90:91], -v[1:2]
	scratch_store_b64 off, v[1:2], off offset:16
	v_cmpx_lt_u32_e32 1, v0
	s_cbranch_execz .LBB106_265
; %bb.264:
	scratch_load_b64 v[1:2], off, off offset:8
	v_mov_b32_e32 v90, 0
	s_delay_alu instid0(VALU_DEP_1)
	v_mov_b32_e32 v91, v90
	scratch_store_b64 off, v[90:91], off offset:8
	s_waitcnt vmcnt(0)
	ds_store_b64 v3, v[1:2]
.LBB106_265:
	s_or_b32 exec_lo, exec_lo, s0
	s_waitcnt lgkmcnt(0)
	s_waitcnt_vscnt null, 0x0
	s_barrier
	buffer_gl0_inv
	s_clause 0x4
	scratch_load_b128 v[91:94], off, off offset:8
	scratch_load_b128 v[95:98], off, off offset:24
	;; [unrolled: 1-line block ×5, first 2 shown]
	v_mov_b32_e32 v90, 0
	scratch_load_b128 v[115:118], off, off offset:88
	s_mov_b32 s0, exec_lo
	ds_load_b128 v[111:114], v90 offset:368
	s_waitcnt vmcnt(5) lgkmcnt(0)
	v_fma_f64 v[1:2], v[93:94], v[111:112], 0
	s_waitcnt vmcnt(4)
	s_delay_alu instid0(VALU_DEP_1)
	v_fma_f64 v[1:2], v[95:96], v[113:114], v[1:2]
	scratch_load_b128 v[111:114], off, off offset:104
	ds_load_b128 v[93:96], v90 offset:384
	s_waitcnt lgkmcnt(0)
	v_fma_f64 v[1:2], v[97:98], v[93:94], v[1:2]
	s_waitcnt vmcnt(4)
	s_delay_alu instid0(VALU_DEP_1)
	v_fma_f64 v[1:2], v[99:100], v[95:96], v[1:2]
	ds_load_b128 v[93:96], v90 offset:400
	scratch_load_b128 v[97:100], off, off offset:120
	s_waitcnt lgkmcnt(0)
	v_fma_f64 v[1:2], v[101:102], v[93:94], v[1:2]
	s_waitcnt vmcnt(4)
	s_delay_alu instid0(VALU_DEP_1)
	v_fma_f64 v[1:2], v[103:104], v[95:96], v[1:2]
	scratch_load_b128 v[101:104], off, off offset:136
	ds_load_b128 v[93:96], v90 offset:416
	s_waitcnt lgkmcnt(0)
	v_fma_f64 v[1:2], v[105:106], v[93:94], v[1:2]
	s_waitcnt vmcnt(4)
	s_delay_alu instid0(VALU_DEP_1)
	v_fma_f64 v[1:2], v[107:108], v[95:96], v[1:2]
	ds_load_b128 v[93:96], v90 offset:432
	scratch_load_b128 v[105:108], off, off offset:152
	s_waitcnt lgkmcnt(0)
	v_fma_f64 v[1:2], v[109:110], v[93:94], v[1:2]
	s_waitcnt vmcnt(4)
	s_delay_alu instid0(VALU_DEP_1)
	v_fma_f64 v[1:2], v[115:116], v[95:96], v[1:2]
	ds_load_b128 v[93:96], v90 offset:448
	s_waitcnt lgkmcnt(0)
	v_fma_f64 v[1:2], v[117:118], v[93:94], v[1:2]
	scratch_load_b128 v[115:118], off, off offset:168
	s_waitcnt vmcnt(4)
	v_fma_f64 v[1:2], v[111:112], v[95:96], v[1:2]
	ds_load_b128 v[93:96], v90 offset:464
	scratch_load_b128 v[109:112], off, off offset:184
	s_waitcnt lgkmcnt(0)
	v_fma_f64 v[1:2], v[113:114], v[93:94], v[1:2]
	s_waitcnt vmcnt(4)
	s_delay_alu instid0(VALU_DEP_1)
	v_fma_f64 v[1:2], v[97:98], v[95:96], v[1:2]
	ds_load_b128 v[93:96], v90 offset:480
	s_waitcnt lgkmcnt(0)
	v_fma_f64 v[1:2], v[99:100], v[93:94], v[1:2]
	scratch_load_b128 v[97:100], off, off offset:200
	s_waitcnt vmcnt(4)
	v_fma_f64 v[1:2], v[101:102], v[95:96], v[1:2]
	ds_load_b128 v[93:96], v90 offset:496
	s_waitcnt lgkmcnt(0)
	v_fma_f64 v[1:2], v[103:104], v[93:94], v[1:2]
	scratch_load_b128 v[101:104], off, off offset:216
	s_waitcnt vmcnt(4)
	;; [unrolled: 6-line block ×3, first 2 shown]
	v_fma_f64 v[1:2], v[115:116], v[95:96], v[1:2]
	ds_load_b128 v[93:96], v90 offset:528
	scratch_load_b128 v[113:116], off, off offset:248
	s_waitcnt lgkmcnt(0)
	v_fma_f64 v[1:2], v[117:118], v[93:94], v[1:2]
	s_waitcnt vmcnt(4)
	s_delay_alu instid0(VALU_DEP_1)
	v_fma_f64 v[1:2], v[109:110], v[95:96], v[1:2]
	ds_load_b128 v[93:96], v90 offset:544
	s_waitcnt lgkmcnt(0)
	v_fma_f64 v[1:2], v[111:112], v[93:94], v[1:2]
	scratch_load_b128 v[109:112], off, off offset:264
	s_waitcnt vmcnt(4)
	v_fma_f64 v[1:2], v[97:98], v[95:96], v[1:2]
	ds_load_b128 v[93:96], v90 offset:560
	s_waitcnt lgkmcnt(0)
	v_fma_f64 v[1:2], v[99:100], v[93:94], v[1:2]
	scratch_load_b128 v[97:100], off, off offset:280
	s_waitcnt vmcnt(4)
	;; [unrolled: 6-line block ×5, first 2 shown]
	v_fma_f64 v[1:2], v[109:110], v[95:96], v[1:2]
	ds_load_b128 v[93:96], v90 offset:624
	s_waitcnt lgkmcnt(0)
	v_fma_f64 v[1:2], v[111:112], v[93:94], v[1:2]
	s_waitcnt vmcnt(3)
	s_delay_alu instid0(VALU_DEP_1) | instskip(SKIP_4) | instid1(VALU_DEP_1)
	v_fma_f64 v[1:2], v[97:98], v[95:96], v[1:2]
	ds_load_b128 v[93:96], v90 offset:640
	s_waitcnt lgkmcnt(0)
	v_fma_f64 v[1:2], v[99:100], v[93:94], v[1:2]
	s_waitcnt vmcnt(2)
	v_fma_f64 v[1:2], v[101:102], v[95:96], v[1:2]
	ds_load_b128 v[93:96], v90 offset:656
	s_waitcnt lgkmcnt(0)
	v_fma_f64 v[1:2], v[103:104], v[93:94], v[1:2]
	s_waitcnt vmcnt(1)
	s_delay_alu instid0(VALU_DEP_1)
	v_fma_f64 v[1:2], v[105:106], v[95:96], v[1:2]
	ds_load_b128 v[93:96], v90 offset:672
	s_waitcnt lgkmcnt(0)
	v_fma_f64 v[1:2], v[107:108], v[93:94], v[1:2]
	ds_load_b64 v[93:94], v90 offset:688
	s_waitcnt vmcnt(0)
	v_fma_f64 v[1:2], v[113:114], v[95:96], v[1:2]
	s_waitcnt lgkmcnt(0)
	s_delay_alu instid0(VALU_DEP_1) | instskip(NEXT) | instid1(VALU_DEP_1)
	v_fma_f64 v[1:2], v[115:116], v[93:94], v[1:2]
	v_add_f64 v[1:2], v[91:92], -v[1:2]
	scratch_store_b64 off, v[1:2], off offset:8
	v_cmpx_ne_u32_e32 0, v0
	s_cbranch_execz .LBB106_267
; %bb.266:
	scratch_load_b64 v[0:1], off, off
	v_mov_b32_e32 v91, v90
	scratch_store_b64 off, v[90:91], off
	s_waitcnt vmcnt(0)
	ds_store_b64 v3, v[0:1]
.LBB106_267:
	s_or_b32 exec_lo, exec_lo, s0
	s_waitcnt lgkmcnt(0)
	s_waitcnt_vscnt null, 0x0
	s_barrier
	buffer_gl0_inv
	s_clause 0x4
	scratch_load_b128 v[91:94], off, off
	scratch_load_b128 v[0:3], off, off offset:16
	scratch_load_b128 v[95:98], off, off offset:32
	;; [unrolled: 1-line block ×4, first 2 shown]
	ds_load_2addr_b64 v[107:110], v90 offset0:45 offset1:46
	ds_load_2addr_b64 v[111:114], v90 offset0:47 offset1:48
	scratch_load_b128 v[115:118], off, off offset:80
	s_and_b32 vcc_lo, exec_lo, s12
	s_waitcnt vmcnt(5) lgkmcnt(1)
	v_fma_f64 v[93:94], v[93:94], v[107:108], 0
	s_waitcnt vmcnt(4)
	s_delay_alu instid0(VALU_DEP_1) | instskip(SKIP_1) | instid1(VALU_DEP_1)
	v_fma_f64 v[0:1], v[0:1], v[109:110], v[93:94]
	s_waitcnt lgkmcnt(0)
	v_fma_f64 v[93:94], v[2:3], v[111:112], v[0:1]
	scratch_load_b128 v[0:3], off, off offset:96
	s_waitcnt vmcnt(4)
	v_fma_f64 v[111:112], v[95:96], v[113:114], v[93:94]
	ds_load_2addr_b64 v[93:96], v90 offset0:49 offset1:50
	ds_load_2addr_b64 v[107:110], v90 offset0:51 offset1:52
	s_waitcnt lgkmcnt(1)
	v_fma_f64 v[93:94], v[97:98], v[93:94], v[111:112]
	scratch_load_b128 v[111:114], off, off offset:112
	s_waitcnt vmcnt(4)
	v_fma_f64 v[93:94], v[99:100], v[95:96], v[93:94]
	s_waitcnt lgkmcnt(0)
	s_delay_alu instid0(VALU_DEP_1)
	v_fma_f64 v[97:98], v[101:102], v[107:108], v[93:94]
	scratch_load_b128 v[93:96], off, off offset:128
	s_waitcnt vmcnt(4)
	v_fma_f64 v[107:108], v[103:104], v[109:110], v[97:98]
	ds_load_2addr_b64 v[97:100], v90 offset0:53 offset1:54
	ds_load_2addr_b64 v[101:104], v90 offset0:55 offset1:56
	s_waitcnt lgkmcnt(1)
	v_fma_f64 v[97:98], v[105:106], v[97:98], v[107:108]
	scratch_load_b128 v[105:108], off, off offset:144
	s_waitcnt vmcnt(4)
	v_fma_f64 v[97:98], v[115:116], v[99:100], v[97:98]
	s_waitcnt lgkmcnt(0)
	s_delay_alu instid0(VALU_DEP_1)
	;; [unrolled: 13-line block ×4, first 2 shown]
	v_fma_f64 v[109:110], v[107:108], v[113:114], v[105:106]
	scratch_load_b128 v[105:108], off, off offset:224
	s_waitcnt vmcnt(4)
	v_fma_f64 v[97:98], v[97:98], v[115:116], v[109:110]
	ds_load_2addr_b64 v[109:112], v90 offset0:65 offset1:66
	ds_load_2addr_b64 v[113:116], v90 offset0:67 offset1:68
	s_waitcnt lgkmcnt(1)
	v_fma_f64 v[109:110], v[99:100], v[109:110], v[97:98]
	scratch_load_b128 v[97:100], off, off offset:240
	s_waitcnt vmcnt(4)
	v_fma_f64 v[0:1], v[0:1], v[111:112], v[109:110]
	scratch_load_b128 v[109:112], off, off offset:256
	s_waitcnt lgkmcnt(0)
	v_fma_f64 v[0:1], v[2:3], v[113:114], v[0:1]
	s_waitcnt vmcnt(4)
	s_delay_alu instid0(VALU_DEP_1)
	v_fma_f64 v[101:102], v[101:102], v[115:116], v[0:1]
	ds_load_2addr_b64 v[0:3], v90 offset0:69 offset1:70
	ds_load_2addr_b64 v[113:116], v90 offset0:71 offset1:72
	s_waitcnt lgkmcnt(1)
	v_fma_f64 v[0:1], v[103:104], v[0:1], v[101:102]
	scratch_load_b128 v[101:104], off, off offset:272
	s_waitcnt vmcnt(4)
	v_fma_f64 v[0:1], v[93:94], v[2:3], v[0:1]
	s_waitcnt lgkmcnt(0)
	s_delay_alu instid0(VALU_DEP_1)
	v_fma_f64 v[0:1], v[95:96], v[113:114], v[0:1]
	scratch_load_b128 v[93:96], off, off offset:288
	s_waitcnt vmcnt(4)
	v_fma_f64 v[105:106], v[105:106], v[115:116], v[0:1]
	ds_load_2addr_b64 v[0:3], v90 offset0:73 offset1:74
	ds_load_2addr_b64 v[113:116], v90 offset0:75 offset1:76
	s_waitcnt lgkmcnt(1)
	v_fma_f64 v[0:1], v[107:108], v[0:1], v[105:106]
	scratch_load_b128 v[105:108], off, off offset:304
	s_waitcnt vmcnt(4)
	v_fma_f64 v[0:1], v[97:98], v[2:3], v[0:1]
	s_waitcnt lgkmcnt(0)
	s_delay_alu instid0(VALU_DEP_1)
	v_fma_f64 v[97:98], v[99:100], v[113:114], v[0:1]
	scratch_load_b128 v[0:3], off, off offset:320
	s_waitcnt vmcnt(4)
	v_fma_f64 v[109:110], v[109:110], v[115:116], v[97:98]
	ds_load_2addr_b64 v[97:100], v90 offset0:77 offset1:78
	ds_load_2addr_b64 v[113:116], v90 offset0:79 offset1:80
	s_waitcnt lgkmcnt(1)
	v_fma_f64 v[97:98], v[111:112], v[97:98], v[109:110]
	scratch_load_b64 v[109:110], off, off offset:336
	s_waitcnt vmcnt(4)
	v_fma_f64 v[97:98], v[101:102], v[99:100], v[97:98]
	s_waitcnt lgkmcnt(0)
	s_delay_alu instid0(VALU_DEP_1) | instskip(SKIP_1) | instid1(VALU_DEP_1)
	v_fma_f64 v[97:98], v[103:104], v[113:114], v[97:98]
	s_waitcnt vmcnt(3)
	v_fma_f64 v[93:94], v[93:94], v[115:116], v[97:98]
	ds_load_2addr_b64 v[97:100], v90 offset0:81 offset1:82
	ds_load_2addr_b64 v[101:104], v90 offset0:83 offset1:84
	s_waitcnt lgkmcnt(1)
	v_fma_f64 v[93:94], v[95:96], v[97:98], v[93:94]
	s_waitcnt vmcnt(2)
	s_delay_alu instid0(VALU_DEP_1) | instskip(SKIP_1) | instid1(VALU_DEP_1)
	v_fma_f64 v[93:94], v[105:106], v[99:100], v[93:94]
	s_waitcnt lgkmcnt(0)
	v_fma_f64 v[93:94], v[107:108], v[101:102], v[93:94]
	s_waitcnt vmcnt(1)
	s_delay_alu instid0(VALU_DEP_1) | instskip(SKIP_4) | instid1(VALU_DEP_1)
	v_fma_f64 v[0:1], v[0:1], v[103:104], v[93:94]
	ds_load_2addr_b64 v[93:96], v90 offset0:85 offset1:86
	s_waitcnt lgkmcnt(0)
	v_fma_f64 v[0:1], v[2:3], v[93:94], v[0:1]
	s_waitcnt vmcnt(0)
	v_fma_f64 v[0:1], v[109:110], v[95:96], v[0:1]
	s_delay_alu instid0(VALU_DEP_1)
	v_add_f64 v[0:1], v[91:92], -v[0:1]
	scratch_store_b64 off, v[0:1], off
	s_cbranch_vccz .LBB106_353
; %bb.268:
	v_dual_mov_b32 v0, s2 :: v_dual_mov_b32 v1, s3
	s_mov_b32 s0, exec_lo
	flat_load_b32 v0, v[0:1] offset:164
	s_waitcnt vmcnt(0) lgkmcnt(0)
	v_cmpx_ne_u32_e32 42, v0
	s_cbranch_execz .LBB106_270
; %bb.269:
	v_lshl_add_u32 v90, v0, 3, 0
	scratch_load_b64 v[0:1], v90, off offset:-8
	s_waitcnt vmcnt(0)
	scratch_store_b64 off, v[0:1], off offset:328
	scratch_store_b64 v90, v[2:3], off offset:-8
.LBB106_270:
	s_or_b32 exec_lo, exec_lo, s0
	v_dual_mov_b32 v0, s2 :: v_dual_mov_b32 v1, s3
	s_mov_b32 s0, exec_lo
	flat_load_b32 v0, v[0:1] offset:160
	s_waitcnt vmcnt(0) lgkmcnt(0)
	v_cmpx_ne_u32_e32 41, v0
	s_cbranch_execz .LBB106_272
; %bb.271:
	v_lshl_add_u32 v90, v0, 3, 0
	scratch_load_b64 v[0:1], v90, off offset:-8
	scratch_load_b64 v[2:3], off, off offset:320
	s_waitcnt vmcnt(1)
	scratch_store_b64 off, v[0:1], off offset:320
	s_waitcnt vmcnt(0)
	scratch_store_b64 v90, v[2:3], off offset:-8
.LBB106_272:
	s_or_b32 exec_lo, exec_lo, s0
	v_dual_mov_b32 v0, s2 :: v_dual_mov_b32 v1, s3
	s_mov_b32 s0, exec_lo
	flat_load_b32 v0, v[0:1] offset:156
	s_waitcnt vmcnt(0) lgkmcnt(0)
	v_cmpx_ne_u32_e32 40, v0
	s_cbranch_execz .LBB106_274
; %bb.273:
	v_lshl_add_u32 v90, v0, 3, 0
	scratch_load_b64 v[0:1], v90, off offset:-8
	scratch_load_b64 v[2:3], off, off offset:312
	s_waitcnt vmcnt(1)
	scratch_store_b64 off, v[0:1], off offset:312
	s_waitcnt vmcnt(0)
	scratch_store_b64 v90, v[2:3], off offset:-8
.LBB106_274:
	;; [unrolled: 16-line block ×40, first 2 shown]
	s_or_b32 exec_lo, exec_lo, s0
	v_dual_mov_b32 v0, s2 :: v_dual_mov_b32 v1, s3
	s_mov_b32 s0, exec_lo
	flat_load_b32 v2, v[0:1]
	scratch_load_b64 v[0:1], off, off
	s_waitcnt vmcnt(1) lgkmcnt(0)
	v_cmpx_ne_u32_e32 1, v2
	s_cbranch_execz .LBB106_352
; %bb.351:
	v_lshl_add_u32 v90, v2, 3, 0
	scratch_load_b64 v[2:3], v90, off offset:-8
	s_waitcnt vmcnt(0)
	scratch_store_b64 off, v[2:3], off
	scratch_store_b64 v90, v[0:1], off offset:-8
	scratch_load_b64 v[0:1], off, off
.LBB106_352:
	s_or_b32 exec_lo, exec_lo, s0
.LBB106_353:
	s_clause 0x6
	scratch_load_b128 v[90:93], off, off offset:8
	scratch_load_b128 v[94:97], off, off offset:24
	;; [unrolled: 1-line block ×7, first 2 shown]
	s_waitcnt vmcnt(7)
	global_store_b64 v[4:5], v[0:1], off
	scratch_load_b128 v[0:3], off, off offset:120
	s_waitcnt vmcnt(7)
	s_clause 0x1
	global_store_b64 v[6:7], v[90:91], off
	global_store_b64 v[18:19], v[92:93], off
	s_clause 0x1
	scratch_load_b128 v[4:7], off, off offset:136
	scratch_load_b128 v[90:93], off, off offset:152
	s_waitcnt vmcnt(8)
	s_clause 0x1
	global_store_b64 v[12:13], v[94:95], off
	global_store_b64 v[14:15], v[96:97], off
	s_clause 0x1
	scratch_load_b128 v[12:15], off, off offset:168
	;; [unrolled: 7-line block ×6, first 2 shown]
	scratch_load_b128 v[28:31], off, off offset:312
	s_waitcnt vmcnt(13)
	s_clause 0x1
	global_store_b64 v[32:33], v[114:115], off
	global_store_b64 v[34:35], v[116:117], off
	scratch_load_b128 v[32:35], off, off offset:328
	s_waitcnt vmcnt(13)
	s_clause 0x1
	global_store_b64 v[36:37], v[0:1], off
	global_store_b64 v[38:39], v[2:3], off
	s_waitcnt vmcnt(12)
	s_clause 0x1
	global_store_b64 v[40:41], v[4:5], off
	global_store_b64 v[42:43], v[6:7], off
	;; [unrolled: 4-line block ×14, first 2 shown]
	s_endpgm
	.section	.rodata,"a",@progbits
	.p2align	6, 0x0
	.amdhsa_kernel _ZN9rocsolver6v33100L18getri_kernel_smallILi43EdPKPdEEvT1_iilPiilS6_bb
		.amdhsa_group_segment_fixed_size 696
		.amdhsa_private_segment_fixed_size 352
		.amdhsa_kernarg_size 60
		.amdhsa_user_sgpr_count 15
		.amdhsa_user_sgpr_dispatch_ptr 0
		.amdhsa_user_sgpr_queue_ptr 0
		.amdhsa_user_sgpr_kernarg_segment_ptr 1
		.amdhsa_user_sgpr_dispatch_id 0
		.amdhsa_user_sgpr_private_segment_size 0
		.amdhsa_wavefront_size32 1
		.amdhsa_uses_dynamic_stack 0
		.amdhsa_enable_private_segment 1
		.amdhsa_system_sgpr_workgroup_id_x 1
		.amdhsa_system_sgpr_workgroup_id_y 0
		.amdhsa_system_sgpr_workgroup_id_z 0
		.amdhsa_system_sgpr_workgroup_info 0
		.amdhsa_system_vgpr_workitem_id 0
		.amdhsa_next_free_vgpr 122
		.amdhsa_next_free_sgpr 17
		.amdhsa_reserve_vcc 1
		.amdhsa_float_round_mode_32 0
		.amdhsa_float_round_mode_16_64 0
		.amdhsa_float_denorm_mode_32 3
		.amdhsa_float_denorm_mode_16_64 3
		.amdhsa_dx10_clamp 1
		.amdhsa_ieee_mode 1
		.amdhsa_fp16_overflow 0
		.amdhsa_workgroup_processor_mode 1
		.amdhsa_memory_ordered 1
		.amdhsa_forward_progress 0
		.amdhsa_shared_vgpr_count 0
		.amdhsa_exception_fp_ieee_invalid_op 0
		.amdhsa_exception_fp_denorm_src 0
		.amdhsa_exception_fp_ieee_div_zero 0
		.amdhsa_exception_fp_ieee_overflow 0
		.amdhsa_exception_fp_ieee_underflow 0
		.amdhsa_exception_fp_ieee_inexact 0
		.amdhsa_exception_int_div_zero 0
	.end_amdhsa_kernel
	.section	.text._ZN9rocsolver6v33100L18getri_kernel_smallILi43EdPKPdEEvT1_iilPiilS6_bb,"axG",@progbits,_ZN9rocsolver6v33100L18getri_kernel_smallILi43EdPKPdEEvT1_iilPiilS6_bb,comdat
.Lfunc_end106:
	.size	_ZN9rocsolver6v33100L18getri_kernel_smallILi43EdPKPdEEvT1_iilPiilS6_bb, .Lfunc_end106-_ZN9rocsolver6v33100L18getri_kernel_smallILi43EdPKPdEEvT1_iilPiilS6_bb
                                        ; -- End function
	.section	.AMDGPU.csdata,"",@progbits
; Kernel info:
; codeLenInByte = 37896
; NumSgprs: 19
; NumVgprs: 122
; ScratchSize: 352
; MemoryBound: 0
; FloatMode: 240
; IeeeMode: 1
; LDSByteSize: 696 bytes/workgroup (compile time only)
; SGPRBlocks: 2
; VGPRBlocks: 15
; NumSGPRsForWavesPerEU: 19
; NumVGPRsForWavesPerEU: 122
; Occupancy: 10
; WaveLimiterHint : 1
; COMPUTE_PGM_RSRC2:SCRATCH_EN: 1
; COMPUTE_PGM_RSRC2:USER_SGPR: 15
; COMPUTE_PGM_RSRC2:TRAP_HANDLER: 0
; COMPUTE_PGM_RSRC2:TGID_X_EN: 1
; COMPUTE_PGM_RSRC2:TGID_Y_EN: 0
; COMPUTE_PGM_RSRC2:TGID_Z_EN: 0
; COMPUTE_PGM_RSRC2:TIDIG_COMP_CNT: 0
	.section	.text._ZN9rocsolver6v33100L18getri_kernel_smallILi44EdPKPdEEvT1_iilPiilS6_bb,"axG",@progbits,_ZN9rocsolver6v33100L18getri_kernel_smallILi44EdPKPdEEvT1_iilPiilS6_bb,comdat
	.globl	_ZN9rocsolver6v33100L18getri_kernel_smallILi44EdPKPdEEvT1_iilPiilS6_bb ; -- Begin function _ZN9rocsolver6v33100L18getri_kernel_smallILi44EdPKPdEEvT1_iilPiilS6_bb
	.p2align	8
	.type	_ZN9rocsolver6v33100L18getri_kernel_smallILi44EdPKPdEEvT1_iilPiilS6_bb,@function
_ZN9rocsolver6v33100L18getri_kernel_smallILi44EdPKPdEEvT1_iilPiilS6_bb: ; @_ZN9rocsolver6v33100L18getri_kernel_smallILi44EdPKPdEEvT1_iilPiilS6_bb
; %bb.0:
	s_mov_b32 s2, exec_lo
	v_cmpx_gt_u32_e32 44, v0
	s_cbranch_execz .LBB107_186
; %bb.1:
	s_clause 0x1
	s_load_b32 s13, s[0:1], 0x38
	s_load_b64 s[2:3], s[0:1], 0x0
	s_mov_b32 s8, s15
	s_load_b128 s[4:7], s[0:1], 0x28
	s_waitcnt lgkmcnt(0)
	s_bitcmp1_b32 s13, 8
	s_cselect_b32 s12, -1, 0
	s_ashr_i32 s9, s15, 31
	s_delay_alu instid0(SALU_CYCLE_1) | instskip(NEXT) | instid1(SALU_CYCLE_1)
	s_lshl_b64 s[10:11], s[8:9], 3
	s_add_u32 s2, s2, s10
	s_addc_u32 s3, s3, s11
	s_load_b64 s[10:11], s[2:3], 0x0
	s_bfe_u32 s2, s13, 0x10008
	s_delay_alu instid0(SALU_CYCLE_1)
	s_cmp_eq_u32 s2, 0
                                        ; implicit-def: $sgpr2_sgpr3
	s_cbranch_scc1 .LBB107_3
; %bb.2:
	s_clause 0x1
	s_load_b32 s2, s[0:1], 0x20
	s_load_b64 s[14:15], s[0:1], 0x18
	s_mul_i32 s3, s8, s5
	s_mul_hi_u32 s5, s8, s4
	s_mul_i32 s16, s9, s4
	s_add_i32 s3, s5, s3
	s_mul_i32 s4, s8, s4
	s_add_i32 s5, s3, s16
	s_delay_alu instid0(SALU_CYCLE_1)
	s_lshl_b64 s[4:5], s[4:5], 2
	s_waitcnt lgkmcnt(0)
	s_ashr_i32 s3, s2, 31
	s_add_u32 s4, s14, s4
	s_addc_u32 s5, s15, s5
	s_lshl_b64 s[2:3], s[2:3], 2
	s_delay_alu instid0(SALU_CYCLE_1)
	s_add_u32 s2, s4, s2
	s_addc_u32 s3, s5, s3
.LBB107_3:
	s_load_b64 s[0:1], s[0:1], 0x8
	v_lshlrev_b32_e32 v3, 3, v0
	s_waitcnt lgkmcnt(0)
	s_ashr_i32 s5, s0, 31
	s_mov_b32 s4, s0
	s_mov_b32 s14, s1
	s_lshl_b64 s[4:5], s[4:5], 3
	v_add3_u32 v1, s1, s1, v0
	s_add_u32 s4, s10, s4
	s_addc_u32 s5, s11, s5
	v_add_co_u32 v6, s0, s4, v3
	s_ashr_i32 s15, s1, 31
	v_add_co_ci_u32_e64 v7, null, s5, 0, s0
	s_lshl_b64 s[10:11], s[14:15], 3
	v_add_nc_u32_e32 v4, s1, v1
	v_add_co_u32 v10, vcc_lo, v6, s10
	s_delay_alu instid0(VALU_DEP_3)
	v_add_co_ci_u32_e32 v11, vcc_lo, s11, v7, vcc_lo
	s_clause 0x1
	global_load_b64 v[28:29], v3, s[4:5]
	global_load_b64 v[30:31], v[10:11], off
	v_add_nc_u32_e32 v8, s1, v4
	v_ashrrev_i32_e32 v2, 31, v1
	v_ashrrev_i32_e32 v5, 31, v4
	s_bitcmp0_b32 s13, 0
	s_delay_alu instid0(VALU_DEP_3) | instskip(NEXT) | instid1(VALU_DEP_3)
	v_add_nc_u32_e32 v12, s1, v8
	v_lshlrev_b64 v[1:2], 3, v[1:2]
	s_delay_alu instid0(VALU_DEP_3) | instskip(SKIP_1) | instid1(VALU_DEP_4)
	v_lshlrev_b64 v[4:5], 3, v[4:5]
	v_ashrrev_i32_e32 v9, 31, v8
	v_add_nc_u32_e32 v14, s1, v12
	v_ashrrev_i32_e32 v13, 31, v12
	v_add_co_u32 v34, vcc_lo, s4, v1
	v_add_co_ci_u32_e32 v35, vcc_lo, s5, v2, vcc_lo
	s_delay_alu instid0(VALU_DEP_4) | instskip(SKIP_3) | instid1(VALU_DEP_4)
	v_add_nc_u32_e32 v16, s1, v14
	v_add_co_u32 v32, vcc_lo, s4, v4
	v_lshlrev_b64 v[1:2], 3, v[8:9]
	v_ashrrev_i32_e32 v15, 31, v14
	v_add_nc_u32_e32 v20, s1, v16
	v_add_co_ci_u32_e32 v33, vcc_lo, s5, v5, vcc_lo
	v_lshlrev_b64 v[8:9], 3, v[12:13]
	v_add_co_u32 v26, vcc_lo, s4, v1
	s_delay_alu instid0(VALU_DEP_4) | instskip(SKIP_3) | instid1(VALU_DEP_4)
	v_add_nc_u32_e32 v22, s1, v20
	v_add_co_ci_u32_e32 v27, vcc_lo, s5, v2, vcc_lo
	v_lshlrev_b64 v[1:2], 3, v[14:15]
	v_add_co_u32 v24, vcc_lo, s4, v8
	v_add_nc_u32_e32 v40, s1, v22
	v_add_co_ci_u32_e32 v25, vcc_lo, s5, v9, vcc_lo
	s_delay_alu instid0(VALU_DEP_4) | instskip(NEXT) | instid1(VALU_DEP_3)
	v_add_co_u32 v18, vcc_lo, s4, v1
	v_add_nc_u32_e32 v42, s1, v40
	v_ashrrev_i32_e32 v17, 31, v16
	v_ashrrev_i32_e32 v21, 31, v20
	s_clause 0x1
	global_load_b64 v[36:37], v[34:35], off
	global_load_b64 v[38:39], v[32:33], off
	v_add_co_ci_u32_e32 v19, vcc_lo, s5, v2, vcc_lo
	v_add_nc_u32_e32 v60, s1, v42
	v_lshlrev_b64 v[8:9], 3, v[16:17]
	v_ashrrev_i32_e32 v23, 31, v22
	v_ashrrev_i32_e32 v41, 31, v40
	;; [unrolled: 1-line block ×3, first 2 shown]
	v_add_nc_u32_e32 v62, s1, v60
	v_ashrrev_i32_e32 v61, 31, v60
	v_add_co_u32 v14, vcc_lo, s4, v8
	v_add_co_ci_u32_e32 v15, vcc_lo, s5, v9, vcc_lo
	s_delay_alu instid0(VALU_DEP_4)
	v_add_nc_u32_e32 v64, s1, v62
	v_lshlrev_b64 v[8:9], 3, v[20:21]
	v_lshlrev_b64 v[16:17], 3, v[22:23]
	s_clause 0x3
	global_load_b64 v[44:45], v[26:27], off
	global_load_b64 v[46:47], v[24:25], off
	;; [unrolled: 1-line block ×4, first 2 shown]
	v_lshlrev_b64 v[20:21], 3, v[40:41]
	v_add_nc_u32_e32 v66, s1, v64
	v_lshlrev_b64 v[22:23], 3, v[42:43]
	v_add_co_u32 v12, vcc_lo, s4, v8
	v_add_co_ci_u32_e32 v13, vcc_lo, s5, v9, vcc_lo
	s_delay_alu instid0(VALU_DEP_4) | instskip(SKIP_2) | instid1(VALU_DEP_3)
	v_add_nc_u32_e32 v68, s1, v66
	v_add_co_u32 v16, vcc_lo, s4, v16
	v_add_co_ci_u32_e32 v17, vcc_lo, s5, v17, vcc_lo
	v_add_nc_u32_e32 v70, s1, v68
	v_add_co_u32 v20, vcc_lo, s4, v20
	v_add_co_ci_u32_e32 v21, vcc_lo, s5, v21, vcc_lo
	s_delay_alu instid0(VALU_DEP_3)
	v_add_nc_u32_e32 v72, s1, v70
	s_clause 0x1
	global_load_b64 v[52:53], v[12:13], off
	global_load_b64 v[54:55], v[16:17], off
	v_ashrrev_i32_e32 v63, 31, v62
	v_ashrrev_i32_e32 v65, 31, v64
	v_add_nc_u32_e32 v74, s1, v72
	v_ashrrev_i32_e32 v67, 31, v66
	v_ashrrev_i32_e32 v69, 31, v68
	;; [unrolled: 1-line block ×3, first 2 shown]
	v_lshlrev_b64 v[40:41], 3, v[64:65]
	v_add_nc_u32_e32 v76, s1, v74
	v_ashrrev_i32_e32 v73, 31, v72
	v_ashrrev_i32_e32 v75, 31, v74
	v_lshlrev_b64 v[42:43], 3, v[70:71]
	s_delay_alu instid0(VALU_DEP_4) | instskip(SKIP_1) | instid1(VALU_DEP_2)
	v_add_nc_u32_e32 v78, s1, v76
	v_ashrrev_i32_e32 v77, 31, v76
	v_add_nc_u32_e32 v80, s1, v78
	v_ashrrev_i32_e32 v79, 31, v78
	s_delay_alu instid0(VALU_DEP_2) | instskip(SKIP_1) | instid1(VALU_DEP_2)
	v_add_nc_u32_e32 v82, s1, v80
	v_ashrrev_i32_e32 v81, 31, v80
	v_add_nc_u32_e32 v84, s1, v82
	v_ashrrev_i32_e32 v83, 31, v82
	s_delay_alu instid0(VALU_DEP_2) | instskip(SKIP_1) | instid1(VALU_DEP_2)
	;; [unrolled: 5-line block ×7, first 2 shown]
	v_add_nc_u32_e32 v110, s1, v4
	v_ashrrev_i32_e32 v5, 31, v4
	v_add_nc_u32_e32 v112, s1, v110
	s_delay_alu instid0(VALU_DEP_2) | instskip(SKIP_1) | instid1(VALU_DEP_3)
	v_lshlrev_b64 v[4:5], 3, v[4:5]
	v_ashrrev_i32_e32 v111, 31, v110
	v_add_nc_u32_e32 v114, s1, v112
	v_ashrrev_i32_e32 v113, 31, v112
	s_delay_alu instid0(VALU_DEP_2) | instskip(SKIP_1) | instid1(VALU_DEP_2)
	v_add_nc_u32_e32 v1, s1, v114
	v_ashrrev_i32_e32 v115, 31, v114
	v_add_nc_u32_e32 v116, s1, v1
	v_ashrrev_i32_e32 v2, 31, v1
	s_delay_alu instid0(VALU_DEP_2) | instskip(NEXT) | instid1(VALU_DEP_2)
	v_add_nc_u32_e32 v118, s1, v116
	v_lshlrev_b64 v[1:2], 3, v[1:2]
	v_ashrrev_i32_e32 v117, 31, v116
	s_delay_alu instid0(VALU_DEP_3) | instskip(SKIP_1) | instid1(VALU_DEP_2)
	v_add_nc_u32_e32 v120, s1, v118
	v_ashrrev_i32_e32 v119, 31, v118
	v_add_nc_u32_e32 v122, s1, v120
	v_ashrrev_i32_e32 v121, 31, v120
	s_delay_alu instid0(VALU_DEP_2) | instskip(SKIP_2) | instid1(VALU_DEP_2)
	v_add_nc_u32_e32 v8, s1, v122
	v_ashrrev_i32_e32 v123, 31, v122
	s_mov_b32 s1, -1
	v_ashrrev_i32_e32 v9, 31, v8
	s_delay_alu instid0(VALU_DEP_1) | instskip(NEXT) | instid1(VALU_DEP_1)
	v_lshlrev_b64 v[8:9], 3, v[8:9]
	v_add_co_u32 v8, vcc_lo, s4, v8
	s_delay_alu instid0(VALU_DEP_2)
	v_add_co_ci_u32_e32 v9, vcc_lo, s5, v9, vcc_lo
	v_add_co_u32 v22, vcc_lo, s4, v22
	v_add_co_ci_u32_e32 v23, vcc_lo, s5, v23, vcc_lo
	global_load_b64 v[96:97], v[8:9], off
	s_waitcnt vmcnt(9)
	scratch_store_b128 off, v[28:31], off
	s_clause 0x1
	global_load_b64 v[56:57], v[20:21], off
	global_load_b64 v[58:59], v[22:23], off
	v_lshlrev_b64 v[28:29], 3, v[60:61]
	v_lshlrev_b64 v[30:31], 3, v[62:63]
	s_delay_alu instid0(VALU_DEP_2) | instskip(NEXT) | instid1(VALU_DEP_3)
	v_add_co_u32 v28, vcc_lo, s4, v28
	v_add_co_ci_u32_e32 v29, vcc_lo, s5, v29, vcc_lo
	s_delay_alu instid0(VALU_DEP_3) | instskip(NEXT) | instid1(VALU_DEP_4)
	v_add_co_u32 v30, vcc_lo, s4, v30
	v_add_co_ci_u32_e32 v31, vcc_lo, s5, v31, vcc_lo
	s_clause 0x1
	global_load_b64 v[60:61], v[28:29], off
	global_load_b64 v[62:63], v[30:31], off
	s_waitcnt vmcnt(11)
	scratch_store_b128 off, v[36:39], off offset:16
	v_lshlrev_b64 v[38:39], 3, v[66:67]
	v_add_co_u32 v36, vcc_lo, s4, v40
	v_add_co_ci_u32_e32 v37, vcc_lo, s5, v41, vcc_lo
	v_lshlrev_b64 v[40:41], 3, v[68:69]
	s_delay_alu instid0(VALU_DEP_4)
	v_add_co_u32 v38, vcc_lo, s4, v38
	v_add_co_ci_u32_e32 v39, vcc_lo, s5, v39, vcc_lo
	s_waitcnt vmcnt(9)
	scratch_store_b128 off, v[44:47], off offset:32
	s_waitcnt vmcnt(7)
	scratch_store_b128 off, v[48:51], off offset:48
	v_add_co_u32 v40, vcc_lo, s4, v40
	v_add_co_ci_u32_e32 v41, vcc_lo, s5, v41, vcc_lo
	v_add_co_u32 v42, vcc_lo, s4, v42
	v_add_co_ci_u32_e32 v43, vcc_lo, s5, v43, vcc_lo
	v_lshlrev_b64 v[44:45], 3, v[72:73]
	s_clause 0x3
	global_load_b64 v[64:65], v[36:37], off
	global_load_b64 v[66:67], v[38:39], off
	;; [unrolled: 1-line block ×4, first 2 shown]
	v_lshlrev_b64 v[46:47], 3, v[74:75]
	v_lshlrev_b64 v[48:49], 3, v[76:77]
	v_lshlrev_b64 v[50:51], 3, v[78:79]
	v_add_co_u32 v44, vcc_lo, s4, v44
	v_add_co_ci_u32_e32 v45, vcc_lo, s5, v45, vcc_lo
	v_add_co_u32 v46, vcc_lo, s4, v46
	v_add_co_ci_u32_e32 v47, vcc_lo, s5, v47, vcc_lo
	;; [unrolled: 2-line block ×4, first 2 shown]
	s_waitcnt vmcnt(9)
	scratch_store_b128 off, v[52:55], off offset:64
	s_clause 0x1
	global_load_b64 v[72:73], v[44:45], off
	global_load_b64 v[74:75], v[46:47], off
	v_lshlrev_b64 v[52:53], 3, v[80:81]
	v_lshlrev_b64 v[54:55], 3, v[82:83]
	s_delay_alu instid0(VALU_DEP_2) | instskip(NEXT) | instid1(VALU_DEP_3)
	v_add_co_u32 v52, vcc_lo, s4, v52
	v_add_co_ci_u32_e32 v53, vcc_lo, s5, v53, vcc_lo
	s_delay_alu instid0(VALU_DEP_3) | instskip(NEXT) | instid1(VALU_DEP_4)
	v_add_co_u32 v54, vcc_lo, s4, v54
	v_add_co_ci_u32_e32 v55, vcc_lo, s5, v55, vcc_lo
	s_waitcnt vmcnt(8)
	scratch_store_b128 off, v[56:59], off offset:80
	s_clause 0x1
	global_load_b64 v[76:77], v[48:49], off
	global_load_b64 v[78:79], v[50:51], off
	v_lshlrev_b64 v[56:57], 3, v[84:85]
	v_lshlrev_b64 v[58:59], 3, v[86:87]
	s_delay_alu instid0(VALU_DEP_2) | instskip(NEXT) | instid1(VALU_DEP_3)
	v_add_co_u32 v56, vcc_lo, s4, v56
	v_add_co_ci_u32_e32 v57, vcc_lo, s5, v57, vcc_lo
	s_delay_alu instid0(VALU_DEP_3) | instskip(NEXT) | instid1(VALU_DEP_4)
	v_add_co_u32 v58, vcc_lo, s4, v58
	v_add_co_ci_u32_e32 v59, vcc_lo, s5, v59, vcc_lo
	s_waitcnt vmcnt(8)
	scratch_store_b128 off, v[60:63], off offset:96
	v_lshlrev_b64 v[60:61], 3, v[88:89]
	v_lshlrev_b64 v[62:63], 3, v[90:91]
	s_clause 0x2
	global_load_b64 v[80:81], v[52:53], off
	global_load_b64 v[82:83], v[54:55], off
	global_load_b64 v[84:85], v[56:57], off
	v_add_co_u32 v60, vcc_lo, s4, v60
	v_add_co_ci_u32_e32 v61, vcc_lo, s5, v61, vcc_lo
	v_add_co_u32 v62, vcc_lo, s4, v62
	v_add_co_ci_u32_e32 v63, vcc_lo, s5, v63, vcc_lo
	s_waitcnt vmcnt(9)
	scratch_store_b128 off, v[64:67], off offset:112
	v_lshlrev_b64 v[64:65], 3, v[92:93]
	s_waitcnt vmcnt(7)
	scratch_store_b128 off, v[68:71], off offset:128
	s_clause 0x2
	global_load_b64 v[86:87], v[58:59], off
	global_load_b64 v[88:89], v[60:61], off
	;; [unrolled: 1-line block ×3, first 2 shown]
	v_lshlrev_b64 v[66:67], 3, v[94:95]
	v_lshlrev_b64 v[68:69], 3, v[98:99]
	;; [unrolled: 1-line block ×3, first 2 shown]
	v_add_co_u32 v64, vcc_lo, s4, v64
	v_add_co_ci_u32_e32 v65, vcc_lo, s5, v65, vcc_lo
	v_add_co_u32 v66, vcc_lo, s4, v66
	v_add_co_ci_u32_e32 v67, vcc_lo, s5, v67, vcc_lo
	;; [unrolled: 2-line block ×4, first 2 shown]
	s_clause 0x1
	global_load_b64 v[98:99], v[64:65], off
	global_load_b64 v[100:101], v[66:67], off
	s_waitcnt vmcnt(10)
	scratch_store_b128 off, v[72:75], off offset:144
	v_lshlrev_b64 v[72:73], 3, v[106:107]
	v_lshlrev_b64 v[74:75], 3, v[108:109]
	s_delay_alu instid0(VALU_DEP_2) | instskip(NEXT) | instid1(VALU_DEP_3)
	v_add_co_u32 v72, vcc_lo, s4, v72
	v_add_co_ci_u32_e32 v73, vcc_lo, s5, v73, vcc_lo
	s_delay_alu instid0(VALU_DEP_3) | instskip(NEXT) | instid1(VALU_DEP_4)
	v_add_co_u32 v74, vcc_lo, s4, v74
	v_add_co_ci_u32_e32 v75, vcc_lo, s5, v75, vcc_lo
	s_waitcnt vmcnt(8)
	scratch_store_b128 off, v[76:79], off offset:160
	s_clause 0x1
	global_load_b64 v[102:103], v[68:69], off
	global_load_b64 v[104:105], v[70:71], off
	v_lshlrev_b64 v[78:79], 3, v[110:111]
	v_add_co_u32 v76, vcc_lo, s4, v4
	v_add_co_ci_u32_e32 v77, vcc_lo, s5, v5, vcc_lo
	v_lshlrev_b64 v[4:5], 3, v[112:113]
	s_delay_alu instid0(VALU_DEP_4)
	v_add_co_u32 v78, vcc_lo, s4, v78
	v_add_co_ci_u32_e32 v79, vcc_lo, s5, v79, vcc_lo
	global_load_b64 v[106:107], v[72:73], off
	s_waitcnt vmcnt(9)
	scratch_store_b128 off, v[80:83], off offset:176
	v_lshlrev_b64 v[82:83], 3, v[114:115]
	v_add_co_u32 v80, vcc_lo, s4, v4
	v_add_co_ci_u32_e32 v81, vcc_lo, s5, v5, vcc_lo
	v_lshlrev_b64 v[4:5], 3, v[116:117]
	s_delay_alu instid0(VALU_DEP_4)
	v_add_co_u32 v82, vcc_lo, s4, v82
	v_add_co_ci_u32_e32 v83, vcc_lo, s5, v83, vcc_lo
	s_waitcnt vmcnt(7)
	scratch_store_b128 off, v[84:87], off offset:192
	s_waitcnt vmcnt(5)
	scratch_store_b128 off, v[88:91], off offset:208
	v_add_co_u32 v84, vcc_lo, s4, v1
	v_add_co_ci_u32_e32 v85, vcc_lo, s5, v2, vcc_lo
	v_lshlrev_b64 v[1:2], 3, v[118:119]
	v_add_co_u32 v86, vcc_lo, s4, v4
	v_add_co_ci_u32_e32 v87, vcc_lo, s5, v5, vcc_lo
	v_lshlrev_b64 v[4:5], 3, v[120:121]
	s_delay_alu instid0(VALU_DEP_4) | instskip(SKIP_2) | instid1(VALU_DEP_4)
	v_add_co_u32 v88, vcc_lo, s4, v1
	v_add_co_ci_u32_e32 v89, vcc_lo, s5, v2, vcc_lo
	v_lshlrev_b64 v[1:2], 3, v[122:123]
	v_add_co_u32 v90, vcc_lo, s4, v4
	v_add_co_ci_u32_e32 v91, vcc_lo, s5, v5, vcc_lo
	s_clause 0x3
	global_load_b64 v[108:109], v[74:75], off
	global_load_b64 v[110:111], v[76:77], off
	;; [unrolled: 1-line block ×4, first 2 shown]
	v_add_co_u32 v92, vcc_lo, s4, v1
	v_add_co_ci_u32_e32 v93, vcc_lo, s5, v2, vcc_lo
	s_waitcnt vmcnt(7)
	scratch_store_b128 off, v[98:101], off offset:224
	s_clause 0x2
	global_load_b64 v[116:117], v[82:83], off
	global_load_b64 v[98:99], v[84:85], off
	global_load_b64 v[100:101], v[86:87], off
	s_waitcnt vmcnt(8)
	scratch_store_b128 off, v[102:105], off offset:240
	s_clause 0x2
	global_load_b64 v[102:103], v[88:89], off
	global_load_b64 v[104:105], v[90:91], off
	;; [unrolled: 1-line block ×3, first 2 shown]
	s_waitcnt vmcnt(9)
	scratch_store_b128 off, v[106:109], off offset:256
	s_waitcnt vmcnt(7)
	scratch_store_b128 off, v[110:113], off offset:272
	;; [unrolled: 2-line block ×6, first 2 shown]
	s_cbranch_scc1 .LBB107_184
; %bb.4:
	v_cmp_eq_u32_e64 s0, 0, v0
	s_delay_alu instid0(VALU_DEP_1)
	s_and_saveexec_b32 s1, s0
	s_cbranch_execz .LBB107_6
; %bb.5:
	v_mov_b32_e32 v1, 0
	ds_store_b32 v1, v1 offset:704
.LBB107_6:
	s_or_b32 exec_lo, exec_lo, s1
	s_waitcnt lgkmcnt(0)
	s_waitcnt_vscnt null, 0x0
	s_barrier
	buffer_gl0_inv
	scratch_load_b64 v[1:2], v3, off
	s_mov_b32 s4, exec_lo
	s_waitcnt vmcnt(0)
	v_cmpx_eq_f64_e32 0, v[1:2]
	s_cbranch_execz .LBB107_10
; %bb.7:
	v_mov_b32_e32 v1, 0
	s_mov_b32 s5, 0
	ds_load_b32 v2, v1 offset:704
	s_waitcnt lgkmcnt(0)
	v_readfirstlane_b32 s1, v2
	v_add_nc_u32_e32 v2, 1, v0
	s_delay_alu instid0(VALU_DEP_2) | instskip(NEXT) | instid1(VALU_DEP_1)
	s_cmp_eq_u32 s1, 0
	v_cmp_gt_i32_e32 vcc_lo, s1, v2
	s_cselect_b32 s10, -1, 0
	s_delay_alu instid0(SALU_CYCLE_1) | instskip(NEXT) | instid1(SALU_CYCLE_1)
	s_or_b32 s10, s10, vcc_lo
	s_and_b32 exec_lo, exec_lo, s10
	s_cbranch_execz .LBB107_10
; %bb.8:
	v_mov_b32_e32 v4, s1
.LBB107_9:                              ; =>This Inner Loop Header: Depth=1
	ds_cmpstore_rtn_b32 v4, v1, v2, v4 offset:704
	s_waitcnt lgkmcnt(0)
	v_cmp_ne_u32_e32 vcc_lo, 0, v4
	v_cmp_le_i32_e64 s1, v4, v2
	s_delay_alu instid0(VALU_DEP_1) | instskip(NEXT) | instid1(SALU_CYCLE_1)
	s_and_b32 s1, vcc_lo, s1
	s_and_b32 s1, exec_lo, s1
	s_delay_alu instid0(SALU_CYCLE_1) | instskip(NEXT) | instid1(SALU_CYCLE_1)
	s_or_b32 s5, s1, s5
	s_and_not1_b32 exec_lo, exec_lo, s5
	s_cbranch_execnz .LBB107_9
.LBB107_10:
	s_or_b32 exec_lo, exec_lo, s4
	v_mov_b32_e32 v1, 0
	s_barrier
	buffer_gl0_inv
	ds_load_b32 v2, v1 offset:704
	s_and_saveexec_b32 s1, s0
	s_cbranch_execz .LBB107_12
; %bb.11:
	s_lshl_b64 s[4:5], s[8:9], 2
	s_delay_alu instid0(SALU_CYCLE_1)
	s_add_u32 s4, s6, s4
	s_addc_u32 s5, s7, s5
	s_waitcnt lgkmcnt(0)
	global_store_b32 v1, v2, s[4:5]
.LBB107_12:
	s_or_b32 exec_lo, exec_lo, s1
	s_waitcnt lgkmcnt(0)
	v_cmp_ne_u32_e32 vcc_lo, 0, v2
	s_mov_b32 s1, 0
	s_cbranch_vccnz .LBB107_184
; %bb.13:
	v_add_nc_u32_e32 v4, 0, v3
	v_add_nc_u32_e32 v5, 0x160, v3
	scratch_load_b64 v[1:2], v4, off
	s_waitcnt vmcnt(0)
	v_div_scale_f64 v[94:95], null, v[1:2], v[1:2], 1.0
	v_div_scale_f64 v[100:101], vcc_lo, 1.0, v[1:2], 1.0
	s_delay_alu instid0(VALU_DEP_2) | instskip(SKIP_2) | instid1(VALU_DEP_1)
	v_rcp_f64_e32 v[96:97], v[94:95]
	s_waitcnt_depctr 0xfff
	v_fma_f64 v[98:99], -v[94:95], v[96:97], 1.0
	v_fma_f64 v[96:97], v[96:97], v[98:99], v[96:97]
	s_delay_alu instid0(VALU_DEP_1) | instskip(NEXT) | instid1(VALU_DEP_1)
	v_fma_f64 v[98:99], -v[94:95], v[96:97], 1.0
	v_fma_f64 v[96:97], v[96:97], v[98:99], v[96:97]
	s_delay_alu instid0(VALU_DEP_1) | instskip(NEXT) | instid1(VALU_DEP_1)
	v_mul_f64 v[98:99], v[100:101], v[96:97]
	v_fma_f64 v[94:95], -v[94:95], v[98:99], v[100:101]
	s_delay_alu instid0(VALU_DEP_1) | instskip(NEXT) | instid1(VALU_DEP_1)
	v_div_fmas_f64 v[94:95], v[94:95], v[96:97], v[98:99]
	v_div_fixup_f64 v[1:2], v[94:95], v[1:2], 1.0
	scratch_store_b64 v4, v[1:2], off
	scratch_load_b64 v[94:95], off, off offset:8
	v_xor_b32_e32 v2, 0x80000000, v2
	s_waitcnt vmcnt(0)
	ds_store_2addr_b64 v3, v[1:2], v[94:95] offset1:44
	s_waitcnt lgkmcnt(0)
	s_waitcnt_vscnt null, 0x0
	s_barrier
	buffer_gl0_inv
	s_and_saveexec_b32 s1, s0
	s_cbranch_execz .LBB107_15
; %bb.14:
	scratch_load_b64 v[1:2], v4, off
	ds_load_b64 v[94:95], v5
	s_waitcnt vmcnt(0) lgkmcnt(0)
	v_fma_f64 v[1:2], v[1:2], v[94:95], 0
	v_mov_b32_e32 v94, 0
	ds_load_b64 v[94:95], v94 offset:8
	s_waitcnt lgkmcnt(0)
	v_mul_f64 v[1:2], v[1:2], v[94:95]
	scratch_store_b64 off, v[1:2], off offset:8
.LBB107_15:
	s_or_b32 exec_lo, exec_lo, s1
	s_waitcnt_vscnt null, 0x0
	s_barrier
	buffer_gl0_inv
	scratch_load_b64 v[1:2], off, off offset:16
	s_mov_b32 s1, exec_lo
	s_waitcnt vmcnt(0)
	ds_store_b64 v5, v[1:2]
	s_waitcnt lgkmcnt(0)
	s_barrier
	buffer_gl0_inv
	v_cmpx_gt_u32_e32 2, v0
	s_cbranch_execz .LBB107_19
; %bb.16:
	scratch_load_b64 v[1:2], v4, off
	ds_load_b64 v[94:95], v5
	s_waitcnt vmcnt(0) lgkmcnt(0)
	v_fma_f64 v[1:2], v[1:2], v[94:95], 0
	s_and_saveexec_b32 s4, s0
	s_cbranch_execz .LBB107_18
; %bb.17:
	scratch_load_b64 v[94:95], off, off offset:8
	v_mov_b32_e32 v96, 0
	ds_load_b64 v[96:97], v96 offset:360
	s_waitcnt vmcnt(0) lgkmcnt(0)
	v_fma_f64 v[1:2], v[94:95], v[96:97], v[1:2]
.LBB107_18:
	s_or_b32 exec_lo, exec_lo, s4
	v_mov_b32_e32 v94, 0
	ds_load_b64 v[94:95], v94 offset:16
	s_waitcnt lgkmcnt(0)
	v_mul_f64 v[1:2], v[1:2], v[94:95]
	scratch_store_b64 off, v[1:2], off offset:16
.LBB107_19:
	s_or_b32 exec_lo, exec_lo, s1
	s_waitcnt_vscnt null, 0x0
	s_barrier
	buffer_gl0_inv
	scratch_load_b64 v[1:2], off, off offset:24
	v_add_nc_u32_e32 v94, -1, v0
	s_mov_b32 s0, exec_lo
	s_waitcnt vmcnt(0)
	ds_store_b64 v5, v[1:2]
	s_waitcnt lgkmcnt(0)
	s_barrier
	buffer_gl0_inv
	v_cmpx_gt_u32_e32 3, v0
	s_cbranch_execz .LBB107_23
; %bb.20:
	v_dual_mov_b32 v1, 0 :: v_dual_add_nc_u32 v96, 0x160, v3
	v_dual_mov_b32 v2, 0 :: v_dual_add_nc_u32 v95, -1, v0
	v_add_nc_u32_e32 v97, 0, v3
	s_mov_b32 s1, 0
.LBB107_21:                             ; =>This Inner Loop Header: Depth=1
	scratch_load_b64 v[98:99], v97, off
	ds_load_b64 v[100:101], v96
	v_add_nc_u32_e32 v95, 1, v95
	v_add_nc_u32_e32 v96, 8, v96
	v_add_nc_u32_e32 v97, 8, v97
	s_delay_alu instid0(VALU_DEP_3)
	v_cmp_lt_u32_e32 vcc_lo, 1, v95
	s_or_b32 s1, vcc_lo, s1
	s_waitcnt vmcnt(0) lgkmcnt(0)
	v_fma_f64 v[1:2], v[98:99], v[100:101], v[1:2]
	s_and_not1_b32 exec_lo, exec_lo, s1
	s_cbranch_execnz .LBB107_21
; %bb.22:
	s_or_b32 exec_lo, exec_lo, s1
	v_mov_b32_e32 v95, 0
	ds_load_b64 v[95:96], v95 offset:24
	s_waitcnt lgkmcnt(0)
	v_mul_f64 v[1:2], v[1:2], v[95:96]
	scratch_store_b64 off, v[1:2], off offset:24
.LBB107_23:
	s_or_b32 exec_lo, exec_lo, s0
	s_waitcnt_vscnt null, 0x0
	s_barrier
	buffer_gl0_inv
	scratch_load_b64 v[1:2], off, off offset:32
	s_mov_b32 s0, exec_lo
	s_waitcnt vmcnt(0)
	ds_store_b64 v5, v[1:2]
	s_waitcnt lgkmcnt(0)
	s_barrier
	buffer_gl0_inv
	v_cmpx_gt_u32_e32 4, v0
	s_cbranch_execz .LBB107_27
; %bb.24:
	v_dual_mov_b32 v1, 0 :: v_dual_add_nc_u32 v96, 0x160, v3
	v_dual_mov_b32 v2, 0 :: v_dual_add_nc_u32 v95, -1, v0
	v_add_nc_u32_e32 v97, 0, v3
	s_mov_b32 s1, 0
.LBB107_25:                             ; =>This Inner Loop Header: Depth=1
	scratch_load_b64 v[98:99], v97, off
	ds_load_b64 v[100:101], v96
	v_add_nc_u32_e32 v95, 1, v95
	v_add_nc_u32_e32 v96, 8, v96
	v_add_nc_u32_e32 v97, 8, v97
	s_delay_alu instid0(VALU_DEP_3)
	v_cmp_lt_u32_e32 vcc_lo, 2, v95
	s_or_b32 s1, vcc_lo, s1
	s_waitcnt vmcnt(0) lgkmcnt(0)
	v_fma_f64 v[1:2], v[98:99], v[100:101], v[1:2]
	s_and_not1_b32 exec_lo, exec_lo, s1
	s_cbranch_execnz .LBB107_25
; %bb.26:
	s_or_b32 exec_lo, exec_lo, s1
	v_mov_b32_e32 v95, 0
	ds_load_b64 v[95:96], v95 offset:32
	s_waitcnt lgkmcnt(0)
	v_mul_f64 v[1:2], v[1:2], v[95:96]
	scratch_store_b64 off, v[1:2], off offset:32
.LBB107_27:
	s_or_b32 exec_lo, exec_lo, s0
	s_waitcnt_vscnt null, 0x0
	s_barrier
	buffer_gl0_inv
	scratch_load_b64 v[1:2], off, off offset:40
	;; [unrolled: 39-line block ×20, first 2 shown]
	s_mov_b32 s0, exec_lo
	s_waitcnt vmcnt(0)
	ds_store_b64 v5, v[1:2]
	s_waitcnt lgkmcnt(0)
	s_barrier
	buffer_gl0_inv
	v_cmpx_gt_u32_e32 23, v0
	s_cbranch_execz .LBB107_103
; %bb.100:
	v_dual_mov_b32 v1, 0 :: v_dual_add_nc_u32 v96, 0x160, v3
	v_dual_mov_b32 v2, 0 :: v_dual_add_nc_u32 v95, -1, v0
	v_add_nc_u32_e32 v97, 0, v3
	s_mov_b32 s1, 0
.LBB107_101:                            ; =>This Inner Loop Header: Depth=1
	scratch_load_b64 v[98:99], v97, off
	ds_load_b64 v[100:101], v96
	v_add_nc_u32_e32 v95, 1, v95
	v_add_nc_u32_e32 v96, 8, v96
	v_add_nc_u32_e32 v97, 8, v97
	s_delay_alu instid0(VALU_DEP_3)
	v_cmp_lt_u32_e32 vcc_lo, 21, v95
	s_or_b32 s1, vcc_lo, s1
	s_waitcnt vmcnt(0) lgkmcnt(0)
	v_fma_f64 v[1:2], v[98:99], v[100:101], v[1:2]
	s_and_not1_b32 exec_lo, exec_lo, s1
	s_cbranch_execnz .LBB107_101
; %bb.102:
	s_or_b32 exec_lo, exec_lo, s1
	v_mov_b32_e32 v95, 0
	ds_load_b64 v[95:96], v95 offset:184
	s_waitcnt lgkmcnt(0)
	v_mul_f64 v[1:2], v[1:2], v[95:96]
	scratch_store_b64 off, v[1:2], off offset:184
.LBB107_103:
	s_or_b32 exec_lo, exec_lo, s0
	s_waitcnt_vscnt null, 0x0
	s_barrier
	buffer_gl0_inv
	scratch_load_b64 v[1:2], off, off offset:192
	s_mov_b32 s0, exec_lo
	s_waitcnt vmcnt(0)
	ds_store_b64 v5, v[1:2]
	s_waitcnt lgkmcnt(0)
	s_barrier
	buffer_gl0_inv
	v_cmpx_gt_u32_e32 24, v0
	s_cbranch_execz .LBB107_107
; %bb.104:
	v_dual_mov_b32 v1, 0 :: v_dual_add_nc_u32 v96, 0x160, v3
	v_dual_mov_b32 v2, 0 :: v_dual_add_nc_u32 v95, -1, v0
	v_add_nc_u32_e32 v97, 0, v3
	s_mov_b32 s1, 0
.LBB107_105:                            ; =>This Inner Loop Header: Depth=1
	scratch_load_b64 v[98:99], v97, off
	ds_load_b64 v[100:101], v96
	v_add_nc_u32_e32 v95, 1, v95
	v_add_nc_u32_e32 v96, 8, v96
	v_add_nc_u32_e32 v97, 8, v97
	s_delay_alu instid0(VALU_DEP_3)
	v_cmp_lt_u32_e32 vcc_lo, 22, v95
	s_or_b32 s1, vcc_lo, s1
	s_waitcnt vmcnt(0) lgkmcnt(0)
	v_fma_f64 v[1:2], v[98:99], v[100:101], v[1:2]
	s_and_not1_b32 exec_lo, exec_lo, s1
	s_cbranch_execnz .LBB107_105
; %bb.106:
	s_or_b32 exec_lo, exec_lo, s1
	v_mov_b32_e32 v95, 0
	ds_load_b64 v[95:96], v95 offset:192
	s_waitcnt lgkmcnt(0)
	v_mul_f64 v[1:2], v[1:2], v[95:96]
	scratch_store_b64 off, v[1:2], off offset:192
.LBB107_107:
	s_or_b32 exec_lo, exec_lo, s0
	s_waitcnt_vscnt null, 0x0
	s_barrier
	buffer_gl0_inv
	scratch_load_b64 v[1:2], off, off offset:200
	;; [unrolled: 39-line block ×20, first 2 shown]
	s_mov_b32 s0, exec_lo
	s_waitcnt vmcnt(0)
	ds_store_b64 v5, v[1:2]
	s_waitcnt lgkmcnt(0)
	s_barrier
	buffer_gl0_inv
	v_cmpx_ne_u32_e32 43, v0
	s_cbranch_execz .LBB107_183
; %bb.180:
	v_mov_b32_e32 v1, 0
	v_mov_b32_e32 v2, 0
	s_mov_b32 s1, 0
.LBB107_181:                            ; =>This Inner Loop Header: Depth=1
	scratch_load_b64 v[95:96], v4, off
	ds_load_b64 v[97:98], v5
	v_add_nc_u32_e32 v94, 1, v94
	v_add_nc_u32_e32 v5, 8, v5
	;; [unrolled: 1-line block ×3, first 2 shown]
	s_delay_alu instid0(VALU_DEP_3)
	v_cmp_lt_u32_e32 vcc_lo, 41, v94
	s_or_b32 s1, vcc_lo, s1
	s_waitcnt vmcnt(0) lgkmcnt(0)
	v_fma_f64 v[1:2], v[95:96], v[97:98], v[1:2]
	s_and_not1_b32 exec_lo, exec_lo, s1
	s_cbranch_execnz .LBB107_181
; %bb.182:
	s_or_b32 exec_lo, exec_lo, s1
	v_mov_b32_e32 v3, 0
	ds_load_b64 v[3:4], v3 offset:344
	s_waitcnt lgkmcnt(0)
	v_mul_f64 v[1:2], v[1:2], v[3:4]
	scratch_store_b64 off, v[1:2], off offset:344
.LBB107_183:
	s_or_b32 exec_lo, exec_lo, s0
	s_mov_b32 s1, -1
	s_waitcnt_vscnt null, 0x0
	s_barrier
	buffer_gl0_inv
.LBB107_184:
	s_and_b32 vcc_lo, exec_lo, s1
	s_cbranch_vccz .LBB107_186
; %bb.185:
	s_lshl_b64 s[0:1], s[8:9], 2
	v_mov_b32_e32 v1, 0
	s_add_u32 s0, s6, s0
	s_addc_u32 s1, s7, s1
	global_load_b32 v1, v1, s[0:1]
	s_waitcnt vmcnt(0)
	v_cmp_ne_u32_e32 vcc_lo, 0, v1
	s_cbranch_vccz .LBB107_187
.LBB107_186:
	s_endpgm
.LBB107_187:
	v_lshl_add_u32 v3, v0, 3, 0x160
	s_mov_b32 s0, exec_lo
	v_cmpx_eq_u32_e32 43, v0
	s_cbranch_execz .LBB107_189
; %bb.188:
	scratch_load_b64 v[1:2], off, off offset:336
	v_mov_b32_e32 v4, 0
	s_delay_alu instid0(VALU_DEP_1)
	v_mov_b32_e32 v5, v4
	scratch_store_b64 off, v[4:5], off offset:336
	s_waitcnt vmcnt(0)
	ds_store_b64 v3, v[1:2]
.LBB107_189:
	s_or_b32 exec_lo, exec_lo, s0
	s_waitcnt lgkmcnt(0)
	s_waitcnt_vscnt null, 0x0
	s_barrier
	buffer_gl0_inv
	scratch_load_b128 v[94:97], off, off offset:336
	v_mov_b32_e32 v1, 0
	s_mov_b32 s0, exec_lo
	ds_load_b64 v[4:5], v1 offset:696
	s_waitcnt vmcnt(0) lgkmcnt(0)
	v_fma_f64 v[4:5], v[96:97], v[4:5], 0
	s_delay_alu instid0(VALU_DEP_1)
	v_add_f64 v[4:5], v[94:95], -v[4:5]
	scratch_store_b64 off, v[4:5], off offset:336
	v_cmpx_lt_u32_e32 41, v0
	s_cbranch_execz .LBB107_191
; %bb.190:
	scratch_load_b64 v[4:5], off, off offset:328
	v_mov_b32_e32 v2, v1
	scratch_store_b64 off, v[1:2], off offset:328
	s_waitcnt vmcnt(0)
	ds_store_b64 v3, v[4:5]
.LBB107_191:
	s_or_b32 exec_lo, exec_lo, s0
	s_waitcnt lgkmcnt(0)
	s_waitcnt_vscnt null, 0x0
	s_barrier
	buffer_gl0_inv
	s_clause 0x1
	scratch_load_b128 v[94:97], off, off offset:328
	scratch_load_b64 v[4:5], off, off offset:344
	ds_load_b128 v[98:101], v1 offset:688
	s_mov_b32 s0, exec_lo
	s_waitcnt vmcnt(1) lgkmcnt(0)
	v_fma_f64 v[1:2], v[96:97], v[98:99], 0
	s_waitcnt vmcnt(0)
	s_delay_alu instid0(VALU_DEP_1) | instskip(NEXT) | instid1(VALU_DEP_1)
	v_fma_f64 v[1:2], v[4:5], v[100:101], v[1:2]
	v_add_f64 v[1:2], v[94:95], -v[1:2]
	scratch_store_b64 off, v[1:2], off offset:328
	v_cmpx_lt_u32_e32 40, v0
	s_cbranch_execz .LBB107_193
; %bb.192:
	scratch_load_b64 v[1:2], off, off offset:320
	v_mov_b32_e32 v4, 0
	s_delay_alu instid0(VALU_DEP_1)
	v_mov_b32_e32 v5, v4
	scratch_store_b64 off, v[4:5], off offset:320
	s_waitcnt vmcnt(0)
	ds_store_b64 v3, v[1:2]
.LBB107_193:
	s_or_b32 exec_lo, exec_lo, s0
	s_waitcnt lgkmcnt(0)
	s_waitcnt_vscnt null, 0x0
	s_barrier
	buffer_gl0_inv
	s_clause 0x1
	scratch_load_b128 v[94:97], off, off offset:320
	scratch_load_b128 v[98:101], off, off offset:336
	v_mov_b32_e32 v1, 0
	ds_load_2addr_b64 v[102:105], v1 offset0:85 offset1:86
	ds_load_b64 v[4:5], v1 offset:696
	s_mov_b32 s0, exec_lo
	s_waitcnt vmcnt(1) lgkmcnt(1)
	v_fma_f64 v[96:97], v[96:97], v[102:103], 0
	s_waitcnt vmcnt(0)
	s_delay_alu instid0(VALU_DEP_1) | instskip(SKIP_1) | instid1(VALU_DEP_1)
	v_fma_f64 v[96:97], v[98:99], v[104:105], v[96:97]
	s_waitcnt lgkmcnt(0)
	v_fma_f64 v[4:5], v[100:101], v[4:5], v[96:97]
	s_delay_alu instid0(VALU_DEP_1)
	v_add_f64 v[4:5], v[94:95], -v[4:5]
	scratch_store_b64 off, v[4:5], off offset:320
	v_cmpx_lt_u32_e32 39, v0
	s_cbranch_execz .LBB107_195
; %bb.194:
	scratch_load_b64 v[4:5], off, off offset:312
	v_mov_b32_e32 v2, v1
	scratch_store_b64 off, v[1:2], off offset:312
	s_waitcnt vmcnt(0)
	ds_store_b64 v3, v[4:5]
.LBB107_195:
	s_or_b32 exec_lo, exec_lo, s0
	s_waitcnt lgkmcnt(0)
	s_waitcnt_vscnt null, 0x0
	s_barrier
	buffer_gl0_inv
	s_clause 0x2
	scratch_load_b128 v[94:97], off, off offset:312
	scratch_load_b128 v[98:101], off, off offset:328
	scratch_load_b64 v[4:5], off, off offset:344
	ds_load_b128 v[102:105], v1 offset:672
	ds_load_b128 v[106:109], v1 offset:688
	s_mov_b32 s0, exec_lo
	s_waitcnt vmcnt(2) lgkmcnt(1)
	v_fma_f64 v[1:2], v[96:97], v[102:103], 0
	s_waitcnt vmcnt(1)
	s_delay_alu instid0(VALU_DEP_1) | instskip(SKIP_1) | instid1(VALU_DEP_1)
	v_fma_f64 v[1:2], v[98:99], v[104:105], v[1:2]
	s_waitcnt lgkmcnt(0)
	v_fma_f64 v[1:2], v[100:101], v[106:107], v[1:2]
	s_waitcnt vmcnt(0)
	s_delay_alu instid0(VALU_DEP_1) | instskip(NEXT) | instid1(VALU_DEP_1)
	v_fma_f64 v[1:2], v[4:5], v[108:109], v[1:2]
	v_add_f64 v[1:2], v[94:95], -v[1:2]
	scratch_store_b64 off, v[1:2], off offset:312
	v_cmpx_lt_u32_e32 38, v0
	s_cbranch_execz .LBB107_197
; %bb.196:
	scratch_load_b64 v[1:2], off, off offset:304
	v_mov_b32_e32 v4, 0
	s_delay_alu instid0(VALU_DEP_1)
	v_mov_b32_e32 v5, v4
	scratch_store_b64 off, v[4:5], off offset:304
	s_waitcnt vmcnt(0)
	ds_store_b64 v3, v[1:2]
.LBB107_197:
	s_or_b32 exec_lo, exec_lo, s0
	s_waitcnt lgkmcnt(0)
	s_waitcnt_vscnt null, 0x0
	s_barrier
	buffer_gl0_inv
	s_clause 0x2
	scratch_load_b128 v[94:97], off, off offset:304
	scratch_load_b128 v[98:101], off, off offset:320
	;; [unrolled: 1-line block ×3, first 2 shown]
	v_mov_b32_e32 v1, 0
	ds_load_2addr_b64 v[106:109], v1 offset0:83 offset1:84
	ds_load_2addr_b64 v[110:113], v1 offset0:85 offset1:86
	s_mov_b32 s0, exec_lo
	s_waitcnt vmcnt(2) lgkmcnt(1)
	v_fma_f64 v[4:5], v[96:97], v[106:107], 0
	ds_load_b64 v[96:97], v1 offset:696
	s_waitcnt vmcnt(1)
	v_fma_f64 v[4:5], v[98:99], v[108:109], v[4:5]
	s_waitcnt lgkmcnt(1)
	s_delay_alu instid0(VALU_DEP_1) | instskip(SKIP_1) | instid1(VALU_DEP_1)
	v_fma_f64 v[4:5], v[100:101], v[110:111], v[4:5]
	s_waitcnt vmcnt(0)
	v_fma_f64 v[4:5], v[102:103], v[112:113], v[4:5]
	s_waitcnt lgkmcnt(0)
	s_delay_alu instid0(VALU_DEP_1) | instskip(NEXT) | instid1(VALU_DEP_1)
	v_fma_f64 v[4:5], v[104:105], v[96:97], v[4:5]
	v_add_f64 v[4:5], v[94:95], -v[4:5]
	scratch_store_b64 off, v[4:5], off offset:304
	v_cmpx_lt_u32_e32 37, v0
	s_cbranch_execz .LBB107_199
; %bb.198:
	scratch_load_b64 v[4:5], off, off offset:296
	v_mov_b32_e32 v2, v1
	scratch_store_b64 off, v[1:2], off offset:296
	s_waitcnt vmcnt(0)
	ds_store_b64 v3, v[4:5]
.LBB107_199:
	s_or_b32 exec_lo, exec_lo, s0
	s_waitcnt lgkmcnt(0)
	s_waitcnt_vscnt null, 0x0
	s_barrier
	buffer_gl0_inv
	s_clause 0x3
	scratch_load_b128 v[94:97], off, off offset:296
	scratch_load_b128 v[98:101], off, off offset:312
	scratch_load_b128 v[102:105], off, off offset:328
	scratch_load_b64 v[4:5], off, off offset:344
	ds_load_b128 v[106:109], v1 offset:656
	ds_load_b128 v[110:113], v1 offset:672
	s_mov_b32 s0, exec_lo
	s_waitcnt vmcnt(3) lgkmcnt(1)
	v_fma_f64 v[96:97], v[96:97], v[106:107], 0
	s_waitcnt vmcnt(2)
	s_delay_alu instid0(VALU_DEP_1) | instskip(SKIP_1) | instid1(VALU_DEP_1)
	v_fma_f64 v[96:97], v[98:99], v[108:109], v[96:97]
	s_waitcnt lgkmcnt(0)
	v_fma_f64 v[96:97], v[100:101], v[110:111], v[96:97]
	s_waitcnt vmcnt(1)
	s_delay_alu instid0(VALU_DEP_1) | instskip(SKIP_4) | instid1(VALU_DEP_1)
	v_fma_f64 v[100:101], v[102:103], v[112:113], v[96:97]
	ds_load_b128 v[96:99], v1 offset:688
	s_waitcnt lgkmcnt(0)
	v_fma_f64 v[1:2], v[104:105], v[96:97], v[100:101]
	s_waitcnt vmcnt(0)
	v_fma_f64 v[1:2], v[4:5], v[98:99], v[1:2]
	s_delay_alu instid0(VALU_DEP_1)
	v_add_f64 v[1:2], v[94:95], -v[1:2]
	scratch_store_b64 off, v[1:2], off offset:296
	v_cmpx_lt_u32_e32 36, v0
	s_cbranch_execz .LBB107_201
; %bb.200:
	scratch_load_b64 v[1:2], off, off offset:288
	v_mov_b32_e32 v4, 0
	s_delay_alu instid0(VALU_DEP_1)
	v_mov_b32_e32 v5, v4
	scratch_store_b64 off, v[4:5], off offset:288
	s_waitcnt vmcnt(0)
	ds_store_b64 v3, v[1:2]
.LBB107_201:
	s_or_b32 exec_lo, exec_lo, s0
	s_waitcnt lgkmcnt(0)
	s_waitcnt_vscnt null, 0x0
	s_barrier
	buffer_gl0_inv
	s_clause 0x3
	scratch_load_b128 v[94:97], off, off offset:288
	scratch_load_b128 v[98:101], off, off offset:304
	;; [unrolled: 1-line block ×4, first 2 shown]
	v_mov_b32_e32 v1, 0
	ds_load_2addr_b64 v[110:113], v1 offset0:81 offset1:82
	ds_load_2addr_b64 v[114:117], v1 offset0:83 offset1:84
	s_mov_b32 s0, exec_lo
	s_waitcnt vmcnt(3) lgkmcnt(1)
	v_fma_f64 v[4:5], v[96:97], v[110:111], 0
	s_waitcnt vmcnt(2)
	s_delay_alu instid0(VALU_DEP_1) | instskip(SKIP_1) | instid1(VALU_DEP_1)
	v_fma_f64 v[4:5], v[98:99], v[112:113], v[4:5]
	s_waitcnt lgkmcnt(0)
	v_fma_f64 v[4:5], v[100:101], v[114:115], v[4:5]
	ds_load_2addr_b64 v[96:99], v1 offset0:85 offset1:86
	ds_load_b64 v[100:101], v1 offset:696
	s_waitcnt vmcnt(1)
	v_fma_f64 v[4:5], v[102:103], v[116:117], v[4:5]
	s_waitcnt lgkmcnt(1)
	s_delay_alu instid0(VALU_DEP_1) | instskip(SKIP_1) | instid1(VALU_DEP_1)
	v_fma_f64 v[4:5], v[104:105], v[96:97], v[4:5]
	s_waitcnt vmcnt(0)
	v_fma_f64 v[4:5], v[106:107], v[98:99], v[4:5]
	s_waitcnt lgkmcnt(0)
	s_delay_alu instid0(VALU_DEP_1) | instskip(NEXT) | instid1(VALU_DEP_1)
	v_fma_f64 v[4:5], v[108:109], v[100:101], v[4:5]
	v_add_f64 v[4:5], v[94:95], -v[4:5]
	scratch_store_b64 off, v[4:5], off offset:288
	v_cmpx_lt_u32_e32 35, v0
	s_cbranch_execz .LBB107_203
; %bb.202:
	scratch_load_b64 v[4:5], off, off offset:280
	v_mov_b32_e32 v2, v1
	scratch_store_b64 off, v[1:2], off offset:280
	s_waitcnt vmcnt(0)
	ds_store_b64 v3, v[4:5]
.LBB107_203:
	s_or_b32 exec_lo, exec_lo, s0
	s_waitcnt lgkmcnt(0)
	s_waitcnt_vscnt null, 0x0
	s_barrier
	buffer_gl0_inv
	s_clause 0x4
	scratch_load_b128 v[94:97], off, off offset:280
	scratch_load_b128 v[98:101], off, off offset:296
	;; [unrolled: 1-line block ×4, first 2 shown]
	scratch_load_b64 v[4:5], off, off offset:344
	ds_load_b128 v[110:113], v1 offset:640
	ds_load_b128 v[114:117], v1 offset:656
	s_mov_b32 s0, exec_lo
	s_waitcnt vmcnt(4) lgkmcnt(1)
	v_fma_f64 v[96:97], v[96:97], v[110:111], 0
	s_waitcnt vmcnt(3)
	s_delay_alu instid0(VALU_DEP_1) | instskip(SKIP_1) | instid1(VALU_DEP_1)
	v_fma_f64 v[96:97], v[98:99], v[112:113], v[96:97]
	s_waitcnt lgkmcnt(0)
	v_fma_f64 v[96:97], v[100:101], v[114:115], v[96:97]
	s_waitcnt vmcnt(2)
	s_delay_alu instid0(VALU_DEP_1)
	v_fma_f64 v[110:111], v[102:103], v[116:117], v[96:97]
	ds_load_b128 v[96:99], v1 offset:672
	ds_load_b128 v[100:103], v1 offset:688
	s_waitcnt lgkmcnt(1)
	v_fma_f64 v[1:2], v[104:105], v[96:97], v[110:111]
	s_waitcnt vmcnt(1)
	s_delay_alu instid0(VALU_DEP_1) | instskip(SKIP_1) | instid1(VALU_DEP_1)
	v_fma_f64 v[1:2], v[106:107], v[98:99], v[1:2]
	s_waitcnt lgkmcnt(0)
	v_fma_f64 v[1:2], v[108:109], v[100:101], v[1:2]
	s_waitcnt vmcnt(0)
	s_delay_alu instid0(VALU_DEP_1) | instskip(NEXT) | instid1(VALU_DEP_1)
	v_fma_f64 v[1:2], v[4:5], v[102:103], v[1:2]
	v_add_f64 v[1:2], v[94:95], -v[1:2]
	scratch_store_b64 off, v[1:2], off offset:280
	v_cmpx_lt_u32_e32 34, v0
	s_cbranch_execz .LBB107_205
; %bb.204:
	scratch_load_b64 v[1:2], off, off offset:272
	v_mov_b32_e32 v4, 0
	s_delay_alu instid0(VALU_DEP_1)
	v_mov_b32_e32 v5, v4
	scratch_store_b64 off, v[4:5], off offset:272
	s_waitcnt vmcnt(0)
	ds_store_b64 v3, v[1:2]
.LBB107_205:
	s_or_b32 exec_lo, exec_lo, s0
	s_waitcnt lgkmcnt(0)
	s_waitcnt_vscnt null, 0x0
	s_barrier
	buffer_gl0_inv
	s_clause 0x4
	scratch_load_b128 v[94:97], off, off offset:272
	scratch_load_b128 v[98:101], off, off offset:288
	;; [unrolled: 1-line block ×5, first 2 shown]
	v_mov_b32_e32 v1, 0
	s_mov_b32 s0, exec_lo
	ds_load_2addr_b64 v[114:117], v1 offset0:79 offset1:80
	s_waitcnt vmcnt(4) lgkmcnt(0)
	v_fma_f64 v[4:5], v[96:97], v[114:115], 0
	s_waitcnt vmcnt(3)
	s_delay_alu instid0(VALU_DEP_1) | instskip(SKIP_4) | instid1(VALU_DEP_1)
	v_fma_f64 v[4:5], v[98:99], v[116:117], v[4:5]
	ds_load_2addr_b64 v[96:99], v1 offset0:81 offset1:82
	s_waitcnt lgkmcnt(0)
	v_fma_f64 v[4:5], v[100:101], v[96:97], v[4:5]
	s_waitcnt vmcnt(2)
	v_fma_f64 v[4:5], v[102:103], v[98:99], v[4:5]
	ds_load_2addr_b64 v[96:99], v1 offset0:83 offset1:84
	s_waitcnt lgkmcnt(0)
	v_fma_f64 v[4:5], v[104:105], v[96:97], v[4:5]
	s_waitcnt vmcnt(1)
	s_delay_alu instid0(VALU_DEP_1)
	v_fma_f64 v[4:5], v[106:107], v[98:99], v[4:5]
	ds_load_2addr_b64 v[96:99], v1 offset0:85 offset1:86
	s_waitcnt lgkmcnt(0)
	v_fma_f64 v[4:5], v[108:109], v[96:97], v[4:5]
	ds_load_b64 v[96:97], v1 offset:696
	s_waitcnt vmcnt(0)
	v_fma_f64 v[4:5], v[110:111], v[98:99], v[4:5]
	s_waitcnt lgkmcnt(0)
	s_delay_alu instid0(VALU_DEP_1) | instskip(NEXT) | instid1(VALU_DEP_1)
	v_fma_f64 v[4:5], v[112:113], v[96:97], v[4:5]
	v_add_f64 v[4:5], v[94:95], -v[4:5]
	scratch_store_b64 off, v[4:5], off offset:272
	v_cmpx_lt_u32_e32 33, v0
	s_cbranch_execz .LBB107_207
; %bb.206:
	scratch_load_b64 v[4:5], off, off offset:264
	v_mov_b32_e32 v2, v1
	scratch_store_b64 off, v[1:2], off offset:264
	s_waitcnt vmcnt(0)
	ds_store_b64 v3, v[4:5]
.LBB107_207:
	s_or_b32 exec_lo, exec_lo, s0
	s_waitcnt lgkmcnt(0)
	s_waitcnt_vscnt null, 0x0
	s_barrier
	buffer_gl0_inv
	s_clause 0x4
	scratch_load_b128 v[94:97], off, off offset:264
	scratch_load_b128 v[98:101], off, off offset:280
	scratch_load_b128 v[102:105], off, off offset:296
	scratch_load_b128 v[106:109], off, off offset:312
	scratch_load_b128 v[110:113], off, off offset:328
	ds_load_b128 v[114:117], v1 offset:624
	s_mov_b32 s0, exec_lo
	s_waitcnt vmcnt(4) lgkmcnt(0)
	v_fma_f64 v[4:5], v[96:97], v[114:115], 0
	scratch_load_b64 v[114:115], off, off offset:344
	s_waitcnt vmcnt(4)
	v_fma_f64 v[4:5], v[98:99], v[116:117], v[4:5]
	ds_load_b128 v[96:99], v1 offset:640
	s_waitcnt lgkmcnt(0)
	v_fma_f64 v[4:5], v[100:101], v[96:97], v[4:5]
	s_waitcnt vmcnt(3)
	s_delay_alu instid0(VALU_DEP_1) | instskip(SKIP_4) | instid1(VALU_DEP_1)
	v_fma_f64 v[4:5], v[102:103], v[98:99], v[4:5]
	ds_load_b128 v[96:99], v1 offset:656
	s_waitcnt lgkmcnt(0)
	v_fma_f64 v[4:5], v[104:105], v[96:97], v[4:5]
	s_waitcnt vmcnt(2)
	v_fma_f64 v[4:5], v[106:107], v[98:99], v[4:5]
	ds_load_b128 v[96:99], v1 offset:672
	s_waitcnt lgkmcnt(0)
	v_fma_f64 v[4:5], v[108:109], v[96:97], v[4:5]
	s_waitcnt vmcnt(1)
	s_delay_alu instid0(VALU_DEP_1) | instskip(SKIP_4) | instid1(VALU_DEP_1)
	v_fma_f64 v[4:5], v[110:111], v[98:99], v[4:5]
	ds_load_b128 v[96:99], v1 offset:688
	s_waitcnt lgkmcnt(0)
	v_fma_f64 v[1:2], v[112:113], v[96:97], v[4:5]
	s_waitcnt vmcnt(0)
	v_fma_f64 v[1:2], v[114:115], v[98:99], v[1:2]
	s_delay_alu instid0(VALU_DEP_1)
	v_add_f64 v[1:2], v[94:95], -v[1:2]
	scratch_store_b64 off, v[1:2], off offset:264
	v_cmpx_lt_u32_e32 32, v0
	s_cbranch_execz .LBB107_209
; %bb.208:
	scratch_load_b64 v[1:2], off, off offset:256
	v_mov_b32_e32 v4, 0
	s_delay_alu instid0(VALU_DEP_1)
	v_mov_b32_e32 v5, v4
	scratch_store_b64 off, v[4:5], off offset:256
	s_waitcnt vmcnt(0)
	ds_store_b64 v3, v[1:2]
.LBB107_209:
	s_or_b32 exec_lo, exec_lo, s0
	s_waitcnt lgkmcnt(0)
	s_waitcnt_vscnt null, 0x0
	s_barrier
	buffer_gl0_inv
	s_clause 0x4
	scratch_load_b128 v[94:97], off, off offset:256
	scratch_load_b128 v[98:101], off, off offset:272
	;; [unrolled: 1-line block ×5, first 2 shown]
	v_mov_b32_e32 v1, 0
	scratch_load_b128 v[118:121], off, off offset:336
	s_mov_b32 s0, exec_lo
	ds_load_2addr_b64 v[114:117], v1 offset0:77 offset1:78
	s_waitcnt vmcnt(5) lgkmcnt(0)
	v_fma_f64 v[4:5], v[96:97], v[114:115], 0
	s_waitcnt vmcnt(4)
	s_delay_alu instid0(VALU_DEP_1) | instskip(SKIP_4) | instid1(VALU_DEP_1)
	v_fma_f64 v[4:5], v[98:99], v[116:117], v[4:5]
	ds_load_2addr_b64 v[96:99], v1 offset0:79 offset1:80
	s_waitcnt lgkmcnt(0)
	v_fma_f64 v[4:5], v[100:101], v[96:97], v[4:5]
	s_waitcnt vmcnt(3)
	v_fma_f64 v[4:5], v[102:103], v[98:99], v[4:5]
	ds_load_2addr_b64 v[96:99], v1 offset0:81 offset1:82
	s_waitcnt lgkmcnt(0)
	v_fma_f64 v[4:5], v[104:105], v[96:97], v[4:5]
	s_waitcnt vmcnt(2)
	s_delay_alu instid0(VALU_DEP_1) | instskip(SKIP_4) | instid1(VALU_DEP_1)
	v_fma_f64 v[4:5], v[106:107], v[98:99], v[4:5]
	ds_load_2addr_b64 v[96:99], v1 offset0:83 offset1:84
	s_waitcnt lgkmcnt(0)
	v_fma_f64 v[4:5], v[108:109], v[96:97], v[4:5]
	s_waitcnt vmcnt(1)
	v_fma_f64 v[4:5], v[110:111], v[98:99], v[4:5]
	ds_load_2addr_b64 v[96:99], v1 offset0:85 offset1:86
	s_waitcnt lgkmcnt(0)
	v_fma_f64 v[4:5], v[112:113], v[96:97], v[4:5]
	ds_load_b64 v[96:97], v1 offset:696
	s_waitcnt vmcnt(0)
	v_fma_f64 v[4:5], v[118:119], v[98:99], v[4:5]
	s_waitcnt lgkmcnt(0)
	s_delay_alu instid0(VALU_DEP_1) | instskip(NEXT) | instid1(VALU_DEP_1)
	v_fma_f64 v[4:5], v[120:121], v[96:97], v[4:5]
	v_add_f64 v[4:5], v[94:95], -v[4:5]
	scratch_store_b64 off, v[4:5], off offset:256
	v_cmpx_lt_u32_e32 31, v0
	s_cbranch_execz .LBB107_211
; %bb.210:
	scratch_load_b64 v[4:5], off, off offset:248
	v_mov_b32_e32 v2, v1
	scratch_store_b64 off, v[1:2], off offset:248
	s_waitcnt vmcnt(0)
	ds_store_b64 v3, v[4:5]
.LBB107_211:
	s_or_b32 exec_lo, exec_lo, s0
	s_waitcnt lgkmcnt(0)
	s_waitcnt_vscnt null, 0x0
	s_barrier
	buffer_gl0_inv
	s_clause 0x4
	scratch_load_b128 v[94:97], off, off offset:248
	scratch_load_b128 v[98:101], off, off offset:264
	;; [unrolled: 1-line block ×5, first 2 shown]
	ds_load_b128 v[114:117], v1 offset:608
	scratch_load_b128 v[118:121], off, off offset:328
	s_mov_b32 s0, exec_lo
	s_waitcnt vmcnt(5) lgkmcnt(0)
	v_fma_f64 v[4:5], v[96:97], v[114:115], 0
	s_waitcnt vmcnt(4)
	s_delay_alu instid0(VALU_DEP_1)
	v_fma_f64 v[4:5], v[98:99], v[116:117], v[4:5]
	ds_load_b128 v[96:99], v1 offset:624
	s_waitcnt lgkmcnt(0)
	v_fma_f64 v[4:5], v[100:101], v[96:97], v[4:5]
	scratch_load_b64 v[100:101], off, off offset:344
	s_waitcnt vmcnt(4)
	v_fma_f64 v[4:5], v[102:103], v[98:99], v[4:5]
	ds_load_b128 v[96:99], v1 offset:640
	s_waitcnt lgkmcnt(0)
	v_fma_f64 v[4:5], v[104:105], v[96:97], v[4:5]
	s_waitcnt vmcnt(3)
	s_delay_alu instid0(VALU_DEP_1) | instskip(SKIP_4) | instid1(VALU_DEP_1)
	v_fma_f64 v[4:5], v[106:107], v[98:99], v[4:5]
	ds_load_b128 v[96:99], v1 offset:656
	s_waitcnt lgkmcnt(0)
	v_fma_f64 v[4:5], v[108:109], v[96:97], v[4:5]
	s_waitcnt vmcnt(2)
	v_fma_f64 v[4:5], v[110:111], v[98:99], v[4:5]
	ds_load_b128 v[96:99], v1 offset:672
	s_waitcnt lgkmcnt(0)
	v_fma_f64 v[4:5], v[112:113], v[96:97], v[4:5]
	s_waitcnt vmcnt(1)
	s_delay_alu instid0(VALU_DEP_1) | instskip(SKIP_4) | instid1(VALU_DEP_1)
	v_fma_f64 v[4:5], v[118:119], v[98:99], v[4:5]
	ds_load_b128 v[96:99], v1 offset:688
	s_waitcnt lgkmcnt(0)
	v_fma_f64 v[1:2], v[120:121], v[96:97], v[4:5]
	s_waitcnt vmcnt(0)
	v_fma_f64 v[1:2], v[100:101], v[98:99], v[1:2]
	s_delay_alu instid0(VALU_DEP_1)
	v_add_f64 v[1:2], v[94:95], -v[1:2]
	scratch_store_b64 off, v[1:2], off offset:248
	v_cmpx_lt_u32_e32 30, v0
	s_cbranch_execz .LBB107_213
; %bb.212:
	scratch_load_b64 v[1:2], off, off offset:240
	v_mov_b32_e32 v4, 0
	s_delay_alu instid0(VALU_DEP_1)
	v_mov_b32_e32 v5, v4
	scratch_store_b64 off, v[4:5], off offset:240
	s_waitcnt vmcnt(0)
	ds_store_b64 v3, v[1:2]
.LBB107_213:
	s_or_b32 exec_lo, exec_lo, s0
	s_waitcnt lgkmcnt(0)
	s_waitcnt_vscnt null, 0x0
	s_barrier
	buffer_gl0_inv
	s_clause 0x4
	scratch_load_b128 v[94:97], off, off offset:240
	scratch_load_b128 v[98:101], off, off offset:256
	;; [unrolled: 1-line block ×5, first 2 shown]
	v_mov_b32_e32 v1, 0
	scratch_load_b128 v[118:121], off, off offset:320
	s_mov_b32 s0, exec_lo
	ds_load_2addr_b64 v[114:117], v1 offset0:75 offset1:76
	s_waitcnt vmcnt(5) lgkmcnt(0)
	v_fma_f64 v[4:5], v[96:97], v[114:115], 0
	s_waitcnt vmcnt(4)
	s_delay_alu instid0(VALU_DEP_1)
	v_fma_f64 v[4:5], v[98:99], v[116:117], v[4:5]
	scratch_load_b128 v[114:117], off, off offset:336
	ds_load_2addr_b64 v[96:99], v1 offset0:77 offset1:78
	s_waitcnt lgkmcnt(0)
	v_fma_f64 v[4:5], v[100:101], v[96:97], v[4:5]
	s_waitcnt vmcnt(4)
	s_delay_alu instid0(VALU_DEP_1) | instskip(SKIP_4) | instid1(VALU_DEP_1)
	v_fma_f64 v[4:5], v[102:103], v[98:99], v[4:5]
	ds_load_2addr_b64 v[96:99], v1 offset0:79 offset1:80
	s_waitcnt lgkmcnt(0)
	v_fma_f64 v[4:5], v[104:105], v[96:97], v[4:5]
	s_waitcnt vmcnt(3)
	v_fma_f64 v[4:5], v[106:107], v[98:99], v[4:5]
	ds_load_2addr_b64 v[96:99], v1 offset0:81 offset1:82
	s_waitcnt lgkmcnt(0)
	v_fma_f64 v[4:5], v[108:109], v[96:97], v[4:5]
	s_waitcnt vmcnt(2)
	s_delay_alu instid0(VALU_DEP_1) | instskip(SKIP_4) | instid1(VALU_DEP_1)
	v_fma_f64 v[4:5], v[110:111], v[98:99], v[4:5]
	ds_load_2addr_b64 v[96:99], v1 offset0:83 offset1:84
	s_waitcnt lgkmcnt(0)
	v_fma_f64 v[4:5], v[112:113], v[96:97], v[4:5]
	s_waitcnt vmcnt(1)
	v_fma_f64 v[4:5], v[118:119], v[98:99], v[4:5]
	ds_load_2addr_b64 v[96:99], v1 offset0:85 offset1:86
	s_waitcnt lgkmcnt(0)
	v_fma_f64 v[4:5], v[120:121], v[96:97], v[4:5]
	ds_load_b64 v[96:97], v1 offset:696
	s_waitcnt vmcnt(0)
	v_fma_f64 v[4:5], v[114:115], v[98:99], v[4:5]
	s_waitcnt lgkmcnt(0)
	s_delay_alu instid0(VALU_DEP_1) | instskip(NEXT) | instid1(VALU_DEP_1)
	v_fma_f64 v[4:5], v[116:117], v[96:97], v[4:5]
	v_add_f64 v[4:5], v[94:95], -v[4:5]
	scratch_store_b64 off, v[4:5], off offset:240
	v_cmpx_lt_u32_e32 29, v0
	s_cbranch_execz .LBB107_215
; %bb.214:
	scratch_load_b64 v[4:5], off, off offset:232
	v_mov_b32_e32 v2, v1
	scratch_store_b64 off, v[1:2], off offset:232
	s_waitcnt vmcnt(0)
	ds_store_b64 v3, v[4:5]
.LBB107_215:
	s_or_b32 exec_lo, exec_lo, s0
	s_waitcnt lgkmcnt(0)
	s_waitcnt_vscnt null, 0x0
	s_barrier
	buffer_gl0_inv
	s_clause 0x4
	scratch_load_b128 v[94:97], off, off offset:232
	scratch_load_b128 v[98:101], off, off offset:248
	;; [unrolled: 1-line block ×5, first 2 shown]
	ds_load_b128 v[114:117], v1 offset:592
	scratch_load_b128 v[118:121], off, off offset:312
	s_mov_b32 s0, exec_lo
	s_waitcnt vmcnt(5) lgkmcnt(0)
	v_fma_f64 v[4:5], v[96:97], v[114:115], 0
	s_waitcnt vmcnt(4)
	s_delay_alu instid0(VALU_DEP_1)
	v_fma_f64 v[4:5], v[98:99], v[116:117], v[4:5]
	scratch_load_b128 v[114:117], off, off offset:328
	ds_load_b128 v[96:99], v1 offset:608
	s_waitcnt lgkmcnt(0)
	v_fma_f64 v[4:5], v[100:101], v[96:97], v[4:5]
	scratch_load_b64 v[100:101], off, off offset:344
	s_waitcnt vmcnt(5)
	v_fma_f64 v[4:5], v[102:103], v[98:99], v[4:5]
	ds_load_b128 v[96:99], v1 offset:624
	s_waitcnt lgkmcnt(0)
	v_fma_f64 v[4:5], v[104:105], v[96:97], v[4:5]
	s_waitcnt vmcnt(4)
	s_delay_alu instid0(VALU_DEP_1) | instskip(SKIP_4) | instid1(VALU_DEP_1)
	v_fma_f64 v[4:5], v[106:107], v[98:99], v[4:5]
	ds_load_b128 v[96:99], v1 offset:640
	s_waitcnt lgkmcnt(0)
	v_fma_f64 v[4:5], v[108:109], v[96:97], v[4:5]
	s_waitcnt vmcnt(3)
	v_fma_f64 v[4:5], v[110:111], v[98:99], v[4:5]
	ds_load_b128 v[96:99], v1 offset:656
	s_waitcnt lgkmcnt(0)
	v_fma_f64 v[4:5], v[112:113], v[96:97], v[4:5]
	s_waitcnt vmcnt(2)
	s_delay_alu instid0(VALU_DEP_1) | instskip(SKIP_4) | instid1(VALU_DEP_1)
	v_fma_f64 v[4:5], v[118:119], v[98:99], v[4:5]
	ds_load_b128 v[96:99], v1 offset:672
	s_waitcnt lgkmcnt(0)
	v_fma_f64 v[4:5], v[120:121], v[96:97], v[4:5]
	s_waitcnt vmcnt(1)
	v_fma_f64 v[4:5], v[114:115], v[98:99], v[4:5]
	ds_load_b128 v[96:99], v1 offset:688
	s_waitcnt lgkmcnt(0)
	v_fma_f64 v[1:2], v[116:117], v[96:97], v[4:5]
	s_waitcnt vmcnt(0)
	s_delay_alu instid0(VALU_DEP_1) | instskip(NEXT) | instid1(VALU_DEP_1)
	v_fma_f64 v[1:2], v[100:101], v[98:99], v[1:2]
	v_add_f64 v[1:2], v[94:95], -v[1:2]
	scratch_store_b64 off, v[1:2], off offset:232
	v_cmpx_lt_u32_e32 28, v0
	s_cbranch_execz .LBB107_217
; %bb.216:
	scratch_load_b64 v[1:2], off, off offset:224
	v_mov_b32_e32 v4, 0
	s_delay_alu instid0(VALU_DEP_1)
	v_mov_b32_e32 v5, v4
	scratch_store_b64 off, v[4:5], off offset:224
	s_waitcnt vmcnt(0)
	ds_store_b64 v3, v[1:2]
.LBB107_217:
	s_or_b32 exec_lo, exec_lo, s0
	s_waitcnt lgkmcnt(0)
	s_waitcnt_vscnt null, 0x0
	s_barrier
	buffer_gl0_inv
	s_clause 0x4
	scratch_load_b128 v[94:97], off, off offset:224
	scratch_load_b128 v[98:101], off, off offset:240
	;; [unrolled: 1-line block ×5, first 2 shown]
	v_mov_b32_e32 v1, 0
	scratch_load_b128 v[118:121], off, off offset:304
	s_mov_b32 s0, exec_lo
	ds_load_2addr_b64 v[114:117], v1 offset0:73 offset1:74
	s_waitcnt vmcnt(5) lgkmcnt(0)
	v_fma_f64 v[4:5], v[96:97], v[114:115], 0
	s_waitcnt vmcnt(4)
	s_delay_alu instid0(VALU_DEP_1)
	v_fma_f64 v[4:5], v[98:99], v[116:117], v[4:5]
	scratch_load_b128 v[114:117], off, off offset:320
	ds_load_2addr_b64 v[96:99], v1 offset0:75 offset1:76
	s_waitcnt lgkmcnt(0)
	v_fma_f64 v[4:5], v[100:101], v[96:97], v[4:5]
	s_waitcnt vmcnt(4)
	s_delay_alu instid0(VALU_DEP_1)
	v_fma_f64 v[4:5], v[102:103], v[98:99], v[4:5]
	ds_load_2addr_b64 v[96:99], v1 offset0:77 offset1:78
	scratch_load_b128 v[100:103], off, off offset:336
	s_waitcnt lgkmcnt(0)
	v_fma_f64 v[4:5], v[104:105], v[96:97], v[4:5]
	s_waitcnt vmcnt(4)
	s_delay_alu instid0(VALU_DEP_1) | instskip(SKIP_4) | instid1(VALU_DEP_1)
	v_fma_f64 v[4:5], v[106:107], v[98:99], v[4:5]
	ds_load_2addr_b64 v[96:99], v1 offset0:79 offset1:80
	s_waitcnt lgkmcnt(0)
	v_fma_f64 v[4:5], v[108:109], v[96:97], v[4:5]
	s_waitcnt vmcnt(3)
	v_fma_f64 v[4:5], v[110:111], v[98:99], v[4:5]
	ds_load_2addr_b64 v[96:99], v1 offset0:81 offset1:82
	s_waitcnt lgkmcnt(0)
	v_fma_f64 v[4:5], v[112:113], v[96:97], v[4:5]
	s_waitcnt vmcnt(2)
	s_delay_alu instid0(VALU_DEP_1) | instskip(SKIP_4) | instid1(VALU_DEP_1)
	v_fma_f64 v[4:5], v[118:119], v[98:99], v[4:5]
	ds_load_2addr_b64 v[96:99], v1 offset0:83 offset1:84
	s_waitcnt lgkmcnt(0)
	v_fma_f64 v[4:5], v[120:121], v[96:97], v[4:5]
	s_waitcnt vmcnt(1)
	v_fma_f64 v[4:5], v[114:115], v[98:99], v[4:5]
	ds_load_2addr_b64 v[96:99], v1 offset0:85 offset1:86
	s_waitcnt lgkmcnt(0)
	v_fma_f64 v[4:5], v[116:117], v[96:97], v[4:5]
	ds_load_b64 v[96:97], v1 offset:696
	s_waitcnt vmcnt(0)
	v_fma_f64 v[4:5], v[100:101], v[98:99], v[4:5]
	s_waitcnt lgkmcnt(0)
	s_delay_alu instid0(VALU_DEP_1) | instskip(NEXT) | instid1(VALU_DEP_1)
	v_fma_f64 v[4:5], v[102:103], v[96:97], v[4:5]
	v_add_f64 v[4:5], v[94:95], -v[4:5]
	scratch_store_b64 off, v[4:5], off offset:224
	v_cmpx_lt_u32_e32 27, v0
	s_cbranch_execz .LBB107_219
; %bb.218:
	scratch_load_b64 v[4:5], off, off offset:216
	v_mov_b32_e32 v2, v1
	scratch_store_b64 off, v[1:2], off offset:216
	s_waitcnt vmcnt(0)
	ds_store_b64 v3, v[4:5]
.LBB107_219:
	s_or_b32 exec_lo, exec_lo, s0
	s_waitcnt lgkmcnt(0)
	s_waitcnt_vscnt null, 0x0
	s_barrier
	buffer_gl0_inv
	s_clause 0x4
	scratch_load_b128 v[94:97], off, off offset:216
	scratch_load_b128 v[98:101], off, off offset:232
	;; [unrolled: 1-line block ×5, first 2 shown]
	ds_load_b128 v[114:117], v1 offset:576
	scratch_load_b128 v[118:121], off, off offset:296
	s_mov_b32 s0, exec_lo
	s_waitcnt vmcnt(5) lgkmcnt(0)
	v_fma_f64 v[4:5], v[96:97], v[114:115], 0
	s_waitcnt vmcnt(4)
	s_delay_alu instid0(VALU_DEP_1)
	v_fma_f64 v[4:5], v[98:99], v[116:117], v[4:5]
	scratch_load_b128 v[114:117], off, off offset:312
	ds_load_b128 v[96:99], v1 offset:592
	s_waitcnt lgkmcnt(0)
	v_fma_f64 v[4:5], v[100:101], v[96:97], v[4:5]
	s_waitcnt vmcnt(4)
	s_delay_alu instid0(VALU_DEP_1)
	v_fma_f64 v[4:5], v[102:103], v[98:99], v[4:5]
	ds_load_b128 v[96:99], v1 offset:608
	scratch_load_b128 v[100:103], off, off offset:328
	s_waitcnt lgkmcnt(0)
	v_fma_f64 v[4:5], v[104:105], v[96:97], v[4:5]
	scratch_load_b64 v[104:105], off, off offset:344
	s_waitcnt vmcnt(5)
	v_fma_f64 v[4:5], v[106:107], v[98:99], v[4:5]
	ds_load_b128 v[96:99], v1 offset:624
	s_waitcnt lgkmcnt(0)
	v_fma_f64 v[4:5], v[108:109], v[96:97], v[4:5]
	s_waitcnt vmcnt(4)
	s_delay_alu instid0(VALU_DEP_1) | instskip(SKIP_4) | instid1(VALU_DEP_1)
	v_fma_f64 v[4:5], v[110:111], v[98:99], v[4:5]
	ds_load_b128 v[96:99], v1 offset:640
	s_waitcnt lgkmcnt(0)
	v_fma_f64 v[4:5], v[112:113], v[96:97], v[4:5]
	s_waitcnt vmcnt(3)
	v_fma_f64 v[4:5], v[118:119], v[98:99], v[4:5]
	ds_load_b128 v[96:99], v1 offset:656
	s_waitcnt lgkmcnt(0)
	v_fma_f64 v[4:5], v[120:121], v[96:97], v[4:5]
	s_waitcnt vmcnt(2)
	s_delay_alu instid0(VALU_DEP_1) | instskip(SKIP_4) | instid1(VALU_DEP_1)
	v_fma_f64 v[4:5], v[114:115], v[98:99], v[4:5]
	ds_load_b128 v[96:99], v1 offset:672
	s_waitcnt lgkmcnt(0)
	v_fma_f64 v[4:5], v[116:117], v[96:97], v[4:5]
	s_waitcnt vmcnt(1)
	v_fma_f64 v[4:5], v[100:101], v[98:99], v[4:5]
	ds_load_b128 v[96:99], v1 offset:688
	s_waitcnt lgkmcnt(0)
	v_fma_f64 v[1:2], v[102:103], v[96:97], v[4:5]
	s_waitcnt vmcnt(0)
	s_delay_alu instid0(VALU_DEP_1) | instskip(NEXT) | instid1(VALU_DEP_1)
	v_fma_f64 v[1:2], v[104:105], v[98:99], v[1:2]
	v_add_f64 v[1:2], v[94:95], -v[1:2]
	scratch_store_b64 off, v[1:2], off offset:216
	v_cmpx_lt_u32_e32 26, v0
	s_cbranch_execz .LBB107_221
; %bb.220:
	scratch_load_b64 v[1:2], off, off offset:208
	v_mov_b32_e32 v4, 0
	s_delay_alu instid0(VALU_DEP_1)
	v_mov_b32_e32 v5, v4
	scratch_store_b64 off, v[4:5], off offset:208
	s_waitcnt vmcnt(0)
	ds_store_b64 v3, v[1:2]
.LBB107_221:
	s_or_b32 exec_lo, exec_lo, s0
	s_waitcnt lgkmcnt(0)
	s_waitcnt_vscnt null, 0x0
	s_barrier
	buffer_gl0_inv
	s_clause 0x4
	scratch_load_b128 v[94:97], off, off offset:208
	scratch_load_b128 v[98:101], off, off offset:224
	;; [unrolled: 1-line block ×5, first 2 shown]
	v_mov_b32_e32 v1, 0
	scratch_load_b128 v[118:121], off, off offset:288
	s_mov_b32 s0, exec_lo
	ds_load_2addr_b64 v[114:117], v1 offset0:71 offset1:72
	s_waitcnt vmcnt(5) lgkmcnt(0)
	v_fma_f64 v[4:5], v[96:97], v[114:115], 0
	s_waitcnt vmcnt(4)
	s_delay_alu instid0(VALU_DEP_1)
	v_fma_f64 v[4:5], v[98:99], v[116:117], v[4:5]
	scratch_load_b128 v[114:117], off, off offset:304
	ds_load_2addr_b64 v[96:99], v1 offset0:73 offset1:74
	s_waitcnt lgkmcnt(0)
	v_fma_f64 v[4:5], v[100:101], v[96:97], v[4:5]
	s_waitcnt vmcnt(4)
	s_delay_alu instid0(VALU_DEP_1)
	v_fma_f64 v[4:5], v[102:103], v[98:99], v[4:5]
	ds_load_2addr_b64 v[96:99], v1 offset0:75 offset1:76
	scratch_load_b128 v[100:103], off, off offset:320
	s_waitcnt lgkmcnt(0)
	v_fma_f64 v[4:5], v[104:105], v[96:97], v[4:5]
	s_waitcnt vmcnt(4)
	s_delay_alu instid0(VALU_DEP_1)
	v_fma_f64 v[4:5], v[106:107], v[98:99], v[4:5]
	scratch_load_b128 v[104:107], off, off offset:336
	ds_load_2addr_b64 v[96:99], v1 offset0:77 offset1:78
	s_waitcnt lgkmcnt(0)
	v_fma_f64 v[4:5], v[108:109], v[96:97], v[4:5]
	s_waitcnt vmcnt(4)
	s_delay_alu instid0(VALU_DEP_1) | instskip(SKIP_4) | instid1(VALU_DEP_1)
	v_fma_f64 v[4:5], v[110:111], v[98:99], v[4:5]
	ds_load_2addr_b64 v[96:99], v1 offset0:79 offset1:80
	s_waitcnt lgkmcnt(0)
	v_fma_f64 v[4:5], v[112:113], v[96:97], v[4:5]
	s_waitcnt vmcnt(3)
	v_fma_f64 v[4:5], v[118:119], v[98:99], v[4:5]
	ds_load_2addr_b64 v[96:99], v1 offset0:81 offset1:82
	s_waitcnt lgkmcnt(0)
	v_fma_f64 v[4:5], v[120:121], v[96:97], v[4:5]
	s_waitcnt vmcnt(2)
	s_delay_alu instid0(VALU_DEP_1) | instskip(SKIP_4) | instid1(VALU_DEP_1)
	v_fma_f64 v[4:5], v[114:115], v[98:99], v[4:5]
	ds_load_2addr_b64 v[96:99], v1 offset0:83 offset1:84
	s_waitcnt lgkmcnt(0)
	v_fma_f64 v[4:5], v[116:117], v[96:97], v[4:5]
	s_waitcnt vmcnt(1)
	v_fma_f64 v[4:5], v[100:101], v[98:99], v[4:5]
	ds_load_2addr_b64 v[96:99], v1 offset0:85 offset1:86
	s_waitcnt lgkmcnt(0)
	v_fma_f64 v[4:5], v[102:103], v[96:97], v[4:5]
	ds_load_b64 v[96:97], v1 offset:696
	s_waitcnt vmcnt(0)
	v_fma_f64 v[4:5], v[104:105], v[98:99], v[4:5]
	s_waitcnt lgkmcnt(0)
	s_delay_alu instid0(VALU_DEP_1) | instskip(NEXT) | instid1(VALU_DEP_1)
	v_fma_f64 v[4:5], v[106:107], v[96:97], v[4:5]
	v_add_f64 v[4:5], v[94:95], -v[4:5]
	scratch_store_b64 off, v[4:5], off offset:208
	v_cmpx_lt_u32_e32 25, v0
	s_cbranch_execz .LBB107_223
; %bb.222:
	scratch_load_b64 v[4:5], off, off offset:200
	v_mov_b32_e32 v2, v1
	scratch_store_b64 off, v[1:2], off offset:200
	s_waitcnt vmcnt(0)
	ds_store_b64 v3, v[4:5]
.LBB107_223:
	s_or_b32 exec_lo, exec_lo, s0
	s_waitcnt lgkmcnt(0)
	s_waitcnt_vscnt null, 0x0
	s_barrier
	buffer_gl0_inv
	s_clause 0x4
	scratch_load_b128 v[94:97], off, off offset:200
	scratch_load_b128 v[98:101], off, off offset:216
	;; [unrolled: 1-line block ×5, first 2 shown]
	ds_load_b128 v[114:117], v1 offset:560
	scratch_load_b128 v[118:121], off, off offset:280
	s_mov_b32 s0, exec_lo
	s_waitcnt vmcnt(5) lgkmcnt(0)
	v_fma_f64 v[4:5], v[96:97], v[114:115], 0
	s_waitcnt vmcnt(4)
	s_delay_alu instid0(VALU_DEP_1)
	v_fma_f64 v[4:5], v[98:99], v[116:117], v[4:5]
	scratch_load_b128 v[114:117], off, off offset:296
	ds_load_b128 v[96:99], v1 offset:576
	s_waitcnt lgkmcnt(0)
	v_fma_f64 v[4:5], v[100:101], v[96:97], v[4:5]
	s_waitcnt vmcnt(4)
	s_delay_alu instid0(VALU_DEP_1)
	v_fma_f64 v[4:5], v[102:103], v[98:99], v[4:5]
	ds_load_b128 v[96:99], v1 offset:592
	scratch_load_b128 v[100:103], off, off offset:312
	s_waitcnt lgkmcnt(0)
	v_fma_f64 v[4:5], v[104:105], v[96:97], v[4:5]
	s_waitcnt vmcnt(4)
	s_delay_alu instid0(VALU_DEP_1)
	v_fma_f64 v[4:5], v[106:107], v[98:99], v[4:5]
	scratch_load_b128 v[104:107], off, off offset:328
	ds_load_b128 v[96:99], v1 offset:608
	s_waitcnt lgkmcnt(0)
	v_fma_f64 v[4:5], v[108:109], v[96:97], v[4:5]
	scratch_load_b64 v[108:109], off, off offset:344
	s_waitcnt vmcnt(5)
	v_fma_f64 v[4:5], v[110:111], v[98:99], v[4:5]
	ds_load_b128 v[96:99], v1 offset:624
	s_waitcnt lgkmcnt(0)
	v_fma_f64 v[4:5], v[112:113], v[96:97], v[4:5]
	s_waitcnt vmcnt(4)
	s_delay_alu instid0(VALU_DEP_1) | instskip(SKIP_4) | instid1(VALU_DEP_1)
	v_fma_f64 v[4:5], v[118:119], v[98:99], v[4:5]
	ds_load_b128 v[96:99], v1 offset:640
	s_waitcnt lgkmcnt(0)
	v_fma_f64 v[4:5], v[120:121], v[96:97], v[4:5]
	s_waitcnt vmcnt(3)
	v_fma_f64 v[4:5], v[114:115], v[98:99], v[4:5]
	ds_load_b128 v[96:99], v1 offset:656
	s_waitcnt lgkmcnt(0)
	v_fma_f64 v[4:5], v[116:117], v[96:97], v[4:5]
	s_waitcnt vmcnt(2)
	s_delay_alu instid0(VALU_DEP_1) | instskip(SKIP_4) | instid1(VALU_DEP_1)
	v_fma_f64 v[4:5], v[100:101], v[98:99], v[4:5]
	ds_load_b128 v[96:99], v1 offset:672
	s_waitcnt lgkmcnt(0)
	v_fma_f64 v[4:5], v[102:103], v[96:97], v[4:5]
	s_waitcnt vmcnt(1)
	v_fma_f64 v[4:5], v[104:105], v[98:99], v[4:5]
	ds_load_b128 v[96:99], v1 offset:688
	s_waitcnt lgkmcnt(0)
	v_fma_f64 v[1:2], v[106:107], v[96:97], v[4:5]
	s_waitcnt vmcnt(0)
	s_delay_alu instid0(VALU_DEP_1) | instskip(NEXT) | instid1(VALU_DEP_1)
	v_fma_f64 v[1:2], v[108:109], v[98:99], v[1:2]
	v_add_f64 v[1:2], v[94:95], -v[1:2]
	scratch_store_b64 off, v[1:2], off offset:200
	v_cmpx_lt_u32_e32 24, v0
	s_cbranch_execz .LBB107_225
; %bb.224:
	scratch_load_b64 v[1:2], off, off offset:192
	v_mov_b32_e32 v4, 0
	s_delay_alu instid0(VALU_DEP_1)
	v_mov_b32_e32 v5, v4
	scratch_store_b64 off, v[4:5], off offset:192
	s_waitcnt vmcnt(0)
	ds_store_b64 v3, v[1:2]
.LBB107_225:
	s_or_b32 exec_lo, exec_lo, s0
	s_waitcnt lgkmcnt(0)
	s_waitcnt_vscnt null, 0x0
	s_barrier
	buffer_gl0_inv
	s_clause 0x4
	scratch_load_b128 v[94:97], off, off offset:192
	scratch_load_b128 v[98:101], off, off offset:208
	;; [unrolled: 1-line block ×5, first 2 shown]
	v_mov_b32_e32 v1, 0
	scratch_load_b128 v[118:121], off, off offset:272
	s_mov_b32 s0, exec_lo
	ds_load_2addr_b64 v[114:117], v1 offset0:69 offset1:70
	s_waitcnt vmcnt(5) lgkmcnt(0)
	v_fma_f64 v[4:5], v[96:97], v[114:115], 0
	s_waitcnt vmcnt(4)
	s_delay_alu instid0(VALU_DEP_1)
	v_fma_f64 v[4:5], v[98:99], v[116:117], v[4:5]
	scratch_load_b128 v[114:117], off, off offset:288
	ds_load_2addr_b64 v[96:99], v1 offset0:71 offset1:72
	s_waitcnt lgkmcnt(0)
	v_fma_f64 v[4:5], v[100:101], v[96:97], v[4:5]
	s_waitcnt vmcnt(4)
	s_delay_alu instid0(VALU_DEP_1)
	v_fma_f64 v[4:5], v[102:103], v[98:99], v[4:5]
	ds_load_2addr_b64 v[96:99], v1 offset0:73 offset1:74
	scratch_load_b128 v[100:103], off, off offset:304
	s_waitcnt lgkmcnt(0)
	v_fma_f64 v[4:5], v[104:105], v[96:97], v[4:5]
	s_waitcnt vmcnt(4)
	s_delay_alu instid0(VALU_DEP_1)
	v_fma_f64 v[4:5], v[106:107], v[98:99], v[4:5]
	scratch_load_b128 v[104:107], off, off offset:320
	ds_load_2addr_b64 v[96:99], v1 offset0:75 offset1:76
	s_waitcnt lgkmcnt(0)
	v_fma_f64 v[4:5], v[108:109], v[96:97], v[4:5]
	s_waitcnt vmcnt(4)
	s_delay_alu instid0(VALU_DEP_1)
	v_fma_f64 v[4:5], v[110:111], v[98:99], v[4:5]
	ds_load_2addr_b64 v[96:99], v1 offset0:77 offset1:78
	scratch_load_b128 v[108:111], off, off offset:336
	s_waitcnt lgkmcnt(0)
	v_fma_f64 v[4:5], v[112:113], v[96:97], v[4:5]
	s_waitcnt vmcnt(4)
	s_delay_alu instid0(VALU_DEP_1) | instskip(SKIP_4) | instid1(VALU_DEP_1)
	v_fma_f64 v[4:5], v[118:119], v[98:99], v[4:5]
	ds_load_2addr_b64 v[96:99], v1 offset0:79 offset1:80
	s_waitcnt lgkmcnt(0)
	v_fma_f64 v[4:5], v[120:121], v[96:97], v[4:5]
	s_waitcnt vmcnt(3)
	v_fma_f64 v[4:5], v[114:115], v[98:99], v[4:5]
	ds_load_2addr_b64 v[96:99], v1 offset0:81 offset1:82
	s_waitcnt lgkmcnt(0)
	v_fma_f64 v[4:5], v[116:117], v[96:97], v[4:5]
	s_waitcnt vmcnt(2)
	s_delay_alu instid0(VALU_DEP_1) | instskip(SKIP_4) | instid1(VALU_DEP_1)
	v_fma_f64 v[4:5], v[100:101], v[98:99], v[4:5]
	ds_load_2addr_b64 v[96:99], v1 offset0:83 offset1:84
	s_waitcnt lgkmcnt(0)
	v_fma_f64 v[4:5], v[102:103], v[96:97], v[4:5]
	s_waitcnt vmcnt(1)
	v_fma_f64 v[4:5], v[104:105], v[98:99], v[4:5]
	ds_load_2addr_b64 v[96:99], v1 offset0:85 offset1:86
	s_waitcnt lgkmcnt(0)
	v_fma_f64 v[4:5], v[106:107], v[96:97], v[4:5]
	ds_load_b64 v[96:97], v1 offset:696
	s_waitcnt vmcnt(0)
	v_fma_f64 v[4:5], v[108:109], v[98:99], v[4:5]
	s_waitcnt lgkmcnt(0)
	s_delay_alu instid0(VALU_DEP_1) | instskip(NEXT) | instid1(VALU_DEP_1)
	v_fma_f64 v[4:5], v[110:111], v[96:97], v[4:5]
	v_add_f64 v[4:5], v[94:95], -v[4:5]
	scratch_store_b64 off, v[4:5], off offset:192
	v_cmpx_lt_u32_e32 23, v0
	s_cbranch_execz .LBB107_227
; %bb.226:
	scratch_load_b64 v[4:5], off, off offset:184
	v_mov_b32_e32 v2, v1
	scratch_store_b64 off, v[1:2], off offset:184
	s_waitcnt vmcnt(0)
	ds_store_b64 v3, v[4:5]
.LBB107_227:
	s_or_b32 exec_lo, exec_lo, s0
	s_waitcnt lgkmcnt(0)
	s_waitcnt_vscnt null, 0x0
	s_barrier
	buffer_gl0_inv
	s_clause 0x4
	scratch_load_b128 v[94:97], off, off offset:184
	scratch_load_b128 v[98:101], off, off offset:200
	;; [unrolled: 1-line block ×5, first 2 shown]
	ds_load_b128 v[114:117], v1 offset:544
	scratch_load_b128 v[118:121], off, off offset:264
	s_mov_b32 s0, exec_lo
	s_waitcnt vmcnt(5) lgkmcnt(0)
	v_fma_f64 v[4:5], v[96:97], v[114:115], 0
	s_waitcnt vmcnt(4)
	s_delay_alu instid0(VALU_DEP_1)
	v_fma_f64 v[4:5], v[98:99], v[116:117], v[4:5]
	scratch_load_b128 v[114:117], off, off offset:280
	ds_load_b128 v[96:99], v1 offset:560
	s_waitcnt lgkmcnt(0)
	v_fma_f64 v[4:5], v[100:101], v[96:97], v[4:5]
	s_waitcnt vmcnt(4)
	s_delay_alu instid0(VALU_DEP_1)
	v_fma_f64 v[4:5], v[102:103], v[98:99], v[4:5]
	ds_load_b128 v[96:99], v1 offset:576
	scratch_load_b128 v[100:103], off, off offset:296
	s_waitcnt lgkmcnt(0)
	v_fma_f64 v[4:5], v[104:105], v[96:97], v[4:5]
	s_waitcnt vmcnt(4)
	s_delay_alu instid0(VALU_DEP_1)
	v_fma_f64 v[4:5], v[106:107], v[98:99], v[4:5]
	scratch_load_b128 v[104:107], off, off offset:312
	ds_load_b128 v[96:99], v1 offset:592
	s_waitcnt lgkmcnt(0)
	v_fma_f64 v[4:5], v[108:109], v[96:97], v[4:5]
	s_waitcnt vmcnt(4)
	s_delay_alu instid0(VALU_DEP_1)
	v_fma_f64 v[4:5], v[110:111], v[98:99], v[4:5]
	ds_load_b128 v[96:99], v1 offset:608
	scratch_load_b128 v[108:111], off, off offset:328
	s_waitcnt lgkmcnt(0)
	v_fma_f64 v[4:5], v[112:113], v[96:97], v[4:5]
	scratch_load_b64 v[112:113], off, off offset:344
	s_waitcnt vmcnt(5)
	v_fma_f64 v[4:5], v[118:119], v[98:99], v[4:5]
	ds_load_b128 v[96:99], v1 offset:624
	s_waitcnt lgkmcnt(0)
	v_fma_f64 v[4:5], v[120:121], v[96:97], v[4:5]
	s_waitcnt vmcnt(4)
	s_delay_alu instid0(VALU_DEP_1) | instskip(SKIP_4) | instid1(VALU_DEP_1)
	v_fma_f64 v[4:5], v[114:115], v[98:99], v[4:5]
	ds_load_b128 v[96:99], v1 offset:640
	s_waitcnt lgkmcnt(0)
	v_fma_f64 v[4:5], v[116:117], v[96:97], v[4:5]
	s_waitcnt vmcnt(3)
	v_fma_f64 v[4:5], v[100:101], v[98:99], v[4:5]
	ds_load_b128 v[96:99], v1 offset:656
	s_waitcnt lgkmcnt(0)
	v_fma_f64 v[4:5], v[102:103], v[96:97], v[4:5]
	s_waitcnt vmcnt(2)
	s_delay_alu instid0(VALU_DEP_1) | instskip(SKIP_4) | instid1(VALU_DEP_1)
	v_fma_f64 v[4:5], v[104:105], v[98:99], v[4:5]
	ds_load_b128 v[96:99], v1 offset:672
	s_waitcnt lgkmcnt(0)
	v_fma_f64 v[4:5], v[106:107], v[96:97], v[4:5]
	s_waitcnt vmcnt(1)
	v_fma_f64 v[4:5], v[108:109], v[98:99], v[4:5]
	ds_load_b128 v[96:99], v1 offset:688
	s_waitcnt lgkmcnt(0)
	v_fma_f64 v[1:2], v[110:111], v[96:97], v[4:5]
	s_waitcnt vmcnt(0)
	s_delay_alu instid0(VALU_DEP_1) | instskip(NEXT) | instid1(VALU_DEP_1)
	v_fma_f64 v[1:2], v[112:113], v[98:99], v[1:2]
	v_add_f64 v[1:2], v[94:95], -v[1:2]
	scratch_store_b64 off, v[1:2], off offset:184
	v_cmpx_lt_u32_e32 22, v0
	s_cbranch_execz .LBB107_229
; %bb.228:
	scratch_load_b64 v[1:2], off, off offset:176
	v_mov_b32_e32 v4, 0
	s_delay_alu instid0(VALU_DEP_1)
	v_mov_b32_e32 v5, v4
	scratch_store_b64 off, v[4:5], off offset:176
	s_waitcnt vmcnt(0)
	ds_store_b64 v3, v[1:2]
.LBB107_229:
	s_or_b32 exec_lo, exec_lo, s0
	s_waitcnt lgkmcnt(0)
	s_waitcnt_vscnt null, 0x0
	s_barrier
	buffer_gl0_inv
	s_clause 0x4
	scratch_load_b128 v[94:97], off, off offset:176
	scratch_load_b128 v[98:101], off, off offset:192
	;; [unrolled: 1-line block ×5, first 2 shown]
	v_mov_b32_e32 v1, 0
	scratch_load_b128 v[118:121], off, off offset:256
	s_mov_b32 s0, exec_lo
	ds_load_2addr_b64 v[114:117], v1 offset0:67 offset1:68
	s_waitcnt vmcnt(5) lgkmcnt(0)
	v_fma_f64 v[4:5], v[96:97], v[114:115], 0
	s_waitcnt vmcnt(4)
	s_delay_alu instid0(VALU_DEP_1)
	v_fma_f64 v[4:5], v[98:99], v[116:117], v[4:5]
	scratch_load_b128 v[114:117], off, off offset:272
	ds_load_2addr_b64 v[96:99], v1 offset0:69 offset1:70
	s_waitcnt lgkmcnt(0)
	v_fma_f64 v[4:5], v[100:101], v[96:97], v[4:5]
	s_waitcnt vmcnt(4)
	s_delay_alu instid0(VALU_DEP_1)
	v_fma_f64 v[4:5], v[102:103], v[98:99], v[4:5]
	ds_load_2addr_b64 v[96:99], v1 offset0:71 offset1:72
	scratch_load_b128 v[100:103], off, off offset:288
	s_waitcnt lgkmcnt(0)
	v_fma_f64 v[4:5], v[104:105], v[96:97], v[4:5]
	s_waitcnt vmcnt(4)
	s_delay_alu instid0(VALU_DEP_1)
	v_fma_f64 v[4:5], v[106:107], v[98:99], v[4:5]
	scratch_load_b128 v[104:107], off, off offset:304
	ds_load_2addr_b64 v[96:99], v1 offset0:73 offset1:74
	s_waitcnt lgkmcnt(0)
	v_fma_f64 v[4:5], v[108:109], v[96:97], v[4:5]
	s_waitcnt vmcnt(4)
	s_delay_alu instid0(VALU_DEP_1)
	v_fma_f64 v[4:5], v[110:111], v[98:99], v[4:5]
	ds_load_2addr_b64 v[96:99], v1 offset0:75 offset1:76
	scratch_load_b128 v[108:111], off, off offset:320
	s_waitcnt lgkmcnt(0)
	v_fma_f64 v[4:5], v[112:113], v[96:97], v[4:5]
	s_waitcnt vmcnt(4)
	s_delay_alu instid0(VALU_DEP_1)
	v_fma_f64 v[4:5], v[118:119], v[98:99], v[4:5]
	ds_load_2addr_b64 v[96:99], v1 offset0:77 offset1:78
	s_waitcnt lgkmcnt(0)
	v_fma_f64 v[4:5], v[120:121], v[96:97], v[4:5]
	scratch_load_b128 v[118:121], off, off offset:336
	s_waitcnt vmcnt(4)
	v_fma_f64 v[4:5], v[114:115], v[98:99], v[4:5]
	ds_load_2addr_b64 v[96:99], v1 offset0:79 offset1:80
	s_waitcnt lgkmcnt(0)
	v_fma_f64 v[4:5], v[116:117], v[96:97], v[4:5]
	s_waitcnt vmcnt(3)
	s_delay_alu instid0(VALU_DEP_1) | instskip(SKIP_4) | instid1(VALU_DEP_1)
	v_fma_f64 v[4:5], v[100:101], v[98:99], v[4:5]
	ds_load_2addr_b64 v[96:99], v1 offset0:81 offset1:82
	s_waitcnt lgkmcnt(0)
	v_fma_f64 v[4:5], v[102:103], v[96:97], v[4:5]
	s_waitcnt vmcnt(2)
	v_fma_f64 v[4:5], v[104:105], v[98:99], v[4:5]
	ds_load_2addr_b64 v[96:99], v1 offset0:83 offset1:84
	s_waitcnt lgkmcnt(0)
	v_fma_f64 v[4:5], v[106:107], v[96:97], v[4:5]
	s_waitcnt vmcnt(1)
	s_delay_alu instid0(VALU_DEP_1)
	v_fma_f64 v[4:5], v[108:109], v[98:99], v[4:5]
	ds_load_2addr_b64 v[96:99], v1 offset0:85 offset1:86
	s_waitcnt lgkmcnt(0)
	v_fma_f64 v[4:5], v[110:111], v[96:97], v[4:5]
	ds_load_b64 v[96:97], v1 offset:696
	s_waitcnt vmcnt(0)
	v_fma_f64 v[4:5], v[118:119], v[98:99], v[4:5]
	s_waitcnt lgkmcnt(0)
	s_delay_alu instid0(VALU_DEP_1) | instskip(NEXT) | instid1(VALU_DEP_1)
	v_fma_f64 v[4:5], v[120:121], v[96:97], v[4:5]
	v_add_f64 v[4:5], v[94:95], -v[4:5]
	scratch_store_b64 off, v[4:5], off offset:176
	v_cmpx_lt_u32_e32 21, v0
	s_cbranch_execz .LBB107_231
; %bb.230:
	scratch_load_b64 v[4:5], off, off offset:168
	v_mov_b32_e32 v2, v1
	scratch_store_b64 off, v[1:2], off offset:168
	s_waitcnt vmcnt(0)
	ds_store_b64 v3, v[4:5]
.LBB107_231:
	s_or_b32 exec_lo, exec_lo, s0
	s_waitcnt lgkmcnt(0)
	s_waitcnt_vscnt null, 0x0
	s_barrier
	buffer_gl0_inv
	s_clause 0x4
	scratch_load_b128 v[94:97], off, off offset:168
	scratch_load_b128 v[98:101], off, off offset:184
	;; [unrolled: 1-line block ×5, first 2 shown]
	ds_load_b128 v[114:117], v1 offset:528
	scratch_load_b128 v[118:121], off, off offset:248
	s_mov_b32 s0, exec_lo
	s_waitcnt vmcnt(5) lgkmcnt(0)
	v_fma_f64 v[4:5], v[96:97], v[114:115], 0
	s_waitcnt vmcnt(4)
	s_delay_alu instid0(VALU_DEP_1)
	v_fma_f64 v[4:5], v[98:99], v[116:117], v[4:5]
	scratch_load_b128 v[114:117], off, off offset:264
	ds_load_b128 v[96:99], v1 offset:544
	s_waitcnt lgkmcnt(0)
	v_fma_f64 v[4:5], v[100:101], v[96:97], v[4:5]
	s_waitcnt vmcnt(4)
	s_delay_alu instid0(VALU_DEP_1)
	v_fma_f64 v[4:5], v[102:103], v[98:99], v[4:5]
	ds_load_b128 v[96:99], v1 offset:560
	scratch_load_b128 v[100:103], off, off offset:280
	s_waitcnt lgkmcnt(0)
	v_fma_f64 v[4:5], v[104:105], v[96:97], v[4:5]
	s_waitcnt vmcnt(4)
	s_delay_alu instid0(VALU_DEP_1)
	v_fma_f64 v[4:5], v[106:107], v[98:99], v[4:5]
	scratch_load_b128 v[104:107], off, off offset:296
	ds_load_b128 v[96:99], v1 offset:576
	s_waitcnt lgkmcnt(0)
	v_fma_f64 v[4:5], v[108:109], v[96:97], v[4:5]
	s_waitcnt vmcnt(4)
	s_delay_alu instid0(VALU_DEP_1)
	v_fma_f64 v[4:5], v[110:111], v[98:99], v[4:5]
	ds_load_b128 v[96:99], v1 offset:592
	scratch_load_b128 v[108:111], off, off offset:312
	s_waitcnt lgkmcnt(0)
	v_fma_f64 v[4:5], v[112:113], v[96:97], v[4:5]
	scratch_load_b64 v[112:113], off, off offset:344
	s_waitcnt vmcnt(5)
	v_fma_f64 v[4:5], v[118:119], v[98:99], v[4:5]
	ds_load_b128 v[96:99], v1 offset:608
	s_waitcnt lgkmcnt(0)
	v_fma_f64 v[4:5], v[120:121], v[96:97], v[4:5]
	scratch_load_b128 v[118:121], off, off offset:328
	s_waitcnt vmcnt(5)
	v_fma_f64 v[4:5], v[114:115], v[98:99], v[4:5]
	ds_load_b128 v[96:99], v1 offset:624
	s_waitcnt lgkmcnt(0)
	v_fma_f64 v[4:5], v[116:117], v[96:97], v[4:5]
	s_waitcnt vmcnt(4)
	s_delay_alu instid0(VALU_DEP_1) | instskip(SKIP_4) | instid1(VALU_DEP_1)
	v_fma_f64 v[4:5], v[100:101], v[98:99], v[4:5]
	ds_load_b128 v[96:99], v1 offset:640
	s_waitcnt lgkmcnt(0)
	v_fma_f64 v[4:5], v[102:103], v[96:97], v[4:5]
	s_waitcnt vmcnt(3)
	v_fma_f64 v[4:5], v[104:105], v[98:99], v[4:5]
	ds_load_b128 v[96:99], v1 offset:656
	s_waitcnt lgkmcnt(0)
	v_fma_f64 v[4:5], v[106:107], v[96:97], v[4:5]
	s_waitcnt vmcnt(2)
	s_delay_alu instid0(VALU_DEP_1) | instskip(SKIP_4) | instid1(VALU_DEP_1)
	v_fma_f64 v[4:5], v[108:109], v[98:99], v[4:5]
	ds_load_b128 v[96:99], v1 offset:672
	s_waitcnt lgkmcnt(0)
	v_fma_f64 v[4:5], v[110:111], v[96:97], v[4:5]
	s_waitcnt vmcnt(0)
	v_fma_f64 v[4:5], v[118:119], v[98:99], v[4:5]
	ds_load_b128 v[96:99], v1 offset:688
	s_waitcnt lgkmcnt(0)
	v_fma_f64 v[1:2], v[120:121], v[96:97], v[4:5]
	s_delay_alu instid0(VALU_DEP_1) | instskip(NEXT) | instid1(VALU_DEP_1)
	v_fma_f64 v[1:2], v[112:113], v[98:99], v[1:2]
	v_add_f64 v[1:2], v[94:95], -v[1:2]
	scratch_store_b64 off, v[1:2], off offset:168
	v_cmpx_lt_u32_e32 20, v0
	s_cbranch_execz .LBB107_233
; %bb.232:
	scratch_load_b64 v[1:2], off, off offset:160
	v_mov_b32_e32 v4, 0
	s_delay_alu instid0(VALU_DEP_1)
	v_mov_b32_e32 v5, v4
	scratch_store_b64 off, v[4:5], off offset:160
	s_waitcnt vmcnt(0)
	ds_store_b64 v3, v[1:2]
.LBB107_233:
	s_or_b32 exec_lo, exec_lo, s0
	s_waitcnt lgkmcnt(0)
	s_waitcnt_vscnt null, 0x0
	s_barrier
	buffer_gl0_inv
	s_clause 0x4
	scratch_load_b128 v[94:97], off, off offset:160
	scratch_load_b128 v[98:101], off, off offset:176
	;; [unrolled: 1-line block ×5, first 2 shown]
	v_mov_b32_e32 v1, 0
	scratch_load_b128 v[118:121], off, off offset:240
	s_mov_b32 s0, exec_lo
	ds_load_2addr_b64 v[114:117], v1 offset0:65 offset1:66
	s_waitcnt vmcnt(5) lgkmcnt(0)
	v_fma_f64 v[4:5], v[96:97], v[114:115], 0
	s_waitcnt vmcnt(4)
	s_delay_alu instid0(VALU_DEP_1)
	v_fma_f64 v[4:5], v[98:99], v[116:117], v[4:5]
	scratch_load_b128 v[114:117], off, off offset:256
	ds_load_2addr_b64 v[96:99], v1 offset0:67 offset1:68
	s_waitcnt lgkmcnt(0)
	v_fma_f64 v[4:5], v[100:101], v[96:97], v[4:5]
	s_waitcnt vmcnt(4)
	s_delay_alu instid0(VALU_DEP_1)
	v_fma_f64 v[4:5], v[102:103], v[98:99], v[4:5]
	ds_load_2addr_b64 v[96:99], v1 offset0:69 offset1:70
	scratch_load_b128 v[100:103], off, off offset:272
	s_waitcnt lgkmcnt(0)
	v_fma_f64 v[4:5], v[104:105], v[96:97], v[4:5]
	s_waitcnt vmcnt(4)
	s_delay_alu instid0(VALU_DEP_1)
	v_fma_f64 v[4:5], v[106:107], v[98:99], v[4:5]
	scratch_load_b128 v[104:107], off, off offset:288
	ds_load_2addr_b64 v[96:99], v1 offset0:71 offset1:72
	s_waitcnt lgkmcnt(0)
	v_fma_f64 v[4:5], v[108:109], v[96:97], v[4:5]
	s_waitcnt vmcnt(4)
	s_delay_alu instid0(VALU_DEP_1)
	v_fma_f64 v[4:5], v[110:111], v[98:99], v[4:5]
	ds_load_2addr_b64 v[96:99], v1 offset0:73 offset1:74
	scratch_load_b128 v[108:111], off, off offset:304
	s_waitcnt lgkmcnt(0)
	v_fma_f64 v[4:5], v[112:113], v[96:97], v[4:5]
	s_waitcnt vmcnt(4)
	s_delay_alu instid0(VALU_DEP_1)
	v_fma_f64 v[4:5], v[118:119], v[98:99], v[4:5]
	ds_load_2addr_b64 v[96:99], v1 offset0:75 offset1:76
	s_waitcnt lgkmcnt(0)
	v_fma_f64 v[4:5], v[120:121], v[96:97], v[4:5]
	scratch_load_b128 v[118:121], off, off offset:320
	s_waitcnt vmcnt(4)
	v_fma_f64 v[4:5], v[114:115], v[98:99], v[4:5]
	ds_load_2addr_b64 v[96:99], v1 offset0:77 offset1:78
	scratch_load_b128 v[112:115], off, off offset:336
	s_waitcnt lgkmcnt(0)
	v_fma_f64 v[4:5], v[116:117], v[96:97], v[4:5]
	s_waitcnt vmcnt(4)
	s_delay_alu instid0(VALU_DEP_1) | instskip(SKIP_4) | instid1(VALU_DEP_1)
	v_fma_f64 v[4:5], v[100:101], v[98:99], v[4:5]
	ds_load_2addr_b64 v[96:99], v1 offset0:79 offset1:80
	s_waitcnt lgkmcnt(0)
	v_fma_f64 v[4:5], v[102:103], v[96:97], v[4:5]
	s_waitcnt vmcnt(3)
	v_fma_f64 v[4:5], v[104:105], v[98:99], v[4:5]
	ds_load_2addr_b64 v[96:99], v1 offset0:81 offset1:82
	s_waitcnt lgkmcnt(0)
	v_fma_f64 v[4:5], v[106:107], v[96:97], v[4:5]
	s_waitcnt vmcnt(2)
	s_delay_alu instid0(VALU_DEP_1) | instskip(SKIP_4) | instid1(VALU_DEP_1)
	v_fma_f64 v[4:5], v[108:109], v[98:99], v[4:5]
	ds_load_2addr_b64 v[96:99], v1 offset0:83 offset1:84
	s_waitcnt lgkmcnt(0)
	v_fma_f64 v[4:5], v[110:111], v[96:97], v[4:5]
	s_waitcnt vmcnt(1)
	v_fma_f64 v[4:5], v[118:119], v[98:99], v[4:5]
	ds_load_2addr_b64 v[96:99], v1 offset0:85 offset1:86
	s_waitcnt lgkmcnt(0)
	v_fma_f64 v[4:5], v[120:121], v[96:97], v[4:5]
	ds_load_b64 v[96:97], v1 offset:696
	s_waitcnt vmcnt(0)
	v_fma_f64 v[4:5], v[112:113], v[98:99], v[4:5]
	s_waitcnt lgkmcnt(0)
	s_delay_alu instid0(VALU_DEP_1) | instskip(NEXT) | instid1(VALU_DEP_1)
	v_fma_f64 v[4:5], v[114:115], v[96:97], v[4:5]
	v_add_f64 v[4:5], v[94:95], -v[4:5]
	scratch_store_b64 off, v[4:5], off offset:160
	v_cmpx_lt_u32_e32 19, v0
	s_cbranch_execz .LBB107_235
; %bb.234:
	scratch_load_b64 v[4:5], off, off offset:152
	v_mov_b32_e32 v2, v1
	scratch_store_b64 off, v[1:2], off offset:152
	s_waitcnt vmcnt(0)
	ds_store_b64 v3, v[4:5]
.LBB107_235:
	s_or_b32 exec_lo, exec_lo, s0
	s_waitcnt lgkmcnt(0)
	s_waitcnt_vscnt null, 0x0
	s_barrier
	buffer_gl0_inv
	s_clause 0x4
	scratch_load_b128 v[94:97], off, off offset:152
	scratch_load_b128 v[98:101], off, off offset:168
	;; [unrolled: 1-line block ×5, first 2 shown]
	ds_load_b128 v[114:117], v1 offset:512
	scratch_load_b128 v[118:121], off, off offset:232
	s_mov_b32 s0, exec_lo
	s_waitcnt vmcnt(5) lgkmcnt(0)
	v_fma_f64 v[4:5], v[96:97], v[114:115], 0
	s_waitcnt vmcnt(4)
	s_delay_alu instid0(VALU_DEP_1)
	v_fma_f64 v[4:5], v[98:99], v[116:117], v[4:5]
	scratch_load_b128 v[114:117], off, off offset:248
	ds_load_b128 v[96:99], v1 offset:528
	s_waitcnt lgkmcnt(0)
	v_fma_f64 v[4:5], v[100:101], v[96:97], v[4:5]
	s_waitcnt vmcnt(4)
	s_delay_alu instid0(VALU_DEP_1)
	v_fma_f64 v[4:5], v[102:103], v[98:99], v[4:5]
	ds_load_b128 v[96:99], v1 offset:544
	scratch_load_b128 v[100:103], off, off offset:264
	s_waitcnt lgkmcnt(0)
	v_fma_f64 v[4:5], v[104:105], v[96:97], v[4:5]
	s_waitcnt vmcnt(4)
	s_delay_alu instid0(VALU_DEP_1)
	v_fma_f64 v[4:5], v[106:107], v[98:99], v[4:5]
	scratch_load_b128 v[104:107], off, off offset:280
	ds_load_b128 v[96:99], v1 offset:560
	s_waitcnt lgkmcnt(0)
	v_fma_f64 v[4:5], v[108:109], v[96:97], v[4:5]
	s_waitcnt vmcnt(4)
	s_delay_alu instid0(VALU_DEP_1)
	v_fma_f64 v[4:5], v[110:111], v[98:99], v[4:5]
	ds_load_b128 v[96:99], v1 offset:576
	scratch_load_b128 v[108:111], off, off offset:296
	s_waitcnt lgkmcnt(0)
	v_fma_f64 v[4:5], v[112:113], v[96:97], v[4:5]
	s_waitcnt vmcnt(4)
	s_delay_alu instid0(VALU_DEP_1)
	v_fma_f64 v[4:5], v[118:119], v[98:99], v[4:5]
	ds_load_b128 v[96:99], v1 offset:592
	s_waitcnt lgkmcnt(0)
	v_fma_f64 v[4:5], v[120:121], v[96:97], v[4:5]
	scratch_load_b128 v[118:121], off, off offset:312
	s_waitcnt vmcnt(4)
	v_fma_f64 v[4:5], v[114:115], v[98:99], v[4:5]
	ds_load_b128 v[96:99], v1 offset:608
	scratch_load_b128 v[112:115], off, off offset:328
	s_waitcnt lgkmcnt(0)
	v_fma_f64 v[4:5], v[116:117], v[96:97], v[4:5]
	s_waitcnt vmcnt(4)
	s_delay_alu instid0(VALU_DEP_1)
	v_fma_f64 v[4:5], v[100:101], v[98:99], v[4:5]
	scratch_load_b64 v[100:101], off, off offset:344
	ds_load_b128 v[96:99], v1 offset:624
	s_waitcnt lgkmcnt(0)
	v_fma_f64 v[4:5], v[102:103], v[96:97], v[4:5]
	s_waitcnt vmcnt(4)
	s_delay_alu instid0(VALU_DEP_1) | instskip(SKIP_4) | instid1(VALU_DEP_1)
	v_fma_f64 v[4:5], v[104:105], v[98:99], v[4:5]
	ds_load_b128 v[96:99], v1 offset:640
	s_waitcnt lgkmcnt(0)
	v_fma_f64 v[4:5], v[106:107], v[96:97], v[4:5]
	s_waitcnt vmcnt(3)
	v_fma_f64 v[4:5], v[108:109], v[98:99], v[4:5]
	ds_load_b128 v[96:99], v1 offset:656
	s_waitcnt lgkmcnt(0)
	v_fma_f64 v[4:5], v[110:111], v[96:97], v[4:5]
	s_waitcnt vmcnt(2)
	s_delay_alu instid0(VALU_DEP_1) | instskip(SKIP_4) | instid1(VALU_DEP_1)
	v_fma_f64 v[4:5], v[118:119], v[98:99], v[4:5]
	ds_load_b128 v[96:99], v1 offset:672
	s_waitcnt lgkmcnt(0)
	v_fma_f64 v[4:5], v[120:121], v[96:97], v[4:5]
	s_waitcnt vmcnt(1)
	v_fma_f64 v[4:5], v[112:113], v[98:99], v[4:5]
	ds_load_b128 v[96:99], v1 offset:688
	s_waitcnt lgkmcnt(0)
	v_fma_f64 v[1:2], v[114:115], v[96:97], v[4:5]
	s_waitcnt vmcnt(0)
	s_delay_alu instid0(VALU_DEP_1) | instskip(NEXT) | instid1(VALU_DEP_1)
	v_fma_f64 v[1:2], v[100:101], v[98:99], v[1:2]
	v_add_f64 v[1:2], v[94:95], -v[1:2]
	scratch_store_b64 off, v[1:2], off offset:152
	v_cmpx_lt_u32_e32 18, v0
	s_cbranch_execz .LBB107_237
; %bb.236:
	scratch_load_b64 v[1:2], off, off offset:144
	v_mov_b32_e32 v4, 0
	s_delay_alu instid0(VALU_DEP_1)
	v_mov_b32_e32 v5, v4
	scratch_store_b64 off, v[4:5], off offset:144
	s_waitcnt vmcnt(0)
	ds_store_b64 v3, v[1:2]
.LBB107_237:
	s_or_b32 exec_lo, exec_lo, s0
	s_waitcnt lgkmcnt(0)
	s_waitcnt_vscnt null, 0x0
	s_barrier
	buffer_gl0_inv
	s_clause 0x4
	scratch_load_b128 v[94:97], off, off offset:144
	scratch_load_b128 v[98:101], off, off offset:160
	;; [unrolled: 1-line block ×5, first 2 shown]
	v_mov_b32_e32 v1, 0
	scratch_load_b128 v[118:121], off, off offset:224
	s_mov_b32 s0, exec_lo
	ds_load_2addr_b64 v[114:117], v1 offset0:63 offset1:64
	s_waitcnt vmcnt(5) lgkmcnt(0)
	v_fma_f64 v[4:5], v[96:97], v[114:115], 0
	s_waitcnt vmcnt(4)
	s_delay_alu instid0(VALU_DEP_1)
	v_fma_f64 v[4:5], v[98:99], v[116:117], v[4:5]
	scratch_load_b128 v[114:117], off, off offset:240
	ds_load_2addr_b64 v[96:99], v1 offset0:65 offset1:66
	s_waitcnt lgkmcnt(0)
	v_fma_f64 v[4:5], v[100:101], v[96:97], v[4:5]
	s_waitcnt vmcnt(4)
	s_delay_alu instid0(VALU_DEP_1)
	v_fma_f64 v[4:5], v[102:103], v[98:99], v[4:5]
	ds_load_2addr_b64 v[96:99], v1 offset0:67 offset1:68
	scratch_load_b128 v[100:103], off, off offset:256
	s_waitcnt lgkmcnt(0)
	v_fma_f64 v[4:5], v[104:105], v[96:97], v[4:5]
	s_waitcnt vmcnt(4)
	s_delay_alu instid0(VALU_DEP_1)
	v_fma_f64 v[4:5], v[106:107], v[98:99], v[4:5]
	scratch_load_b128 v[104:107], off, off offset:272
	ds_load_2addr_b64 v[96:99], v1 offset0:69 offset1:70
	s_waitcnt lgkmcnt(0)
	v_fma_f64 v[4:5], v[108:109], v[96:97], v[4:5]
	s_waitcnt vmcnt(4)
	s_delay_alu instid0(VALU_DEP_1)
	v_fma_f64 v[4:5], v[110:111], v[98:99], v[4:5]
	ds_load_2addr_b64 v[96:99], v1 offset0:71 offset1:72
	scratch_load_b128 v[108:111], off, off offset:288
	s_waitcnt lgkmcnt(0)
	v_fma_f64 v[4:5], v[112:113], v[96:97], v[4:5]
	s_waitcnt vmcnt(4)
	s_delay_alu instid0(VALU_DEP_1)
	v_fma_f64 v[4:5], v[118:119], v[98:99], v[4:5]
	ds_load_2addr_b64 v[96:99], v1 offset0:73 offset1:74
	s_waitcnt lgkmcnt(0)
	v_fma_f64 v[4:5], v[120:121], v[96:97], v[4:5]
	scratch_load_b128 v[118:121], off, off offset:304
	s_waitcnt vmcnt(4)
	v_fma_f64 v[4:5], v[114:115], v[98:99], v[4:5]
	ds_load_2addr_b64 v[96:99], v1 offset0:75 offset1:76
	scratch_load_b128 v[112:115], off, off offset:320
	s_waitcnt lgkmcnt(0)
	v_fma_f64 v[4:5], v[116:117], v[96:97], v[4:5]
	s_waitcnt vmcnt(4)
	s_delay_alu instid0(VALU_DEP_1)
	v_fma_f64 v[4:5], v[100:101], v[98:99], v[4:5]
	ds_load_2addr_b64 v[96:99], v1 offset0:77 offset1:78
	s_waitcnt lgkmcnt(0)
	v_fma_f64 v[4:5], v[102:103], v[96:97], v[4:5]
	scratch_load_b128 v[100:103], off, off offset:336
	s_waitcnt vmcnt(4)
	v_fma_f64 v[4:5], v[104:105], v[98:99], v[4:5]
	ds_load_2addr_b64 v[96:99], v1 offset0:79 offset1:80
	s_waitcnt lgkmcnt(0)
	v_fma_f64 v[4:5], v[106:107], v[96:97], v[4:5]
	s_waitcnt vmcnt(3)
	s_delay_alu instid0(VALU_DEP_1) | instskip(SKIP_4) | instid1(VALU_DEP_1)
	v_fma_f64 v[4:5], v[108:109], v[98:99], v[4:5]
	ds_load_2addr_b64 v[96:99], v1 offset0:81 offset1:82
	s_waitcnt lgkmcnt(0)
	v_fma_f64 v[4:5], v[110:111], v[96:97], v[4:5]
	s_waitcnt vmcnt(2)
	v_fma_f64 v[4:5], v[118:119], v[98:99], v[4:5]
	ds_load_2addr_b64 v[96:99], v1 offset0:83 offset1:84
	s_waitcnt lgkmcnt(0)
	v_fma_f64 v[4:5], v[120:121], v[96:97], v[4:5]
	s_waitcnt vmcnt(1)
	s_delay_alu instid0(VALU_DEP_1)
	v_fma_f64 v[4:5], v[112:113], v[98:99], v[4:5]
	ds_load_2addr_b64 v[96:99], v1 offset0:85 offset1:86
	s_waitcnt lgkmcnt(0)
	v_fma_f64 v[4:5], v[114:115], v[96:97], v[4:5]
	ds_load_b64 v[96:97], v1 offset:696
	s_waitcnt vmcnt(0)
	v_fma_f64 v[4:5], v[100:101], v[98:99], v[4:5]
	s_waitcnt lgkmcnt(0)
	s_delay_alu instid0(VALU_DEP_1) | instskip(NEXT) | instid1(VALU_DEP_1)
	v_fma_f64 v[4:5], v[102:103], v[96:97], v[4:5]
	v_add_f64 v[4:5], v[94:95], -v[4:5]
	scratch_store_b64 off, v[4:5], off offset:144
	v_cmpx_lt_u32_e32 17, v0
	s_cbranch_execz .LBB107_239
; %bb.238:
	scratch_load_b64 v[4:5], off, off offset:136
	v_mov_b32_e32 v2, v1
	scratch_store_b64 off, v[1:2], off offset:136
	s_waitcnt vmcnt(0)
	ds_store_b64 v3, v[4:5]
.LBB107_239:
	s_or_b32 exec_lo, exec_lo, s0
	s_waitcnt lgkmcnt(0)
	s_waitcnt_vscnt null, 0x0
	s_barrier
	buffer_gl0_inv
	s_clause 0x4
	scratch_load_b128 v[94:97], off, off offset:136
	scratch_load_b128 v[98:101], off, off offset:152
	;; [unrolled: 1-line block ×5, first 2 shown]
	ds_load_b128 v[114:117], v1 offset:496
	scratch_load_b128 v[118:121], off, off offset:216
	s_mov_b32 s0, exec_lo
	s_waitcnt vmcnt(5) lgkmcnt(0)
	v_fma_f64 v[4:5], v[96:97], v[114:115], 0
	s_waitcnt vmcnt(4)
	s_delay_alu instid0(VALU_DEP_1)
	v_fma_f64 v[4:5], v[98:99], v[116:117], v[4:5]
	scratch_load_b128 v[114:117], off, off offset:232
	ds_load_b128 v[96:99], v1 offset:512
	s_waitcnt lgkmcnt(0)
	v_fma_f64 v[4:5], v[100:101], v[96:97], v[4:5]
	s_waitcnt vmcnt(4)
	s_delay_alu instid0(VALU_DEP_1)
	v_fma_f64 v[4:5], v[102:103], v[98:99], v[4:5]
	ds_load_b128 v[96:99], v1 offset:528
	scratch_load_b128 v[100:103], off, off offset:248
	s_waitcnt lgkmcnt(0)
	v_fma_f64 v[4:5], v[104:105], v[96:97], v[4:5]
	s_waitcnt vmcnt(4)
	s_delay_alu instid0(VALU_DEP_1)
	v_fma_f64 v[4:5], v[106:107], v[98:99], v[4:5]
	scratch_load_b128 v[104:107], off, off offset:264
	ds_load_b128 v[96:99], v1 offset:544
	s_waitcnt lgkmcnt(0)
	v_fma_f64 v[4:5], v[108:109], v[96:97], v[4:5]
	s_waitcnt vmcnt(4)
	s_delay_alu instid0(VALU_DEP_1)
	v_fma_f64 v[4:5], v[110:111], v[98:99], v[4:5]
	ds_load_b128 v[96:99], v1 offset:560
	scratch_load_b128 v[108:111], off, off offset:280
	s_waitcnt lgkmcnt(0)
	v_fma_f64 v[4:5], v[112:113], v[96:97], v[4:5]
	s_waitcnt vmcnt(4)
	s_delay_alu instid0(VALU_DEP_1)
	v_fma_f64 v[4:5], v[118:119], v[98:99], v[4:5]
	ds_load_b128 v[96:99], v1 offset:576
	s_waitcnt lgkmcnt(0)
	v_fma_f64 v[4:5], v[120:121], v[96:97], v[4:5]
	scratch_load_b128 v[118:121], off, off offset:296
	s_waitcnt vmcnt(4)
	v_fma_f64 v[4:5], v[114:115], v[98:99], v[4:5]
	ds_load_b128 v[96:99], v1 offset:592
	scratch_load_b128 v[112:115], off, off offset:312
	s_waitcnt lgkmcnt(0)
	v_fma_f64 v[4:5], v[116:117], v[96:97], v[4:5]
	s_waitcnt vmcnt(4)
	s_delay_alu instid0(VALU_DEP_1)
	v_fma_f64 v[4:5], v[100:101], v[98:99], v[4:5]
	ds_load_b128 v[96:99], v1 offset:608
	s_waitcnt lgkmcnt(0)
	v_fma_f64 v[4:5], v[102:103], v[96:97], v[4:5]
	scratch_load_b128 v[100:103], off, off offset:328
	s_waitcnt vmcnt(4)
	v_fma_f64 v[4:5], v[104:105], v[98:99], v[4:5]
	ds_load_b128 v[96:99], v1 offset:624
	scratch_load_b64 v[104:105], off, off offset:344
	s_waitcnt lgkmcnt(0)
	v_fma_f64 v[4:5], v[106:107], v[96:97], v[4:5]
	s_waitcnt vmcnt(4)
	s_delay_alu instid0(VALU_DEP_1) | instskip(SKIP_4) | instid1(VALU_DEP_1)
	v_fma_f64 v[4:5], v[108:109], v[98:99], v[4:5]
	ds_load_b128 v[96:99], v1 offset:640
	s_waitcnt lgkmcnt(0)
	v_fma_f64 v[4:5], v[110:111], v[96:97], v[4:5]
	s_waitcnt vmcnt(3)
	v_fma_f64 v[4:5], v[118:119], v[98:99], v[4:5]
	ds_load_b128 v[96:99], v1 offset:656
	s_waitcnt lgkmcnt(0)
	v_fma_f64 v[4:5], v[120:121], v[96:97], v[4:5]
	s_waitcnt vmcnt(2)
	s_delay_alu instid0(VALU_DEP_1) | instskip(SKIP_4) | instid1(VALU_DEP_1)
	v_fma_f64 v[4:5], v[112:113], v[98:99], v[4:5]
	ds_load_b128 v[96:99], v1 offset:672
	s_waitcnt lgkmcnt(0)
	v_fma_f64 v[4:5], v[114:115], v[96:97], v[4:5]
	s_waitcnt vmcnt(1)
	v_fma_f64 v[4:5], v[100:101], v[98:99], v[4:5]
	ds_load_b128 v[96:99], v1 offset:688
	s_waitcnt lgkmcnt(0)
	v_fma_f64 v[1:2], v[102:103], v[96:97], v[4:5]
	s_waitcnt vmcnt(0)
	s_delay_alu instid0(VALU_DEP_1) | instskip(NEXT) | instid1(VALU_DEP_1)
	v_fma_f64 v[1:2], v[104:105], v[98:99], v[1:2]
	v_add_f64 v[1:2], v[94:95], -v[1:2]
	scratch_store_b64 off, v[1:2], off offset:136
	v_cmpx_lt_u32_e32 16, v0
	s_cbranch_execz .LBB107_241
; %bb.240:
	scratch_load_b64 v[1:2], off, off offset:128
	v_mov_b32_e32 v4, 0
	s_delay_alu instid0(VALU_DEP_1)
	v_mov_b32_e32 v5, v4
	scratch_store_b64 off, v[4:5], off offset:128
	s_waitcnt vmcnt(0)
	ds_store_b64 v3, v[1:2]
.LBB107_241:
	s_or_b32 exec_lo, exec_lo, s0
	s_waitcnt lgkmcnt(0)
	s_waitcnt_vscnt null, 0x0
	s_barrier
	buffer_gl0_inv
	s_clause 0x4
	scratch_load_b128 v[94:97], off, off offset:128
	scratch_load_b128 v[98:101], off, off offset:144
	;; [unrolled: 1-line block ×5, first 2 shown]
	v_mov_b32_e32 v1, 0
	scratch_load_b128 v[118:121], off, off offset:208
	s_mov_b32 s0, exec_lo
	ds_load_2addr_b64 v[114:117], v1 offset0:61 offset1:62
	s_waitcnt vmcnt(5) lgkmcnt(0)
	v_fma_f64 v[4:5], v[96:97], v[114:115], 0
	s_waitcnt vmcnt(4)
	s_delay_alu instid0(VALU_DEP_1)
	v_fma_f64 v[4:5], v[98:99], v[116:117], v[4:5]
	scratch_load_b128 v[114:117], off, off offset:224
	ds_load_2addr_b64 v[96:99], v1 offset0:63 offset1:64
	s_waitcnt lgkmcnt(0)
	v_fma_f64 v[4:5], v[100:101], v[96:97], v[4:5]
	s_waitcnt vmcnt(4)
	s_delay_alu instid0(VALU_DEP_1)
	v_fma_f64 v[4:5], v[102:103], v[98:99], v[4:5]
	ds_load_2addr_b64 v[96:99], v1 offset0:65 offset1:66
	scratch_load_b128 v[100:103], off, off offset:240
	s_waitcnt lgkmcnt(0)
	v_fma_f64 v[4:5], v[104:105], v[96:97], v[4:5]
	s_waitcnt vmcnt(4)
	s_delay_alu instid0(VALU_DEP_1)
	v_fma_f64 v[4:5], v[106:107], v[98:99], v[4:5]
	scratch_load_b128 v[104:107], off, off offset:256
	ds_load_2addr_b64 v[96:99], v1 offset0:67 offset1:68
	s_waitcnt lgkmcnt(0)
	v_fma_f64 v[4:5], v[108:109], v[96:97], v[4:5]
	s_waitcnt vmcnt(4)
	s_delay_alu instid0(VALU_DEP_1)
	v_fma_f64 v[4:5], v[110:111], v[98:99], v[4:5]
	ds_load_2addr_b64 v[96:99], v1 offset0:69 offset1:70
	scratch_load_b128 v[108:111], off, off offset:272
	s_waitcnt lgkmcnt(0)
	v_fma_f64 v[4:5], v[112:113], v[96:97], v[4:5]
	s_waitcnt vmcnt(4)
	s_delay_alu instid0(VALU_DEP_1)
	v_fma_f64 v[4:5], v[118:119], v[98:99], v[4:5]
	ds_load_2addr_b64 v[96:99], v1 offset0:71 offset1:72
	s_waitcnt lgkmcnt(0)
	v_fma_f64 v[4:5], v[120:121], v[96:97], v[4:5]
	scratch_load_b128 v[118:121], off, off offset:288
	s_waitcnt vmcnt(4)
	v_fma_f64 v[4:5], v[114:115], v[98:99], v[4:5]
	ds_load_2addr_b64 v[96:99], v1 offset0:73 offset1:74
	scratch_load_b128 v[112:115], off, off offset:304
	s_waitcnt lgkmcnt(0)
	v_fma_f64 v[4:5], v[116:117], v[96:97], v[4:5]
	s_waitcnt vmcnt(4)
	s_delay_alu instid0(VALU_DEP_1)
	v_fma_f64 v[4:5], v[100:101], v[98:99], v[4:5]
	ds_load_2addr_b64 v[96:99], v1 offset0:75 offset1:76
	s_waitcnt lgkmcnt(0)
	v_fma_f64 v[4:5], v[102:103], v[96:97], v[4:5]
	scratch_load_b128 v[100:103], off, off offset:320
	s_waitcnt vmcnt(4)
	v_fma_f64 v[4:5], v[104:105], v[98:99], v[4:5]
	ds_load_2addr_b64 v[96:99], v1 offset0:77 offset1:78
	s_waitcnt lgkmcnt(0)
	v_fma_f64 v[4:5], v[106:107], v[96:97], v[4:5]
	scratch_load_b128 v[104:107], off, off offset:336
	s_waitcnt vmcnt(4)
	v_fma_f64 v[4:5], v[108:109], v[98:99], v[4:5]
	ds_load_2addr_b64 v[96:99], v1 offset0:79 offset1:80
	s_waitcnt lgkmcnt(0)
	v_fma_f64 v[4:5], v[110:111], v[96:97], v[4:5]
	s_waitcnt vmcnt(3)
	s_delay_alu instid0(VALU_DEP_1) | instskip(SKIP_4) | instid1(VALU_DEP_1)
	v_fma_f64 v[4:5], v[118:119], v[98:99], v[4:5]
	ds_load_2addr_b64 v[96:99], v1 offset0:81 offset1:82
	s_waitcnt lgkmcnt(0)
	v_fma_f64 v[4:5], v[120:121], v[96:97], v[4:5]
	s_waitcnt vmcnt(2)
	v_fma_f64 v[4:5], v[112:113], v[98:99], v[4:5]
	ds_load_2addr_b64 v[96:99], v1 offset0:83 offset1:84
	s_waitcnt lgkmcnt(0)
	v_fma_f64 v[4:5], v[114:115], v[96:97], v[4:5]
	s_waitcnt vmcnt(1)
	s_delay_alu instid0(VALU_DEP_1)
	v_fma_f64 v[4:5], v[100:101], v[98:99], v[4:5]
	ds_load_2addr_b64 v[96:99], v1 offset0:85 offset1:86
	s_waitcnt lgkmcnt(0)
	v_fma_f64 v[4:5], v[102:103], v[96:97], v[4:5]
	ds_load_b64 v[96:97], v1 offset:696
	s_waitcnt vmcnt(0)
	v_fma_f64 v[4:5], v[104:105], v[98:99], v[4:5]
	s_waitcnt lgkmcnt(0)
	s_delay_alu instid0(VALU_DEP_1) | instskip(NEXT) | instid1(VALU_DEP_1)
	v_fma_f64 v[4:5], v[106:107], v[96:97], v[4:5]
	v_add_f64 v[4:5], v[94:95], -v[4:5]
	scratch_store_b64 off, v[4:5], off offset:128
	v_cmpx_lt_u32_e32 15, v0
	s_cbranch_execz .LBB107_243
; %bb.242:
	scratch_load_b64 v[4:5], off, off offset:120
	v_mov_b32_e32 v2, v1
	scratch_store_b64 off, v[1:2], off offset:120
	s_waitcnt vmcnt(0)
	ds_store_b64 v3, v[4:5]
.LBB107_243:
	s_or_b32 exec_lo, exec_lo, s0
	s_waitcnt lgkmcnt(0)
	s_waitcnt_vscnt null, 0x0
	s_barrier
	buffer_gl0_inv
	s_clause 0x4
	scratch_load_b128 v[94:97], off, off offset:120
	scratch_load_b128 v[98:101], off, off offset:136
	;; [unrolled: 1-line block ×5, first 2 shown]
	ds_load_b128 v[114:117], v1 offset:480
	scratch_load_b128 v[118:121], off, off offset:200
	s_mov_b32 s0, exec_lo
	s_waitcnt vmcnt(5) lgkmcnt(0)
	v_fma_f64 v[4:5], v[96:97], v[114:115], 0
	s_waitcnt vmcnt(4)
	s_delay_alu instid0(VALU_DEP_1)
	v_fma_f64 v[4:5], v[98:99], v[116:117], v[4:5]
	scratch_load_b128 v[114:117], off, off offset:216
	ds_load_b128 v[96:99], v1 offset:496
	s_waitcnt lgkmcnt(0)
	v_fma_f64 v[4:5], v[100:101], v[96:97], v[4:5]
	s_waitcnt vmcnt(4)
	s_delay_alu instid0(VALU_DEP_1)
	v_fma_f64 v[4:5], v[102:103], v[98:99], v[4:5]
	ds_load_b128 v[96:99], v1 offset:512
	scratch_load_b128 v[100:103], off, off offset:232
	s_waitcnt lgkmcnt(0)
	v_fma_f64 v[4:5], v[104:105], v[96:97], v[4:5]
	s_waitcnt vmcnt(4)
	s_delay_alu instid0(VALU_DEP_1)
	v_fma_f64 v[4:5], v[106:107], v[98:99], v[4:5]
	scratch_load_b128 v[104:107], off, off offset:248
	ds_load_b128 v[96:99], v1 offset:528
	s_waitcnt lgkmcnt(0)
	v_fma_f64 v[4:5], v[108:109], v[96:97], v[4:5]
	s_waitcnt vmcnt(4)
	s_delay_alu instid0(VALU_DEP_1)
	v_fma_f64 v[4:5], v[110:111], v[98:99], v[4:5]
	ds_load_b128 v[96:99], v1 offset:544
	scratch_load_b128 v[108:111], off, off offset:264
	s_waitcnt lgkmcnt(0)
	v_fma_f64 v[4:5], v[112:113], v[96:97], v[4:5]
	s_waitcnt vmcnt(4)
	s_delay_alu instid0(VALU_DEP_1)
	v_fma_f64 v[4:5], v[118:119], v[98:99], v[4:5]
	ds_load_b128 v[96:99], v1 offset:560
	s_waitcnt lgkmcnt(0)
	v_fma_f64 v[4:5], v[120:121], v[96:97], v[4:5]
	scratch_load_b128 v[118:121], off, off offset:280
	s_waitcnt vmcnt(4)
	v_fma_f64 v[4:5], v[114:115], v[98:99], v[4:5]
	ds_load_b128 v[96:99], v1 offset:576
	scratch_load_b128 v[112:115], off, off offset:296
	s_waitcnt lgkmcnt(0)
	v_fma_f64 v[4:5], v[116:117], v[96:97], v[4:5]
	s_waitcnt vmcnt(4)
	s_delay_alu instid0(VALU_DEP_1)
	v_fma_f64 v[4:5], v[100:101], v[98:99], v[4:5]
	ds_load_b128 v[96:99], v1 offset:592
	s_waitcnt lgkmcnt(0)
	v_fma_f64 v[4:5], v[102:103], v[96:97], v[4:5]
	scratch_load_b128 v[100:103], off, off offset:312
	s_waitcnt vmcnt(4)
	v_fma_f64 v[4:5], v[104:105], v[98:99], v[4:5]
	ds_load_b128 v[96:99], v1 offset:608
	s_waitcnt lgkmcnt(0)
	v_fma_f64 v[4:5], v[106:107], v[96:97], v[4:5]
	scratch_load_b128 v[104:107], off, off offset:328
	s_waitcnt vmcnt(4)
	v_fma_f64 v[4:5], v[108:109], v[98:99], v[4:5]
	scratch_load_b64 v[108:109], off, off offset:344
	ds_load_b128 v[96:99], v1 offset:624
	s_waitcnt lgkmcnt(0)
	v_fma_f64 v[4:5], v[110:111], v[96:97], v[4:5]
	s_waitcnt vmcnt(4)
	s_delay_alu instid0(VALU_DEP_1) | instskip(SKIP_4) | instid1(VALU_DEP_1)
	v_fma_f64 v[4:5], v[118:119], v[98:99], v[4:5]
	ds_load_b128 v[96:99], v1 offset:640
	s_waitcnt lgkmcnt(0)
	v_fma_f64 v[4:5], v[120:121], v[96:97], v[4:5]
	s_waitcnt vmcnt(3)
	v_fma_f64 v[4:5], v[112:113], v[98:99], v[4:5]
	ds_load_b128 v[96:99], v1 offset:656
	s_waitcnt lgkmcnt(0)
	v_fma_f64 v[4:5], v[114:115], v[96:97], v[4:5]
	s_waitcnt vmcnt(2)
	s_delay_alu instid0(VALU_DEP_1) | instskip(SKIP_4) | instid1(VALU_DEP_1)
	v_fma_f64 v[4:5], v[100:101], v[98:99], v[4:5]
	ds_load_b128 v[96:99], v1 offset:672
	s_waitcnt lgkmcnt(0)
	v_fma_f64 v[4:5], v[102:103], v[96:97], v[4:5]
	s_waitcnt vmcnt(1)
	v_fma_f64 v[4:5], v[104:105], v[98:99], v[4:5]
	ds_load_b128 v[96:99], v1 offset:688
	s_waitcnt lgkmcnt(0)
	v_fma_f64 v[1:2], v[106:107], v[96:97], v[4:5]
	s_waitcnt vmcnt(0)
	s_delay_alu instid0(VALU_DEP_1) | instskip(NEXT) | instid1(VALU_DEP_1)
	v_fma_f64 v[1:2], v[108:109], v[98:99], v[1:2]
	v_add_f64 v[1:2], v[94:95], -v[1:2]
	scratch_store_b64 off, v[1:2], off offset:120
	v_cmpx_lt_u32_e32 14, v0
	s_cbranch_execz .LBB107_245
; %bb.244:
	scratch_load_b64 v[1:2], off, off offset:112
	v_mov_b32_e32 v4, 0
	s_delay_alu instid0(VALU_DEP_1)
	v_mov_b32_e32 v5, v4
	scratch_store_b64 off, v[4:5], off offset:112
	s_waitcnt vmcnt(0)
	ds_store_b64 v3, v[1:2]
.LBB107_245:
	s_or_b32 exec_lo, exec_lo, s0
	s_waitcnt lgkmcnt(0)
	s_waitcnt_vscnt null, 0x0
	s_barrier
	buffer_gl0_inv
	s_clause 0x4
	scratch_load_b128 v[94:97], off, off offset:112
	scratch_load_b128 v[98:101], off, off offset:128
	;; [unrolled: 1-line block ×5, first 2 shown]
	v_mov_b32_e32 v1, 0
	scratch_load_b128 v[118:121], off, off offset:192
	s_mov_b32 s0, exec_lo
	ds_load_2addr_b64 v[114:117], v1 offset0:59 offset1:60
	s_waitcnt vmcnt(5) lgkmcnt(0)
	v_fma_f64 v[4:5], v[96:97], v[114:115], 0
	s_waitcnt vmcnt(4)
	s_delay_alu instid0(VALU_DEP_1)
	v_fma_f64 v[4:5], v[98:99], v[116:117], v[4:5]
	scratch_load_b128 v[114:117], off, off offset:208
	ds_load_2addr_b64 v[96:99], v1 offset0:61 offset1:62
	s_waitcnt lgkmcnt(0)
	v_fma_f64 v[4:5], v[100:101], v[96:97], v[4:5]
	s_waitcnt vmcnt(4)
	s_delay_alu instid0(VALU_DEP_1)
	v_fma_f64 v[4:5], v[102:103], v[98:99], v[4:5]
	ds_load_2addr_b64 v[96:99], v1 offset0:63 offset1:64
	scratch_load_b128 v[100:103], off, off offset:224
	s_waitcnt lgkmcnt(0)
	v_fma_f64 v[4:5], v[104:105], v[96:97], v[4:5]
	s_waitcnt vmcnt(4)
	s_delay_alu instid0(VALU_DEP_1)
	v_fma_f64 v[4:5], v[106:107], v[98:99], v[4:5]
	scratch_load_b128 v[104:107], off, off offset:240
	ds_load_2addr_b64 v[96:99], v1 offset0:65 offset1:66
	s_waitcnt lgkmcnt(0)
	v_fma_f64 v[4:5], v[108:109], v[96:97], v[4:5]
	s_waitcnt vmcnt(4)
	s_delay_alu instid0(VALU_DEP_1)
	v_fma_f64 v[4:5], v[110:111], v[98:99], v[4:5]
	ds_load_2addr_b64 v[96:99], v1 offset0:67 offset1:68
	scratch_load_b128 v[108:111], off, off offset:256
	s_waitcnt lgkmcnt(0)
	v_fma_f64 v[4:5], v[112:113], v[96:97], v[4:5]
	s_waitcnt vmcnt(4)
	s_delay_alu instid0(VALU_DEP_1)
	v_fma_f64 v[4:5], v[118:119], v[98:99], v[4:5]
	ds_load_2addr_b64 v[96:99], v1 offset0:69 offset1:70
	s_waitcnt lgkmcnt(0)
	v_fma_f64 v[4:5], v[120:121], v[96:97], v[4:5]
	scratch_load_b128 v[118:121], off, off offset:272
	s_waitcnt vmcnt(4)
	v_fma_f64 v[4:5], v[114:115], v[98:99], v[4:5]
	ds_load_2addr_b64 v[96:99], v1 offset0:71 offset1:72
	scratch_load_b128 v[112:115], off, off offset:288
	s_waitcnt lgkmcnt(0)
	v_fma_f64 v[4:5], v[116:117], v[96:97], v[4:5]
	s_waitcnt vmcnt(4)
	s_delay_alu instid0(VALU_DEP_1)
	v_fma_f64 v[4:5], v[100:101], v[98:99], v[4:5]
	ds_load_2addr_b64 v[96:99], v1 offset0:73 offset1:74
	s_waitcnt lgkmcnt(0)
	v_fma_f64 v[4:5], v[102:103], v[96:97], v[4:5]
	scratch_load_b128 v[100:103], off, off offset:304
	s_waitcnt vmcnt(4)
	v_fma_f64 v[4:5], v[104:105], v[98:99], v[4:5]
	ds_load_2addr_b64 v[96:99], v1 offset0:75 offset1:76
	s_waitcnt lgkmcnt(0)
	v_fma_f64 v[4:5], v[106:107], v[96:97], v[4:5]
	scratch_load_b128 v[104:107], off, off offset:320
	s_waitcnt vmcnt(4)
	;; [unrolled: 6-line block ×3, first 2 shown]
	v_fma_f64 v[4:5], v[118:119], v[98:99], v[4:5]
	ds_load_2addr_b64 v[96:99], v1 offset0:79 offset1:80
	s_waitcnt lgkmcnt(0)
	v_fma_f64 v[4:5], v[120:121], v[96:97], v[4:5]
	s_waitcnt vmcnt(3)
	s_delay_alu instid0(VALU_DEP_1) | instskip(SKIP_4) | instid1(VALU_DEP_1)
	v_fma_f64 v[4:5], v[112:113], v[98:99], v[4:5]
	ds_load_2addr_b64 v[96:99], v1 offset0:81 offset1:82
	s_waitcnt lgkmcnt(0)
	v_fma_f64 v[4:5], v[114:115], v[96:97], v[4:5]
	s_waitcnt vmcnt(2)
	v_fma_f64 v[4:5], v[100:101], v[98:99], v[4:5]
	ds_load_2addr_b64 v[96:99], v1 offset0:83 offset1:84
	s_waitcnt lgkmcnt(0)
	v_fma_f64 v[4:5], v[102:103], v[96:97], v[4:5]
	s_waitcnt vmcnt(1)
	s_delay_alu instid0(VALU_DEP_1)
	v_fma_f64 v[4:5], v[104:105], v[98:99], v[4:5]
	ds_load_2addr_b64 v[96:99], v1 offset0:85 offset1:86
	s_waitcnt lgkmcnt(0)
	v_fma_f64 v[4:5], v[106:107], v[96:97], v[4:5]
	ds_load_b64 v[96:97], v1 offset:696
	s_waitcnt vmcnt(0)
	v_fma_f64 v[4:5], v[108:109], v[98:99], v[4:5]
	s_waitcnt lgkmcnt(0)
	s_delay_alu instid0(VALU_DEP_1) | instskip(NEXT) | instid1(VALU_DEP_1)
	v_fma_f64 v[4:5], v[110:111], v[96:97], v[4:5]
	v_add_f64 v[4:5], v[94:95], -v[4:5]
	scratch_store_b64 off, v[4:5], off offset:112
	v_cmpx_lt_u32_e32 13, v0
	s_cbranch_execz .LBB107_247
; %bb.246:
	scratch_load_b64 v[4:5], off, off offset:104
	v_mov_b32_e32 v2, v1
	scratch_store_b64 off, v[1:2], off offset:104
	s_waitcnt vmcnt(0)
	ds_store_b64 v3, v[4:5]
.LBB107_247:
	s_or_b32 exec_lo, exec_lo, s0
	s_waitcnt lgkmcnt(0)
	s_waitcnt_vscnt null, 0x0
	s_barrier
	buffer_gl0_inv
	s_clause 0x4
	scratch_load_b128 v[94:97], off, off offset:104
	scratch_load_b128 v[98:101], off, off offset:120
	;; [unrolled: 1-line block ×5, first 2 shown]
	ds_load_b128 v[114:117], v1 offset:464
	scratch_load_b128 v[118:121], off, off offset:184
	s_mov_b32 s0, exec_lo
	s_waitcnt vmcnt(5) lgkmcnt(0)
	v_fma_f64 v[4:5], v[96:97], v[114:115], 0
	s_waitcnt vmcnt(4)
	s_delay_alu instid0(VALU_DEP_1)
	v_fma_f64 v[4:5], v[98:99], v[116:117], v[4:5]
	scratch_load_b128 v[114:117], off, off offset:200
	ds_load_b128 v[96:99], v1 offset:480
	s_waitcnt lgkmcnt(0)
	v_fma_f64 v[4:5], v[100:101], v[96:97], v[4:5]
	s_waitcnt vmcnt(4)
	s_delay_alu instid0(VALU_DEP_1)
	v_fma_f64 v[4:5], v[102:103], v[98:99], v[4:5]
	ds_load_b128 v[96:99], v1 offset:496
	scratch_load_b128 v[100:103], off, off offset:216
	s_waitcnt lgkmcnt(0)
	v_fma_f64 v[4:5], v[104:105], v[96:97], v[4:5]
	s_waitcnt vmcnt(4)
	s_delay_alu instid0(VALU_DEP_1)
	v_fma_f64 v[4:5], v[106:107], v[98:99], v[4:5]
	scratch_load_b128 v[104:107], off, off offset:232
	ds_load_b128 v[96:99], v1 offset:512
	s_waitcnt lgkmcnt(0)
	v_fma_f64 v[4:5], v[108:109], v[96:97], v[4:5]
	s_waitcnt vmcnt(4)
	s_delay_alu instid0(VALU_DEP_1)
	v_fma_f64 v[4:5], v[110:111], v[98:99], v[4:5]
	ds_load_b128 v[96:99], v1 offset:528
	scratch_load_b128 v[108:111], off, off offset:248
	s_waitcnt lgkmcnt(0)
	v_fma_f64 v[4:5], v[112:113], v[96:97], v[4:5]
	s_waitcnt vmcnt(4)
	s_delay_alu instid0(VALU_DEP_1)
	v_fma_f64 v[4:5], v[118:119], v[98:99], v[4:5]
	ds_load_b128 v[96:99], v1 offset:544
	s_waitcnt lgkmcnt(0)
	v_fma_f64 v[4:5], v[120:121], v[96:97], v[4:5]
	scratch_load_b128 v[118:121], off, off offset:264
	s_waitcnt vmcnt(4)
	v_fma_f64 v[4:5], v[114:115], v[98:99], v[4:5]
	ds_load_b128 v[96:99], v1 offset:560
	scratch_load_b128 v[112:115], off, off offset:280
	s_waitcnt lgkmcnt(0)
	v_fma_f64 v[4:5], v[116:117], v[96:97], v[4:5]
	scratch_load_b64 v[116:117], off, off offset:344
	s_waitcnt vmcnt(5)
	v_fma_f64 v[4:5], v[100:101], v[98:99], v[4:5]
	ds_load_b128 v[96:99], v1 offset:576
	s_waitcnt lgkmcnt(0)
	v_fma_f64 v[4:5], v[102:103], v[96:97], v[4:5]
	scratch_load_b128 v[100:103], off, off offset:296
	s_waitcnt vmcnt(5)
	v_fma_f64 v[4:5], v[104:105], v[98:99], v[4:5]
	ds_load_b128 v[96:99], v1 offset:592
	s_waitcnt lgkmcnt(0)
	v_fma_f64 v[4:5], v[106:107], v[96:97], v[4:5]
	scratch_load_b128 v[104:107], off, off offset:312
	;; [unrolled: 6-line block ×3, first 2 shown]
	s_waitcnt vmcnt(5)
	v_fma_f64 v[4:5], v[118:119], v[98:99], v[4:5]
	ds_load_b128 v[96:99], v1 offset:624
	s_waitcnt lgkmcnt(0)
	v_fma_f64 v[4:5], v[120:121], v[96:97], v[4:5]
	s_waitcnt vmcnt(4)
	s_delay_alu instid0(VALU_DEP_1) | instskip(SKIP_4) | instid1(VALU_DEP_1)
	v_fma_f64 v[4:5], v[112:113], v[98:99], v[4:5]
	ds_load_b128 v[96:99], v1 offset:640
	s_waitcnt lgkmcnt(0)
	v_fma_f64 v[4:5], v[114:115], v[96:97], v[4:5]
	s_waitcnt vmcnt(2)
	v_fma_f64 v[4:5], v[100:101], v[98:99], v[4:5]
	ds_load_b128 v[96:99], v1 offset:656
	s_waitcnt lgkmcnt(0)
	v_fma_f64 v[4:5], v[102:103], v[96:97], v[4:5]
	s_waitcnt vmcnt(1)
	s_delay_alu instid0(VALU_DEP_1) | instskip(SKIP_4) | instid1(VALU_DEP_1)
	v_fma_f64 v[4:5], v[104:105], v[98:99], v[4:5]
	ds_load_b128 v[96:99], v1 offset:672
	s_waitcnt lgkmcnt(0)
	v_fma_f64 v[4:5], v[106:107], v[96:97], v[4:5]
	s_waitcnt vmcnt(0)
	v_fma_f64 v[4:5], v[108:109], v[98:99], v[4:5]
	ds_load_b128 v[96:99], v1 offset:688
	s_waitcnt lgkmcnt(0)
	v_fma_f64 v[1:2], v[110:111], v[96:97], v[4:5]
	s_delay_alu instid0(VALU_DEP_1) | instskip(NEXT) | instid1(VALU_DEP_1)
	v_fma_f64 v[1:2], v[116:117], v[98:99], v[1:2]
	v_add_f64 v[1:2], v[94:95], -v[1:2]
	scratch_store_b64 off, v[1:2], off offset:104
	v_cmpx_lt_u32_e32 12, v0
	s_cbranch_execz .LBB107_249
; %bb.248:
	scratch_load_b64 v[1:2], off, off offset:96
	v_mov_b32_e32 v4, 0
	s_delay_alu instid0(VALU_DEP_1)
	v_mov_b32_e32 v5, v4
	scratch_store_b64 off, v[4:5], off offset:96
	s_waitcnt vmcnt(0)
	ds_store_b64 v3, v[1:2]
.LBB107_249:
	s_or_b32 exec_lo, exec_lo, s0
	s_waitcnt lgkmcnt(0)
	s_waitcnt_vscnt null, 0x0
	s_barrier
	buffer_gl0_inv
	s_clause 0x4
	scratch_load_b128 v[94:97], off, off offset:96
	scratch_load_b128 v[98:101], off, off offset:112
	;; [unrolled: 1-line block ×5, first 2 shown]
	v_mov_b32_e32 v1, 0
	scratch_load_b128 v[118:121], off, off offset:176
	s_mov_b32 s0, exec_lo
	ds_load_2addr_b64 v[114:117], v1 offset0:57 offset1:58
	s_waitcnt vmcnt(5) lgkmcnt(0)
	v_fma_f64 v[4:5], v[96:97], v[114:115], 0
	s_waitcnt vmcnt(4)
	s_delay_alu instid0(VALU_DEP_1)
	v_fma_f64 v[4:5], v[98:99], v[116:117], v[4:5]
	scratch_load_b128 v[114:117], off, off offset:192
	ds_load_2addr_b64 v[96:99], v1 offset0:59 offset1:60
	s_waitcnt lgkmcnt(0)
	v_fma_f64 v[4:5], v[100:101], v[96:97], v[4:5]
	s_waitcnt vmcnt(4)
	s_delay_alu instid0(VALU_DEP_1)
	v_fma_f64 v[4:5], v[102:103], v[98:99], v[4:5]
	ds_load_2addr_b64 v[96:99], v1 offset0:61 offset1:62
	scratch_load_b128 v[100:103], off, off offset:208
	s_waitcnt lgkmcnt(0)
	v_fma_f64 v[4:5], v[104:105], v[96:97], v[4:5]
	s_waitcnt vmcnt(4)
	s_delay_alu instid0(VALU_DEP_1)
	v_fma_f64 v[4:5], v[106:107], v[98:99], v[4:5]
	scratch_load_b128 v[104:107], off, off offset:224
	ds_load_2addr_b64 v[96:99], v1 offset0:63 offset1:64
	s_waitcnt lgkmcnt(0)
	v_fma_f64 v[4:5], v[108:109], v[96:97], v[4:5]
	s_waitcnt vmcnt(4)
	s_delay_alu instid0(VALU_DEP_1)
	v_fma_f64 v[4:5], v[110:111], v[98:99], v[4:5]
	ds_load_2addr_b64 v[96:99], v1 offset0:65 offset1:66
	scratch_load_b128 v[108:111], off, off offset:240
	s_waitcnt lgkmcnt(0)
	v_fma_f64 v[4:5], v[112:113], v[96:97], v[4:5]
	s_waitcnt vmcnt(4)
	s_delay_alu instid0(VALU_DEP_1)
	v_fma_f64 v[4:5], v[118:119], v[98:99], v[4:5]
	ds_load_2addr_b64 v[96:99], v1 offset0:67 offset1:68
	s_waitcnt lgkmcnt(0)
	v_fma_f64 v[4:5], v[120:121], v[96:97], v[4:5]
	scratch_load_b128 v[118:121], off, off offset:256
	s_waitcnt vmcnt(4)
	v_fma_f64 v[4:5], v[114:115], v[98:99], v[4:5]
	ds_load_2addr_b64 v[96:99], v1 offset0:69 offset1:70
	scratch_load_b128 v[112:115], off, off offset:272
	s_waitcnt lgkmcnt(0)
	v_fma_f64 v[4:5], v[116:117], v[96:97], v[4:5]
	s_waitcnt vmcnt(4)
	s_delay_alu instid0(VALU_DEP_1)
	v_fma_f64 v[4:5], v[100:101], v[98:99], v[4:5]
	ds_load_2addr_b64 v[96:99], v1 offset0:71 offset1:72
	s_waitcnt lgkmcnt(0)
	v_fma_f64 v[4:5], v[102:103], v[96:97], v[4:5]
	scratch_load_b128 v[100:103], off, off offset:288
	s_waitcnt vmcnt(4)
	v_fma_f64 v[4:5], v[104:105], v[98:99], v[4:5]
	ds_load_2addr_b64 v[96:99], v1 offset0:73 offset1:74
	s_waitcnt lgkmcnt(0)
	v_fma_f64 v[4:5], v[106:107], v[96:97], v[4:5]
	scratch_load_b128 v[104:107], off, off offset:304
	s_waitcnt vmcnt(4)
	;; [unrolled: 6-line block ×3, first 2 shown]
	v_fma_f64 v[4:5], v[118:119], v[98:99], v[4:5]
	ds_load_2addr_b64 v[96:99], v1 offset0:77 offset1:78
	scratch_load_b128 v[116:119], off, off offset:336
	s_waitcnt lgkmcnt(0)
	v_fma_f64 v[4:5], v[120:121], v[96:97], v[4:5]
	s_waitcnt vmcnt(4)
	s_delay_alu instid0(VALU_DEP_1) | instskip(SKIP_4) | instid1(VALU_DEP_1)
	v_fma_f64 v[4:5], v[112:113], v[98:99], v[4:5]
	ds_load_2addr_b64 v[96:99], v1 offset0:79 offset1:80
	s_waitcnt lgkmcnt(0)
	v_fma_f64 v[4:5], v[114:115], v[96:97], v[4:5]
	s_waitcnt vmcnt(3)
	v_fma_f64 v[4:5], v[100:101], v[98:99], v[4:5]
	ds_load_2addr_b64 v[96:99], v1 offset0:81 offset1:82
	s_waitcnt lgkmcnt(0)
	v_fma_f64 v[4:5], v[102:103], v[96:97], v[4:5]
	s_waitcnt vmcnt(2)
	s_delay_alu instid0(VALU_DEP_1) | instskip(SKIP_4) | instid1(VALU_DEP_1)
	v_fma_f64 v[4:5], v[104:105], v[98:99], v[4:5]
	ds_load_2addr_b64 v[96:99], v1 offset0:83 offset1:84
	s_waitcnt lgkmcnt(0)
	v_fma_f64 v[4:5], v[106:107], v[96:97], v[4:5]
	s_waitcnt vmcnt(1)
	v_fma_f64 v[4:5], v[108:109], v[98:99], v[4:5]
	ds_load_2addr_b64 v[96:99], v1 offset0:85 offset1:86
	s_waitcnt lgkmcnt(0)
	v_fma_f64 v[4:5], v[110:111], v[96:97], v[4:5]
	ds_load_b64 v[96:97], v1 offset:696
	s_waitcnt vmcnt(0)
	v_fma_f64 v[4:5], v[116:117], v[98:99], v[4:5]
	s_waitcnt lgkmcnt(0)
	s_delay_alu instid0(VALU_DEP_1) | instskip(NEXT) | instid1(VALU_DEP_1)
	v_fma_f64 v[4:5], v[118:119], v[96:97], v[4:5]
	v_add_f64 v[4:5], v[94:95], -v[4:5]
	scratch_store_b64 off, v[4:5], off offset:96
	v_cmpx_lt_u32_e32 11, v0
	s_cbranch_execz .LBB107_251
; %bb.250:
	scratch_load_b64 v[4:5], off, off offset:88
	v_mov_b32_e32 v2, v1
	scratch_store_b64 off, v[1:2], off offset:88
	s_waitcnt vmcnt(0)
	ds_store_b64 v3, v[4:5]
.LBB107_251:
	s_or_b32 exec_lo, exec_lo, s0
	s_waitcnt lgkmcnt(0)
	s_waitcnt_vscnt null, 0x0
	s_barrier
	buffer_gl0_inv
	s_clause 0x4
	scratch_load_b128 v[94:97], off, off offset:88
	scratch_load_b128 v[98:101], off, off offset:104
	;; [unrolled: 1-line block ×5, first 2 shown]
	ds_load_b128 v[114:117], v1 offset:448
	scratch_load_b128 v[118:121], off, off offset:168
	s_mov_b32 s0, exec_lo
	s_waitcnt vmcnt(5) lgkmcnt(0)
	v_fma_f64 v[4:5], v[96:97], v[114:115], 0
	s_waitcnt vmcnt(4)
	s_delay_alu instid0(VALU_DEP_1)
	v_fma_f64 v[4:5], v[98:99], v[116:117], v[4:5]
	scratch_load_b128 v[114:117], off, off offset:184
	ds_load_b128 v[96:99], v1 offset:464
	s_waitcnt lgkmcnt(0)
	v_fma_f64 v[4:5], v[100:101], v[96:97], v[4:5]
	s_waitcnt vmcnt(4)
	s_delay_alu instid0(VALU_DEP_1)
	v_fma_f64 v[4:5], v[102:103], v[98:99], v[4:5]
	ds_load_b128 v[96:99], v1 offset:480
	scratch_load_b128 v[100:103], off, off offset:200
	s_waitcnt lgkmcnt(0)
	v_fma_f64 v[4:5], v[104:105], v[96:97], v[4:5]
	s_waitcnt vmcnt(4)
	s_delay_alu instid0(VALU_DEP_1)
	v_fma_f64 v[4:5], v[106:107], v[98:99], v[4:5]
	scratch_load_b128 v[104:107], off, off offset:216
	ds_load_b128 v[96:99], v1 offset:496
	s_waitcnt lgkmcnt(0)
	v_fma_f64 v[4:5], v[108:109], v[96:97], v[4:5]
	s_waitcnt vmcnt(4)
	s_delay_alu instid0(VALU_DEP_1)
	v_fma_f64 v[4:5], v[110:111], v[98:99], v[4:5]
	ds_load_b128 v[96:99], v1 offset:512
	scratch_load_b128 v[108:111], off, off offset:232
	s_waitcnt lgkmcnt(0)
	v_fma_f64 v[4:5], v[112:113], v[96:97], v[4:5]
	s_waitcnt vmcnt(4)
	s_delay_alu instid0(VALU_DEP_1)
	v_fma_f64 v[4:5], v[118:119], v[98:99], v[4:5]
	ds_load_b128 v[96:99], v1 offset:528
	s_waitcnt lgkmcnt(0)
	v_fma_f64 v[4:5], v[120:121], v[96:97], v[4:5]
	scratch_load_b128 v[118:121], off, off offset:248
	s_waitcnt vmcnt(4)
	v_fma_f64 v[4:5], v[114:115], v[98:99], v[4:5]
	ds_load_b128 v[96:99], v1 offset:544
	scratch_load_b128 v[112:115], off, off offset:264
	s_waitcnt lgkmcnt(0)
	v_fma_f64 v[4:5], v[116:117], v[96:97], v[4:5]
	s_waitcnt vmcnt(4)
	s_delay_alu instid0(VALU_DEP_1)
	v_fma_f64 v[4:5], v[100:101], v[98:99], v[4:5]
	ds_load_b128 v[96:99], v1 offset:560
	s_waitcnt lgkmcnt(0)
	v_fma_f64 v[4:5], v[102:103], v[96:97], v[4:5]
	scratch_load_b128 v[100:103], off, off offset:280
	s_waitcnt vmcnt(4)
	v_fma_f64 v[4:5], v[104:105], v[98:99], v[4:5]
	ds_load_b128 v[96:99], v1 offset:576
	s_waitcnt lgkmcnt(0)
	v_fma_f64 v[4:5], v[106:107], v[96:97], v[4:5]
	scratch_load_b128 v[104:107], off, off offset:296
	s_waitcnt vmcnt(4)
	;; [unrolled: 6-line block ×3, first 2 shown]
	v_fma_f64 v[4:5], v[118:119], v[98:99], v[4:5]
	ds_load_b128 v[96:99], v1 offset:608
	scratch_load_b128 v[116:119], off, off offset:328
	s_waitcnt lgkmcnt(0)
	v_fma_f64 v[4:5], v[120:121], v[96:97], v[4:5]
	s_waitcnt vmcnt(4)
	s_delay_alu instid0(VALU_DEP_1)
	v_fma_f64 v[4:5], v[112:113], v[98:99], v[4:5]
	scratch_load_b64 v[112:113], off, off offset:344
	ds_load_b128 v[96:99], v1 offset:624
	s_waitcnt lgkmcnt(0)
	v_fma_f64 v[4:5], v[114:115], v[96:97], v[4:5]
	s_waitcnt vmcnt(4)
	s_delay_alu instid0(VALU_DEP_1) | instskip(SKIP_4) | instid1(VALU_DEP_1)
	v_fma_f64 v[4:5], v[100:101], v[98:99], v[4:5]
	ds_load_b128 v[96:99], v1 offset:640
	s_waitcnt lgkmcnt(0)
	v_fma_f64 v[4:5], v[102:103], v[96:97], v[4:5]
	s_waitcnt vmcnt(3)
	v_fma_f64 v[4:5], v[104:105], v[98:99], v[4:5]
	ds_load_b128 v[96:99], v1 offset:656
	s_waitcnt lgkmcnt(0)
	v_fma_f64 v[4:5], v[106:107], v[96:97], v[4:5]
	s_waitcnt vmcnt(2)
	s_delay_alu instid0(VALU_DEP_1) | instskip(SKIP_4) | instid1(VALU_DEP_1)
	v_fma_f64 v[4:5], v[108:109], v[98:99], v[4:5]
	ds_load_b128 v[96:99], v1 offset:672
	s_waitcnt lgkmcnt(0)
	v_fma_f64 v[4:5], v[110:111], v[96:97], v[4:5]
	s_waitcnt vmcnt(1)
	v_fma_f64 v[4:5], v[116:117], v[98:99], v[4:5]
	ds_load_b128 v[96:99], v1 offset:688
	s_waitcnt lgkmcnt(0)
	v_fma_f64 v[1:2], v[118:119], v[96:97], v[4:5]
	s_waitcnt vmcnt(0)
	s_delay_alu instid0(VALU_DEP_1) | instskip(NEXT) | instid1(VALU_DEP_1)
	v_fma_f64 v[1:2], v[112:113], v[98:99], v[1:2]
	v_add_f64 v[1:2], v[94:95], -v[1:2]
	scratch_store_b64 off, v[1:2], off offset:88
	v_cmpx_lt_u32_e32 10, v0
	s_cbranch_execz .LBB107_253
; %bb.252:
	scratch_load_b64 v[1:2], off, off offset:80
	v_mov_b32_e32 v4, 0
	s_delay_alu instid0(VALU_DEP_1)
	v_mov_b32_e32 v5, v4
	scratch_store_b64 off, v[4:5], off offset:80
	s_waitcnt vmcnt(0)
	ds_store_b64 v3, v[1:2]
.LBB107_253:
	s_or_b32 exec_lo, exec_lo, s0
	s_waitcnt lgkmcnt(0)
	s_waitcnt_vscnt null, 0x0
	s_barrier
	buffer_gl0_inv
	s_clause 0x4
	scratch_load_b128 v[94:97], off, off offset:80
	scratch_load_b128 v[98:101], off, off offset:96
	;; [unrolled: 1-line block ×5, first 2 shown]
	v_mov_b32_e32 v1, 0
	scratch_load_b128 v[118:121], off, off offset:160
	s_mov_b32 s0, exec_lo
	ds_load_2addr_b64 v[114:117], v1 offset0:55 offset1:56
	s_waitcnt vmcnt(5) lgkmcnt(0)
	v_fma_f64 v[4:5], v[96:97], v[114:115], 0
	s_waitcnt vmcnt(4)
	s_delay_alu instid0(VALU_DEP_1)
	v_fma_f64 v[4:5], v[98:99], v[116:117], v[4:5]
	scratch_load_b128 v[114:117], off, off offset:176
	ds_load_2addr_b64 v[96:99], v1 offset0:57 offset1:58
	s_waitcnt lgkmcnt(0)
	v_fma_f64 v[4:5], v[100:101], v[96:97], v[4:5]
	s_waitcnt vmcnt(4)
	s_delay_alu instid0(VALU_DEP_1)
	v_fma_f64 v[4:5], v[102:103], v[98:99], v[4:5]
	ds_load_2addr_b64 v[96:99], v1 offset0:59 offset1:60
	scratch_load_b128 v[100:103], off, off offset:192
	s_waitcnt lgkmcnt(0)
	v_fma_f64 v[4:5], v[104:105], v[96:97], v[4:5]
	s_waitcnt vmcnt(4)
	s_delay_alu instid0(VALU_DEP_1)
	v_fma_f64 v[4:5], v[106:107], v[98:99], v[4:5]
	scratch_load_b128 v[104:107], off, off offset:208
	ds_load_2addr_b64 v[96:99], v1 offset0:61 offset1:62
	s_waitcnt lgkmcnt(0)
	v_fma_f64 v[4:5], v[108:109], v[96:97], v[4:5]
	s_waitcnt vmcnt(4)
	s_delay_alu instid0(VALU_DEP_1)
	v_fma_f64 v[4:5], v[110:111], v[98:99], v[4:5]
	ds_load_2addr_b64 v[96:99], v1 offset0:63 offset1:64
	scratch_load_b128 v[108:111], off, off offset:224
	s_waitcnt lgkmcnt(0)
	v_fma_f64 v[4:5], v[112:113], v[96:97], v[4:5]
	s_waitcnt vmcnt(4)
	s_delay_alu instid0(VALU_DEP_1)
	v_fma_f64 v[4:5], v[118:119], v[98:99], v[4:5]
	ds_load_2addr_b64 v[96:99], v1 offset0:65 offset1:66
	s_waitcnt lgkmcnt(0)
	v_fma_f64 v[4:5], v[120:121], v[96:97], v[4:5]
	scratch_load_b128 v[118:121], off, off offset:240
	s_waitcnt vmcnt(4)
	v_fma_f64 v[4:5], v[114:115], v[98:99], v[4:5]
	ds_load_2addr_b64 v[96:99], v1 offset0:67 offset1:68
	scratch_load_b128 v[112:115], off, off offset:256
	s_waitcnt lgkmcnt(0)
	v_fma_f64 v[4:5], v[116:117], v[96:97], v[4:5]
	s_waitcnt vmcnt(4)
	s_delay_alu instid0(VALU_DEP_1)
	v_fma_f64 v[4:5], v[100:101], v[98:99], v[4:5]
	ds_load_2addr_b64 v[96:99], v1 offset0:69 offset1:70
	s_waitcnt lgkmcnt(0)
	v_fma_f64 v[4:5], v[102:103], v[96:97], v[4:5]
	scratch_load_b128 v[100:103], off, off offset:272
	s_waitcnt vmcnt(4)
	v_fma_f64 v[4:5], v[104:105], v[98:99], v[4:5]
	ds_load_2addr_b64 v[96:99], v1 offset0:71 offset1:72
	s_waitcnt lgkmcnt(0)
	v_fma_f64 v[4:5], v[106:107], v[96:97], v[4:5]
	scratch_load_b128 v[104:107], off, off offset:288
	s_waitcnt vmcnt(4)
	;; [unrolled: 6-line block ×3, first 2 shown]
	v_fma_f64 v[4:5], v[118:119], v[98:99], v[4:5]
	ds_load_2addr_b64 v[96:99], v1 offset0:75 offset1:76
	scratch_load_b128 v[116:119], off, off offset:320
	s_waitcnt lgkmcnt(0)
	v_fma_f64 v[4:5], v[120:121], v[96:97], v[4:5]
	s_waitcnt vmcnt(4)
	s_delay_alu instid0(VALU_DEP_1)
	v_fma_f64 v[4:5], v[112:113], v[98:99], v[4:5]
	ds_load_2addr_b64 v[96:99], v1 offset0:77 offset1:78
	s_waitcnt lgkmcnt(0)
	v_fma_f64 v[4:5], v[114:115], v[96:97], v[4:5]
	scratch_load_b128 v[112:115], off, off offset:336
	s_waitcnt vmcnt(4)
	v_fma_f64 v[4:5], v[100:101], v[98:99], v[4:5]
	ds_load_2addr_b64 v[96:99], v1 offset0:79 offset1:80
	s_waitcnt lgkmcnt(0)
	v_fma_f64 v[4:5], v[102:103], v[96:97], v[4:5]
	s_waitcnt vmcnt(3)
	s_delay_alu instid0(VALU_DEP_1) | instskip(SKIP_4) | instid1(VALU_DEP_1)
	v_fma_f64 v[4:5], v[104:105], v[98:99], v[4:5]
	ds_load_2addr_b64 v[96:99], v1 offset0:81 offset1:82
	s_waitcnt lgkmcnt(0)
	v_fma_f64 v[4:5], v[106:107], v[96:97], v[4:5]
	s_waitcnt vmcnt(2)
	v_fma_f64 v[4:5], v[108:109], v[98:99], v[4:5]
	ds_load_2addr_b64 v[96:99], v1 offset0:83 offset1:84
	s_waitcnt lgkmcnt(0)
	v_fma_f64 v[4:5], v[110:111], v[96:97], v[4:5]
	s_waitcnt vmcnt(1)
	s_delay_alu instid0(VALU_DEP_1)
	v_fma_f64 v[4:5], v[116:117], v[98:99], v[4:5]
	ds_load_2addr_b64 v[96:99], v1 offset0:85 offset1:86
	s_waitcnt lgkmcnt(0)
	v_fma_f64 v[4:5], v[118:119], v[96:97], v[4:5]
	ds_load_b64 v[96:97], v1 offset:696
	s_waitcnt vmcnt(0)
	v_fma_f64 v[4:5], v[112:113], v[98:99], v[4:5]
	s_waitcnt lgkmcnt(0)
	s_delay_alu instid0(VALU_DEP_1) | instskip(NEXT) | instid1(VALU_DEP_1)
	v_fma_f64 v[4:5], v[114:115], v[96:97], v[4:5]
	v_add_f64 v[4:5], v[94:95], -v[4:5]
	scratch_store_b64 off, v[4:5], off offset:80
	v_cmpx_lt_u32_e32 9, v0
	s_cbranch_execz .LBB107_255
; %bb.254:
	scratch_load_b64 v[4:5], off, off offset:72
	v_mov_b32_e32 v2, v1
	scratch_store_b64 off, v[1:2], off offset:72
	s_waitcnt vmcnt(0)
	ds_store_b64 v3, v[4:5]
.LBB107_255:
	s_or_b32 exec_lo, exec_lo, s0
	s_waitcnt lgkmcnt(0)
	s_waitcnt_vscnt null, 0x0
	s_barrier
	buffer_gl0_inv
	s_clause 0x4
	scratch_load_b128 v[94:97], off, off offset:72
	scratch_load_b128 v[98:101], off, off offset:88
	;; [unrolled: 1-line block ×5, first 2 shown]
	ds_load_b128 v[114:117], v1 offset:432
	scratch_load_b128 v[118:121], off, off offset:152
	s_mov_b32 s0, exec_lo
	s_waitcnt vmcnt(5) lgkmcnt(0)
	v_fma_f64 v[4:5], v[96:97], v[114:115], 0
	s_waitcnt vmcnt(4)
	s_delay_alu instid0(VALU_DEP_1)
	v_fma_f64 v[4:5], v[98:99], v[116:117], v[4:5]
	scratch_load_b128 v[114:117], off, off offset:168
	ds_load_b128 v[96:99], v1 offset:448
	s_waitcnt lgkmcnt(0)
	v_fma_f64 v[4:5], v[100:101], v[96:97], v[4:5]
	s_waitcnt vmcnt(4)
	s_delay_alu instid0(VALU_DEP_1)
	v_fma_f64 v[4:5], v[102:103], v[98:99], v[4:5]
	ds_load_b128 v[96:99], v1 offset:464
	scratch_load_b128 v[100:103], off, off offset:184
	s_waitcnt lgkmcnt(0)
	v_fma_f64 v[4:5], v[104:105], v[96:97], v[4:5]
	s_waitcnt vmcnt(4)
	s_delay_alu instid0(VALU_DEP_1)
	v_fma_f64 v[4:5], v[106:107], v[98:99], v[4:5]
	scratch_load_b128 v[104:107], off, off offset:200
	ds_load_b128 v[96:99], v1 offset:480
	s_waitcnt lgkmcnt(0)
	v_fma_f64 v[4:5], v[108:109], v[96:97], v[4:5]
	s_waitcnt vmcnt(4)
	s_delay_alu instid0(VALU_DEP_1)
	v_fma_f64 v[4:5], v[110:111], v[98:99], v[4:5]
	ds_load_b128 v[96:99], v1 offset:496
	scratch_load_b128 v[108:111], off, off offset:216
	s_waitcnt lgkmcnt(0)
	v_fma_f64 v[4:5], v[112:113], v[96:97], v[4:5]
	s_waitcnt vmcnt(4)
	s_delay_alu instid0(VALU_DEP_1)
	v_fma_f64 v[4:5], v[118:119], v[98:99], v[4:5]
	ds_load_b128 v[96:99], v1 offset:512
	s_waitcnt lgkmcnt(0)
	v_fma_f64 v[4:5], v[120:121], v[96:97], v[4:5]
	scratch_load_b128 v[118:121], off, off offset:232
	s_waitcnt vmcnt(4)
	v_fma_f64 v[4:5], v[114:115], v[98:99], v[4:5]
	ds_load_b128 v[96:99], v1 offset:528
	scratch_load_b128 v[112:115], off, off offset:248
	s_waitcnt lgkmcnt(0)
	v_fma_f64 v[4:5], v[116:117], v[96:97], v[4:5]
	s_waitcnt vmcnt(4)
	s_delay_alu instid0(VALU_DEP_1)
	v_fma_f64 v[4:5], v[100:101], v[98:99], v[4:5]
	ds_load_b128 v[96:99], v1 offset:544
	s_waitcnt lgkmcnt(0)
	v_fma_f64 v[4:5], v[102:103], v[96:97], v[4:5]
	scratch_load_b128 v[100:103], off, off offset:264
	s_waitcnt vmcnt(4)
	v_fma_f64 v[4:5], v[104:105], v[98:99], v[4:5]
	ds_load_b128 v[96:99], v1 offset:560
	s_waitcnt lgkmcnt(0)
	v_fma_f64 v[4:5], v[106:107], v[96:97], v[4:5]
	scratch_load_b128 v[104:107], off, off offset:280
	s_waitcnt vmcnt(4)
	;; [unrolled: 6-line block ×3, first 2 shown]
	v_fma_f64 v[4:5], v[118:119], v[98:99], v[4:5]
	ds_load_b128 v[96:99], v1 offset:592
	scratch_load_b128 v[116:119], off, off offset:312
	s_waitcnt lgkmcnt(0)
	v_fma_f64 v[4:5], v[120:121], v[96:97], v[4:5]
	s_waitcnt vmcnt(4)
	s_delay_alu instid0(VALU_DEP_1)
	v_fma_f64 v[4:5], v[112:113], v[98:99], v[4:5]
	ds_load_b128 v[96:99], v1 offset:608
	s_waitcnt lgkmcnt(0)
	v_fma_f64 v[4:5], v[114:115], v[96:97], v[4:5]
	scratch_load_b128 v[112:115], off, off offset:328
	s_waitcnt vmcnt(4)
	v_fma_f64 v[4:5], v[100:101], v[98:99], v[4:5]
	ds_load_b128 v[96:99], v1 offset:624
	scratch_load_b64 v[100:101], off, off offset:344
	s_waitcnt lgkmcnt(0)
	v_fma_f64 v[4:5], v[102:103], v[96:97], v[4:5]
	s_waitcnt vmcnt(4)
	s_delay_alu instid0(VALU_DEP_1) | instskip(SKIP_4) | instid1(VALU_DEP_1)
	v_fma_f64 v[4:5], v[104:105], v[98:99], v[4:5]
	ds_load_b128 v[96:99], v1 offset:640
	s_waitcnt lgkmcnt(0)
	v_fma_f64 v[4:5], v[106:107], v[96:97], v[4:5]
	s_waitcnt vmcnt(3)
	v_fma_f64 v[4:5], v[108:109], v[98:99], v[4:5]
	ds_load_b128 v[96:99], v1 offset:656
	s_waitcnt lgkmcnt(0)
	v_fma_f64 v[4:5], v[110:111], v[96:97], v[4:5]
	s_waitcnt vmcnt(2)
	s_delay_alu instid0(VALU_DEP_1) | instskip(SKIP_4) | instid1(VALU_DEP_1)
	v_fma_f64 v[4:5], v[116:117], v[98:99], v[4:5]
	ds_load_b128 v[96:99], v1 offset:672
	s_waitcnt lgkmcnt(0)
	v_fma_f64 v[4:5], v[118:119], v[96:97], v[4:5]
	s_waitcnt vmcnt(1)
	v_fma_f64 v[4:5], v[112:113], v[98:99], v[4:5]
	ds_load_b128 v[96:99], v1 offset:688
	s_waitcnt lgkmcnt(0)
	v_fma_f64 v[1:2], v[114:115], v[96:97], v[4:5]
	s_waitcnt vmcnt(0)
	s_delay_alu instid0(VALU_DEP_1) | instskip(NEXT) | instid1(VALU_DEP_1)
	v_fma_f64 v[1:2], v[100:101], v[98:99], v[1:2]
	v_add_f64 v[1:2], v[94:95], -v[1:2]
	scratch_store_b64 off, v[1:2], off offset:72
	v_cmpx_lt_u32_e32 8, v0
	s_cbranch_execz .LBB107_257
; %bb.256:
	scratch_load_b64 v[1:2], off, off offset:64
	v_mov_b32_e32 v4, 0
	s_delay_alu instid0(VALU_DEP_1)
	v_mov_b32_e32 v5, v4
	scratch_store_b64 off, v[4:5], off offset:64
	s_waitcnt vmcnt(0)
	ds_store_b64 v3, v[1:2]
.LBB107_257:
	s_or_b32 exec_lo, exec_lo, s0
	s_waitcnt lgkmcnt(0)
	s_waitcnt_vscnt null, 0x0
	s_barrier
	buffer_gl0_inv
	s_clause 0x4
	scratch_load_b128 v[94:97], off, off offset:64
	scratch_load_b128 v[98:101], off, off offset:80
	;; [unrolled: 1-line block ×5, first 2 shown]
	v_mov_b32_e32 v1, 0
	scratch_load_b128 v[118:121], off, off offset:144
	s_mov_b32 s0, exec_lo
	ds_load_2addr_b64 v[114:117], v1 offset0:53 offset1:54
	s_waitcnt vmcnt(5) lgkmcnt(0)
	v_fma_f64 v[4:5], v[96:97], v[114:115], 0
	s_waitcnt vmcnt(4)
	s_delay_alu instid0(VALU_DEP_1)
	v_fma_f64 v[4:5], v[98:99], v[116:117], v[4:5]
	scratch_load_b128 v[114:117], off, off offset:160
	ds_load_2addr_b64 v[96:99], v1 offset0:55 offset1:56
	s_waitcnt lgkmcnt(0)
	v_fma_f64 v[4:5], v[100:101], v[96:97], v[4:5]
	s_waitcnt vmcnt(4)
	s_delay_alu instid0(VALU_DEP_1)
	v_fma_f64 v[4:5], v[102:103], v[98:99], v[4:5]
	ds_load_2addr_b64 v[96:99], v1 offset0:57 offset1:58
	scratch_load_b128 v[100:103], off, off offset:176
	s_waitcnt lgkmcnt(0)
	v_fma_f64 v[4:5], v[104:105], v[96:97], v[4:5]
	s_waitcnt vmcnt(4)
	s_delay_alu instid0(VALU_DEP_1)
	v_fma_f64 v[4:5], v[106:107], v[98:99], v[4:5]
	scratch_load_b128 v[104:107], off, off offset:192
	ds_load_2addr_b64 v[96:99], v1 offset0:59 offset1:60
	s_waitcnt lgkmcnt(0)
	v_fma_f64 v[4:5], v[108:109], v[96:97], v[4:5]
	s_waitcnt vmcnt(4)
	s_delay_alu instid0(VALU_DEP_1)
	v_fma_f64 v[4:5], v[110:111], v[98:99], v[4:5]
	ds_load_2addr_b64 v[96:99], v1 offset0:61 offset1:62
	scratch_load_b128 v[108:111], off, off offset:208
	s_waitcnt lgkmcnt(0)
	v_fma_f64 v[4:5], v[112:113], v[96:97], v[4:5]
	s_waitcnt vmcnt(4)
	s_delay_alu instid0(VALU_DEP_1)
	v_fma_f64 v[4:5], v[118:119], v[98:99], v[4:5]
	ds_load_2addr_b64 v[96:99], v1 offset0:63 offset1:64
	s_waitcnt lgkmcnt(0)
	v_fma_f64 v[4:5], v[120:121], v[96:97], v[4:5]
	scratch_load_b128 v[118:121], off, off offset:224
	s_waitcnt vmcnt(4)
	v_fma_f64 v[4:5], v[114:115], v[98:99], v[4:5]
	ds_load_2addr_b64 v[96:99], v1 offset0:65 offset1:66
	scratch_load_b128 v[112:115], off, off offset:240
	s_waitcnt lgkmcnt(0)
	v_fma_f64 v[4:5], v[116:117], v[96:97], v[4:5]
	s_waitcnt vmcnt(4)
	s_delay_alu instid0(VALU_DEP_1)
	v_fma_f64 v[4:5], v[100:101], v[98:99], v[4:5]
	ds_load_2addr_b64 v[96:99], v1 offset0:67 offset1:68
	s_waitcnt lgkmcnt(0)
	v_fma_f64 v[4:5], v[102:103], v[96:97], v[4:5]
	scratch_load_b128 v[100:103], off, off offset:256
	s_waitcnt vmcnt(4)
	v_fma_f64 v[4:5], v[104:105], v[98:99], v[4:5]
	ds_load_2addr_b64 v[96:99], v1 offset0:69 offset1:70
	s_waitcnt lgkmcnt(0)
	v_fma_f64 v[4:5], v[106:107], v[96:97], v[4:5]
	scratch_load_b128 v[104:107], off, off offset:272
	s_waitcnt vmcnt(4)
	;; [unrolled: 6-line block ×3, first 2 shown]
	v_fma_f64 v[4:5], v[118:119], v[98:99], v[4:5]
	ds_load_2addr_b64 v[96:99], v1 offset0:73 offset1:74
	scratch_load_b128 v[116:119], off, off offset:304
	s_waitcnt lgkmcnt(0)
	v_fma_f64 v[4:5], v[120:121], v[96:97], v[4:5]
	s_waitcnt vmcnt(4)
	s_delay_alu instid0(VALU_DEP_1)
	v_fma_f64 v[4:5], v[112:113], v[98:99], v[4:5]
	ds_load_2addr_b64 v[96:99], v1 offset0:75 offset1:76
	s_waitcnt lgkmcnt(0)
	v_fma_f64 v[4:5], v[114:115], v[96:97], v[4:5]
	scratch_load_b128 v[112:115], off, off offset:320
	s_waitcnt vmcnt(4)
	v_fma_f64 v[4:5], v[100:101], v[98:99], v[4:5]
	ds_load_2addr_b64 v[96:99], v1 offset0:77 offset1:78
	s_waitcnt lgkmcnt(0)
	v_fma_f64 v[4:5], v[102:103], v[96:97], v[4:5]
	scratch_load_b128 v[100:103], off, off offset:336
	s_waitcnt vmcnt(4)
	v_fma_f64 v[4:5], v[104:105], v[98:99], v[4:5]
	ds_load_2addr_b64 v[96:99], v1 offset0:79 offset1:80
	s_waitcnt lgkmcnt(0)
	v_fma_f64 v[4:5], v[106:107], v[96:97], v[4:5]
	s_waitcnt vmcnt(3)
	s_delay_alu instid0(VALU_DEP_1) | instskip(SKIP_4) | instid1(VALU_DEP_1)
	v_fma_f64 v[4:5], v[108:109], v[98:99], v[4:5]
	ds_load_2addr_b64 v[96:99], v1 offset0:81 offset1:82
	s_waitcnt lgkmcnt(0)
	v_fma_f64 v[4:5], v[110:111], v[96:97], v[4:5]
	s_waitcnt vmcnt(2)
	v_fma_f64 v[4:5], v[116:117], v[98:99], v[4:5]
	ds_load_2addr_b64 v[96:99], v1 offset0:83 offset1:84
	s_waitcnt lgkmcnt(0)
	v_fma_f64 v[4:5], v[118:119], v[96:97], v[4:5]
	s_waitcnt vmcnt(1)
	s_delay_alu instid0(VALU_DEP_1)
	v_fma_f64 v[4:5], v[112:113], v[98:99], v[4:5]
	ds_load_2addr_b64 v[96:99], v1 offset0:85 offset1:86
	s_waitcnt lgkmcnt(0)
	v_fma_f64 v[4:5], v[114:115], v[96:97], v[4:5]
	ds_load_b64 v[96:97], v1 offset:696
	s_waitcnt vmcnt(0)
	v_fma_f64 v[4:5], v[100:101], v[98:99], v[4:5]
	s_waitcnt lgkmcnt(0)
	s_delay_alu instid0(VALU_DEP_1) | instskip(NEXT) | instid1(VALU_DEP_1)
	v_fma_f64 v[4:5], v[102:103], v[96:97], v[4:5]
	v_add_f64 v[4:5], v[94:95], -v[4:5]
	scratch_store_b64 off, v[4:5], off offset:64
	v_cmpx_lt_u32_e32 7, v0
	s_cbranch_execz .LBB107_259
; %bb.258:
	scratch_load_b64 v[4:5], off, off offset:56
	v_mov_b32_e32 v2, v1
	scratch_store_b64 off, v[1:2], off offset:56
	s_waitcnt vmcnt(0)
	ds_store_b64 v3, v[4:5]
.LBB107_259:
	s_or_b32 exec_lo, exec_lo, s0
	s_waitcnt lgkmcnt(0)
	s_waitcnt_vscnt null, 0x0
	s_barrier
	buffer_gl0_inv
	s_clause 0x4
	scratch_load_b128 v[94:97], off, off offset:56
	scratch_load_b128 v[98:101], off, off offset:72
	;; [unrolled: 1-line block ×5, first 2 shown]
	ds_load_b128 v[114:117], v1 offset:416
	scratch_load_b128 v[118:121], off, off offset:136
	s_mov_b32 s0, exec_lo
	s_waitcnt vmcnt(5) lgkmcnt(0)
	v_fma_f64 v[4:5], v[96:97], v[114:115], 0
	s_waitcnt vmcnt(4)
	s_delay_alu instid0(VALU_DEP_1)
	v_fma_f64 v[4:5], v[98:99], v[116:117], v[4:5]
	scratch_load_b128 v[114:117], off, off offset:152
	ds_load_b128 v[96:99], v1 offset:432
	s_waitcnt lgkmcnt(0)
	v_fma_f64 v[4:5], v[100:101], v[96:97], v[4:5]
	s_waitcnt vmcnt(4)
	s_delay_alu instid0(VALU_DEP_1)
	v_fma_f64 v[4:5], v[102:103], v[98:99], v[4:5]
	ds_load_b128 v[96:99], v1 offset:448
	scratch_load_b128 v[100:103], off, off offset:168
	s_waitcnt lgkmcnt(0)
	v_fma_f64 v[4:5], v[104:105], v[96:97], v[4:5]
	s_waitcnt vmcnt(4)
	s_delay_alu instid0(VALU_DEP_1)
	v_fma_f64 v[4:5], v[106:107], v[98:99], v[4:5]
	scratch_load_b128 v[104:107], off, off offset:184
	ds_load_b128 v[96:99], v1 offset:464
	s_waitcnt lgkmcnt(0)
	v_fma_f64 v[4:5], v[108:109], v[96:97], v[4:5]
	s_waitcnt vmcnt(4)
	s_delay_alu instid0(VALU_DEP_1)
	v_fma_f64 v[4:5], v[110:111], v[98:99], v[4:5]
	ds_load_b128 v[96:99], v1 offset:480
	scratch_load_b128 v[108:111], off, off offset:200
	s_waitcnt lgkmcnt(0)
	v_fma_f64 v[4:5], v[112:113], v[96:97], v[4:5]
	s_waitcnt vmcnt(4)
	s_delay_alu instid0(VALU_DEP_1)
	v_fma_f64 v[4:5], v[118:119], v[98:99], v[4:5]
	ds_load_b128 v[96:99], v1 offset:496
	s_waitcnt lgkmcnt(0)
	v_fma_f64 v[4:5], v[120:121], v[96:97], v[4:5]
	scratch_load_b128 v[118:121], off, off offset:216
	s_waitcnt vmcnt(4)
	v_fma_f64 v[4:5], v[114:115], v[98:99], v[4:5]
	ds_load_b128 v[96:99], v1 offset:512
	scratch_load_b128 v[112:115], off, off offset:232
	s_waitcnt lgkmcnt(0)
	v_fma_f64 v[4:5], v[116:117], v[96:97], v[4:5]
	s_waitcnt vmcnt(4)
	s_delay_alu instid0(VALU_DEP_1)
	v_fma_f64 v[4:5], v[100:101], v[98:99], v[4:5]
	ds_load_b128 v[96:99], v1 offset:528
	s_waitcnt lgkmcnt(0)
	v_fma_f64 v[4:5], v[102:103], v[96:97], v[4:5]
	scratch_load_b128 v[100:103], off, off offset:248
	s_waitcnt vmcnt(4)
	v_fma_f64 v[4:5], v[104:105], v[98:99], v[4:5]
	ds_load_b128 v[96:99], v1 offset:544
	s_waitcnt lgkmcnt(0)
	v_fma_f64 v[4:5], v[106:107], v[96:97], v[4:5]
	scratch_load_b128 v[104:107], off, off offset:264
	s_waitcnt vmcnt(4)
	;; [unrolled: 6-line block ×3, first 2 shown]
	v_fma_f64 v[4:5], v[118:119], v[98:99], v[4:5]
	ds_load_b128 v[96:99], v1 offset:576
	scratch_load_b128 v[116:119], off, off offset:296
	s_waitcnt lgkmcnt(0)
	v_fma_f64 v[4:5], v[120:121], v[96:97], v[4:5]
	s_waitcnt vmcnt(4)
	s_delay_alu instid0(VALU_DEP_1)
	v_fma_f64 v[4:5], v[112:113], v[98:99], v[4:5]
	ds_load_b128 v[96:99], v1 offset:592
	s_waitcnt lgkmcnt(0)
	v_fma_f64 v[4:5], v[114:115], v[96:97], v[4:5]
	scratch_load_b128 v[112:115], off, off offset:312
	s_waitcnt vmcnt(4)
	v_fma_f64 v[4:5], v[100:101], v[98:99], v[4:5]
	ds_load_b128 v[96:99], v1 offset:608
	s_waitcnt lgkmcnt(0)
	v_fma_f64 v[4:5], v[102:103], v[96:97], v[4:5]
	scratch_load_b128 v[100:103], off, off offset:328
	s_waitcnt vmcnt(4)
	v_fma_f64 v[4:5], v[104:105], v[98:99], v[4:5]
	scratch_load_b64 v[104:105], off, off offset:344
	ds_load_b128 v[96:99], v1 offset:624
	s_waitcnt lgkmcnt(0)
	v_fma_f64 v[4:5], v[106:107], v[96:97], v[4:5]
	s_waitcnt vmcnt(4)
	s_delay_alu instid0(VALU_DEP_1) | instskip(SKIP_4) | instid1(VALU_DEP_1)
	v_fma_f64 v[4:5], v[108:109], v[98:99], v[4:5]
	ds_load_b128 v[96:99], v1 offset:640
	s_waitcnt lgkmcnt(0)
	v_fma_f64 v[4:5], v[110:111], v[96:97], v[4:5]
	s_waitcnt vmcnt(3)
	v_fma_f64 v[4:5], v[116:117], v[98:99], v[4:5]
	ds_load_b128 v[96:99], v1 offset:656
	s_waitcnt lgkmcnt(0)
	v_fma_f64 v[4:5], v[118:119], v[96:97], v[4:5]
	s_waitcnt vmcnt(2)
	s_delay_alu instid0(VALU_DEP_1) | instskip(SKIP_4) | instid1(VALU_DEP_1)
	v_fma_f64 v[4:5], v[112:113], v[98:99], v[4:5]
	ds_load_b128 v[96:99], v1 offset:672
	s_waitcnt lgkmcnt(0)
	v_fma_f64 v[4:5], v[114:115], v[96:97], v[4:5]
	s_waitcnt vmcnt(1)
	v_fma_f64 v[4:5], v[100:101], v[98:99], v[4:5]
	ds_load_b128 v[96:99], v1 offset:688
	s_waitcnt lgkmcnt(0)
	v_fma_f64 v[1:2], v[102:103], v[96:97], v[4:5]
	s_waitcnt vmcnt(0)
	s_delay_alu instid0(VALU_DEP_1) | instskip(NEXT) | instid1(VALU_DEP_1)
	v_fma_f64 v[1:2], v[104:105], v[98:99], v[1:2]
	v_add_f64 v[1:2], v[94:95], -v[1:2]
	scratch_store_b64 off, v[1:2], off offset:56
	v_cmpx_lt_u32_e32 6, v0
	s_cbranch_execz .LBB107_261
; %bb.260:
	scratch_load_b64 v[1:2], off, off offset:48
	v_mov_b32_e32 v4, 0
	s_delay_alu instid0(VALU_DEP_1)
	v_mov_b32_e32 v5, v4
	scratch_store_b64 off, v[4:5], off offset:48
	s_waitcnt vmcnt(0)
	ds_store_b64 v3, v[1:2]
.LBB107_261:
	s_or_b32 exec_lo, exec_lo, s0
	s_waitcnt lgkmcnt(0)
	s_waitcnt_vscnt null, 0x0
	s_barrier
	buffer_gl0_inv
	s_clause 0x4
	scratch_load_b128 v[94:97], off, off offset:48
	scratch_load_b128 v[98:101], off, off offset:64
	;; [unrolled: 1-line block ×5, first 2 shown]
	v_mov_b32_e32 v1, 0
	scratch_load_b128 v[118:121], off, off offset:128
	s_mov_b32 s0, exec_lo
	ds_load_2addr_b64 v[114:117], v1 offset0:51 offset1:52
	s_waitcnt vmcnt(5) lgkmcnt(0)
	v_fma_f64 v[4:5], v[96:97], v[114:115], 0
	s_waitcnt vmcnt(4)
	s_delay_alu instid0(VALU_DEP_1)
	v_fma_f64 v[4:5], v[98:99], v[116:117], v[4:5]
	scratch_load_b128 v[114:117], off, off offset:144
	ds_load_2addr_b64 v[96:99], v1 offset0:53 offset1:54
	s_waitcnt lgkmcnt(0)
	v_fma_f64 v[4:5], v[100:101], v[96:97], v[4:5]
	s_waitcnt vmcnt(4)
	s_delay_alu instid0(VALU_DEP_1)
	v_fma_f64 v[4:5], v[102:103], v[98:99], v[4:5]
	ds_load_2addr_b64 v[96:99], v1 offset0:55 offset1:56
	scratch_load_b128 v[100:103], off, off offset:160
	s_waitcnt lgkmcnt(0)
	v_fma_f64 v[4:5], v[104:105], v[96:97], v[4:5]
	s_waitcnt vmcnt(4)
	s_delay_alu instid0(VALU_DEP_1)
	v_fma_f64 v[4:5], v[106:107], v[98:99], v[4:5]
	scratch_load_b128 v[104:107], off, off offset:176
	ds_load_2addr_b64 v[96:99], v1 offset0:57 offset1:58
	s_waitcnt lgkmcnt(0)
	v_fma_f64 v[4:5], v[108:109], v[96:97], v[4:5]
	s_waitcnt vmcnt(4)
	s_delay_alu instid0(VALU_DEP_1)
	v_fma_f64 v[4:5], v[110:111], v[98:99], v[4:5]
	ds_load_2addr_b64 v[96:99], v1 offset0:59 offset1:60
	scratch_load_b128 v[108:111], off, off offset:192
	s_waitcnt lgkmcnt(0)
	v_fma_f64 v[4:5], v[112:113], v[96:97], v[4:5]
	s_waitcnt vmcnt(4)
	s_delay_alu instid0(VALU_DEP_1)
	v_fma_f64 v[4:5], v[118:119], v[98:99], v[4:5]
	ds_load_2addr_b64 v[96:99], v1 offset0:61 offset1:62
	s_waitcnt lgkmcnt(0)
	v_fma_f64 v[4:5], v[120:121], v[96:97], v[4:5]
	scratch_load_b128 v[118:121], off, off offset:208
	s_waitcnt vmcnt(4)
	v_fma_f64 v[4:5], v[114:115], v[98:99], v[4:5]
	ds_load_2addr_b64 v[96:99], v1 offset0:63 offset1:64
	scratch_load_b128 v[112:115], off, off offset:224
	s_waitcnt lgkmcnt(0)
	v_fma_f64 v[4:5], v[116:117], v[96:97], v[4:5]
	s_waitcnt vmcnt(4)
	s_delay_alu instid0(VALU_DEP_1)
	v_fma_f64 v[4:5], v[100:101], v[98:99], v[4:5]
	ds_load_2addr_b64 v[96:99], v1 offset0:65 offset1:66
	s_waitcnt lgkmcnt(0)
	v_fma_f64 v[4:5], v[102:103], v[96:97], v[4:5]
	scratch_load_b128 v[100:103], off, off offset:240
	s_waitcnt vmcnt(4)
	v_fma_f64 v[4:5], v[104:105], v[98:99], v[4:5]
	ds_load_2addr_b64 v[96:99], v1 offset0:67 offset1:68
	s_waitcnt lgkmcnt(0)
	v_fma_f64 v[4:5], v[106:107], v[96:97], v[4:5]
	scratch_load_b128 v[104:107], off, off offset:256
	s_waitcnt vmcnt(4)
	;; [unrolled: 6-line block ×3, first 2 shown]
	v_fma_f64 v[4:5], v[118:119], v[98:99], v[4:5]
	ds_load_2addr_b64 v[96:99], v1 offset0:71 offset1:72
	scratch_load_b128 v[116:119], off, off offset:288
	s_waitcnt lgkmcnt(0)
	v_fma_f64 v[4:5], v[120:121], v[96:97], v[4:5]
	s_waitcnt vmcnt(4)
	s_delay_alu instid0(VALU_DEP_1)
	v_fma_f64 v[4:5], v[112:113], v[98:99], v[4:5]
	ds_load_2addr_b64 v[96:99], v1 offset0:73 offset1:74
	s_waitcnt lgkmcnt(0)
	v_fma_f64 v[4:5], v[114:115], v[96:97], v[4:5]
	scratch_load_b128 v[112:115], off, off offset:304
	s_waitcnt vmcnt(4)
	v_fma_f64 v[4:5], v[100:101], v[98:99], v[4:5]
	ds_load_2addr_b64 v[96:99], v1 offset0:75 offset1:76
	s_waitcnt lgkmcnt(0)
	v_fma_f64 v[4:5], v[102:103], v[96:97], v[4:5]
	scratch_load_b128 v[100:103], off, off offset:320
	s_waitcnt vmcnt(4)
	;; [unrolled: 6-line block ×3, first 2 shown]
	v_fma_f64 v[4:5], v[108:109], v[98:99], v[4:5]
	ds_load_2addr_b64 v[96:99], v1 offset0:79 offset1:80
	s_waitcnt lgkmcnt(0)
	v_fma_f64 v[4:5], v[110:111], v[96:97], v[4:5]
	s_waitcnt vmcnt(3)
	s_delay_alu instid0(VALU_DEP_1) | instskip(SKIP_4) | instid1(VALU_DEP_1)
	v_fma_f64 v[4:5], v[116:117], v[98:99], v[4:5]
	ds_load_2addr_b64 v[96:99], v1 offset0:81 offset1:82
	s_waitcnt lgkmcnt(0)
	v_fma_f64 v[4:5], v[118:119], v[96:97], v[4:5]
	s_waitcnt vmcnt(2)
	v_fma_f64 v[4:5], v[112:113], v[98:99], v[4:5]
	ds_load_2addr_b64 v[96:99], v1 offset0:83 offset1:84
	s_waitcnt lgkmcnt(0)
	v_fma_f64 v[4:5], v[114:115], v[96:97], v[4:5]
	s_waitcnt vmcnt(1)
	s_delay_alu instid0(VALU_DEP_1)
	v_fma_f64 v[4:5], v[100:101], v[98:99], v[4:5]
	ds_load_2addr_b64 v[96:99], v1 offset0:85 offset1:86
	s_waitcnt lgkmcnt(0)
	v_fma_f64 v[4:5], v[102:103], v[96:97], v[4:5]
	ds_load_b64 v[96:97], v1 offset:696
	s_waitcnt vmcnt(0)
	v_fma_f64 v[4:5], v[104:105], v[98:99], v[4:5]
	s_waitcnt lgkmcnt(0)
	s_delay_alu instid0(VALU_DEP_1) | instskip(NEXT) | instid1(VALU_DEP_1)
	v_fma_f64 v[4:5], v[106:107], v[96:97], v[4:5]
	v_add_f64 v[4:5], v[94:95], -v[4:5]
	scratch_store_b64 off, v[4:5], off offset:48
	v_cmpx_lt_u32_e32 5, v0
	s_cbranch_execz .LBB107_263
; %bb.262:
	scratch_load_b64 v[4:5], off, off offset:40
	v_mov_b32_e32 v2, v1
	scratch_store_b64 off, v[1:2], off offset:40
	s_waitcnt vmcnt(0)
	ds_store_b64 v3, v[4:5]
.LBB107_263:
	s_or_b32 exec_lo, exec_lo, s0
	s_waitcnt lgkmcnt(0)
	s_waitcnt_vscnt null, 0x0
	s_barrier
	buffer_gl0_inv
	s_clause 0x4
	scratch_load_b128 v[94:97], off, off offset:40
	scratch_load_b128 v[98:101], off, off offset:56
	;; [unrolled: 1-line block ×5, first 2 shown]
	ds_load_b128 v[114:117], v1 offset:400
	scratch_load_b128 v[118:121], off, off offset:120
	s_mov_b32 s0, exec_lo
	s_waitcnt vmcnt(5) lgkmcnt(0)
	v_fma_f64 v[4:5], v[96:97], v[114:115], 0
	s_waitcnt vmcnt(4)
	s_delay_alu instid0(VALU_DEP_1)
	v_fma_f64 v[4:5], v[98:99], v[116:117], v[4:5]
	scratch_load_b128 v[114:117], off, off offset:136
	ds_load_b128 v[96:99], v1 offset:416
	s_waitcnt lgkmcnt(0)
	v_fma_f64 v[4:5], v[100:101], v[96:97], v[4:5]
	s_waitcnt vmcnt(4)
	s_delay_alu instid0(VALU_DEP_1)
	v_fma_f64 v[4:5], v[102:103], v[98:99], v[4:5]
	ds_load_b128 v[96:99], v1 offset:432
	scratch_load_b128 v[100:103], off, off offset:152
	s_waitcnt lgkmcnt(0)
	v_fma_f64 v[4:5], v[104:105], v[96:97], v[4:5]
	s_waitcnt vmcnt(4)
	s_delay_alu instid0(VALU_DEP_1)
	v_fma_f64 v[4:5], v[106:107], v[98:99], v[4:5]
	scratch_load_b128 v[104:107], off, off offset:168
	ds_load_b128 v[96:99], v1 offset:448
	s_waitcnt lgkmcnt(0)
	v_fma_f64 v[4:5], v[108:109], v[96:97], v[4:5]
	s_waitcnt vmcnt(4)
	s_delay_alu instid0(VALU_DEP_1)
	v_fma_f64 v[4:5], v[110:111], v[98:99], v[4:5]
	ds_load_b128 v[96:99], v1 offset:464
	scratch_load_b128 v[108:111], off, off offset:184
	s_waitcnt lgkmcnt(0)
	v_fma_f64 v[4:5], v[112:113], v[96:97], v[4:5]
	s_waitcnt vmcnt(4)
	s_delay_alu instid0(VALU_DEP_1)
	v_fma_f64 v[4:5], v[118:119], v[98:99], v[4:5]
	ds_load_b128 v[96:99], v1 offset:480
	s_waitcnt lgkmcnt(0)
	v_fma_f64 v[4:5], v[120:121], v[96:97], v[4:5]
	scratch_load_b128 v[118:121], off, off offset:200
	s_waitcnt vmcnt(4)
	v_fma_f64 v[4:5], v[114:115], v[98:99], v[4:5]
	ds_load_b128 v[96:99], v1 offset:496
	scratch_load_b128 v[112:115], off, off offset:216
	s_waitcnt lgkmcnt(0)
	v_fma_f64 v[4:5], v[116:117], v[96:97], v[4:5]
	s_waitcnt vmcnt(4)
	s_delay_alu instid0(VALU_DEP_1)
	v_fma_f64 v[4:5], v[100:101], v[98:99], v[4:5]
	ds_load_b128 v[96:99], v1 offset:512
	s_waitcnt lgkmcnt(0)
	v_fma_f64 v[4:5], v[102:103], v[96:97], v[4:5]
	scratch_load_b128 v[100:103], off, off offset:232
	s_waitcnt vmcnt(4)
	v_fma_f64 v[4:5], v[104:105], v[98:99], v[4:5]
	ds_load_b128 v[96:99], v1 offset:528
	s_waitcnt lgkmcnt(0)
	v_fma_f64 v[4:5], v[106:107], v[96:97], v[4:5]
	scratch_load_b128 v[104:107], off, off offset:248
	s_waitcnt vmcnt(4)
	;; [unrolled: 6-line block ×3, first 2 shown]
	v_fma_f64 v[4:5], v[118:119], v[98:99], v[4:5]
	ds_load_b128 v[96:99], v1 offset:560
	scratch_load_b128 v[116:119], off, off offset:280
	s_waitcnt lgkmcnt(0)
	v_fma_f64 v[4:5], v[120:121], v[96:97], v[4:5]
	s_waitcnt vmcnt(4)
	s_delay_alu instid0(VALU_DEP_1)
	v_fma_f64 v[4:5], v[112:113], v[98:99], v[4:5]
	ds_load_b128 v[96:99], v1 offset:576
	s_waitcnt lgkmcnt(0)
	v_fma_f64 v[4:5], v[114:115], v[96:97], v[4:5]
	scratch_load_b128 v[112:115], off, off offset:296
	s_waitcnt vmcnt(4)
	v_fma_f64 v[4:5], v[100:101], v[98:99], v[4:5]
	ds_load_b128 v[96:99], v1 offset:592
	s_waitcnt lgkmcnt(0)
	v_fma_f64 v[4:5], v[102:103], v[96:97], v[4:5]
	scratch_load_b128 v[100:103], off, off offset:312
	s_waitcnt vmcnt(4)
	v_fma_f64 v[4:5], v[104:105], v[98:99], v[4:5]
	ds_load_b128 v[96:99], v1 offset:608
	s_waitcnt lgkmcnt(0)
	v_fma_f64 v[4:5], v[106:107], v[96:97], v[4:5]
	scratch_load_b128 v[104:107], off, off offset:328
	s_waitcnt vmcnt(4)
	v_fma_f64 v[4:5], v[108:109], v[98:99], v[4:5]
	ds_load_b128 v[96:99], v1 offset:624
	scratch_load_b64 v[108:109], off, off offset:344
	s_waitcnt lgkmcnt(0)
	v_fma_f64 v[4:5], v[110:111], v[96:97], v[4:5]
	s_waitcnt vmcnt(4)
	s_delay_alu instid0(VALU_DEP_1) | instskip(SKIP_4) | instid1(VALU_DEP_1)
	v_fma_f64 v[4:5], v[116:117], v[98:99], v[4:5]
	ds_load_b128 v[96:99], v1 offset:640
	s_waitcnt lgkmcnt(0)
	v_fma_f64 v[4:5], v[118:119], v[96:97], v[4:5]
	s_waitcnt vmcnt(3)
	v_fma_f64 v[4:5], v[112:113], v[98:99], v[4:5]
	ds_load_b128 v[96:99], v1 offset:656
	s_waitcnt lgkmcnt(0)
	v_fma_f64 v[4:5], v[114:115], v[96:97], v[4:5]
	s_waitcnt vmcnt(2)
	s_delay_alu instid0(VALU_DEP_1) | instskip(SKIP_4) | instid1(VALU_DEP_1)
	v_fma_f64 v[4:5], v[100:101], v[98:99], v[4:5]
	ds_load_b128 v[96:99], v1 offset:672
	s_waitcnt lgkmcnt(0)
	v_fma_f64 v[4:5], v[102:103], v[96:97], v[4:5]
	s_waitcnt vmcnt(1)
	v_fma_f64 v[4:5], v[104:105], v[98:99], v[4:5]
	ds_load_b128 v[96:99], v1 offset:688
	s_waitcnt lgkmcnt(0)
	v_fma_f64 v[1:2], v[106:107], v[96:97], v[4:5]
	s_waitcnt vmcnt(0)
	s_delay_alu instid0(VALU_DEP_1) | instskip(NEXT) | instid1(VALU_DEP_1)
	v_fma_f64 v[1:2], v[108:109], v[98:99], v[1:2]
	v_add_f64 v[1:2], v[94:95], -v[1:2]
	scratch_store_b64 off, v[1:2], off offset:40
	v_cmpx_lt_u32_e32 4, v0
	s_cbranch_execz .LBB107_265
; %bb.264:
	scratch_load_b64 v[1:2], off, off offset:32
	v_mov_b32_e32 v4, 0
	s_delay_alu instid0(VALU_DEP_1)
	v_mov_b32_e32 v5, v4
	scratch_store_b64 off, v[4:5], off offset:32
	s_waitcnt vmcnt(0)
	ds_store_b64 v3, v[1:2]
.LBB107_265:
	s_or_b32 exec_lo, exec_lo, s0
	s_waitcnt lgkmcnt(0)
	s_waitcnt_vscnt null, 0x0
	s_barrier
	buffer_gl0_inv
	s_clause 0x4
	scratch_load_b128 v[94:97], off, off offset:32
	scratch_load_b128 v[98:101], off, off offset:48
	;; [unrolled: 1-line block ×5, first 2 shown]
	v_mov_b32_e32 v1, 0
	scratch_load_b128 v[118:121], off, off offset:112
	s_mov_b32 s0, exec_lo
	ds_load_2addr_b64 v[114:117], v1 offset0:49 offset1:50
	s_waitcnt vmcnt(5) lgkmcnt(0)
	v_fma_f64 v[4:5], v[96:97], v[114:115], 0
	s_waitcnt vmcnt(4)
	s_delay_alu instid0(VALU_DEP_1)
	v_fma_f64 v[4:5], v[98:99], v[116:117], v[4:5]
	scratch_load_b128 v[114:117], off, off offset:128
	ds_load_2addr_b64 v[96:99], v1 offset0:51 offset1:52
	s_waitcnt lgkmcnt(0)
	v_fma_f64 v[4:5], v[100:101], v[96:97], v[4:5]
	s_waitcnt vmcnt(4)
	s_delay_alu instid0(VALU_DEP_1)
	v_fma_f64 v[4:5], v[102:103], v[98:99], v[4:5]
	ds_load_2addr_b64 v[96:99], v1 offset0:53 offset1:54
	scratch_load_b128 v[100:103], off, off offset:144
	s_waitcnt lgkmcnt(0)
	v_fma_f64 v[4:5], v[104:105], v[96:97], v[4:5]
	s_waitcnt vmcnt(4)
	s_delay_alu instid0(VALU_DEP_1)
	v_fma_f64 v[4:5], v[106:107], v[98:99], v[4:5]
	scratch_load_b128 v[104:107], off, off offset:160
	ds_load_2addr_b64 v[96:99], v1 offset0:55 offset1:56
	s_waitcnt lgkmcnt(0)
	v_fma_f64 v[4:5], v[108:109], v[96:97], v[4:5]
	s_waitcnt vmcnt(4)
	s_delay_alu instid0(VALU_DEP_1)
	v_fma_f64 v[4:5], v[110:111], v[98:99], v[4:5]
	ds_load_2addr_b64 v[96:99], v1 offset0:57 offset1:58
	scratch_load_b128 v[108:111], off, off offset:176
	s_waitcnt lgkmcnt(0)
	v_fma_f64 v[4:5], v[112:113], v[96:97], v[4:5]
	s_waitcnt vmcnt(4)
	s_delay_alu instid0(VALU_DEP_1)
	v_fma_f64 v[4:5], v[118:119], v[98:99], v[4:5]
	ds_load_2addr_b64 v[96:99], v1 offset0:59 offset1:60
	s_waitcnt lgkmcnt(0)
	v_fma_f64 v[4:5], v[120:121], v[96:97], v[4:5]
	scratch_load_b128 v[118:121], off, off offset:192
	s_waitcnt vmcnt(4)
	v_fma_f64 v[4:5], v[114:115], v[98:99], v[4:5]
	ds_load_2addr_b64 v[96:99], v1 offset0:61 offset1:62
	scratch_load_b128 v[112:115], off, off offset:208
	s_waitcnt lgkmcnt(0)
	v_fma_f64 v[4:5], v[116:117], v[96:97], v[4:5]
	s_waitcnt vmcnt(4)
	s_delay_alu instid0(VALU_DEP_1)
	v_fma_f64 v[4:5], v[100:101], v[98:99], v[4:5]
	ds_load_2addr_b64 v[96:99], v1 offset0:63 offset1:64
	s_waitcnt lgkmcnt(0)
	v_fma_f64 v[4:5], v[102:103], v[96:97], v[4:5]
	scratch_load_b128 v[100:103], off, off offset:224
	s_waitcnt vmcnt(4)
	v_fma_f64 v[4:5], v[104:105], v[98:99], v[4:5]
	ds_load_2addr_b64 v[96:99], v1 offset0:65 offset1:66
	s_waitcnt lgkmcnt(0)
	v_fma_f64 v[4:5], v[106:107], v[96:97], v[4:5]
	scratch_load_b128 v[104:107], off, off offset:240
	s_waitcnt vmcnt(4)
	;; [unrolled: 6-line block ×3, first 2 shown]
	v_fma_f64 v[4:5], v[118:119], v[98:99], v[4:5]
	ds_load_2addr_b64 v[96:99], v1 offset0:69 offset1:70
	scratch_load_b128 v[116:119], off, off offset:272
	s_waitcnt lgkmcnt(0)
	v_fma_f64 v[4:5], v[120:121], v[96:97], v[4:5]
	s_waitcnt vmcnt(4)
	s_delay_alu instid0(VALU_DEP_1)
	v_fma_f64 v[4:5], v[112:113], v[98:99], v[4:5]
	ds_load_2addr_b64 v[96:99], v1 offset0:71 offset1:72
	s_waitcnt lgkmcnt(0)
	v_fma_f64 v[4:5], v[114:115], v[96:97], v[4:5]
	scratch_load_b128 v[112:115], off, off offset:288
	s_waitcnt vmcnt(4)
	v_fma_f64 v[4:5], v[100:101], v[98:99], v[4:5]
	ds_load_2addr_b64 v[96:99], v1 offset0:73 offset1:74
	s_waitcnt lgkmcnt(0)
	v_fma_f64 v[4:5], v[102:103], v[96:97], v[4:5]
	scratch_load_b128 v[100:103], off, off offset:304
	s_waitcnt vmcnt(4)
	;; [unrolled: 6-line block ×4, first 2 shown]
	v_fma_f64 v[4:5], v[116:117], v[98:99], v[4:5]
	ds_load_2addr_b64 v[96:99], v1 offset0:79 offset1:80
	s_waitcnt lgkmcnt(0)
	v_fma_f64 v[4:5], v[118:119], v[96:97], v[4:5]
	s_waitcnt vmcnt(3)
	s_delay_alu instid0(VALU_DEP_1) | instskip(SKIP_4) | instid1(VALU_DEP_1)
	v_fma_f64 v[4:5], v[112:113], v[98:99], v[4:5]
	ds_load_2addr_b64 v[96:99], v1 offset0:81 offset1:82
	s_waitcnt lgkmcnt(0)
	v_fma_f64 v[4:5], v[114:115], v[96:97], v[4:5]
	s_waitcnt vmcnt(2)
	v_fma_f64 v[4:5], v[100:101], v[98:99], v[4:5]
	ds_load_2addr_b64 v[96:99], v1 offset0:83 offset1:84
	s_waitcnt lgkmcnt(0)
	v_fma_f64 v[4:5], v[102:103], v[96:97], v[4:5]
	s_waitcnt vmcnt(1)
	s_delay_alu instid0(VALU_DEP_1)
	v_fma_f64 v[4:5], v[104:105], v[98:99], v[4:5]
	ds_load_2addr_b64 v[96:99], v1 offset0:85 offset1:86
	s_waitcnt lgkmcnt(0)
	v_fma_f64 v[4:5], v[106:107], v[96:97], v[4:5]
	ds_load_b64 v[96:97], v1 offset:696
	s_waitcnt vmcnt(0)
	v_fma_f64 v[4:5], v[108:109], v[98:99], v[4:5]
	s_waitcnt lgkmcnt(0)
	s_delay_alu instid0(VALU_DEP_1) | instskip(NEXT) | instid1(VALU_DEP_1)
	v_fma_f64 v[4:5], v[110:111], v[96:97], v[4:5]
	v_add_f64 v[4:5], v[94:95], -v[4:5]
	scratch_store_b64 off, v[4:5], off offset:32
	v_cmpx_lt_u32_e32 3, v0
	s_cbranch_execz .LBB107_267
; %bb.266:
	scratch_load_b64 v[4:5], off, off offset:24
	v_mov_b32_e32 v2, v1
	scratch_store_b64 off, v[1:2], off offset:24
	s_waitcnt vmcnt(0)
	ds_store_b64 v3, v[4:5]
.LBB107_267:
	s_or_b32 exec_lo, exec_lo, s0
	s_waitcnt lgkmcnt(0)
	s_waitcnt_vscnt null, 0x0
	s_barrier
	buffer_gl0_inv
	s_clause 0x4
	scratch_load_b128 v[94:97], off, off offset:24
	scratch_load_b128 v[98:101], off, off offset:40
	;; [unrolled: 1-line block ×5, first 2 shown]
	ds_load_b128 v[114:117], v1 offset:384
	scratch_load_b128 v[118:121], off, off offset:104
	s_mov_b32 s0, exec_lo
	s_waitcnt vmcnt(5) lgkmcnt(0)
	v_fma_f64 v[4:5], v[96:97], v[114:115], 0
	s_waitcnt vmcnt(4)
	s_delay_alu instid0(VALU_DEP_1)
	v_fma_f64 v[4:5], v[98:99], v[116:117], v[4:5]
	scratch_load_b128 v[114:117], off, off offset:120
	ds_load_b128 v[96:99], v1 offset:400
	s_waitcnt lgkmcnt(0)
	v_fma_f64 v[4:5], v[100:101], v[96:97], v[4:5]
	s_waitcnt vmcnt(4)
	s_delay_alu instid0(VALU_DEP_1)
	v_fma_f64 v[4:5], v[102:103], v[98:99], v[4:5]
	ds_load_b128 v[96:99], v1 offset:416
	scratch_load_b128 v[100:103], off, off offset:136
	s_waitcnt lgkmcnt(0)
	v_fma_f64 v[4:5], v[104:105], v[96:97], v[4:5]
	s_waitcnt vmcnt(4)
	s_delay_alu instid0(VALU_DEP_1)
	v_fma_f64 v[4:5], v[106:107], v[98:99], v[4:5]
	scratch_load_b128 v[104:107], off, off offset:152
	ds_load_b128 v[96:99], v1 offset:432
	s_waitcnt lgkmcnt(0)
	v_fma_f64 v[4:5], v[108:109], v[96:97], v[4:5]
	s_waitcnt vmcnt(4)
	s_delay_alu instid0(VALU_DEP_1)
	v_fma_f64 v[4:5], v[110:111], v[98:99], v[4:5]
	ds_load_b128 v[96:99], v1 offset:448
	scratch_load_b128 v[108:111], off, off offset:168
	s_waitcnt lgkmcnt(0)
	v_fma_f64 v[4:5], v[112:113], v[96:97], v[4:5]
	s_waitcnt vmcnt(4)
	s_delay_alu instid0(VALU_DEP_1)
	v_fma_f64 v[4:5], v[118:119], v[98:99], v[4:5]
	ds_load_b128 v[96:99], v1 offset:464
	s_waitcnt lgkmcnt(0)
	v_fma_f64 v[4:5], v[120:121], v[96:97], v[4:5]
	scratch_load_b128 v[118:121], off, off offset:184
	s_waitcnt vmcnt(4)
	v_fma_f64 v[4:5], v[114:115], v[98:99], v[4:5]
	ds_load_b128 v[96:99], v1 offset:480
	scratch_load_b128 v[112:115], off, off offset:200
	s_waitcnt lgkmcnt(0)
	v_fma_f64 v[4:5], v[116:117], v[96:97], v[4:5]
	s_waitcnt vmcnt(4)
	s_delay_alu instid0(VALU_DEP_1)
	v_fma_f64 v[4:5], v[100:101], v[98:99], v[4:5]
	ds_load_b128 v[96:99], v1 offset:496
	s_waitcnt lgkmcnt(0)
	v_fma_f64 v[4:5], v[102:103], v[96:97], v[4:5]
	scratch_load_b128 v[100:103], off, off offset:216
	s_waitcnt vmcnt(4)
	v_fma_f64 v[4:5], v[104:105], v[98:99], v[4:5]
	ds_load_b128 v[96:99], v1 offset:512
	s_waitcnt lgkmcnt(0)
	v_fma_f64 v[4:5], v[106:107], v[96:97], v[4:5]
	scratch_load_b128 v[104:107], off, off offset:232
	s_waitcnt vmcnt(4)
	v_fma_f64 v[4:5], v[108:109], v[98:99], v[4:5]
	ds_load_b128 v[96:99], v1 offset:528
	s_waitcnt lgkmcnt(0)
	v_fma_f64 v[4:5], v[110:111], v[96:97], v[4:5]
	scratch_load_b128 v[108:111], off, off offset:248
	s_waitcnt vmcnt(4)
	v_fma_f64 v[4:5], v[118:119], v[98:99], v[4:5]
	ds_load_b128 v[96:99], v1 offset:544
	scratch_load_b128 v[116:119], off, off offset:264
	s_waitcnt lgkmcnt(0)
	v_fma_f64 v[4:5], v[120:121], v[96:97], v[4:5]
	s_waitcnt vmcnt(4)
	s_delay_alu instid0(VALU_DEP_1)
	v_fma_f64 v[4:5], v[112:113], v[98:99], v[4:5]
	ds_load_b128 v[96:99], v1 offset:560
	s_waitcnt lgkmcnt(0)
	v_fma_f64 v[4:5], v[114:115], v[96:97], v[4:5]
	scratch_load_b128 v[112:115], off, off offset:280
	s_waitcnt vmcnt(4)
	v_fma_f64 v[4:5], v[100:101], v[98:99], v[4:5]
	ds_load_b128 v[96:99], v1 offset:576
	s_waitcnt lgkmcnt(0)
	v_fma_f64 v[4:5], v[102:103], v[96:97], v[4:5]
	scratch_load_b128 v[100:103], off, off offset:296
	s_waitcnt vmcnt(4)
	;; [unrolled: 6-line block ×4, first 2 shown]
	v_fma_f64 v[4:5], v[116:117], v[98:99], v[4:5]
	scratch_load_b64 v[116:117], off, off offset:344
	ds_load_b128 v[96:99], v1 offset:624
	s_waitcnt lgkmcnt(0)
	v_fma_f64 v[4:5], v[118:119], v[96:97], v[4:5]
	s_waitcnt vmcnt(4)
	s_delay_alu instid0(VALU_DEP_1) | instskip(SKIP_4) | instid1(VALU_DEP_1)
	v_fma_f64 v[4:5], v[112:113], v[98:99], v[4:5]
	ds_load_b128 v[96:99], v1 offset:640
	s_waitcnt lgkmcnt(0)
	v_fma_f64 v[4:5], v[114:115], v[96:97], v[4:5]
	s_waitcnt vmcnt(3)
	v_fma_f64 v[4:5], v[100:101], v[98:99], v[4:5]
	ds_load_b128 v[96:99], v1 offset:656
	s_waitcnt lgkmcnt(0)
	v_fma_f64 v[4:5], v[102:103], v[96:97], v[4:5]
	s_waitcnt vmcnt(2)
	s_delay_alu instid0(VALU_DEP_1) | instskip(SKIP_4) | instid1(VALU_DEP_1)
	v_fma_f64 v[4:5], v[104:105], v[98:99], v[4:5]
	ds_load_b128 v[96:99], v1 offset:672
	s_waitcnt lgkmcnt(0)
	v_fma_f64 v[4:5], v[106:107], v[96:97], v[4:5]
	s_waitcnt vmcnt(1)
	v_fma_f64 v[4:5], v[108:109], v[98:99], v[4:5]
	ds_load_b128 v[96:99], v1 offset:688
	s_waitcnt lgkmcnt(0)
	v_fma_f64 v[1:2], v[110:111], v[96:97], v[4:5]
	s_waitcnt vmcnt(0)
	s_delay_alu instid0(VALU_DEP_1) | instskip(NEXT) | instid1(VALU_DEP_1)
	v_fma_f64 v[1:2], v[116:117], v[98:99], v[1:2]
	v_add_f64 v[1:2], v[94:95], -v[1:2]
	scratch_store_b64 off, v[1:2], off offset:24
	v_cmpx_lt_u32_e32 2, v0
	s_cbranch_execz .LBB107_269
; %bb.268:
	scratch_load_b64 v[1:2], off, off offset:16
	v_mov_b32_e32 v4, 0
	s_delay_alu instid0(VALU_DEP_1)
	v_mov_b32_e32 v5, v4
	scratch_store_b64 off, v[4:5], off offset:16
	s_waitcnt vmcnt(0)
	ds_store_b64 v3, v[1:2]
.LBB107_269:
	s_or_b32 exec_lo, exec_lo, s0
	s_waitcnt lgkmcnt(0)
	s_waitcnt_vscnt null, 0x0
	s_barrier
	buffer_gl0_inv
	s_clause 0x4
	scratch_load_b128 v[94:97], off, off offset:16
	scratch_load_b128 v[98:101], off, off offset:32
	;; [unrolled: 1-line block ×5, first 2 shown]
	v_mov_b32_e32 v1, 0
	scratch_load_b128 v[118:121], off, off offset:96
	s_mov_b32 s0, exec_lo
	ds_load_2addr_b64 v[114:117], v1 offset0:47 offset1:48
	s_waitcnt vmcnt(5) lgkmcnt(0)
	v_fma_f64 v[4:5], v[96:97], v[114:115], 0
	s_waitcnt vmcnt(4)
	s_delay_alu instid0(VALU_DEP_1)
	v_fma_f64 v[4:5], v[98:99], v[116:117], v[4:5]
	scratch_load_b128 v[114:117], off, off offset:112
	ds_load_2addr_b64 v[96:99], v1 offset0:49 offset1:50
	s_waitcnt lgkmcnt(0)
	v_fma_f64 v[4:5], v[100:101], v[96:97], v[4:5]
	s_waitcnt vmcnt(4)
	s_delay_alu instid0(VALU_DEP_1)
	v_fma_f64 v[4:5], v[102:103], v[98:99], v[4:5]
	ds_load_2addr_b64 v[96:99], v1 offset0:51 offset1:52
	scratch_load_b128 v[100:103], off, off offset:128
	s_waitcnt lgkmcnt(0)
	v_fma_f64 v[4:5], v[104:105], v[96:97], v[4:5]
	s_waitcnt vmcnt(4)
	s_delay_alu instid0(VALU_DEP_1)
	v_fma_f64 v[4:5], v[106:107], v[98:99], v[4:5]
	scratch_load_b128 v[104:107], off, off offset:144
	ds_load_2addr_b64 v[96:99], v1 offset0:53 offset1:54
	s_waitcnt lgkmcnt(0)
	v_fma_f64 v[4:5], v[108:109], v[96:97], v[4:5]
	s_waitcnt vmcnt(4)
	s_delay_alu instid0(VALU_DEP_1)
	v_fma_f64 v[4:5], v[110:111], v[98:99], v[4:5]
	ds_load_2addr_b64 v[96:99], v1 offset0:55 offset1:56
	scratch_load_b128 v[108:111], off, off offset:160
	s_waitcnt lgkmcnt(0)
	v_fma_f64 v[4:5], v[112:113], v[96:97], v[4:5]
	s_waitcnt vmcnt(4)
	s_delay_alu instid0(VALU_DEP_1)
	v_fma_f64 v[4:5], v[118:119], v[98:99], v[4:5]
	ds_load_2addr_b64 v[96:99], v1 offset0:57 offset1:58
	s_waitcnt lgkmcnt(0)
	v_fma_f64 v[4:5], v[120:121], v[96:97], v[4:5]
	scratch_load_b128 v[118:121], off, off offset:176
	s_waitcnt vmcnt(4)
	v_fma_f64 v[4:5], v[114:115], v[98:99], v[4:5]
	ds_load_2addr_b64 v[96:99], v1 offset0:59 offset1:60
	scratch_load_b128 v[112:115], off, off offset:192
	s_waitcnt lgkmcnt(0)
	v_fma_f64 v[4:5], v[116:117], v[96:97], v[4:5]
	s_waitcnt vmcnt(4)
	s_delay_alu instid0(VALU_DEP_1)
	v_fma_f64 v[4:5], v[100:101], v[98:99], v[4:5]
	ds_load_2addr_b64 v[96:99], v1 offset0:61 offset1:62
	s_waitcnt lgkmcnt(0)
	v_fma_f64 v[4:5], v[102:103], v[96:97], v[4:5]
	scratch_load_b128 v[100:103], off, off offset:208
	s_waitcnt vmcnt(4)
	v_fma_f64 v[4:5], v[104:105], v[98:99], v[4:5]
	ds_load_2addr_b64 v[96:99], v1 offset0:63 offset1:64
	s_waitcnt lgkmcnt(0)
	v_fma_f64 v[4:5], v[106:107], v[96:97], v[4:5]
	scratch_load_b128 v[104:107], off, off offset:224
	s_waitcnt vmcnt(4)
	;; [unrolled: 6-line block ×3, first 2 shown]
	v_fma_f64 v[4:5], v[118:119], v[98:99], v[4:5]
	ds_load_2addr_b64 v[96:99], v1 offset0:67 offset1:68
	scratch_load_b128 v[116:119], off, off offset:256
	s_waitcnt lgkmcnt(0)
	v_fma_f64 v[4:5], v[120:121], v[96:97], v[4:5]
	s_waitcnt vmcnt(4)
	s_delay_alu instid0(VALU_DEP_1)
	v_fma_f64 v[4:5], v[112:113], v[98:99], v[4:5]
	ds_load_2addr_b64 v[96:99], v1 offset0:69 offset1:70
	s_waitcnt lgkmcnt(0)
	v_fma_f64 v[4:5], v[114:115], v[96:97], v[4:5]
	scratch_load_b128 v[112:115], off, off offset:272
	s_waitcnt vmcnt(4)
	v_fma_f64 v[4:5], v[100:101], v[98:99], v[4:5]
	ds_load_2addr_b64 v[96:99], v1 offset0:71 offset1:72
	s_waitcnt lgkmcnt(0)
	v_fma_f64 v[4:5], v[102:103], v[96:97], v[4:5]
	scratch_load_b128 v[100:103], off, off offset:288
	s_waitcnt vmcnt(4)
	;; [unrolled: 6-line block ×5, first 2 shown]
	v_fma_f64 v[4:5], v[112:113], v[98:99], v[4:5]
	ds_load_2addr_b64 v[96:99], v1 offset0:79 offset1:80
	s_waitcnt lgkmcnt(0)
	v_fma_f64 v[4:5], v[114:115], v[96:97], v[4:5]
	s_waitcnt vmcnt(3)
	s_delay_alu instid0(VALU_DEP_1) | instskip(SKIP_4) | instid1(VALU_DEP_1)
	v_fma_f64 v[4:5], v[100:101], v[98:99], v[4:5]
	ds_load_2addr_b64 v[96:99], v1 offset0:81 offset1:82
	s_waitcnt lgkmcnt(0)
	v_fma_f64 v[4:5], v[102:103], v[96:97], v[4:5]
	s_waitcnt vmcnt(2)
	v_fma_f64 v[4:5], v[104:105], v[98:99], v[4:5]
	ds_load_2addr_b64 v[96:99], v1 offset0:83 offset1:84
	s_waitcnt lgkmcnt(0)
	v_fma_f64 v[4:5], v[106:107], v[96:97], v[4:5]
	s_waitcnt vmcnt(1)
	s_delay_alu instid0(VALU_DEP_1)
	v_fma_f64 v[4:5], v[108:109], v[98:99], v[4:5]
	ds_load_2addr_b64 v[96:99], v1 offset0:85 offset1:86
	s_waitcnt lgkmcnt(0)
	v_fma_f64 v[4:5], v[110:111], v[96:97], v[4:5]
	ds_load_b64 v[96:97], v1 offset:696
	s_waitcnt vmcnt(0)
	v_fma_f64 v[4:5], v[116:117], v[98:99], v[4:5]
	s_waitcnt lgkmcnt(0)
	s_delay_alu instid0(VALU_DEP_1) | instskip(NEXT) | instid1(VALU_DEP_1)
	v_fma_f64 v[4:5], v[118:119], v[96:97], v[4:5]
	v_add_f64 v[4:5], v[94:95], -v[4:5]
	scratch_store_b64 off, v[4:5], off offset:16
	v_cmpx_lt_u32_e32 1, v0
	s_cbranch_execz .LBB107_271
; %bb.270:
	scratch_load_b64 v[4:5], off, off offset:8
	v_mov_b32_e32 v2, v1
	scratch_store_b64 off, v[1:2], off offset:8
	s_waitcnt vmcnt(0)
	ds_store_b64 v3, v[4:5]
.LBB107_271:
	s_or_b32 exec_lo, exec_lo, s0
	s_waitcnt lgkmcnt(0)
	s_waitcnt_vscnt null, 0x0
	s_barrier
	buffer_gl0_inv
	s_clause 0x4
	scratch_load_b128 v[94:97], off, off offset:8
	scratch_load_b128 v[98:101], off, off offset:24
	;; [unrolled: 1-line block ×5, first 2 shown]
	ds_load_b128 v[114:117], v1 offset:368
	scratch_load_b128 v[118:121], off, off offset:88
	s_mov_b32 s0, exec_lo
	s_waitcnt vmcnt(5) lgkmcnt(0)
	v_fma_f64 v[4:5], v[96:97], v[114:115], 0
	s_waitcnt vmcnt(4)
	s_delay_alu instid0(VALU_DEP_1)
	v_fma_f64 v[4:5], v[98:99], v[116:117], v[4:5]
	scratch_load_b128 v[114:117], off, off offset:104
	ds_load_b128 v[96:99], v1 offset:384
	s_waitcnt lgkmcnt(0)
	v_fma_f64 v[4:5], v[100:101], v[96:97], v[4:5]
	s_waitcnt vmcnt(4)
	s_delay_alu instid0(VALU_DEP_1)
	v_fma_f64 v[4:5], v[102:103], v[98:99], v[4:5]
	ds_load_b128 v[96:99], v1 offset:400
	scratch_load_b128 v[100:103], off, off offset:120
	s_waitcnt lgkmcnt(0)
	v_fma_f64 v[4:5], v[104:105], v[96:97], v[4:5]
	s_waitcnt vmcnt(4)
	s_delay_alu instid0(VALU_DEP_1)
	v_fma_f64 v[4:5], v[106:107], v[98:99], v[4:5]
	scratch_load_b128 v[104:107], off, off offset:136
	ds_load_b128 v[96:99], v1 offset:416
	s_waitcnt lgkmcnt(0)
	v_fma_f64 v[4:5], v[108:109], v[96:97], v[4:5]
	s_waitcnt vmcnt(4)
	s_delay_alu instid0(VALU_DEP_1)
	v_fma_f64 v[4:5], v[110:111], v[98:99], v[4:5]
	ds_load_b128 v[96:99], v1 offset:432
	scratch_load_b128 v[108:111], off, off offset:152
	s_waitcnt lgkmcnt(0)
	v_fma_f64 v[4:5], v[112:113], v[96:97], v[4:5]
	s_waitcnt vmcnt(4)
	s_delay_alu instid0(VALU_DEP_1)
	v_fma_f64 v[4:5], v[118:119], v[98:99], v[4:5]
	ds_load_b128 v[96:99], v1 offset:448
	s_waitcnt lgkmcnt(0)
	v_fma_f64 v[4:5], v[120:121], v[96:97], v[4:5]
	scratch_load_b128 v[118:121], off, off offset:168
	s_waitcnt vmcnt(4)
	v_fma_f64 v[4:5], v[114:115], v[98:99], v[4:5]
	ds_load_b128 v[96:99], v1 offset:464
	scratch_load_b128 v[112:115], off, off offset:184
	s_waitcnt lgkmcnt(0)
	v_fma_f64 v[4:5], v[116:117], v[96:97], v[4:5]
	s_waitcnt vmcnt(4)
	s_delay_alu instid0(VALU_DEP_1)
	v_fma_f64 v[4:5], v[100:101], v[98:99], v[4:5]
	ds_load_b128 v[96:99], v1 offset:480
	s_waitcnt lgkmcnt(0)
	v_fma_f64 v[4:5], v[102:103], v[96:97], v[4:5]
	scratch_load_b128 v[100:103], off, off offset:200
	s_waitcnt vmcnt(4)
	v_fma_f64 v[4:5], v[104:105], v[98:99], v[4:5]
	ds_load_b128 v[96:99], v1 offset:496
	s_waitcnt lgkmcnt(0)
	v_fma_f64 v[4:5], v[106:107], v[96:97], v[4:5]
	scratch_load_b128 v[104:107], off, off offset:216
	s_waitcnt vmcnt(4)
	;; [unrolled: 6-line block ×3, first 2 shown]
	v_fma_f64 v[4:5], v[118:119], v[98:99], v[4:5]
	ds_load_b128 v[96:99], v1 offset:528
	scratch_load_b128 v[116:119], off, off offset:248
	s_waitcnt lgkmcnt(0)
	v_fma_f64 v[4:5], v[120:121], v[96:97], v[4:5]
	s_waitcnt vmcnt(4)
	s_delay_alu instid0(VALU_DEP_1)
	v_fma_f64 v[4:5], v[112:113], v[98:99], v[4:5]
	ds_load_b128 v[96:99], v1 offset:544
	s_waitcnt lgkmcnt(0)
	v_fma_f64 v[4:5], v[114:115], v[96:97], v[4:5]
	scratch_load_b128 v[112:115], off, off offset:264
	s_waitcnt vmcnt(4)
	v_fma_f64 v[4:5], v[100:101], v[98:99], v[4:5]
	ds_load_b128 v[96:99], v1 offset:560
	s_waitcnt lgkmcnt(0)
	v_fma_f64 v[4:5], v[102:103], v[96:97], v[4:5]
	scratch_load_b128 v[100:103], off, off offset:280
	s_waitcnt vmcnt(4)
	;; [unrolled: 6-line block ×5, first 2 shown]
	v_fma_f64 v[4:5], v[112:113], v[98:99], v[4:5]
	ds_load_b128 v[96:99], v1 offset:624
	scratch_load_b64 v[112:113], off, off offset:344
	s_waitcnt lgkmcnt(0)
	v_fma_f64 v[4:5], v[114:115], v[96:97], v[4:5]
	s_waitcnt vmcnt(4)
	s_delay_alu instid0(VALU_DEP_1) | instskip(SKIP_4) | instid1(VALU_DEP_1)
	v_fma_f64 v[4:5], v[100:101], v[98:99], v[4:5]
	ds_load_b128 v[96:99], v1 offset:640
	s_waitcnt lgkmcnt(0)
	v_fma_f64 v[4:5], v[102:103], v[96:97], v[4:5]
	s_waitcnt vmcnt(3)
	v_fma_f64 v[4:5], v[104:105], v[98:99], v[4:5]
	ds_load_b128 v[96:99], v1 offset:656
	s_waitcnt lgkmcnt(0)
	v_fma_f64 v[4:5], v[106:107], v[96:97], v[4:5]
	s_waitcnt vmcnt(2)
	s_delay_alu instid0(VALU_DEP_1) | instskip(SKIP_4) | instid1(VALU_DEP_1)
	v_fma_f64 v[4:5], v[108:109], v[98:99], v[4:5]
	ds_load_b128 v[96:99], v1 offset:672
	s_waitcnt lgkmcnt(0)
	v_fma_f64 v[4:5], v[110:111], v[96:97], v[4:5]
	s_waitcnt vmcnt(1)
	v_fma_f64 v[4:5], v[116:117], v[98:99], v[4:5]
	ds_load_b128 v[96:99], v1 offset:688
	s_waitcnt lgkmcnt(0)
	v_fma_f64 v[1:2], v[118:119], v[96:97], v[4:5]
	s_waitcnt vmcnt(0)
	s_delay_alu instid0(VALU_DEP_1) | instskip(NEXT) | instid1(VALU_DEP_1)
	v_fma_f64 v[1:2], v[112:113], v[98:99], v[1:2]
	v_add_f64 v[1:2], v[94:95], -v[1:2]
	scratch_store_b64 off, v[1:2], off offset:8
	v_cmpx_ne_u32_e32 0, v0
	s_cbranch_execz .LBB107_273
; %bb.272:
	scratch_load_b64 v[0:1], off, off
	v_mov_b32_e32 v4, 0
	s_delay_alu instid0(VALU_DEP_1)
	v_mov_b32_e32 v5, v4
	scratch_store_b64 off, v[4:5], off
	s_waitcnt vmcnt(0)
	ds_store_b64 v3, v[0:1]
.LBB107_273:
	s_or_b32 exec_lo, exec_lo, s0
	s_waitcnt lgkmcnt(0)
	s_waitcnt_vscnt null, 0x0
	s_barrier
	buffer_gl0_inv
	s_clause 0x4
	scratch_load_b128 v[0:3], off, off
	scratch_load_b128 v[94:97], off, off offset:16
	scratch_load_b128 v[98:101], off, off offset:32
	scratch_load_b128 v[102:105], off, off offset:48
	scratch_load_b128 v[106:109], off, off offset:64
	v_mov_b32_e32 v118, 0
	s_and_b32 vcc_lo, exec_lo, s12
	scratch_load_b128 v[114:117], off, off offset:320
	ds_load_2addr_b64 v[110:113], v118 offset0:45 offset1:46
	s_waitcnt vmcnt(5) lgkmcnt(0)
	v_fma_f64 v[110:111], v[2:3], v[110:111], 0
	scratch_load_b128 v[2:5], off, off offset:80
	s_waitcnt vmcnt(5)
	v_fma_f64 v[94:95], v[94:95], v[112:113], v[110:111]
	ds_load_2addr_b64 v[110:113], v118 offset0:47 offset1:48
	s_waitcnt lgkmcnt(0)
	v_fma_f64 v[110:111], v[96:97], v[110:111], v[94:95]
	scratch_load_b128 v[94:97], off, off offset:96
	s_waitcnt vmcnt(5)
	v_fma_f64 v[98:99], v[98:99], v[112:113], v[110:111]
	ds_load_2addr_b64 v[110:113], v118 offset0:49 offset1:50
	s_waitcnt lgkmcnt(0)
	;; [unrolled: 6-line block ×15, first 2 shown]
	v_fma_f64 v[2:3], v[4:5], v[110:111], v[2:3]
	s_waitcnt vmcnt(3)
	s_delay_alu instid0(VALU_DEP_1)
	v_fma_f64 v[2:3], v[94:95], v[112:113], v[2:3]
	ds_load_2addr_b64 v[110:113], v118 offset0:77 offset1:78
	s_waitcnt lgkmcnt(0)
	v_fma_f64 v[94:95], v[96:97], v[110:111], v[2:3]
	scratch_load_b128 v[2:5], off, off offset:336
	s_waitcnt vmcnt(3)
	v_fma_f64 v[98:99], v[98:99], v[112:113], v[94:95]
	ds_load_2addr_b64 v[94:97], v118 offset0:79 offset1:80
	s_waitcnt lgkmcnt(0)
	v_fma_f64 v[94:95], v[100:101], v[94:95], v[98:99]
	s_waitcnt vmcnt(2)
	s_delay_alu instid0(VALU_DEP_1) | instskip(SKIP_4) | instid1(VALU_DEP_1)
	v_fma_f64 v[98:99], v[102:103], v[96:97], v[94:95]
	ds_load_2addr_b64 v[94:97], v118 offset0:81 offset1:82
	s_waitcnt lgkmcnt(0)
	v_fma_f64 v[94:95], v[104:105], v[94:95], v[98:99]
	s_waitcnt vmcnt(1)
	v_fma_f64 v[98:99], v[106:107], v[96:97], v[94:95]
	ds_load_2addr_b64 v[94:97], v118 offset0:83 offset1:84
	s_waitcnt lgkmcnt(0)
	v_fma_f64 v[94:95], v[108:109], v[94:95], v[98:99]
	s_delay_alu instid0(VALU_DEP_1) | instskip(SKIP_4) | instid1(VALU_DEP_1)
	v_fma_f64 v[98:99], v[114:115], v[96:97], v[94:95]
	ds_load_2addr_b64 v[94:97], v118 offset0:85 offset1:86
	s_waitcnt lgkmcnt(0)
	v_fma_f64 v[94:95], v[116:117], v[94:95], v[98:99]
	s_waitcnt vmcnt(0)
	v_fma_f64 v[94:95], v[2:3], v[96:97], v[94:95]
	ds_load_b64 v[96:97], v118 offset:696
	s_waitcnt lgkmcnt(0)
	v_fma_f64 v[4:5], v[4:5], v[96:97], v[94:95]
	s_delay_alu instid0(VALU_DEP_1)
	v_add_f64 v[0:1], v[0:1], -v[4:5]
	scratch_store_b64 off, v[0:1], off
	s_cbranch_vccz .LBB107_361
; %bb.274:
	v_dual_mov_b32 v0, s2 :: v_dual_mov_b32 v1, s3
	s_mov_b32 s0, exec_lo
	flat_load_b32 v0, v[0:1] offset:168
	s_waitcnt vmcnt(0) lgkmcnt(0)
	v_cmpx_ne_u32_e32 43, v0
	s_cbranch_execz .LBB107_276
; %bb.275:
	v_lshl_add_u32 v4, v0, 3, 0
	scratch_load_b64 v[0:1], v4, off offset:-8
	s_waitcnt vmcnt(0)
	scratch_store_b64 off, v[0:1], off offset:336
	scratch_store_b64 v4, v[2:3], off offset:-8
.LBB107_276:
	s_or_b32 exec_lo, exec_lo, s0
	v_dual_mov_b32 v0, s2 :: v_dual_mov_b32 v1, s3
	s_mov_b32 s0, exec_lo
	flat_load_b32 v0, v[0:1] offset:164
	s_waitcnt vmcnt(0) lgkmcnt(0)
	v_cmpx_ne_u32_e32 42, v0
	s_cbranch_execz .LBB107_278
; %bb.277:
	v_lshl_add_u32 v4, v0, 3, 0
	scratch_load_b64 v[0:1], v4, off offset:-8
	scratch_load_b64 v[2:3], off, off offset:328
	s_waitcnt vmcnt(1)
	scratch_store_b64 off, v[0:1], off offset:328
	s_waitcnt vmcnt(0)
	scratch_store_b64 v4, v[2:3], off offset:-8
.LBB107_278:
	s_or_b32 exec_lo, exec_lo, s0
	v_dual_mov_b32 v0, s2 :: v_dual_mov_b32 v1, s3
	s_mov_b32 s0, exec_lo
	flat_load_b32 v0, v[0:1] offset:160
	s_waitcnt vmcnt(0) lgkmcnt(0)
	v_cmpx_ne_u32_e32 41, v0
	s_cbranch_execz .LBB107_280
; %bb.279:
	v_lshl_add_u32 v4, v0, 3, 0
	scratch_load_b64 v[0:1], v4, off offset:-8
	scratch_load_b64 v[2:3], off, off offset:320
	s_waitcnt vmcnt(1)
	scratch_store_b64 off, v[0:1], off offset:320
	s_waitcnt vmcnt(0)
	scratch_store_b64 v4, v[2:3], off offset:-8
.LBB107_280:
	;; [unrolled: 16-line block ×41, first 2 shown]
	s_or_b32 exec_lo, exec_lo, s0
	v_dual_mov_b32 v0, s2 :: v_dual_mov_b32 v1, s3
	s_mov_b32 s0, exec_lo
	flat_load_b32 v2, v[0:1]
	scratch_load_b64 v[0:1], off, off
	s_waitcnt vmcnt(1) lgkmcnt(0)
	v_cmpx_ne_u32_e32 1, v2
	s_cbranch_execz .LBB107_360
; %bb.359:
	v_lshl_add_u32 v4, v2, 3, 0
	scratch_load_b64 v[2:3], v4, off offset:-8
	s_waitcnt vmcnt(0)
	scratch_store_b64 off, v[2:3], off
	scratch_store_b64 v4, v[0:1], off offset:-8
	scratch_load_b64 v[0:1], off, off
.LBB107_360:
	s_or_b32 exec_lo, exec_lo, s0
.LBB107_361:
	s_clause 0x6
	scratch_load_b128 v[2:5], off, off offset:8
	scratch_load_b128 v[94:97], off, off offset:24
	;; [unrolled: 1-line block ×7, first 2 shown]
	s_waitcnt vmcnt(7)
	global_store_b64 v[6:7], v[0:1], off
	scratch_load_b128 v[118:121], off, off offset:216
	s_waitcnt vmcnt(7)
	global_store_b64 v[10:11], v[2:3], off
	scratch_load_b128 v[0:3], off, off offset:120
	global_store_b64 v[34:35], v[4:5], off
	s_waitcnt vmcnt(7)
	s_clause 0x1
	global_store_b64 v[32:33], v[94:95], off
	global_store_b64 v[26:27], v[96:97], off
	s_waitcnt vmcnt(6)
	s_clause 0x1
	global_store_b64 v[24:25], v[98:99], off
	;; [unrolled: 4-line block ×6, first 2 shown]
	global_store_b64 v[36:37], v[116:117], off
	s_clause 0xc
	scratch_load_b128 v[4:7], off, off offset:136
	scratch_load_b128 v[32:35], off, off offset:152
	scratch_load_b128 v[94:97], off, off offset:168
	scratch_load_b128 v[24:27], off, off offset:184
	scratch_load_b128 v[98:101], off, off offset:200
	scratch_load_b128 v[10:13], off, off offset:232
	scratch_load_b128 v[14:17], off, off offset:248
	scratch_load_b128 v[18:21], off, off offset:264
	scratch_load_b128 v[102:105], off, off offset:280
	scratch_load_b128 v[106:109], off, off offset:296
	scratch_load_b128 v[28:31], off, off offset:312
	scratch_load_b128 v[110:113], off, off offset:328
	scratch_load_b64 v[22:23], off, off offset:344
	s_waitcnt vmcnt(13)
	s_clause 0x1
	global_store_b64 v[38:39], v[0:1], off
	global_store_b64 v[40:41], v[2:3], off
	s_waitcnt vmcnt(12)
	s_clause 0x1
	global_store_b64 v[42:43], v[4:5], off
	global_store_b64 v[44:45], v[6:7], off
	s_waitcnt vmcnt(11)
	s_clause 0x1
	global_store_b64 v[46:47], v[32:33], off
	global_store_b64 v[48:49], v[34:35], off
	s_waitcnt vmcnt(10)
	s_clause 0x1
	global_store_b64 v[50:51], v[94:95], off
	global_store_b64 v[52:53], v[96:97], off
	s_waitcnt vmcnt(9)
	s_clause 0x1
	global_store_b64 v[54:55], v[24:25], off
	global_store_b64 v[56:57], v[26:27], off
	s_waitcnt vmcnt(8)
	s_clause 0x3
	global_store_b64 v[58:59], v[98:99], off
	global_store_b64 v[60:61], v[100:101], off
	global_store_b64 v[62:63], v[118:119], off
	global_store_b64 v[64:65], v[120:121], off
	s_waitcnt vmcnt(7)
	s_clause 0x1
	global_store_b64 v[66:67], v[10:11], off
	global_store_b64 v[68:69], v[12:13], off
	s_waitcnt vmcnt(6)
	s_clause 0x1
	;; [unrolled: 4-line block ×7, first 2 shown]
	global_store_b64 v[90:91], v[110:111], off
	global_store_b64 v[92:93], v[112:113], off
	s_waitcnt vmcnt(0)
	global_store_b64 v[8:9], v[22:23], off
	s_endpgm
	.section	.rodata,"a",@progbits
	.p2align	6, 0x0
	.amdhsa_kernel _ZN9rocsolver6v33100L18getri_kernel_smallILi44EdPKPdEEvT1_iilPiilS6_bb
		.amdhsa_group_segment_fixed_size 712
		.amdhsa_private_segment_fixed_size 368
		.amdhsa_kernarg_size 60
		.amdhsa_user_sgpr_count 15
		.amdhsa_user_sgpr_dispatch_ptr 0
		.amdhsa_user_sgpr_queue_ptr 0
		.amdhsa_user_sgpr_kernarg_segment_ptr 1
		.amdhsa_user_sgpr_dispatch_id 0
		.amdhsa_user_sgpr_private_segment_size 0
		.amdhsa_wavefront_size32 1
		.amdhsa_uses_dynamic_stack 0
		.amdhsa_enable_private_segment 1
		.amdhsa_system_sgpr_workgroup_id_x 1
		.amdhsa_system_sgpr_workgroup_id_y 0
		.amdhsa_system_sgpr_workgroup_id_z 0
		.amdhsa_system_sgpr_workgroup_info 0
		.amdhsa_system_vgpr_workitem_id 0
		.amdhsa_next_free_vgpr 124
		.amdhsa_next_free_sgpr 17
		.amdhsa_reserve_vcc 1
		.amdhsa_float_round_mode_32 0
		.amdhsa_float_round_mode_16_64 0
		.amdhsa_float_denorm_mode_32 3
		.amdhsa_float_denorm_mode_16_64 3
		.amdhsa_dx10_clamp 1
		.amdhsa_ieee_mode 1
		.amdhsa_fp16_overflow 0
		.amdhsa_workgroup_processor_mode 1
		.amdhsa_memory_ordered 1
		.amdhsa_forward_progress 0
		.amdhsa_shared_vgpr_count 0
		.amdhsa_exception_fp_ieee_invalid_op 0
		.amdhsa_exception_fp_denorm_src 0
		.amdhsa_exception_fp_ieee_div_zero 0
		.amdhsa_exception_fp_ieee_overflow 0
		.amdhsa_exception_fp_ieee_underflow 0
		.amdhsa_exception_fp_ieee_inexact 0
		.amdhsa_exception_int_div_zero 0
	.end_amdhsa_kernel
	.section	.text._ZN9rocsolver6v33100L18getri_kernel_smallILi44EdPKPdEEvT1_iilPiilS6_bb,"axG",@progbits,_ZN9rocsolver6v33100L18getri_kernel_smallILi44EdPKPdEEvT1_iilPiilS6_bb,comdat
.Lfunc_end107:
	.size	_ZN9rocsolver6v33100L18getri_kernel_smallILi44EdPKPdEEvT1_iilPiilS6_bb, .Lfunc_end107-_ZN9rocsolver6v33100L18getri_kernel_smallILi44EdPKPdEEvT1_iilPiilS6_bb
                                        ; -- End function
	.section	.AMDGPU.csdata,"",@progbits
; Kernel info:
; codeLenInByte = 39672
; NumSgprs: 19
; NumVgprs: 124
; ScratchSize: 368
; MemoryBound: 0
; FloatMode: 240
; IeeeMode: 1
; LDSByteSize: 712 bytes/workgroup (compile time only)
; SGPRBlocks: 2
; VGPRBlocks: 15
; NumSGPRsForWavesPerEU: 19
; NumVGPRsForWavesPerEU: 124
; Occupancy: 10
; WaveLimiterHint : 1
; COMPUTE_PGM_RSRC2:SCRATCH_EN: 1
; COMPUTE_PGM_RSRC2:USER_SGPR: 15
; COMPUTE_PGM_RSRC2:TRAP_HANDLER: 0
; COMPUTE_PGM_RSRC2:TGID_X_EN: 1
; COMPUTE_PGM_RSRC2:TGID_Y_EN: 0
; COMPUTE_PGM_RSRC2:TGID_Z_EN: 0
; COMPUTE_PGM_RSRC2:TIDIG_COMP_CNT: 0
	.section	.text._ZN9rocsolver6v33100L18getri_kernel_smallILi45EdPKPdEEvT1_iilPiilS6_bb,"axG",@progbits,_ZN9rocsolver6v33100L18getri_kernel_smallILi45EdPKPdEEvT1_iilPiilS6_bb,comdat
	.globl	_ZN9rocsolver6v33100L18getri_kernel_smallILi45EdPKPdEEvT1_iilPiilS6_bb ; -- Begin function _ZN9rocsolver6v33100L18getri_kernel_smallILi45EdPKPdEEvT1_iilPiilS6_bb
	.p2align	8
	.type	_ZN9rocsolver6v33100L18getri_kernel_smallILi45EdPKPdEEvT1_iilPiilS6_bb,@function
_ZN9rocsolver6v33100L18getri_kernel_smallILi45EdPKPdEEvT1_iilPiilS6_bb: ; @_ZN9rocsolver6v33100L18getri_kernel_smallILi45EdPKPdEEvT1_iilPiilS6_bb
; %bb.0:
	s_mov_b32 s2, exec_lo
	v_cmpx_gt_u32_e32 45, v0
	s_cbranch_execz .LBB108_190
; %bb.1:
	s_clause 0x1
	s_load_b32 s13, s[0:1], 0x38
	s_load_b64 s[2:3], s[0:1], 0x0
	s_mov_b32 s8, s15
	s_load_b128 s[4:7], s[0:1], 0x28
	s_waitcnt lgkmcnt(0)
	s_bitcmp1_b32 s13, 8
	s_cselect_b32 s12, -1, 0
	s_ashr_i32 s9, s15, 31
	s_delay_alu instid0(SALU_CYCLE_1) | instskip(NEXT) | instid1(SALU_CYCLE_1)
	s_lshl_b64 s[10:11], s[8:9], 3
	s_add_u32 s2, s2, s10
	s_addc_u32 s3, s3, s11
	s_load_b64 s[10:11], s[2:3], 0x0
	s_bfe_u32 s2, s13, 0x10008
	s_delay_alu instid0(SALU_CYCLE_1)
	s_cmp_eq_u32 s2, 0
                                        ; implicit-def: $sgpr2_sgpr3
	s_cbranch_scc1 .LBB108_3
; %bb.2:
	s_clause 0x1
	s_load_b32 s2, s[0:1], 0x20
	s_load_b64 s[14:15], s[0:1], 0x18
	s_mul_i32 s3, s8, s5
	s_mul_hi_u32 s5, s8, s4
	s_mul_i32 s16, s9, s4
	s_add_i32 s3, s5, s3
	s_mul_i32 s4, s8, s4
	s_add_i32 s5, s3, s16
	s_delay_alu instid0(SALU_CYCLE_1)
	s_lshl_b64 s[4:5], s[4:5], 2
	s_waitcnt lgkmcnt(0)
	s_ashr_i32 s3, s2, 31
	s_add_u32 s4, s14, s4
	s_addc_u32 s5, s15, s5
	s_lshl_b64 s[2:3], s[2:3], 2
	s_delay_alu instid0(SALU_CYCLE_1)
	s_add_u32 s2, s4, s2
	s_addc_u32 s3, s5, s3
.LBB108_3:
	s_load_b64 s[0:1], s[0:1], 0x8
	v_lshlrev_b32_e32 v103, 3, v0
	s_waitcnt lgkmcnt(0)
	v_add3_u32 v3, s1, s1, v0
	s_ashr_i32 s5, s0, 31
	s_mov_b32 s4, s0
	s_mov_b32 s14, s1
	s_lshl_b64 s[4:5], s[4:5], 3
	v_add_nc_u32_e32 v5, s1, v3
	v_ashrrev_i32_e32 v4, 31, v3
	s_add_u32 s4, s10, s4
	s_addc_u32 s5, s11, s5
	v_add_co_u32 v13, s0, s4, v103
	v_add_nc_u32_e32 v7, s1, v5
	s_ashr_i32 s15, s1, 31
	v_add_co_ci_u32_e64 v14, null, s5, 0, s0
	v_lshlrev_b64 v[3:4], 3, v[3:4]
	s_lshl_b64 s[10:11], s[14:15], 3
	v_add_nc_u32_e32 v9, s1, v7
	v_add_co_u32 v15, vcc_lo, v13, s10
	v_add_co_ci_u32_e32 v16, vcc_lo, s11, v14, vcc_lo
	s_delay_alu instid0(VALU_DEP_4) | instskip(NEXT) | instid1(VALU_DEP_4)
	v_add_co_u32 v17, vcc_lo, s4, v3
	v_add_nc_u32_e32 v3, s1, v9
	v_ashrrev_i32_e32 v6, 31, v5
	v_ashrrev_i32_e32 v8, 31, v7
	;; [unrolled: 1-line block ×3, first 2 shown]
	v_add_co_ci_u32_e32 v18, vcc_lo, s5, v4, vcc_lo
	v_add_nc_u32_e32 v11, s1, v3
	v_lshlrev_b64 v[5:6], 3, v[5:6]
	v_lshlrev_b64 v[7:8], 3, v[7:8]
	v_ashrrev_i32_e32 v4, 31, v3
	global_load_b64 v[1:2], v103, s[4:5]
	v_add_nc_u32_e32 v27, s1, v11
	v_ashrrev_i32_e32 v12, 31, v11
	v_add_co_u32 v19, vcc_lo, s4, v5
	v_add_co_ci_u32_e32 v20, vcc_lo, s5, v6, vcc_lo
	s_delay_alu instid0(VALU_DEP_4) | instskip(SKIP_3) | instid1(VALU_DEP_4)
	v_add_nc_u32_e32 v29, s1, v27
	v_lshlrev_b64 v[5:6], 3, v[9:10]
	v_add_co_u32 v21, vcc_lo, s4, v7
	v_lshlrev_b64 v[25:26], 3, v[3:4]
	v_add_nc_u32_e32 v33, s1, v29
	v_add_co_ci_u32_e32 v22, vcc_lo, s5, v8, vcc_lo
	v_add_co_u32 v23, vcc_lo, s4, v5
	s_delay_alu instid0(VALU_DEP_3) | instskip(SKIP_3) | instid1(VALU_DEP_4)
	v_add_nc_u32_e32 v35, s1, v33
	v_lshlrev_b64 v[11:12], 3, v[11:12]
	v_ashrrev_i32_e32 v28, 31, v27
	v_add_co_ci_u32_e32 v24, vcc_lo, s5, v6, vcc_lo
	v_add_nc_u32_e32 v37, s1, v35
	v_add_co_u32 v25, vcc_lo, s4, v25
	v_ashrrev_i32_e32 v30, 31, v29
	v_add_co_ci_u32_e32 v26, vcc_lo, s5, v26, vcc_lo
	s_delay_alu instid0(VALU_DEP_4)
	v_add_nc_u32_e32 v39, s1, v37
	v_lshlrev_b64 v[31:32], 3, v[27:28]
	v_add_co_u32 v27, vcc_lo, s4, v11
	v_add_co_ci_u32_e32 v28, vcc_lo, s5, v12, vcc_lo
	v_lshlrev_b64 v[11:12], 3, v[29:30]
	v_ashrrev_i32_e32 v34, 31, v33
	v_add_nc_u32_e32 v41, s1, v39
	v_add_co_u32 v29, vcc_lo, s4, v31
	v_ashrrev_i32_e32 v36, 31, v35
	v_add_co_ci_u32_e32 v30, vcc_lo, s5, v32, vcc_lo
	v_lshlrev_b64 v[33:34], 3, v[33:34]
	v_add_co_u32 v31, vcc_lo, s4, v11
	v_add_nc_u32_e32 v43, s1, v41
	v_add_co_ci_u32_e32 v32, vcc_lo, s5, v12, vcc_lo
	v_lshlrev_b64 v[11:12], 3, v[35:36]
	v_ashrrev_i32_e32 v38, 31, v37
	v_add_co_u32 v33, vcc_lo, s4, v33
	v_ashrrev_i32_e32 v40, 31, v39
	v_add_nc_u32_e32 v45, s1, v43
	v_add_co_ci_u32_e32 v34, vcc_lo, s5, v34, vcc_lo
	v_lshlrev_b64 v[37:38], 3, v[37:38]
	v_add_co_u32 v35, vcc_lo, s4, v11
	v_add_co_ci_u32_e32 v36, vcc_lo, s5, v12, vcc_lo
	v_lshlrev_b64 v[11:12], 3, v[39:40]
	v_ashrrev_i32_e32 v42, 31, v41
	v_add_nc_u32_e32 v47, s1, v45
	v_add_co_u32 v37, vcc_lo, s4, v37
	v_ashrrev_i32_e32 v44, 31, v43
	v_add_co_ci_u32_e32 v38, vcc_lo, s5, v38, vcc_lo
	v_lshlrev_b64 v[41:42], 3, v[41:42]
	v_add_nc_u32_e32 v49, s1, v47
	v_add_co_u32 v39, vcc_lo, s4, v11
	v_add_co_ci_u32_e32 v40, vcc_lo, s5, v12, vcc_lo
	v_lshlrev_b64 v[11:12], 3, v[43:44]
	v_ashrrev_i32_e32 v46, 31, v45
	v_add_nc_u32_e32 v51, s1, v49
	v_add_co_u32 v41, vcc_lo, s4, v41
	v_ashrrev_i32_e32 v48, 31, v47
	v_add_co_ci_u32_e32 v42, vcc_lo, s5, v42, vcc_lo
	v_lshlrev_b64 v[45:46], 3, v[45:46]
	v_add_co_u32 v43, vcc_lo, s4, v11
	v_add_nc_u32_e32 v53, s1, v51
	v_add_co_ci_u32_e32 v44, vcc_lo, s5, v12, vcc_lo
	v_lshlrev_b64 v[11:12], 3, v[47:48]
	v_ashrrev_i32_e32 v50, 31, v49
	v_add_co_u32 v45, vcc_lo, s4, v45
	v_ashrrev_i32_e32 v52, 31, v51
	v_add_nc_u32_e32 v57, s1, v53
	v_add_co_ci_u32_e32 v46, vcc_lo, s5, v46, vcc_lo
	v_lshlrev_b64 v[49:50], 3, v[49:50]
	v_add_co_u32 v47, vcc_lo, s4, v11
	v_ashrrev_i32_e32 v54, 31, v53
	v_add_co_ci_u32_e32 v48, vcc_lo, s5, v12, vcc_lo
	v_lshlrev_b64 v[11:12], 3, v[51:52]
	v_ashrrev_i32_e32 v58, 31, v57
	v_add_co_u32 v49, vcc_lo, s4, v49
	v_lshlrev_b64 v[53:54], 3, v[53:54]
	v_add_co_ci_u32_e32 v50, vcc_lo, s5, v50, vcc_lo
	v_add_co_u32 v51, vcc_lo, s4, v11
	v_lshlrev_b64 v[55:56], 3, v[57:58]
	v_add_co_ci_u32_e32 v52, vcc_lo, s5, v12, vcc_lo
	v_add_co_u32 v53, vcc_lo, s4, v53
	s_clause 0x3
	global_load_b64 v[3:4], v[15:16], off
	global_load_b64 v[5:6], v[17:18], off
	;; [unrolled: 1-line block ×4, first 2 shown]
	v_add_co_ci_u32_e32 v54, vcc_lo, s5, v54, vcc_lo
	global_load_b64 v[11:12], v[23:24], off
	v_add_co_u32 v55, vcc_lo, s4, v55
	s_clause 0xb
	global_load_b64 v[104:105], v[25:26], off
	global_load_b64 v[106:107], v[27:28], off
	;; [unrolled: 1-line block ×12, first 2 shown]
	v_add_co_ci_u32_e32 v56, vcc_lo, s5, v56, vcc_lo
	s_clause 0x3
	global_load_b64 v[128:129], v[49:50], off
	global_load_b64 v[130:131], v[51:52], off
	;; [unrolled: 1-line block ×4, first 2 shown]
	v_add_nc_u32_e32 v57, s1, v57
	s_bitcmp0_b32 s13, 0
	s_delay_alu instid0(VALU_DEP_1) | instskip(SKIP_1) | instid1(VALU_DEP_2)
	v_add_nc_u32_e32 v59, s1, v57
	v_ashrrev_i32_e32 v58, 31, v57
	v_add_nc_u32_e32 v61, s1, v59
	v_ashrrev_i32_e32 v60, 31, v59
	s_delay_alu instid0(VALU_DEP_3) | instskip(NEXT) | instid1(VALU_DEP_3)
	v_lshlrev_b64 v[57:58], 3, v[57:58]
	v_add_nc_u32_e32 v63, s1, v61
	v_ashrrev_i32_e32 v62, 31, v61
	s_delay_alu instid0(VALU_DEP_4) | instskip(NEXT) | instid1(VALU_DEP_4)
	v_lshlrev_b64 v[59:60], 3, v[59:60]
	v_add_co_u32 v57, vcc_lo, s4, v57
	s_delay_alu instid0(VALU_DEP_4) | instskip(SKIP_3) | instid1(VALU_DEP_4)
	v_add_nc_u32_e32 v65, s1, v63
	v_ashrrev_i32_e32 v64, 31, v63
	v_lshlrev_b64 v[61:62], 3, v[61:62]
	v_add_co_ci_u32_e32 v58, vcc_lo, s5, v58, vcc_lo
	v_add_nc_u32_e32 v67, s1, v65
	v_ashrrev_i32_e32 v66, 31, v65
	v_add_co_u32 v59, vcc_lo, s4, v59
	v_lshlrev_b64 v[63:64], 3, v[63:64]
	s_delay_alu instid0(VALU_DEP_4) | instskip(SKIP_3) | instid1(VALU_DEP_4)
	v_add_nc_u32_e32 v69, s1, v67
	v_ashrrev_i32_e32 v68, 31, v67
	v_add_co_ci_u32_e32 v60, vcc_lo, s5, v60, vcc_lo
	v_add_co_u32 v61, vcc_lo, s4, v61
	v_add_nc_u32_e32 v71, s1, v69
	v_lshlrev_b64 v[65:66], 3, v[65:66]
	v_ashrrev_i32_e32 v70, 31, v69
	v_add_co_ci_u32_e32 v62, vcc_lo, s5, v62, vcc_lo
	s_delay_alu instid0(VALU_DEP_4) | instskip(SKIP_3) | instid1(VALU_DEP_4)
	v_add_nc_u32_e32 v73, s1, v71
	v_add_co_u32 v63, vcc_lo, s4, v63
	v_lshlrev_b64 v[67:68], 3, v[67:68]
	v_ashrrev_i32_e32 v72, 31, v71
	v_add_nc_u32_e32 v75, s1, v73
	v_add_co_ci_u32_e32 v64, vcc_lo, s5, v64, vcc_lo
	v_add_co_u32 v65, vcc_lo, s4, v65
	s_delay_alu instid0(VALU_DEP_3) | instskip(SKIP_3) | instid1(VALU_DEP_4)
	v_add_nc_u32_e32 v77, s1, v75
	v_lshlrev_b64 v[69:70], 3, v[69:70]
	v_ashrrev_i32_e32 v74, 31, v73
	v_add_co_ci_u32_e32 v66, vcc_lo, s5, v66, vcc_lo
	v_add_nc_u32_e32 v79, s1, v77
	v_add_co_u32 v67, vcc_lo, s4, v67
	v_lshlrev_b64 v[71:72], 3, v[71:72]
	v_ashrrev_i32_e32 v76, 31, v75
	s_delay_alu instid0(VALU_DEP_4) | instskip(SKIP_2) | instid1(VALU_DEP_3)
	v_add_nc_u32_e32 v81, s1, v79
	v_add_co_ci_u32_e32 v68, vcc_lo, s5, v68, vcc_lo
	v_add_co_u32 v69, vcc_lo, s4, v69
	v_add_nc_u32_e32 v83, s1, v81
	v_lshlrev_b64 v[73:74], 3, v[73:74]
	v_ashrrev_i32_e32 v78, 31, v77
	v_add_co_ci_u32_e32 v70, vcc_lo, s5, v70, vcc_lo
	s_delay_alu instid0(VALU_DEP_4) | instskip(SKIP_3) | instid1(VALU_DEP_4)
	v_add_nc_u32_e32 v85, s1, v83
	v_add_co_u32 v71, vcc_lo, s4, v71
	v_lshlrev_b64 v[75:76], 3, v[75:76]
	v_ashrrev_i32_e32 v80, 31, v79
	v_add_nc_u32_e32 v87, s1, v85
	v_add_co_ci_u32_e32 v72, vcc_lo, s5, v72, vcc_lo
	v_add_co_u32 v73, vcc_lo, s4, v73
	s_delay_alu instid0(VALU_DEP_3)
	v_add_nc_u32_e32 v89, s1, v87
	v_lshlrev_b64 v[77:78], 3, v[77:78]
	v_ashrrev_i32_e32 v82, 31, v81
	v_add_co_ci_u32_e32 v74, vcc_lo, s5, v74, vcc_lo
	v_add_co_u32 v75, vcc_lo, s4, v75
	v_lshlrev_b64 v[79:80], 3, v[79:80]
	v_add_nc_u32_e32 v91, s1, v89
	v_ashrrev_i32_e32 v84, 31, v83
	v_add_co_ci_u32_e32 v76, vcc_lo, s5, v76, vcc_lo
	v_add_co_u32 v77, vcc_lo, s4, v77
	v_lshlrev_b64 v[81:82], 3, v[81:82]
	v_ashrrev_i32_e32 v86, 31, v85
	v_add_co_ci_u32_e32 v78, vcc_lo, s5, v78, vcc_lo
	v_add_nc_u32_e32 v93, s1, v91
	v_add_co_u32 v79, vcc_lo, s4, v79
	v_lshlrev_b64 v[83:84], 3, v[83:84]
	v_ashrrev_i32_e32 v88, 31, v87
	v_add_co_ci_u32_e32 v80, vcc_lo, s5, v80, vcc_lo
	v_add_co_u32 v81, vcc_lo, s4, v81
	v_lshlrev_b64 v[85:86], 3, v[85:86]
	v_ashrrev_i32_e32 v90, 31, v89
	v_add_nc_u32_e32 v95, s1, v93
	v_add_co_ci_u32_e32 v82, vcc_lo, s5, v82, vcc_lo
	v_add_co_u32 v83, vcc_lo, s4, v83
	v_lshlrev_b64 v[87:88], 3, v[87:88]
	v_ashrrev_i32_e32 v92, 31, v91
	v_add_co_ci_u32_e32 v84, vcc_lo, s5, v84, vcc_lo
	v_add_co_u32 v85, vcc_lo, s4, v85
	v_lshlrev_b64 v[89:90], 3, v[89:90]
	v_add_nc_u32_e32 v97, s1, v95
	v_ashrrev_i32_e32 v94, 31, v93
	v_add_co_ci_u32_e32 v86, vcc_lo, s5, v86, vcc_lo
	v_add_co_u32 v87, vcc_lo, s4, v87
	v_lshlrev_b64 v[91:92], 3, v[91:92]
	v_ashrrev_i32_e32 v96, 31, v95
	v_add_co_ci_u32_e32 v88, vcc_lo, s5, v88, vcc_lo
	v_add_nc_u32_e32 v99, s1, v97
	v_add_co_u32 v89, vcc_lo, s4, v89
	v_lshlrev_b64 v[93:94], 3, v[93:94]
	v_add_co_ci_u32_e32 v90, vcc_lo, s5, v90, vcc_lo
	v_add_co_u32 v91, vcc_lo, s4, v91
	v_lshlrev_b64 v[95:96], 3, v[95:96]
	v_ashrrev_i32_e32 v98, 31, v97
	v_add_nc_u32_e32 v136, s1, v99
	v_add_co_ci_u32_e32 v92, vcc_lo, s5, v92, vcc_lo
	v_add_co_u32 v93, vcc_lo, s4, v93
	v_ashrrev_i32_e32 v100, 31, v99
	v_add_co_ci_u32_e32 v94, vcc_lo, s5, v94, vcc_lo
	v_lshlrev_b64 v[101:102], 3, v[97:98]
	v_add_co_u32 v97, vcc_lo, s4, v95
	v_ashrrev_i32_e32 v137, 31, v136
	v_add_co_ci_u32_e32 v98, vcc_lo, s5, v96, vcc_lo
	v_lshlrev_b64 v[95:96], 3, v[99:100]
	v_add_co_u32 v101, vcc_lo, s4, v101
	s_delay_alu instid0(VALU_DEP_4) | instskip(SKIP_1) | instid1(VALU_DEP_4)
	v_lshlrev_b64 v[99:100], 3, v[136:137]
	v_add_co_ci_u32_e32 v102, vcc_lo, s5, v102, vcc_lo
	v_add_co_u32 v95, vcc_lo, s4, v95
	v_add_co_ci_u32_e32 v96, vcc_lo, s5, v96, vcc_lo
	s_delay_alu instid0(VALU_DEP_4)
	v_add_co_u32 v99, vcc_lo, s4, v99
	v_add_co_ci_u32_e32 v100, vcc_lo, s5, v100, vcc_lo
	s_mov_b32 s1, -1
	s_waitcnt vmcnt(20)
	scratch_store_b128 off, v[1:4], off
	s_clause 0x2
	global_load_b64 v[1:2], v[57:58], off
	global_load_b64 v[3:4], v[59:60], off
	global_load_b64 v[136:137], v[61:62], off
	s_waitcnt vmcnt(21)
	scratch_store_b128 off, v[5:8], off offset:16
	s_waitcnt vmcnt(19)
	scratch_store_b128 off, v[9:12], off offset:32
	s_clause 0x3
	global_load_b64 v[138:139], v[63:64], off
	global_load_b64 v[5:6], v[65:66], off
	global_load_b64 v[7:8], v[67:68], off
	global_load_b64 v[9:10], v[69:70], off
	s_waitcnt vmcnt(21)
	scratch_store_b128 off, v[104:107], off offset:48
	s_waitcnt vmcnt(19)
	scratch_store_b128 off, v[108:111], off offset:64
	s_clause 0x3
	global_load_b64 v[11:12], v[71:72], off
	;; [unrolled: 9-line block ×4, first 2 shown]
	global_load_b64 v[120:121], v[89:90], off
	global_load_b64 v[122:123], v[91:92], off
	;; [unrolled: 1-line block ×3, first 2 shown]
	s_waitcnt vmcnt(21)
	scratch_store_b128 off, v[128:131], off offset:144
	s_clause 0x2
	global_load_b64 v[126:127], v[97:98], off
	global_load_b64 v[128:129], v[101:102], off
	;; [unrolled: 1-line block ×3, first 2 shown]
	s_waitcnt vmcnt(22)
	scratch_store_b128 off, v[132:135], off offset:160
	global_load_b64 v[132:133], v[99:100], off
	s_waitcnt vmcnt(21)
	scratch_store_b128 off, v[1:4], off offset:176
	s_waitcnt vmcnt(19)
	scratch_store_b128 off, v[136:139], off offset:192
	;; [unrolled: 2-line block ×11, first 2 shown]
	s_waitcnt vmcnt(0)
	scratch_store_b64 off, v[132:133], off offset:352
	s_cbranch_scc1 .LBB108_188
; %bb.4:
	v_cmp_eq_u32_e64 s0, 0, v0
	s_delay_alu instid0(VALU_DEP_1)
	s_and_saveexec_b32 s1, s0
	s_cbranch_execz .LBB108_6
; %bb.5:
	v_mov_b32_e32 v1, 0
	ds_store_b32 v1, v1 offset:360
.LBB108_6:
	s_or_b32 exec_lo, exec_lo, s1
	s_waitcnt lgkmcnt(0)
	s_waitcnt_vscnt null, 0x0
	s_barrier
	buffer_gl0_inv
	scratch_load_b64 v[1:2], v103, off
	s_mov_b32 s4, exec_lo
	s_waitcnt vmcnt(0)
	v_cmpx_eq_f64_e32 0, v[1:2]
	s_cbranch_execz .LBB108_10
; %bb.7:
	v_mov_b32_e32 v1, 0
	s_mov_b32 s5, 0
	ds_load_b32 v2, v1 offset:360
	s_waitcnt lgkmcnt(0)
	v_readfirstlane_b32 s1, v2
	v_add_nc_u32_e32 v2, 1, v0
	s_delay_alu instid0(VALU_DEP_2) | instskip(NEXT) | instid1(VALU_DEP_1)
	s_cmp_eq_u32 s1, 0
	v_cmp_gt_i32_e32 vcc_lo, s1, v2
	s_cselect_b32 s10, -1, 0
	s_delay_alu instid0(SALU_CYCLE_1) | instskip(NEXT) | instid1(SALU_CYCLE_1)
	s_or_b32 s10, s10, vcc_lo
	s_and_b32 exec_lo, exec_lo, s10
	s_cbranch_execz .LBB108_10
; %bb.8:
	v_mov_b32_e32 v3, s1
.LBB108_9:                              ; =>This Inner Loop Header: Depth=1
	ds_cmpstore_rtn_b32 v3, v1, v2, v3 offset:360
	s_waitcnt lgkmcnt(0)
	v_cmp_ne_u32_e32 vcc_lo, 0, v3
	v_cmp_le_i32_e64 s1, v3, v2
	s_delay_alu instid0(VALU_DEP_1) | instskip(NEXT) | instid1(SALU_CYCLE_1)
	s_and_b32 s1, vcc_lo, s1
	s_and_b32 s1, exec_lo, s1
	s_delay_alu instid0(SALU_CYCLE_1) | instskip(NEXT) | instid1(SALU_CYCLE_1)
	s_or_b32 s5, s1, s5
	s_and_not1_b32 exec_lo, exec_lo, s5
	s_cbranch_execnz .LBB108_9
.LBB108_10:
	s_or_b32 exec_lo, exec_lo, s4
	v_mov_b32_e32 v1, 0
	s_barrier
	buffer_gl0_inv
	ds_load_b32 v2, v1 offset:360
	s_and_saveexec_b32 s1, s0
	s_cbranch_execz .LBB108_12
; %bb.11:
	s_lshl_b64 s[4:5], s[8:9], 2
	s_delay_alu instid0(SALU_CYCLE_1)
	s_add_u32 s4, s6, s4
	s_addc_u32 s5, s7, s5
	s_waitcnt lgkmcnt(0)
	global_store_b32 v1, v2, s[4:5]
.LBB108_12:
	s_or_b32 exec_lo, exec_lo, s1
	s_waitcnt lgkmcnt(0)
	v_cmp_ne_u32_e32 vcc_lo, 0, v2
	s_mov_b32 s1, 0
	s_cbranch_vccnz .LBB108_188
; %bb.13:
	v_add_nc_u32_e32 v3, 0, v103
	scratch_load_b64 v[1:2], v3, off
	s_waitcnt vmcnt(0)
	v_div_scale_f64 v[4:5], null, v[1:2], v[1:2], 1.0
	v_div_scale_f64 v[10:11], vcc_lo, 1.0, v[1:2], 1.0
	s_delay_alu instid0(VALU_DEP_2) | instskip(SKIP_2) | instid1(VALU_DEP_1)
	v_rcp_f64_e32 v[6:7], v[4:5]
	s_waitcnt_depctr 0xfff
	v_fma_f64 v[8:9], -v[4:5], v[6:7], 1.0
	v_fma_f64 v[6:7], v[6:7], v[8:9], v[6:7]
	s_delay_alu instid0(VALU_DEP_1) | instskip(NEXT) | instid1(VALU_DEP_1)
	v_fma_f64 v[8:9], -v[4:5], v[6:7], 1.0
	v_fma_f64 v[6:7], v[6:7], v[8:9], v[6:7]
	s_delay_alu instid0(VALU_DEP_1) | instskip(NEXT) | instid1(VALU_DEP_1)
	v_mul_f64 v[8:9], v[10:11], v[6:7]
	v_fma_f64 v[4:5], -v[4:5], v[8:9], v[10:11]
	s_delay_alu instid0(VALU_DEP_1) | instskip(NEXT) | instid1(VALU_DEP_1)
	v_div_fmas_f64 v[4:5], v[4:5], v[6:7], v[8:9]
	v_div_fixup_f64 v[1:2], v[4:5], v[1:2], 1.0
	v_add_nc_u32_e32 v4, 0x170, v103
	scratch_store_b64 v3, v[1:2], off
	scratch_load_b64 v[5:6], off, off offset:8
	v_xor_b32_e32 v2, 0x80000000, v2
	s_waitcnt vmcnt(0)
	ds_store_2addr_b64 v103, v[1:2], v[5:6] offset1:46
	s_waitcnt lgkmcnt(0)
	s_waitcnt_vscnt null, 0x0
	s_barrier
	buffer_gl0_inv
	s_and_saveexec_b32 s1, s0
	s_cbranch_execz .LBB108_15
; %bb.14:
	scratch_load_b64 v[1:2], v3, off
	ds_load_b64 v[5:6], v4
	s_waitcnt vmcnt(0) lgkmcnt(0)
	v_fma_f64 v[1:2], v[1:2], v[5:6], 0
	v_mov_b32_e32 v5, 0
	ds_load_b64 v[5:6], v5 offset:8
	s_waitcnt lgkmcnt(0)
	v_mul_f64 v[1:2], v[1:2], v[5:6]
	scratch_store_b64 off, v[1:2], off offset:8
.LBB108_15:
	s_or_b32 exec_lo, exec_lo, s1
	s_waitcnt_vscnt null, 0x0
	s_barrier
	buffer_gl0_inv
	scratch_load_b64 v[1:2], off, off offset:16
	s_mov_b32 s1, exec_lo
	s_waitcnt vmcnt(0)
	ds_store_b64 v4, v[1:2]
	s_waitcnt lgkmcnt(0)
	s_barrier
	buffer_gl0_inv
	v_cmpx_gt_u32_e32 2, v0
	s_cbranch_execz .LBB108_19
; %bb.16:
	scratch_load_b64 v[1:2], v3, off
	ds_load_b64 v[5:6], v4
	s_waitcnt vmcnt(0) lgkmcnt(0)
	v_fma_f64 v[1:2], v[1:2], v[5:6], 0
	s_and_saveexec_b32 s4, s0
	s_cbranch_execz .LBB108_18
; %bb.17:
	scratch_load_b64 v[5:6], off, off offset:8
	v_mov_b32_e32 v7, 0
	ds_load_b64 v[7:8], v7 offset:376
	s_waitcnt vmcnt(0) lgkmcnt(0)
	v_fma_f64 v[1:2], v[5:6], v[7:8], v[1:2]
.LBB108_18:
	s_or_b32 exec_lo, exec_lo, s4
	v_mov_b32_e32 v5, 0
	ds_load_b64 v[5:6], v5 offset:16
	s_waitcnt lgkmcnt(0)
	v_mul_f64 v[1:2], v[1:2], v[5:6]
	scratch_store_b64 off, v[1:2], off offset:16
.LBB108_19:
	s_or_b32 exec_lo, exec_lo, s1
	s_waitcnt_vscnt null, 0x0
	s_barrier
	buffer_gl0_inv
	scratch_load_b64 v[1:2], off, off offset:24
	v_add_nc_u32_e32 v5, -1, v0
	s_mov_b32 s0, exec_lo
	s_waitcnt vmcnt(0)
	ds_store_b64 v4, v[1:2]
	s_waitcnt lgkmcnt(0)
	s_barrier
	buffer_gl0_inv
	v_cmpx_gt_u32_e32 3, v0
	s_cbranch_execz .LBB108_23
; %bb.20:
	v_dual_mov_b32 v1, 0 :: v_dual_add_nc_u32 v6, -1, v0
	v_dual_mov_b32 v2, 0 :: v_dual_add_nc_u32 v7, 0x170, v103
	v_add_nc_u32_e32 v8, 0, v103
	s_mov_b32 s1, 0
.LBB108_21:                             ; =>This Inner Loop Header: Depth=1
	scratch_load_b64 v[9:10], v8, off
	ds_load_b64 v[11:12], v7
	v_add_nc_u32_e32 v6, 1, v6
	v_add_nc_u32_e32 v7, 8, v7
	v_add_nc_u32_e32 v8, 8, v8
	s_delay_alu instid0(VALU_DEP_3)
	v_cmp_lt_u32_e32 vcc_lo, 1, v6
	s_or_b32 s1, vcc_lo, s1
	s_waitcnt vmcnt(0) lgkmcnt(0)
	v_fma_f64 v[1:2], v[9:10], v[11:12], v[1:2]
	s_and_not1_b32 exec_lo, exec_lo, s1
	s_cbranch_execnz .LBB108_21
; %bb.22:
	s_or_b32 exec_lo, exec_lo, s1
	v_mov_b32_e32 v6, 0
	ds_load_b64 v[6:7], v6 offset:24
	s_waitcnt lgkmcnt(0)
	v_mul_f64 v[1:2], v[1:2], v[6:7]
	scratch_store_b64 off, v[1:2], off offset:24
.LBB108_23:
	s_or_b32 exec_lo, exec_lo, s0
	s_waitcnt_vscnt null, 0x0
	s_barrier
	buffer_gl0_inv
	scratch_load_b64 v[1:2], off, off offset:32
	s_mov_b32 s0, exec_lo
	s_waitcnt vmcnt(0)
	ds_store_b64 v4, v[1:2]
	s_waitcnt lgkmcnt(0)
	s_barrier
	buffer_gl0_inv
	v_cmpx_gt_u32_e32 4, v0
	s_cbranch_execz .LBB108_27
; %bb.24:
	v_dual_mov_b32 v1, 0 :: v_dual_add_nc_u32 v6, -1, v0
	v_dual_mov_b32 v2, 0 :: v_dual_add_nc_u32 v7, 0x170, v103
	v_add_nc_u32_e32 v8, 0, v103
	s_mov_b32 s1, 0
.LBB108_25:                             ; =>This Inner Loop Header: Depth=1
	scratch_load_b64 v[9:10], v8, off
	ds_load_b64 v[11:12], v7
	v_add_nc_u32_e32 v6, 1, v6
	v_add_nc_u32_e32 v7, 8, v7
	v_add_nc_u32_e32 v8, 8, v8
	s_delay_alu instid0(VALU_DEP_3)
	v_cmp_lt_u32_e32 vcc_lo, 2, v6
	s_or_b32 s1, vcc_lo, s1
	s_waitcnt vmcnt(0) lgkmcnt(0)
	v_fma_f64 v[1:2], v[9:10], v[11:12], v[1:2]
	s_and_not1_b32 exec_lo, exec_lo, s1
	s_cbranch_execnz .LBB108_25
; %bb.26:
	s_or_b32 exec_lo, exec_lo, s1
	v_mov_b32_e32 v6, 0
	ds_load_b64 v[6:7], v6 offset:32
	s_waitcnt lgkmcnt(0)
	v_mul_f64 v[1:2], v[1:2], v[6:7]
	scratch_store_b64 off, v[1:2], off offset:32
.LBB108_27:
	s_or_b32 exec_lo, exec_lo, s0
	s_waitcnt_vscnt null, 0x0
	s_barrier
	buffer_gl0_inv
	scratch_load_b64 v[1:2], off, off offset:40
	;; [unrolled: 39-line block ×20, first 2 shown]
	s_mov_b32 s0, exec_lo
	s_waitcnt vmcnt(0)
	ds_store_b64 v4, v[1:2]
	s_waitcnt lgkmcnt(0)
	s_barrier
	buffer_gl0_inv
	v_cmpx_gt_u32_e32 23, v0
	s_cbranch_execz .LBB108_103
; %bb.100:
	v_dual_mov_b32 v1, 0 :: v_dual_add_nc_u32 v6, -1, v0
	v_dual_mov_b32 v2, 0 :: v_dual_add_nc_u32 v7, 0x170, v103
	v_add_nc_u32_e32 v8, 0, v103
	s_mov_b32 s1, 0
.LBB108_101:                            ; =>This Inner Loop Header: Depth=1
	scratch_load_b64 v[9:10], v8, off
	ds_load_b64 v[11:12], v7
	v_add_nc_u32_e32 v6, 1, v6
	v_add_nc_u32_e32 v7, 8, v7
	v_add_nc_u32_e32 v8, 8, v8
	s_delay_alu instid0(VALU_DEP_3)
	v_cmp_lt_u32_e32 vcc_lo, 21, v6
	s_or_b32 s1, vcc_lo, s1
	s_waitcnt vmcnt(0) lgkmcnt(0)
	v_fma_f64 v[1:2], v[9:10], v[11:12], v[1:2]
	s_and_not1_b32 exec_lo, exec_lo, s1
	s_cbranch_execnz .LBB108_101
; %bb.102:
	s_or_b32 exec_lo, exec_lo, s1
	v_mov_b32_e32 v6, 0
	ds_load_b64 v[6:7], v6 offset:184
	s_waitcnt lgkmcnt(0)
	v_mul_f64 v[1:2], v[1:2], v[6:7]
	scratch_store_b64 off, v[1:2], off offset:184
.LBB108_103:
	s_or_b32 exec_lo, exec_lo, s0
	s_waitcnt_vscnt null, 0x0
	s_barrier
	buffer_gl0_inv
	scratch_load_b64 v[1:2], off, off offset:192
	s_mov_b32 s0, exec_lo
	s_waitcnt vmcnt(0)
	ds_store_b64 v4, v[1:2]
	s_waitcnt lgkmcnt(0)
	s_barrier
	buffer_gl0_inv
	v_cmpx_gt_u32_e32 24, v0
	s_cbranch_execz .LBB108_107
; %bb.104:
	v_dual_mov_b32 v1, 0 :: v_dual_add_nc_u32 v6, -1, v0
	v_dual_mov_b32 v2, 0 :: v_dual_add_nc_u32 v7, 0x170, v103
	v_add_nc_u32_e32 v8, 0, v103
	s_mov_b32 s1, 0
.LBB108_105:                            ; =>This Inner Loop Header: Depth=1
	scratch_load_b64 v[9:10], v8, off
	ds_load_b64 v[11:12], v7
	v_add_nc_u32_e32 v6, 1, v6
	v_add_nc_u32_e32 v7, 8, v7
	v_add_nc_u32_e32 v8, 8, v8
	s_delay_alu instid0(VALU_DEP_3)
	v_cmp_lt_u32_e32 vcc_lo, 22, v6
	s_or_b32 s1, vcc_lo, s1
	s_waitcnt vmcnt(0) lgkmcnt(0)
	v_fma_f64 v[1:2], v[9:10], v[11:12], v[1:2]
	s_and_not1_b32 exec_lo, exec_lo, s1
	s_cbranch_execnz .LBB108_105
; %bb.106:
	s_or_b32 exec_lo, exec_lo, s1
	v_mov_b32_e32 v6, 0
	ds_load_b64 v[6:7], v6 offset:192
	s_waitcnt lgkmcnt(0)
	v_mul_f64 v[1:2], v[1:2], v[6:7]
	scratch_store_b64 off, v[1:2], off offset:192
.LBB108_107:
	s_or_b32 exec_lo, exec_lo, s0
	s_waitcnt_vscnt null, 0x0
	s_barrier
	buffer_gl0_inv
	scratch_load_b64 v[1:2], off, off offset:200
	;; [unrolled: 39-line block ×21, first 2 shown]
	s_mov_b32 s0, exec_lo
	s_waitcnt vmcnt(0)
	ds_store_b64 v4, v[1:2]
	s_waitcnt lgkmcnt(0)
	s_barrier
	buffer_gl0_inv
	v_cmpx_ne_u32_e32 44, v0
	s_cbranch_execz .LBB108_187
; %bb.184:
	v_mov_b32_e32 v1, 0
	v_mov_b32_e32 v2, 0
	s_mov_b32 s1, 0
.LBB108_185:                            ; =>This Inner Loop Header: Depth=1
	scratch_load_b64 v[6:7], v3, off
	ds_load_b64 v[8:9], v4
	v_add_nc_u32_e32 v5, 1, v5
	v_add_nc_u32_e32 v4, 8, v4
	;; [unrolled: 1-line block ×3, first 2 shown]
	s_delay_alu instid0(VALU_DEP_3)
	v_cmp_lt_u32_e32 vcc_lo, 42, v5
	s_or_b32 s1, vcc_lo, s1
	s_waitcnt vmcnt(0) lgkmcnt(0)
	v_fma_f64 v[1:2], v[6:7], v[8:9], v[1:2]
	s_and_not1_b32 exec_lo, exec_lo, s1
	s_cbranch_execnz .LBB108_185
; %bb.186:
	s_or_b32 exec_lo, exec_lo, s1
	v_mov_b32_e32 v3, 0
	ds_load_b64 v[3:4], v3 offset:352
	s_waitcnt lgkmcnt(0)
	v_mul_f64 v[1:2], v[1:2], v[3:4]
	scratch_store_b64 off, v[1:2], off offset:352
.LBB108_187:
	s_or_b32 exec_lo, exec_lo, s0
	s_mov_b32 s1, -1
	s_waitcnt_vscnt null, 0x0
	s_barrier
	buffer_gl0_inv
.LBB108_188:
	s_and_b32 vcc_lo, exec_lo, s1
	s_cbranch_vccz .LBB108_190
; %bb.189:
	s_lshl_b64 s[0:1], s[8:9], 2
	v_mov_b32_e32 v1, 0
	s_add_u32 s0, s6, s0
	s_addc_u32 s1, s7, s1
	global_load_b32 v1, v1, s[0:1]
	s_waitcnt vmcnt(0)
	v_cmp_ne_u32_e32 vcc_lo, 0, v1
	s_cbranch_vccz .LBB108_191
.LBB108_190:
	s_endpgm
.LBB108_191:
	v_lshl_add_u32 v3, v0, 3, 0x170
	s_mov_b32 s0, exec_lo
	v_cmpx_eq_u32_e32 44, v0
	s_cbranch_execz .LBB108_193
; %bb.192:
	scratch_load_b64 v[1:2], off, off offset:344
	v_mov_b32_e32 v4, 0
	s_delay_alu instid0(VALU_DEP_1)
	v_mov_b32_e32 v5, v4
	scratch_store_b64 off, v[4:5], off offset:344
	s_waitcnt vmcnt(0)
	ds_store_b64 v3, v[1:2]
.LBB108_193:
	s_or_b32 exec_lo, exec_lo, s0
	s_waitcnt lgkmcnt(0)
	s_waitcnt_vscnt null, 0x0
	s_barrier
	buffer_gl0_inv
	scratch_load_b128 v[4:7], off, off offset:344
	v_mov_b32_e32 v1, 0
	s_mov_b32 s0, exec_lo
	ds_load_b64 v[8:9], v1 offset:720
	s_waitcnt vmcnt(0) lgkmcnt(0)
	v_fma_f64 v[6:7], v[6:7], v[8:9], 0
	s_delay_alu instid0(VALU_DEP_1)
	v_add_f64 v[4:5], v[4:5], -v[6:7]
	scratch_store_b64 off, v[4:5], off offset:344
	v_cmpx_lt_u32_e32 42, v0
	s_cbranch_execz .LBB108_195
; %bb.194:
	scratch_load_b64 v[4:5], off, off offset:336
	v_mov_b32_e32 v2, v1
	scratch_store_b64 off, v[1:2], off offset:336
	s_waitcnt vmcnt(0)
	ds_store_b64 v3, v[4:5]
.LBB108_195:
	s_or_b32 exec_lo, exec_lo, s0
	s_waitcnt lgkmcnt(0)
	s_waitcnt_vscnt null, 0x0
	s_barrier
	buffer_gl0_inv
	s_clause 0x1
	scratch_load_b128 v[4:7], off, off offset:336
	scratch_load_b64 v[103:104], off, off offset:352
	ds_load_2addr_b64 v[8:11], v1 offset0:89 offset1:90
	s_mov_b32 s0, exec_lo
	s_waitcnt vmcnt(1) lgkmcnt(0)
	v_fma_f64 v[1:2], v[6:7], v[8:9], 0
	s_waitcnt vmcnt(0)
	s_delay_alu instid0(VALU_DEP_1) | instskip(NEXT) | instid1(VALU_DEP_1)
	v_fma_f64 v[1:2], v[103:104], v[10:11], v[1:2]
	v_add_f64 v[1:2], v[4:5], -v[1:2]
	scratch_store_b64 off, v[1:2], off offset:336
	v_cmpx_lt_u32_e32 41, v0
	s_cbranch_execz .LBB108_197
; %bb.196:
	scratch_load_b64 v[1:2], off, off offset:328
	v_mov_b32_e32 v4, 0
	s_delay_alu instid0(VALU_DEP_1)
	v_mov_b32_e32 v5, v4
	scratch_store_b64 off, v[4:5], off offset:328
	s_waitcnt vmcnt(0)
	ds_store_b64 v3, v[1:2]
.LBB108_197:
	s_or_b32 exec_lo, exec_lo, s0
	s_waitcnt lgkmcnt(0)
	s_waitcnt_vscnt null, 0x0
	s_barrier
	buffer_gl0_inv
	s_clause 0x1
	scratch_load_b128 v[4:7], off, off offset:328
	scratch_load_b128 v[8:11], off, off offset:344
	v_mov_b32_e32 v1, 0
	ds_load_b128 v[103:106], v1 offset:704
	ds_load_b64 v[107:108], v1 offset:720
	s_mov_b32 s0, exec_lo
	s_waitcnt vmcnt(1) lgkmcnt(1)
	v_fma_f64 v[6:7], v[6:7], v[103:104], 0
	s_waitcnt vmcnt(0)
	s_delay_alu instid0(VALU_DEP_1) | instskip(SKIP_1) | instid1(VALU_DEP_1)
	v_fma_f64 v[6:7], v[8:9], v[105:106], v[6:7]
	s_waitcnt lgkmcnt(0)
	v_fma_f64 v[6:7], v[10:11], v[107:108], v[6:7]
	s_delay_alu instid0(VALU_DEP_1)
	v_add_f64 v[4:5], v[4:5], -v[6:7]
	scratch_store_b64 off, v[4:5], off offset:328
	v_cmpx_lt_u32_e32 40, v0
	s_cbranch_execz .LBB108_199
; %bb.198:
	scratch_load_b64 v[4:5], off, off offset:320
	v_mov_b32_e32 v2, v1
	scratch_store_b64 off, v[1:2], off offset:320
	s_waitcnt vmcnt(0)
	ds_store_b64 v3, v[4:5]
.LBB108_199:
	s_or_b32 exec_lo, exec_lo, s0
	s_waitcnt lgkmcnt(0)
	s_waitcnt_vscnt null, 0x0
	s_barrier
	buffer_gl0_inv
	s_clause 0x2
	scratch_load_b128 v[4:7], off, off offset:320
	scratch_load_b128 v[8:11], off, off offset:336
	scratch_load_b64 v[111:112], off, off offset:352
	ds_load_2addr_b64 v[103:106], v1 offset0:87 offset1:88
	ds_load_2addr_b64 v[107:110], v1 offset0:89 offset1:90
	s_mov_b32 s0, exec_lo
	s_waitcnt vmcnt(2) lgkmcnt(1)
	v_fma_f64 v[1:2], v[6:7], v[103:104], 0
	s_waitcnt vmcnt(1)
	s_delay_alu instid0(VALU_DEP_1) | instskip(SKIP_1) | instid1(VALU_DEP_1)
	v_fma_f64 v[1:2], v[8:9], v[105:106], v[1:2]
	s_waitcnt lgkmcnt(0)
	v_fma_f64 v[1:2], v[10:11], v[107:108], v[1:2]
	s_waitcnt vmcnt(0)
	s_delay_alu instid0(VALU_DEP_1) | instskip(NEXT) | instid1(VALU_DEP_1)
	v_fma_f64 v[1:2], v[111:112], v[109:110], v[1:2]
	v_add_f64 v[1:2], v[4:5], -v[1:2]
	scratch_store_b64 off, v[1:2], off offset:320
	v_cmpx_lt_u32_e32 39, v0
	s_cbranch_execz .LBB108_201
; %bb.200:
	scratch_load_b64 v[1:2], off, off offset:312
	v_mov_b32_e32 v4, 0
	s_delay_alu instid0(VALU_DEP_1)
	v_mov_b32_e32 v5, v4
	scratch_store_b64 off, v[4:5], off offset:312
	s_waitcnt vmcnt(0)
	ds_store_b64 v3, v[1:2]
.LBB108_201:
	s_or_b32 exec_lo, exec_lo, s0
	s_waitcnt lgkmcnt(0)
	s_waitcnt_vscnt null, 0x0
	s_barrier
	buffer_gl0_inv
	s_clause 0x2
	scratch_load_b128 v[4:7], off, off offset:312
	scratch_load_b128 v[8:11], off, off offset:328
	;; [unrolled: 1-line block ×3, first 2 shown]
	v_mov_b32_e32 v1, 0
	ds_load_b128 v[107:110], v1 offset:688
	ds_load_b128 v[111:114], v1 offset:704
	s_mov_b32 s0, exec_lo
	s_waitcnt vmcnt(2) lgkmcnt(1)
	v_fma_f64 v[6:7], v[6:7], v[107:108], 0
	s_waitcnt vmcnt(1)
	s_delay_alu instid0(VALU_DEP_1) | instskip(SKIP_4) | instid1(VALU_DEP_1)
	v_fma_f64 v[6:7], v[8:9], v[109:110], v[6:7]
	ds_load_b64 v[8:9], v1 offset:720
	s_waitcnt lgkmcnt(1)
	v_fma_f64 v[6:7], v[10:11], v[111:112], v[6:7]
	s_waitcnt vmcnt(0)
	v_fma_f64 v[6:7], v[103:104], v[113:114], v[6:7]
	s_waitcnt lgkmcnt(0)
	s_delay_alu instid0(VALU_DEP_1) | instskip(NEXT) | instid1(VALU_DEP_1)
	v_fma_f64 v[6:7], v[105:106], v[8:9], v[6:7]
	v_add_f64 v[4:5], v[4:5], -v[6:7]
	scratch_store_b64 off, v[4:5], off offset:312
	v_cmpx_lt_u32_e32 38, v0
	s_cbranch_execz .LBB108_203
; %bb.202:
	scratch_load_b64 v[4:5], off, off offset:304
	v_mov_b32_e32 v2, v1
	scratch_store_b64 off, v[1:2], off offset:304
	s_waitcnt vmcnt(0)
	ds_store_b64 v3, v[4:5]
.LBB108_203:
	s_or_b32 exec_lo, exec_lo, s0
	s_waitcnt lgkmcnt(0)
	s_waitcnt_vscnt null, 0x0
	s_barrier
	buffer_gl0_inv
	s_clause 0x3
	scratch_load_b128 v[4:7], off, off offset:304
	scratch_load_b128 v[8:11], off, off offset:320
	;; [unrolled: 1-line block ×3, first 2 shown]
	scratch_load_b64 v[115:116], off, off offset:352
	ds_load_2addr_b64 v[107:110], v1 offset0:85 offset1:86
	ds_load_2addr_b64 v[111:114], v1 offset0:87 offset1:88
	s_mov_b32 s0, exec_lo
	s_waitcnt vmcnt(3) lgkmcnt(1)
	v_fma_f64 v[6:7], v[6:7], v[107:108], 0
	s_waitcnt vmcnt(2)
	s_delay_alu instid0(VALU_DEP_1) | instskip(SKIP_1) | instid1(VALU_DEP_1)
	v_fma_f64 v[6:7], v[8:9], v[109:110], v[6:7]
	s_waitcnt lgkmcnt(0)
	v_fma_f64 v[6:7], v[10:11], v[111:112], v[6:7]
	s_waitcnt vmcnt(1)
	s_delay_alu instid0(VALU_DEP_1) | instskip(SKIP_4) | instid1(VALU_DEP_1)
	v_fma_f64 v[10:11], v[103:104], v[113:114], v[6:7]
	ds_load_2addr_b64 v[6:9], v1 offset0:89 offset1:90
	s_waitcnt lgkmcnt(0)
	v_fma_f64 v[1:2], v[105:106], v[6:7], v[10:11]
	s_waitcnt vmcnt(0)
	v_fma_f64 v[1:2], v[115:116], v[8:9], v[1:2]
	s_delay_alu instid0(VALU_DEP_1)
	v_add_f64 v[1:2], v[4:5], -v[1:2]
	scratch_store_b64 off, v[1:2], off offset:304
	v_cmpx_lt_u32_e32 37, v0
	s_cbranch_execz .LBB108_205
; %bb.204:
	scratch_load_b64 v[1:2], off, off offset:296
	v_mov_b32_e32 v4, 0
	s_delay_alu instid0(VALU_DEP_1)
	v_mov_b32_e32 v5, v4
	scratch_store_b64 off, v[4:5], off offset:296
	s_waitcnt vmcnt(0)
	ds_store_b64 v3, v[1:2]
.LBB108_205:
	s_or_b32 exec_lo, exec_lo, s0
	s_waitcnt lgkmcnt(0)
	s_waitcnt_vscnt null, 0x0
	s_barrier
	buffer_gl0_inv
	s_clause 0x3
	scratch_load_b128 v[4:7], off, off offset:296
	scratch_load_b128 v[8:11], off, off offset:312
	;; [unrolled: 1-line block ×4, first 2 shown]
	v_mov_b32_e32 v1, 0
	ds_load_b128 v[111:114], v1 offset:672
	ds_load_b128 v[115:118], v1 offset:688
	s_mov_b32 s0, exec_lo
	s_waitcnt vmcnt(3) lgkmcnt(1)
	v_fma_f64 v[6:7], v[6:7], v[111:112], 0
	s_waitcnt vmcnt(2)
	s_delay_alu instid0(VALU_DEP_1) | instskip(SKIP_1) | instid1(VALU_DEP_1)
	v_fma_f64 v[6:7], v[8:9], v[113:114], v[6:7]
	s_waitcnt lgkmcnt(0)
	v_fma_f64 v[6:7], v[10:11], v[115:116], v[6:7]
	s_waitcnt vmcnt(1)
	s_delay_alu instid0(VALU_DEP_1)
	v_fma_f64 v[10:11], v[103:104], v[117:118], v[6:7]
	ds_load_b128 v[6:9], v1 offset:704
	ds_load_b64 v[103:104], v1 offset:720
	s_waitcnt lgkmcnt(1)
	v_fma_f64 v[6:7], v[105:106], v[6:7], v[10:11]
	s_waitcnt vmcnt(0)
	s_delay_alu instid0(VALU_DEP_1) | instskip(SKIP_1) | instid1(VALU_DEP_1)
	v_fma_f64 v[6:7], v[107:108], v[8:9], v[6:7]
	s_waitcnt lgkmcnt(0)
	v_fma_f64 v[6:7], v[109:110], v[103:104], v[6:7]
	s_delay_alu instid0(VALU_DEP_1)
	v_add_f64 v[4:5], v[4:5], -v[6:7]
	scratch_store_b64 off, v[4:5], off offset:296
	v_cmpx_lt_u32_e32 36, v0
	s_cbranch_execz .LBB108_207
; %bb.206:
	scratch_load_b64 v[4:5], off, off offset:288
	v_mov_b32_e32 v2, v1
	scratch_store_b64 off, v[1:2], off offset:288
	s_waitcnt vmcnt(0)
	ds_store_b64 v3, v[4:5]
.LBB108_207:
	s_or_b32 exec_lo, exec_lo, s0
	s_waitcnt lgkmcnt(0)
	s_waitcnt_vscnt null, 0x0
	s_barrier
	buffer_gl0_inv
	s_clause 0x4
	scratch_load_b128 v[4:7], off, off offset:288
	scratch_load_b128 v[8:11], off, off offset:304
	;; [unrolled: 1-line block ×4, first 2 shown]
	scratch_load_b64 v[115:116], off, off offset:352
	ds_load_2addr_b64 v[111:114], v1 offset0:83 offset1:84
	s_mov_b32 s0, exec_lo
	s_waitcnt vmcnt(4) lgkmcnt(0)
	v_fma_f64 v[6:7], v[6:7], v[111:112], 0
	s_waitcnt vmcnt(3)
	s_delay_alu instid0(VALU_DEP_1) | instskip(SKIP_4) | instid1(VALU_DEP_1)
	v_fma_f64 v[111:112], v[8:9], v[113:114], v[6:7]
	ds_load_2addr_b64 v[6:9], v1 offset0:85 offset1:86
	s_waitcnt lgkmcnt(0)
	v_fma_f64 v[6:7], v[10:11], v[6:7], v[111:112]
	s_waitcnt vmcnt(2)
	v_fma_f64 v[10:11], v[103:104], v[8:9], v[6:7]
	ds_load_2addr_b64 v[6:9], v1 offset0:87 offset1:88
	s_waitcnt lgkmcnt(0)
	v_fma_f64 v[6:7], v[105:106], v[6:7], v[10:11]
	s_waitcnt vmcnt(1)
	s_delay_alu instid0(VALU_DEP_1) | instskip(SKIP_4) | instid1(VALU_DEP_1)
	v_fma_f64 v[10:11], v[107:108], v[8:9], v[6:7]
	ds_load_2addr_b64 v[6:9], v1 offset0:89 offset1:90
	s_waitcnt lgkmcnt(0)
	v_fma_f64 v[1:2], v[109:110], v[6:7], v[10:11]
	s_waitcnt vmcnt(0)
	v_fma_f64 v[1:2], v[115:116], v[8:9], v[1:2]
	s_delay_alu instid0(VALU_DEP_1)
	v_add_f64 v[1:2], v[4:5], -v[1:2]
	scratch_store_b64 off, v[1:2], off offset:288
	v_cmpx_lt_u32_e32 35, v0
	s_cbranch_execz .LBB108_209
; %bb.208:
	scratch_load_b64 v[1:2], off, off offset:280
	v_mov_b32_e32 v4, 0
	s_delay_alu instid0(VALU_DEP_1)
	v_mov_b32_e32 v5, v4
	scratch_store_b64 off, v[4:5], off offset:280
	s_waitcnt vmcnt(0)
	ds_store_b64 v3, v[1:2]
.LBB108_209:
	s_or_b32 exec_lo, exec_lo, s0
	s_waitcnt lgkmcnt(0)
	s_waitcnt_vscnt null, 0x0
	s_barrier
	buffer_gl0_inv
	s_clause 0x4
	scratch_load_b128 v[4:7], off, off offset:280
	scratch_load_b128 v[8:11], off, off offset:296
	;; [unrolled: 1-line block ×5, first 2 shown]
	v_mov_b32_e32 v1, 0
	s_mov_b32 s0, exec_lo
	ds_load_b128 v[115:118], v1 offset:656
	s_waitcnt vmcnt(4) lgkmcnt(0)
	v_fma_f64 v[6:7], v[6:7], v[115:116], 0
	s_waitcnt vmcnt(3)
	s_delay_alu instid0(VALU_DEP_1) | instskip(SKIP_4) | instid1(VALU_DEP_1)
	v_fma_f64 v[115:116], v[8:9], v[117:118], v[6:7]
	ds_load_b128 v[6:9], v1 offset:672
	s_waitcnt lgkmcnt(0)
	v_fma_f64 v[6:7], v[10:11], v[6:7], v[115:116]
	s_waitcnt vmcnt(2)
	v_fma_f64 v[10:11], v[103:104], v[8:9], v[6:7]
	ds_load_b128 v[6:9], v1 offset:688
	s_waitcnt lgkmcnt(0)
	v_fma_f64 v[6:7], v[105:106], v[6:7], v[10:11]
	s_waitcnt vmcnt(1)
	s_delay_alu instid0(VALU_DEP_1) | instskip(SKIP_4) | instid1(VALU_DEP_1)
	v_fma_f64 v[10:11], v[107:108], v[8:9], v[6:7]
	ds_load_b128 v[6:9], v1 offset:704
	s_waitcnt lgkmcnt(0)
	v_fma_f64 v[6:7], v[109:110], v[6:7], v[10:11]
	s_waitcnt vmcnt(0)
	v_fma_f64 v[6:7], v[111:112], v[8:9], v[6:7]
	ds_load_b64 v[8:9], v1 offset:720
	s_waitcnt lgkmcnt(0)
	v_fma_f64 v[6:7], v[113:114], v[8:9], v[6:7]
	s_delay_alu instid0(VALU_DEP_1)
	v_add_f64 v[4:5], v[4:5], -v[6:7]
	scratch_store_b64 off, v[4:5], off offset:280
	v_cmpx_lt_u32_e32 34, v0
	s_cbranch_execz .LBB108_211
; %bb.210:
	scratch_load_b64 v[4:5], off, off offset:272
	v_mov_b32_e32 v2, v1
	scratch_store_b64 off, v[1:2], off offset:272
	s_waitcnt vmcnt(0)
	ds_store_b64 v3, v[4:5]
.LBB108_211:
	s_or_b32 exec_lo, exec_lo, s0
	s_waitcnt lgkmcnt(0)
	s_waitcnt_vscnt null, 0x0
	s_barrier
	buffer_gl0_inv
	s_clause 0x4
	scratch_load_b128 v[4:7], off, off offset:272
	scratch_load_b128 v[8:11], off, off offset:288
	;; [unrolled: 1-line block ×5, first 2 shown]
	ds_load_2addr_b64 v[115:118], v1 offset0:81 offset1:82
	s_mov_b32 s0, exec_lo
	s_waitcnt vmcnt(4) lgkmcnt(0)
	v_fma_f64 v[6:7], v[6:7], v[115:116], 0
	scratch_load_b64 v[115:116], off, off offset:352
	s_waitcnt vmcnt(4)
	v_fma_f64 v[117:118], v[8:9], v[117:118], v[6:7]
	ds_load_2addr_b64 v[6:9], v1 offset0:83 offset1:84
	s_waitcnt lgkmcnt(0)
	v_fma_f64 v[6:7], v[10:11], v[6:7], v[117:118]
	s_waitcnt vmcnt(3)
	s_delay_alu instid0(VALU_DEP_1) | instskip(SKIP_4) | instid1(VALU_DEP_1)
	v_fma_f64 v[10:11], v[103:104], v[8:9], v[6:7]
	ds_load_2addr_b64 v[6:9], v1 offset0:85 offset1:86
	s_waitcnt lgkmcnt(0)
	v_fma_f64 v[6:7], v[105:106], v[6:7], v[10:11]
	s_waitcnt vmcnt(2)
	v_fma_f64 v[10:11], v[107:108], v[8:9], v[6:7]
	ds_load_2addr_b64 v[6:9], v1 offset0:87 offset1:88
	s_waitcnt lgkmcnt(0)
	v_fma_f64 v[6:7], v[109:110], v[6:7], v[10:11]
	s_waitcnt vmcnt(1)
	s_delay_alu instid0(VALU_DEP_1) | instskip(SKIP_4) | instid1(VALU_DEP_1)
	v_fma_f64 v[10:11], v[111:112], v[8:9], v[6:7]
	ds_load_2addr_b64 v[6:9], v1 offset0:89 offset1:90
	s_waitcnt lgkmcnt(0)
	v_fma_f64 v[1:2], v[113:114], v[6:7], v[10:11]
	s_waitcnt vmcnt(0)
	v_fma_f64 v[1:2], v[115:116], v[8:9], v[1:2]
	s_delay_alu instid0(VALU_DEP_1)
	v_add_f64 v[1:2], v[4:5], -v[1:2]
	scratch_store_b64 off, v[1:2], off offset:272
	v_cmpx_lt_u32_e32 33, v0
	s_cbranch_execz .LBB108_213
; %bb.212:
	scratch_load_b64 v[1:2], off, off offset:264
	v_mov_b32_e32 v4, 0
	s_delay_alu instid0(VALU_DEP_1)
	v_mov_b32_e32 v5, v4
	scratch_store_b64 off, v[4:5], off offset:264
	s_waitcnt vmcnt(0)
	ds_store_b64 v3, v[1:2]
.LBB108_213:
	s_or_b32 exec_lo, exec_lo, s0
	s_waitcnt lgkmcnt(0)
	s_waitcnt_vscnt null, 0x0
	s_barrier
	buffer_gl0_inv
	s_clause 0x4
	scratch_load_b128 v[4:7], off, off offset:264
	scratch_load_b128 v[8:11], off, off offset:280
	;; [unrolled: 1-line block ×5, first 2 shown]
	v_mov_b32_e32 v1, 0
	scratch_load_b128 v[119:122], off, off offset:344
	s_mov_b32 s0, exec_lo
	ds_load_b128 v[115:118], v1 offset:640
	s_waitcnt vmcnt(5) lgkmcnt(0)
	v_fma_f64 v[6:7], v[6:7], v[115:116], 0
	s_waitcnt vmcnt(4)
	s_delay_alu instid0(VALU_DEP_1) | instskip(SKIP_4) | instid1(VALU_DEP_1)
	v_fma_f64 v[115:116], v[8:9], v[117:118], v[6:7]
	ds_load_b128 v[6:9], v1 offset:656
	s_waitcnt lgkmcnt(0)
	v_fma_f64 v[6:7], v[10:11], v[6:7], v[115:116]
	s_waitcnt vmcnt(3)
	v_fma_f64 v[10:11], v[103:104], v[8:9], v[6:7]
	ds_load_b128 v[6:9], v1 offset:672
	s_waitcnt lgkmcnt(0)
	v_fma_f64 v[6:7], v[105:106], v[6:7], v[10:11]
	s_waitcnt vmcnt(2)
	s_delay_alu instid0(VALU_DEP_1) | instskip(SKIP_4) | instid1(VALU_DEP_1)
	v_fma_f64 v[10:11], v[107:108], v[8:9], v[6:7]
	ds_load_b128 v[6:9], v1 offset:688
	s_waitcnt lgkmcnt(0)
	v_fma_f64 v[6:7], v[109:110], v[6:7], v[10:11]
	s_waitcnt vmcnt(1)
	v_fma_f64 v[10:11], v[111:112], v[8:9], v[6:7]
	ds_load_b128 v[6:9], v1 offset:704
	s_waitcnt lgkmcnt(0)
	v_fma_f64 v[6:7], v[113:114], v[6:7], v[10:11]
	s_waitcnt vmcnt(0)
	s_delay_alu instid0(VALU_DEP_1) | instskip(SKIP_3) | instid1(VALU_DEP_1)
	v_fma_f64 v[6:7], v[119:120], v[8:9], v[6:7]
	ds_load_b64 v[8:9], v1 offset:720
	s_waitcnt lgkmcnt(0)
	v_fma_f64 v[6:7], v[121:122], v[8:9], v[6:7]
	v_add_f64 v[4:5], v[4:5], -v[6:7]
	scratch_store_b64 off, v[4:5], off offset:264
	v_cmpx_lt_u32_e32 32, v0
	s_cbranch_execz .LBB108_215
; %bb.214:
	scratch_load_b64 v[4:5], off, off offset:256
	v_mov_b32_e32 v2, v1
	scratch_store_b64 off, v[1:2], off offset:256
	s_waitcnt vmcnt(0)
	ds_store_b64 v3, v[4:5]
.LBB108_215:
	s_or_b32 exec_lo, exec_lo, s0
	s_waitcnt lgkmcnt(0)
	s_waitcnt_vscnt null, 0x0
	s_barrier
	buffer_gl0_inv
	s_clause 0x4
	scratch_load_b128 v[4:7], off, off offset:256
	scratch_load_b128 v[8:11], off, off offset:272
	;; [unrolled: 1-line block ×5, first 2 shown]
	ds_load_2addr_b64 v[115:118], v1 offset0:79 offset1:80
	ds_load_2addr_b64 v[119:122], v1 offset0:81 offset1:82
	scratch_load_b128 v[123:126], off, off offset:336
	s_mov_b32 s0, exec_lo
	s_waitcnt vmcnt(5) lgkmcnt(1)
	v_fma_f64 v[6:7], v[6:7], v[115:116], 0
	s_waitcnt vmcnt(4)
	s_delay_alu instid0(VALU_DEP_1) | instskip(SKIP_1) | instid1(VALU_DEP_1)
	v_fma_f64 v[6:7], v[8:9], v[117:118], v[6:7]
	s_waitcnt lgkmcnt(0)
	v_fma_f64 v[6:7], v[10:11], v[119:120], v[6:7]
	scratch_load_b64 v[10:11], off, off offset:352
	s_waitcnt vmcnt(4)
	v_fma_f64 v[103:104], v[103:104], v[121:122], v[6:7]
	ds_load_2addr_b64 v[6:9], v1 offset0:83 offset1:84
	ds_load_2addr_b64 v[115:118], v1 offset0:85 offset1:86
	s_waitcnt lgkmcnt(1)
	v_fma_f64 v[6:7], v[105:106], v[6:7], v[103:104]
	s_waitcnt vmcnt(3)
	s_delay_alu instid0(VALU_DEP_1) | instskip(SKIP_1) | instid1(VALU_DEP_1)
	v_fma_f64 v[6:7], v[107:108], v[8:9], v[6:7]
	s_waitcnt lgkmcnt(0)
	v_fma_f64 v[6:7], v[109:110], v[115:116], v[6:7]
	s_waitcnt vmcnt(2)
	s_delay_alu instid0(VALU_DEP_1)
	v_fma_f64 v[107:108], v[111:112], v[117:118], v[6:7]
	ds_load_2addr_b64 v[6:9], v1 offset0:87 offset1:88
	ds_load_2addr_b64 v[103:106], v1 offset0:89 offset1:90
	s_waitcnt lgkmcnt(1)
	v_fma_f64 v[1:2], v[113:114], v[6:7], v[107:108]
	s_waitcnt vmcnt(1)
	s_delay_alu instid0(VALU_DEP_1) | instskip(SKIP_1) | instid1(VALU_DEP_1)
	v_fma_f64 v[1:2], v[123:124], v[8:9], v[1:2]
	s_waitcnt lgkmcnt(0)
	v_fma_f64 v[1:2], v[125:126], v[103:104], v[1:2]
	s_waitcnt vmcnt(0)
	s_delay_alu instid0(VALU_DEP_1) | instskip(NEXT) | instid1(VALU_DEP_1)
	v_fma_f64 v[1:2], v[10:11], v[105:106], v[1:2]
	v_add_f64 v[1:2], v[4:5], -v[1:2]
	scratch_store_b64 off, v[1:2], off offset:256
	v_cmpx_lt_u32_e32 31, v0
	s_cbranch_execz .LBB108_217
; %bb.216:
	scratch_load_b64 v[1:2], off, off offset:248
	v_mov_b32_e32 v4, 0
	s_delay_alu instid0(VALU_DEP_1)
	v_mov_b32_e32 v5, v4
	scratch_store_b64 off, v[4:5], off offset:248
	s_waitcnt vmcnt(0)
	ds_store_b64 v3, v[1:2]
.LBB108_217:
	s_or_b32 exec_lo, exec_lo, s0
	s_waitcnt lgkmcnt(0)
	s_waitcnt_vscnt null, 0x0
	s_barrier
	buffer_gl0_inv
	s_clause 0x4
	scratch_load_b128 v[4:7], off, off offset:248
	scratch_load_b128 v[8:11], off, off offset:264
	;; [unrolled: 1-line block ×5, first 2 shown]
	v_mov_b32_e32 v1, 0
	ds_load_b128 v[115:118], v1 offset:624
	ds_load_b128 v[119:122], v1 offset:640
	scratch_load_b128 v[123:126], off, off offset:328
	s_mov_b32 s0, exec_lo
	s_waitcnt vmcnt(5) lgkmcnt(1)
	v_fma_f64 v[6:7], v[6:7], v[115:116], 0
	s_waitcnt vmcnt(4)
	s_delay_alu instid0(VALU_DEP_1) | instskip(SKIP_1) | instid1(VALU_DEP_1)
	v_fma_f64 v[6:7], v[8:9], v[117:118], v[6:7]
	s_waitcnt lgkmcnt(0)
	v_fma_f64 v[10:11], v[10:11], v[119:120], v[6:7]
	scratch_load_b128 v[6:9], off, off offset:344
	s_waitcnt vmcnt(4)
	v_fma_f64 v[10:11], v[103:104], v[121:122], v[10:11]
	ds_load_b128 v[115:118], v1 offset:656
	ds_load_b128 v[119:122], v1 offset:672
	s_waitcnt lgkmcnt(1)
	v_fma_f64 v[10:11], v[105:106], v[115:116], v[10:11]
	s_waitcnt vmcnt(3)
	s_delay_alu instid0(VALU_DEP_1) | instskip(SKIP_1) | instid1(VALU_DEP_1)
	v_fma_f64 v[10:11], v[107:108], v[117:118], v[10:11]
	s_waitcnt lgkmcnt(0)
	v_fma_f64 v[10:11], v[109:110], v[119:120], v[10:11]
	ds_load_b128 v[103:106], v1 offset:688
	ds_load_b128 v[107:110], v1 offset:704
	s_waitcnt vmcnt(2)
	v_fma_f64 v[10:11], v[111:112], v[121:122], v[10:11]
	s_waitcnt lgkmcnt(1)
	s_delay_alu instid0(VALU_DEP_1) | instskip(SKIP_1) | instid1(VALU_DEP_1)
	v_fma_f64 v[10:11], v[113:114], v[103:104], v[10:11]
	s_waitcnt vmcnt(1)
	v_fma_f64 v[10:11], v[123:124], v[105:106], v[10:11]
	s_waitcnt lgkmcnt(0)
	s_delay_alu instid0(VALU_DEP_1) | instskip(SKIP_1) | instid1(VALU_DEP_1)
	v_fma_f64 v[10:11], v[125:126], v[107:108], v[10:11]
	s_waitcnt vmcnt(0)
	v_fma_f64 v[6:7], v[6:7], v[109:110], v[10:11]
	ds_load_b64 v[10:11], v1 offset:720
	s_waitcnt lgkmcnt(0)
	v_fma_f64 v[6:7], v[8:9], v[10:11], v[6:7]
	s_delay_alu instid0(VALU_DEP_1)
	v_add_f64 v[4:5], v[4:5], -v[6:7]
	scratch_store_b64 off, v[4:5], off offset:248
	v_cmpx_lt_u32_e32 30, v0
	s_cbranch_execz .LBB108_219
; %bb.218:
	scratch_load_b64 v[4:5], off, off offset:240
	v_mov_b32_e32 v2, v1
	scratch_store_b64 off, v[1:2], off offset:240
	s_waitcnt vmcnt(0)
	ds_store_b64 v3, v[4:5]
.LBB108_219:
	s_or_b32 exec_lo, exec_lo, s0
	s_waitcnt lgkmcnt(0)
	s_waitcnt_vscnt null, 0x0
	s_barrier
	buffer_gl0_inv
	s_clause 0x4
	scratch_load_b128 v[4:7], off, off offset:240
	scratch_load_b128 v[8:11], off, off offset:256
	;; [unrolled: 1-line block ×5, first 2 shown]
	ds_load_2addr_b64 v[115:118], v1 offset0:77 offset1:78
	ds_load_2addr_b64 v[119:122], v1 offset0:79 offset1:80
	scratch_load_b128 v[123:126], off, off offset:320
	s_mov_b32 s0, exec_lo
	s_waitcnt vmcnt(5) lgkmcnt(1)
	v_fma_f64 v[6:7], v[6:7], v[115:116], 0
	s_waitcnt vmcnt(4)
	s_delay_alu instid0(VALU_DEP_1) | instskip(SKIP_1) | instid1(VALU_DEP_1)
	v_fma_f64 v[6:7], v[8:9], v[117:118], v[6:7]
	s_waitcnt lgkmcnt(0)
	v_fma_f64 v[10:11], v[10:11], v[119:120], v[6:7]
	scratch_load_b128 v[6:9], off, off offset:336
	s_waitcnt vmcnt(4)
	v_fma_f64 v[10:11], v[103:104], v[121:122], v[10:11]
	ds_load_2addr_b64 v[115:118], v1 offset0:81 offset1:82
	ds_load_2addr_b64 v[119:122], v1 offset0:83 offset1:84
	s_waitcnt lgkmcnt(1)
	v_fma_f64 v[10:11], v[105:106], v[115:116], v[10:11]
	scratch_load_b64 v[115:116], off, off offset:352
	s_waitcnt vmcnt(4)
	v_fma_f64 v[10:11], v[107:108], v[117:118], v[10:11]
	s_waitcnt lgkmcnt(0)
	s_delay_alu instid0(VALU_DEP_1)
	v_fma_f64 v[10:11], v[109:110], v[119:120], v[10:11]
	ds_load_2addr_b64 v[103:106], v1 offset0:85 offset1:86
	ds_load_2addr_b64 v[107:110], v1 offset0:87 offset1:88
	s_waitcnt vmcnt(3)
	v_fma_f64 v[10:11], v[111:112], v[121:122], v[10:11]
	s_waitcnt lgkmcnt(1)
	s_delay_alu instid0(VALU_DEP_1) | instskip(SKIP_1) | instid1(VALU_DEP_1)
	v_fma_f64 v[10:11], v[113:114], v[103:104], v[10:11]
	s_waitcnt vmcnt(2)
	v_fma_f64 v[10:11], v[123:124], v[105:106], v[10:11]
	ds_load_2addr_b64 v[103:106], v1 offset0:89 offset1:90
	s_waitcnt lgkmcnt(1)
	v_fma_f64 v[10:11], v[125:126], v[107:108], v[10:11]
	s_waitcnt vmcnt(1)
	s_delay_alu instid0(VALU_DEP_1) | instskip(SKIP_1) | instid1(VALU_DEP_1)
	v_fma_f64 v[6:7], v[6:7], v[109:110], v[10:11]
	s_waitcnt lgkmcnt(0)
	v_fma_f64 v[1:2], v[8:9], v[103:104], v[6:7]
	s_waitcnt vmcnt(0)
	s_delay_alu instid0(VALU_DEP_1) | instskip(NEXT) | instid1(VALU_DEP_1)
	v_fma_f64 v[1:2], v[115:116], v[105:106], v[1:2]
	v_add_f64 v[1:2], v[4:5], -v[1:2]
	scratch_store_b64 off, v[1:2], off offset:240
	v_cmpx_lt_u32_e32 29, v0
	s_cbranch_execz .LBB108_221
; %bb.220:
	scratch_load_b64 v[1:2], off, off offset:232
	v_mov_b32_e32 v4, 0
	s_delay_alu instid0(VALU_DEP_1)
	v_mov_b32_e32 v5, v4
	scratch_store_b64 off, v[4:5], off offset:232
	s_waitcnt vmcnt(0)
	ds_store_b64 v3, v[1:2]
.LBB108_221:
	s_or_b32 exec_lo, exec_lo, s0
	s_waitcnt lgkmcnt(0)
	s_waitcnt_vscnt null, 0x0
	s_barrier
	buffer_gl0_inv
	s_clause 0x4
	scratch_load_b128 v[4:7], off, off offset:232
	scratch_load_b128 v[8:11], off, off offset:248
	;; [unrolled: 1-line block ×5, first 2 shown]
	v_mov_b32_e32 v1, 0
	ds_load_b128 v[115:118], v1 offset:608
	ds_load_b128 v[119:122], v1 offset:624
	scratch_load_b128 v[123:126], off, off offset:312
	s_mov_b32 s0, exec_lo
	s_waitcnt vmcnt(5) lgkmcnt(1)
	v_fma_f64 v[6:7], v[6:7], v[115:116], 0
	s_waitcnt vmcnt(4)
	s_delay_alu instid0(VALU_DEP_1) | instskip(SKIP_1) | instid1(VALU_DEP_1)
	v_fma_f64 v[6:7], v[8:9], v[117:118], v[6:7]
	s_waitcnt lgkmcnt(0)
	v_fma_f64 v[10:11], v[10:11], v[119:120], v[6:7]
	scratch_load_b128 v[6:9], off, off offset:328
	s_waitcnt vmcnt(4)
	v_fma_f64 v[10:11], v[103:104], v[121:122], v[10:11]
	ds_load_b128 v[115:118], v1 offset:640
	ds_load_b128 v[119:122], v1 offset:656
	s_waitcnt lgkmcnt(1)
	v_fma_f64 v[10:11], v[105:106], v[115:116], v[10:11]
	scratch_load_b128 v[103:106], off, off offset:344
	s_waitcnt vmcnt(4)
	v_fma_f64 v[10:11], v[107:108], v[117:118], v[10:11]
	s_waitcnt lgkmcnt(0)
	s_delay_alu instid0(VALU_DEP_1)
	v_fma_f64 v[10:11], v[109:110], v[119:120], v[10:11]
	ds_load_b128 v[107:110], v1 offset:672
	ds_load_b128 v[115:118], v1 offset:688
	s_waitcnt vmcnt(3)
	v_fma_f64 v[10:11], v[111:112], v[121:122], v[10:11]
	s_waitcnt lgkmcnt(1)
	s_delay_alu instid0(VALU_DEP_1) | instskip(SKIP_1) | instid1(VALU_DEP_1)
	v_fma_f64 v[10:11], v[113:114], v[107:108], v[10:11]
	s_waitcnt vmcnt(2)
	v_fma_f64 v[10:11], v[123:124], v[109:110], v[10:11]
	s_waitcnt lgkmcnt(0)
	s_delay_alu instid0(VALU_DEP_1) | instskip(SKIP_1) | instid1(VALU_DEP_1)
	v_fma_f64 v[10:11], v[125:126], v[115:116], v[10:11]
	s_waitcnt vmcnt(1)
	v_fma_f64 v[6:7], v[6:7], v[117:118], v[10:11]
	ds_load_b128 v[107:110], v1 offset:704
	ds_load_b64 v[10:11], v1 offset:720
	s_waitcnt lgkmcnt(1)
	v_fma_f64 v[6:7], v[8:9], v[107:108], v[6:7]
	s_waitcnt vmcnt(0)
	s_delay_alu instid0(VALU_DEP_1) | instskip(SKIP_1) | instid1(VALU_DEP_1)
	v_fma_f64 v[6:7], v[103:104], v[109:110], v[6:7]
	s_waitcnt lgkmcnt(0)
	v_fma_f64 v[6:7], v[105:106], v[10:11], v[6:7]
	s_delay_alu instid0(VALU_DEP_1)
	v_add_f64 v[4:5], v[4:5], -v[6:7]
	scratch_store_b64 off, v[4:5], off offset:232
	v_cmpx_lt_u32_e32 28, v0
	s_cbranch_execz .LBB108_223
; %bb.222:
	scratch_load_b64 v[4:5], off, off offset:224
	v_mov_b32_e32 v2, v1
	scratch_store_b64 off, v[1:2], off offset:224
	s_waitcnt vmcnt(0)
	ds_store_b64 v3, v[4:5]
.LBB108_223:
	s_or_b32 exec_lo, exec_lo, s0
	s_waitcnt lgkmcnt(0)
	s_waitcnt_vscnt null, 0x0
	s_barrier
	buffer_gl0_inv
	s_clause 0x4
	scratch_load_b128 v[4:7], off, off offset:224
	scratch_load_b128 v[8:11], off, off offset:240
	;; [unrolled: 1-line block ×5, first 2 shown]
	ds_load_2addr_b64 v[115:118], v1 offset0:75 offset1:76
	ds_load_2addr_b64 v[119:122], v1 offset0:77 offset1:78
	scratch_load_b128 v[123:126], off, off offset:304
	s_mov_b32 s0, exec_lo
	s_waitcnt vmcnt(5) lgkmcnt(1)
	v_fma_f64 v[6:7], v[6:7], v[115:116], 0
	s_waitcnt vmcnt(4)
	s_delay_alu instid0(VALU_DEP_1) | instskip(SKIP_1) | instid1(VALU_DEP_1)
	v_fma_f64 v[6:7], v[8:9], v[117:118], v[6:7]
	s_waitcnt lgkmcnt(0)
	v_fma_f64 v[10:11], v[10:11], v[119:120], v[6:7]
	scratch_load_b128 v[6:9], off, off offset:320
	s_waitcnt vmcnt(4)
	v_fma_f64 v[10:11], v[103:104], v[121:122], v[10:11]
	ds_load_2addr_b64 v[115:118], v1 offset0:79 offset1:80
	ds_load_2addr_b64 v[119:122], v1 offset0:81 offset1:82
	s_waitcnt lgkmcnt(1)
	v_fma_f64 v[10:11], v[105:106], v[115:116], v[10:11]
	scratch_load_b128 v[103:106], off, off offset:336
	s_waitcnt vmcnt(4)
	v_fma_f64 v[10:11], v[107:108], v[117:118], v[10:11]
	s_waitcnt lgkmcnt(0)
	s_delay_alu instid0(VALU_DEP_1)
	v_fma_f64 v[10:11], v[109:110], v[119:120], v[10:11]
	scratch_load_b64 v[119:120], off, off offset:352
	ds_load_2addr_b64 v[107:110], v1 offset0:83 offset1:84
	ds_load_2addr_b64 v[115:118], v1 offset0:85 offset1:86
	s_waitcnt vmcnt(4)
	v_fma_f64 v[10:11], v[111:112], v[121:122], v[10:11]
	s_waitcnt lgkmcnt(1)
	s_delay_alu instid0(VALU_DEP_1) | instskip(SKIP_1) | instid1(VALU_DEP_1)
	v_fma_f64 v[10:11], v[113:114], v[107:108], v[10:11]
	s_waitcnt vmcnt(3)
	v_fma_f64 v[10:11], v[123:124], v[109:110], v[10:11]
	ds_load_2addr_b64 v[107:110], v1 offset0:87 offset1:88
	ds_load_2addr_b64 v[111:114], v1 offset0:89 offset1:90
	s_waitcnt lgkmcnt(2)
	v_fma_f64 v[10:11], v[125:126], v[115:116], v[10:11]
	s_waitcnt vmcnt(2)
	s_delay_alu instid0(VALU_DEP_1) | instskip(SKIP_1) | instid1(VALU_DEP_1)
	v_fma_f64 v[6:7], v[6:7], v[117:118], v[10:11]
	s_waitcnt lgkmcnt(1)
	v_fma_f64 v[1:2], v[8:9], v[107:108], v[6:7]
	s_waitcnt vmcnt(1)
	s_delay_alu instid0(VALU_DEP_1) | instskip(SKIP_1) | instid1(VALU_DEP_1)
	v_fma_f64 v[1:2], v[103:104], v[109:110], v[1:2]
	s_waitcnt lgkmcnt(0)
	v_fma_f64 v[1:2], v[105:106], v[111:112], v[1:2]
	s_waitcnt vmcnt(0)
	s_delay_alu instid0(VALU_DEP_1) | instskip(NEXT) | instid1(VALU_DEP_1)
	v_fma_f64 v[1:2], v[119:120], v[113:114], v[1:2]
	v_add_f64 v[1:2], v[4:5], -v[1:2]
	scratch_store_b64 off, v[1:2], off offset:224
	v_cmpx_lt_u32_e32 27, v0
	s_cbranch_execz .LBB108_225
; %bb.224:
	scratch_load_b64 v[1:2], off, off offset:216
	v_mov_b32_e32 v4, 0
	s_delay_alu instid0(VALU_DEP_1)
	v_mov_b32_e32 v5, v4
	scratch_store_b64 off, v[4:5], off offset:216
	s_waitcnt vmcnt(0)
	ds_store_b64 v3, v[1:2]
.LBB108_225:
	s_or_b32 exec_lo, exec_lo, s0
	s_waitcnt lgkmcnt(0)
	s_waitcnt_vscnt null, 0x0
	s_barrier
	buffer_gl0_inv
	s_clause 0x4
	scratch_load_b128 v[4:7], off, off offset:216
	scratch_load_b128 v[8:11], off, off offset:232
	;; [unrolled: 1-line block ×5, first 2 shown]
	v_mov_b32_e32 v1, 0
	ds_load_b128 v[115:118], v1 offset:592
	ds_load_b128 v[119:122], v1 offset:608
	scratch_load_b128 v[123:126], off, off offset:296
	s_mov_b32 s0, exec_lo
	s_waitcnt vmcnt(5) lgkmcnt(1)
	v_fma_f64 v[6:7], v[6:7], v[115:116], 0
	s_waitcnt vmcnt(4)
	s_delay_alu instid0(VALU_DEP_1) | instskip(SKIP_1) | instid1(VALU_DEP_1)
	v_fma_f64 v[6:7], v[8:9], v[117:118], v[6:7]
	s_waitcnt lgkmcnt(0)
	v_fma_f64 v[10:11], v[10:11], v[119:120], v[6:7]
	scratch_load_b128 v[6:9], off, off offset:312
	s_waitcnt vmcnt(4)
	v_fma_f64 v[10:11], v[103:104], v[121:122], v[10:11]
	ds_load_b128 v[115:118], v1 offset:624
	ds_load_b128 v[119:122], v1 offset:640
	s_waitcnt lgkmcnt(1)
	v_fma_f64 v[10:11], v[105:106], v[115:116], v[10:11]
	scratch_load_b128 v[103:106], off, off offset:328
	s_waitcnt vmcnt(4)
	v_fma_f64 v[10:11], v[107:108], v[117:118], v[10:11]
	s_waitcnt lgkmcnt(0)
	s_delay_alu instid0(VALU_DEP_1)
	v_fma_f64 v[10:11], v[109:110], v[119:120], v[10:11]
	scratch_load_b128 v[107:110], off, off offset:344
	s_waitcnt vmcnt(4)
	v_fma_f64 v[10:11], v[111:112], v[121:122], v[10:11]
	ds_load_b128 v[115:118], v1 offset:656
	ds_load_b128 v[119:122], v1 offset:672
	s_waitcnt lgkmcnt(1)
	v_fma_f64 v[10:11], v[113:114], v[115:116], v[10:11]
	s_waitcnt vmcnt(3)
	s_delay_alu instid0(VALU_DEP_1)
	v_fma_f64 v[10:11], v[123:124], v[117:118], v[10:11]
	ds_load_b128 v[111:114], v1 offset:688
	ds_load_b128 v[115:118], v1 offset:704
	s_waitcnt lgkmcnt(2)
	v_fma_f64 v[10:11], v[125:126], v[119:120], v[10:11]
	s_waitcnt vmcnt(2)
	s_delay_alu instid0(VALU_DEP_1) | instskip(SKIP_1) | instid1(VALU_DEP_1)
	v_fma_f64 v[6:7], v[6:7], v[121:122], v[10:11]
	s_waitcnt lgkmcnt(1)
	v_fma_f64 v[6:7], v[8:9], v[111:112], v[6:7]
	ds_load_b64 v[8:9], v1 offset:720
	s_waitcnt vmcnt(1)
	v_fma_f64 v[6:7], v[103:104], v[113:114], v[6:7]
	s_waitcnt lgkmcnt(1)
	s_delay_alu instid0(VALU_DEP_1) | instskip(SKIP_1) | instid1(VALU_DEP_1)
	v_fma_f64 v[6:7], v[105:106], v[115:116], v[6:7]
	s_waitcnt vmcnt(0)
	v_fma_f64 v[6:7], v[107:108], v[117:118], v[6:7]
	s_waitcnt lgkmcnt(0)
	s_delay_alu instid0(VALU_DEP_1) | instskip(NEXT) | instid1(VALU_DEP_1)
	v_fma_f64 v[6:7], v[109:110], v[8:9], v[6:7]
	v_add_f64 v[4:5], v[4:5], -v[6:7]
	scratch_store_b64 off, v[4:5], off offset:216
	v_cmpx_lt_u32_e32 26, v0
	s_cbranch_execz .LBB108_227
; %bb.226:
	scratch_load_b64 v[4:5], off, off offset:208
	v_mov_b32_e32 v2, v1
	scratch_store_b64 off, v[1:2], off offset:208
	s_waitcnt vmcnt(0)
	ds_store_b64 v3, v[4:5]
.LBB108_227:
	s_or_b32 exec_lo, exec_lo, s0
	s_waitcnt lgkmcnt(0)
	s_waitcnt_vscnt null, 0x0
	s_barrier
	buffer_gl0_inv
	s_clause 0x4
	scratch_load_b128 v[4:7], off, off offset:208
	scratch_load_b128 v[8:11], off, off offset:224
	;; [unrolled: 1-line block ×5, first 2 shown]
	ds_load_2addr_b64 v[115:118], v1 offset0:73 offset1:74
	ds_load_2addr_b64 v[119:122], v1 offset0:75 offset1:76
	scratch_load_b128 v[123:126], off, off offset:288
	s_mov_b32 s0, exec_lo
	s_waitcnt vmcnt(5) lgkmcnt(1)
	v_fma_f64 v[6:7], v[6:7], v[115:116], 0
	s_waitcnt vmcnt(4)
	s_delay_alu instid0(VALU_DEP_1) | instskip(SKIP_1) | instid1(VALU_DEP_1)
	v_fma_f64 v[6:7], v[8:9], v[117:118], v[6:7]
	s_waitcnt lgkmcnt(0)
	v_fma_f64 v[10:11], v[10:11], v[119:120], v[6:7]
	scratch_load_b128 v[6:9], off, off offset:304
	s_waitcnt vmcnt(4)
	v_fma_f64 v[10:11], v[103:104], v[121:122], v[10:11]
	ds_load_2addr_b64 v[115:118], v1 offset0:77 offset1:78
	ds_load_2addr_b64 v[119:122], v1 offset0:79 offset1:80
	s_waitcnt lgkmcnt(1)
	v_fma_f64 v[10:11], v[105:106], v[115:116], v[10:11]
	scratch_load_b128 v[103:106], off, off offset:320
	s_waitcnt vmcnt(4)
	v_fma_f64 v[10:11], v[107:108], v[117:118], v[10:11]
	s_waitcnt lgkmcnt(0)
	s_delay_alu instid0(VALU_DEP_1)
	v_fma_f64 v[10:11], v[109:110], v[119:120], v[10:11]
	scratch_load_b128 v[107:110], off, off offset:336
	s_waitcnt vmcnt(4)
	v_fma_f64 v[10:11], v[111:112], v[121:122], v[10:11]
	ds_load_2addr_b64 v[115:118], v1 offset0:81 offset1:82
	ds_load_2addr_b64 v[119:122], v1 offset0:83 offset1:84
	scratch_load_b64 v[127:128], off, off offset:352
	s_waitcnt lgkmcnt(1)
	v_fma_f64 v[10:11], v[113:114], v[115:116], v[10:11]
	s_waitcnt vmcnt(4)
	s_delay_alu instid0(VALU_DEP_1)
	v_fma_f64 v[10:11], v[123:124], v[117:118], v[10:11]
	ds_load_2addr_b64 v[111:114], v1 offset0:85 offset1:86
	ds_load_2addr_b64 v[115:118], v1 offset0:87 offset1:88
	s_waitcnt lgkmcnt(2)
	v_fma_f64 v[10:11], v[125:126], v[119:120], v[10:11]
	s_waitcnt vmcnt(3)
	s_delay_alu instid0(VALU_DEP_1) | instskip(SKIP_1) | instid1(VALU_DEP_1)
	v_fma_f64 v[6:7], v[6:7], v[121:122], v[10:11]
	s_waitcnt lgkmcnt(1)
	v_fma_f64 v[6:7], v[8:9], v[111:112], v[6:7]
	s_waitcnt vmcnt(2)
	s_delay_alu instid0(VALU_DEP_1) | instskip(SKIP_1) | instid1(VALU_DEP_1)
	v_fma_f64 v[6:7], v[103:104], v[113:114], v[6:7]
	s_waitcnt lgkmcnt(0)
	v_fma_f64 v[6:7], v[105:106], v[115:116], v[6:7]
	s_waitcnt vmcnt(1)
	s_delay_alu instid0(VALU_DEP_1) | instskip(SKIP_4) | instid1(VALU_DEP_1)
	v_fma_f64 v[10:11], v[107:108], v[117:118], v[6:7]
	ds_load_2addr_b64 v[6:9], v1 offset0:89 offset1:90
	s_waitcnt lgkmcnt(0)
	v_fma_f64 v[1:2], v[109:110], v[6:7], v[10:11]
	s_waitcnt vmcnt(0)
	v_fma_f64 v[1:2], v[127:128], v[8:9], v[1:2]
	s_delay_alu instid0(VALU_DEP_1)
	v_add_f64 v[1:2], v[4:5], -v[1:2]
	scratch_store_b64 off, v[1:2], off offset:208
	v_cmpx_lt_u32_e32 25, v0
	s_cbranch_execz .LBB108_229
; %bb.228:
	scratch_load_b64 v[1:2], off, off offset:200
	v_mov_b32_e32 v4, 0
	s_delay_alu instid0(VALU_DEP_1)
	v_mov_b32_e32 v5, v4
	scratch_store_b64 off, v[4:5], off offset:200
	s_waitcnt vmcnt(0)
	ds_store_b64 v3, v[1:2]
.LBB108_229:
	s_or_b32 exec_lo, exec_lo, s0
	s_waitcnt lgkmcnt(0)
	s_waitcnt_vscnt null, 0x0
	s_barrier
	buffer_gl0_inv
	s_clause 0x4
	scratch_load_b128 v[4:7], off, off offset:200
	scratch_load_b128 v[8:11], off, off offset:216
	;; [unrolled: 1-line block ×5, first 2 shown]
	v_mov_b32_e32 v1, 0
	ds_load_b128 v[115:118], v1 offset:576
	ds_load_b128 v[119:122], v1 offset:592
	scratch_load_b128 v[123:126], off, off offset:280
	s_mov_b32 s0, exec_lo
	s_waitcnt vmcnt(5) lgkmcnt(1)
	v_fma_f64 v[6:7], v[6:7], v[115:116], 0
	s_waitcnt vmcnt(4)
	s_delay_alu instid0(VALU_DEP_1) | instskip(SKIP_1) | instid1(VALU_DEP_1)
	v_fma_f64 v[6:7], v[8:9], v[117:118], v[6:7]
	s_waitcnt lgkmcnt(0)
	v_fma_f64 v[10:11], v[10:11], v[119:120], v[6:7]
	scratch_load_b128 v[6:9], off, off offset:296
	s_waitcnt vmcnt(4)
	v_fma_f64 v[10:11], v[103:104], v[121:122], v[10:11]
	ds_load_b128 v[115:118], v1 offset:608
	ds_load_b128 v[119:122], v1 offset:624
	s_waitcnt lgkmcnt(1)
	v_fma_f64 v[10:11], v[105:106], v[115:116], v[10:11]
	scratch_load_b128 v[103:106], off, off offset:312
	s_waitcnt vmcnt(4)
	v_fma_f64 v[10:11], v[107:108], v[117:118], v[10:11]
	s_waitcnt lgkmcnt(0)
	s_delay_alu instid0(VALU_DEP_1)
	v_fma_f64 v[10:11], v[109:110], v[119:120], v[10:11]
	scratch_load_b128 v[107:110], off, off offset:328
	s_waitcnt vmcnt(4)
	v_fma_f64 v[10:11], v[111:112], v[121:122], v[10:11]
	ds_load_b128 v[115:118], v1 offset:640
	ds_load_b128 v[119:122], v1 offset:656
	s_waitcnt lgkmcnt(1)
	v_fma_f64 v[10:11], v[113:114], v[115:116], v[10:11]
	scratch_load_b128 v[111:114], off, off offset:344
	s_waitcnt vmcnt(4)
	v_fma_f64 v[10:11], v[123:124], v[117:118], v[10:11]
	s_waitcnt lgkmcnt(0)
	s_delay_alu instid0(VALU_DEP_1) | instskip(SKIP_1) | instid1(VALU_DEP_1)
	v_fma_f64 v[10:11], v[125:126], v[119:120], v[10:11]
	s_waitcnt vmcnt(3)
	v_fma_f64 v[6:7], v[6:7], v[121:122], v[10:11]
	ds_load_b128 v[115:118], v1 offset:672
	ds_load_b128 v[119:122], v1 offset:688
	s_waitcnt lgkmcnt(1)
	v_fma_f64 v[6:7], v[8:9], v[115:116], v[6:7]
	s_waitcnt vmcnt(2)
	s_delay_alu instid0(VALU_DEP_1) | instskip(SKIP_1) | instid1(VALU_DEP_1)
	v_fma_f64 v[6:7], v[103:104], v[117:118], v[6:7]
	s_waitcnt lgkmcnt(0)
	v_fma_f64 v[6:7], v[105:106], v[119:120], v[6:7]
	s_waitcnt vmcnt(1)
	s_delay_alu instid0(VALU_DEP_1)
	v_fma_f64 v[10:11], v[107:108], v[121:122], v[6:7]
	ds_load_b128 v[6:9], v1 offset:704
	ds_load_b64 v[103:104], v1 offset:720
	s_waitcnt lgkmcnt(1)
	v_fma_f64 v[6:7], v[109:110], v[6:7], v[10:11]
	s_waitcnt vmcnt(0)
	s_delay_alu instid0(VALU_DEP_1) | instskip(SKIP_1) | instid1(VALU_DEP_1)
	v_fma_f64 v[6:7], v[111:112], v[8:9], v[6:7]
	s_waitcnt lgkmcnt(0)
	v_fma_f64 v[6:7], v[113:114], v[103:104], v[6:7]
	s_delay_alu instid0(VALU_DEP_1)
	v_add_f64 v[4:5], v[4:5], -v[6:7]
	scratch_store_b64 off, v[4:5], off offset:200
	v_cmpx_lt_u32_e32 24, v0
	s_cbranch_execz .LBB108_231
; %bb.230:
	scratch_load_b64 v[4:5], off, off offset:192
	v_mov_b32_e32 v2, v1
	scratch_store_b64 off, v[1:2], off offset:192
	s_waitcnt vmcnt(0)
	ds_store_b64 v3, v[4:5]
.LBB108_231:
	s_or_b32 exec_lo, exec_lo, s0
	s_waitcnt lgkmcnt(0)
	s_waitcnt_vscnt null, 0x0
	s_barrier
	buffer_gl0_inv
	s_clause 0x4
	scratch_load_b128 v[4:7], off, off offset:192
	scratch_load_b128 v[8:11], off, off offset:208
	;; [unrolled: 1-line block ×5, first 2 shown]
	ds_load_2addr_b64 v[115:118], v1 offset0:71 offset1:72
	ds_load_2addr_b64 v[119:122], v1 offset0:73 offset1:74
	scratch_load_b128 v[123:126], off, off offset:272
	s_mov_b32 s0, exec_lo
	s_waitcnt vmcnt(5) lgkmcnt(1)
	v_fma_f64 v[6:7], v[6:7], v[115:116], 0
	s_waitcnt vmcnt(4)
	s_delay_alu instid0(VALU_DEP_1) | instskip(SKIP_1) | instid1(VALU_DEP_1)
	v_fma_f64 v[6:7], v[8:9], v[117:118], v[6:7]
	s_waitcnt lgkmcnt(0)
	v_fma_f64 v[10:11], v[10:11], v[119:120], v[6:7]
	scratch_load_b128 v[6:9], off, off offset:288
	s_waitcnt vmcnt(4)
	v_fma_f64 v[10:11], v[103:104], v[121:122], v[10:11]
	ds_load_2addr_b64 v[115:118], v1 offset0:75 offset1:76
	ds_load_2addr_b64 v[119:122], v1 offset0:77 offset1:78
	s_waitcnt lgkmcnt(1)
	v_fma_f64 v[10:11], v[105:106], v[115:116], v[10:11]
	scratch_load_b128 v[103:106], off, off offset:304
	s_waitcnt vmcnt(4)
	v_fma_f64 v[10:11], v[107:108], v[117:118], v[10:11]
	s_waitcnt lgkmcnt(0)
	s_delay_alu instid0(VALU_DEP_1)
	v_fma_f64 v[10:11], v[109:110], v[119:120], v[10:11]
	scratch_load_b128 v[107:110], off, off offset:320
	s_waitcnt vmcnt(4)
	v_fma_f64 v[10:11], v[111:112], v[121:122], v[10:11]
	ds_load_2addr_b64 v[115:118], v1 offset0:79 offset1:80
	ds_load_2addr_b64 v[119:122], v1 offset0:81 offset1:82
	s_waitcnt lgkmcnt(1)
	v_fma_f64 v[10:11], v[113:114], v[115:116], v[10:11]
	scratch_load_b128 v[111:114], off, off offset:336
	s_waitcnt vmcnt(4)
	v_fma_f64 v[10:11], v[123:124], v[117:118], v[10:11]
	scratch_load_b64 v[123:124], off, off offset:352
	s_waitcnt lgkmcnt(0)
	v_fma_f64 v[10:11], v[125:126], v[119:120], v[10:11]
	s_waitcnt vmcnt(4)
	s_delay_alu instid0(VALU_DEP_1)
	v_fma_f64 v[6:7], v[6:7], v[121:122], v[10:11]
	ds_load_2addr_b64 v[115:118], v1 offset0:83 offset1:84
	ds_load_2addr_b64 v[119:122], v1 offset0:85 offset1:86
	s_waitcnt lgkmcnt(1)
	v_fma_f64 v[6:7], v[8:9], v[115:116], v[6:7]
	s_waitcnt vmcnt(3)
	s_delay_alu instid0(VALU_DEP_1) | instskip(SKIP_1) | instid1(VALU_DEP_1)
	v_fma_f64 v[6:7], v[103:104], v[117:118], v[6:7]
	s_waitcnt lgkmcnt(0)
	v_fma_f64 v[6:7], v[105:106], v[119:120], v[6:7]
	s_waitcnt vmcnt(2)
	s_delay_alu instid0(VALU_DEP_1)
	v_fma_f64 v[10:11], v[107:108], v[121:122], v[6:7]
	ds_load_2addr_b64 v[6:9], v1 offset0:87 offset1:88
	ds_load_2addr_b64 v[103:106], v1 offset0:89 offset1:90
	s_waitcnt lgkmcnt(1)
	v_fma_f64 v[1:2], v[109:110], v[6:7], v[10:11]
	s_waitcnt vmcnt(1)
	s_delay_alu instid0(VALU_DEP_1) | instskip(SKIP_1) | instid1(VALU_DEP_1)
	v_fma_f64 v[1:2], v[111:112], v[8:9], v[1:2]
	s_waitcnt lgkmcnt(0)
	v_fma_f64 v[1:2], v[113:114], v[103:104], v[1:2]
	s_waitcnt vmcnt(0)
	s_delay_alu instid0(VALU_DEP_1) | instskip(NEXT) | instid1(VALU_DEP_1)
	v_fma_f64 v[1:2], v[123:124], v[105:106], v[1:2]
	v_add_f64 v[1:2], v[4:5], -v[1:2]
	scratch_store_b64 off, v[1:2], off offset:192
	v_cmpx_lt_u32_e32 23, v0
	s_cbranch_execz .LBB108_233
; %bb.232:
	scratch_load_b64 v[1:2], off, off offset:184
	v_mov_b32_e32 v4, 0
	s_delay_alu instid0(VALU_DEP_1)
	v_mov_b32_e32 v5, v4
	scratch_store_b64 off, v[4:5], off offset:184
	s_waitcnt vmcnt(0)
	ds_store_b64 v3, v[1:2]
.LBB108_233:
	s_or_b32 exec_lo, exec_lo, s0
	s_waitcnt lgkmcnt(0)
	s_waitcnt_vscnt null, 0x0
	s_barrier
	buffer_gl0_inv
	s_clause 0x4
	scratch_load_b128 v[4:7], off, off offset:184
	scratch_load_b128 v[8:11], off, off offset:200
	;; [unrolled: 1-line block ×5, first 2 shown]
	v_mov_b32_e32 v1, 0
	ds_load_b128 v[115:118], v1 offset:560
	ds_load_b128 v[119:122], v1 offset:576
	scratch_load_b128 v[123:126], off, off offset:264
	s_mov_b32 s0, exec_lo
	s_waitcnt vmcnt(5) lgkmcnt(1)
	v_fma_f64 v[6:7], v[6:7], v[115:116], 0
	s_waitcnt vmcnt(4)
	s_delay_alu instid0(VALU_DEP_1) | instskip(SKIP_1) | instid1(VALU_DEP_1)
	v_fma_f64 v[6:7], v[8:9], v[117:118], v[6:7]
	s_waitcnt lgkmcnt(0)
	v_fma_f64 v[10:11], v[10:11], v[119:120], v[6:7]
	scratch_load_b128 v[6:9], off, off offset:280
	s_waitcnt vmcnt(4)
	v_fma_f64 v[10:11], v[103:104], v[121:122], v[10:11]
	ds_load_b128 v[115:118], v1 offset:592
	ds_load_b128 v[119:122], v1 offset:608
	s_waitcnt lgkmcnt(1)
	v_fma_f64 v[10:11], v[105:106], v[115:116], v[10:11]
	scratch_load_b128 v[103:106], off, off offset:296
	s_waitcnt vmcnt(4)
	v_fma_f64 v[10:11], v[107:108], v[117:118], v[10:11]
	s_waitcnt lgkmcnt(0)
	s_delay_alu instid0(VALU_DEP_1)
	v_fma_f64 v[10:11], v[109:110], v[119:120], v[10:11]
	scratch_load_b128 v[107:110], off, off offset:312
	s_waitcnt vmcnt(4)
	v_fma_f64 v[10:11], v[111:112], v[121:122], v[10:11]
	ds_load_b128 v[115:118], v1 offset:624
	ds_load_b128 v[119:122], v1 offset:640
	s_waitcnt lgkmcnt(1)
	v_fma_f64 v[10:11], v[113:114], v[115:116], v[10:11]
	scratch_load_b128 v[111:114], off, off offset:328
	s_waitcnt vmcnt(4)
	v_fma_f64 v[10:11], v[123:124], v[117:118], v[10:11]
	scratch_load_b128 v[115:118], off, off offset:344
	s_waitcnt lgkmcnt(0)
	v_fma_f64 v[10:11], v[125:126], v[119:120], v[10:11]
	s_waitcnt vmcnt(4)
	s_delay_alu instid0(VALU_DEP_1)
	v_fma_f64 v[6:7], v[6:7], v[121:122], v[10:11]
	ds_load_b128 v[119:122], v1 offset:656
	ds_load_b128 v[123:126], v1 offset:672
	s_waitcnt lgkmcnt(1)
	v_fma_f64 v[6:7], v[8:9], v[119:120], v[6:7]
	s_waitcnt vmcnt(3)
	s_delay_alu instid0(VALU_DEP_1) | instskip(SKIP_1) | instid1(VALU_DEP_1)
	v_fma_f64 v[6:7], v[103:104], v[121:122], v[6:7]
	s_waitcnt lgkmcnt(0)
	v_fma_f64 v[6:7], v[105:106], v[123:124], v[6:7]
	s_waitcnt vmcnt(2)
	s_delay_alu instid0(VALU_DEP_1)
	v_fma_f64 v[10:11], v[107:108], v[125:126], v[6:7]
	ds_load_b128 v[6:9], v1 offset:688
	ds_load_b128 v[103:106], v1 offset:704
	s_waitcnt lgkmcnt(1)
	v_fma_f64 v[6:7], v[109:110], v[6:7], v[10:11]
	s_waitcnt vmcnt(1)
	s_delay_alu instid0(VALU_DEP_1) | instskip(SKIP_4) | instid1(VALU_DEP_1)
	v_fma_f64 v[6:7], v[111:112], v[8:9], v[6:7]
	ds_load_b64 v[8:9], v1 offset:720
	s_waitcnt lgkmcnt(1)
	v_fma_f64 v[6:7], v[113:114], v[103:104], v[6:7]
	s_waitcnt vmcnt(0)
	v_fma_f64 v[6:7], v[115:116], v[105:106], v[6:7]
	s_waitcnt lgkmcnt(0)
	s_delay_alu instid0(VALU_DEP_1) | instskip(NEXT) | instid1(VALU_DEP_1)
	v_fma_f64 v[6:7], v[117:118], v[8:9], v[6:7]
	v_add_f64 v[4:5], v[4:5], -v[6:7]
	scratch_store_b64 off, v[4:5], off offset:184
	v_cmpx_lt_u32_e32 22, v0
	s_cbranch_execz .LBB108_235
; %bb.234:
	scratch_load_b64 v[4:5], off, off offset:176
	v_mov_b32_e32 v2, v1
	scratch_store_b64 off, v[1:2], off offset:176
	s_waitcnt vmcnt(0)
	ds_store_b64 v3, v[4:5]
.LBB108_235:
	s_or_b32 exec_lo, exec_lo, s0
	s_waitcnt lgkmcnt(0)
	s_waitcnt_vscnt null, 0x0
	s_barrier
	buffer_gl0_inv
	s_clause 0x4
	scratch_load_b128 v[4:7], off, off offset:176
	scratch_load_b128 v[8:11], off, off offset:192
	;; [unrolled: 1-line block ×5, first 2 shown]
	ds_load_2addr_b64 v[115:118], v1 offset0:69 offset1:70
	ds_load_2addr_b64 v[119:122], v1 offset0:71 offset1:72
	scratch_load_b128 v[123:126], off, off offset:256
	s_mov_b32 s0, exec_lo
	s_waitcnt vmcnt(5) lgkmcnt(1)
	v_fma_f64 v[6:7], v[6:7], v[115:116], 0
	s_waitcnt vmcnt(4)
	s_delay_alu instid0(VALU_DEP_1) | instskip(SKIP_1) | instid1(VALU_DEP_1)
	v_fma_f64 v[6:7], v[8:9], v[117:118], v[6:7]
	s_waitcnt lgkmcnt(0)
	v_fma_f64 v[10:11], v[10:11], v[119:120], v[6:7]
	scratch_load_b128 v[6:9], off, off offset:272
	s_waitcnt vmcnt(4)
	v_fma_f64 v[10:11], v[103:104], v[121:122], v[10:11]
	ds_load_2addr_b64 v[115:118], v1 offset0:73 offset1:74
	ds_load_2addr_b64 v[119:122], v1 offset0:75 offset1:76
	s_waitcnt lgkmcnt(1)
	v_fma_f64 v[10:11], v[105:106], v[115:116], v[10:11]
	scratch_load_b128 v[103:106], off, off offset:288
	s_waitcnt vmcnt(4)
	v_fma_f64 v[10:11], v[107:108], v[117:118], v[10:11]
	s_waitcnt lgkmcnt(0)
	s_delay_alu instid0(VALU_DEP_1)
	v_fma_f64 v[10:11], v[109:110], v[119:120], v[10:11]
	scratch_load_b128 v[107:110], off, off offset:304
	s_waitcnt vmcnt(4)
	v_fma_f64 v[10:11], v[111:112], v[121:122], v[10:11]
	ds_load_2addr_b64 v[115:118], v1 offset0:77 offset1:78
	ds_load_2addr_b64 v[119:122], v1 offset0:79 offset1:80
	s_waitcnt lgkmcnt(1)
	v_fma_f64 v[10:11], v[113:114], v[115:116], v[10:11]
	scratch_load_b128 v[111:114], off, off offset:320
	s_waitcnt vmcnt(4)
	v_fma_f64 v[10:11], v[123:124], v[117:118], v[10:11]
	scratch_load_b128 v[115:118], off, off offset:336
	s_waitcnt lgkmcnt(0)
	v_fma_f64 v[10:11], v[125:126], v[119:120], v[10:11]
	s_waitcnt vmcnt(4)
	s_delay_alu instid0(VALU_DEP_1)
	v_fma_f64 v[6:7], v[6:7], v[121:122], v[10:11]
	ds_load_2addr_b64 v[119:122], v1 offset0:81 offset1:82
	ds_load_2addr_b64 v[123:126], v1 offset0:83 offset1:84
	scratch_load_b64 v[10:11], off, off offset:352
	s_waitcnt lgkmcnt(1)
	v_fma_f64 v[6:7], v[8:9], v[119:120], v[6:7]
	s_waitcnt vmcnt(4)
	s_delay_alu instid0(VALU_DEP_1) | instskip(SKIP_1) | instid1(VALU_DEP_1)
	v_fma_f64 v[6:7], v[103:104], v[121:122], v[6:7]
	s_waitcnt lgkmcnt(0)
	v_fma_f64 v[6:7], v[105:106], v[123:124], v[6:7]
	s_waitcnt vmcnt(3)
	s_delay_alu instid0(VALU_DEP_1)
	v_fma_f64 v[107:108], v[107:108], v[125:126], v[6:7]
	ds_load_2addr_b64 v[6:9], v1 offset0:85 offset1:86
	ds_load_2addr_b64 v[103:106], v1 offset0:87 offset1:88
	s_waitcnt lgkmcnt(1)
	v_fma_f64 v[6:7], v[109:110], v[6:7], v[107:108]
	s_waitcnt vmcnt(2)
	s_delay_alu instid0(VALU_DEP_1) | instskip(SKIP_1) | instid1(VALU_DEP_1)
	v_fma_f64 v[6:7], v[111:112], v[8:9], v[6:7]
	s_waitcnt lgkmcnt(0)
	v_fma_f64 v[6:7], v[113:114], v[103:104], v[6:7]
	s_waitcnt vmcnt(1)
	s_delay_alu instid0(VALU_DEP_1) | instskip(SKIP_4) | instid1(VALU_DEP_1)
	v_fma_f64 v[103:104], v[115:116], v[105:106], v[6:7]
	ds_load_2addr_b64 v[6:9], v1 offset0:89 offset1:90
	s_waitcnt lgkmcnt(0)
	v_fma_f64 v[1:2], v[117:118], v[6:7], v[103:104]
	s_waitcnt vmcnt(0)
	v_fma_f64 v[1:2], v[10:11], v[8:9], v[1:2]
	s_delay_alu instid0(VALU_DEP_1)
	v_add_f64 v[1:2], v[4:5], -v[1:2]
	scratch_store_b64 off, v[1:2], off offset:176
	v_cmpx_lt_u32_e32 21, v0
	s_cbranch_execz .LBB108_237
; %bb.236:
	scratch_load_b64 v[1:2], off, off offset:168
	v_mov_b32_e32 v4, 0
	s_delay_alu instid0(VALU_DEP_1)
	v_mov_b32_e32 v5, v4
	scratch_store_b64 off, v[4:5], off offset:168
	s_waitcnt vmcnt(0)
	ds_store_b64 v3, v[1:2]
.LBB108_237:
	s_or_b32 exec_lo, exec_lo, s0
	s_waitcnt lgkmcnt(0)
	s_waitcnt_vscnt null, 0x0
	s_barrier
	buffer_gl0_inv
	s_clause 0x4
	scratch_load_b128 v[4:7], off, off offset:168
	scratch_load_b128 v[8:11], off, off offset:184
	;; [unrolled: 1-line block ×5, first 2 shown]
	v_mov_b32_e32 v1, 0
	ds_load_b128 v[115:118], v1 offset:544
	ds_load_b128 v[119:122], v1 offset:560
	scratch_load_b128 v[123:126], off, off offset:248
	s_mov_b32 s0, exec_lo
	s_waitcnt vmcnt(5) lgkmcnt(1)
	v_fma_f64 v[6:7], v[6:7], v[115:116], 0
	s_waitcnt vmcnt(4)
	s_delay_alu instid0(VALU_DEP_1) | instskip(SKIP_1) | instid1(VALU_DEP_1)
	v_fma_f64 v[6:7], v[8:9], v[117:118], v[6:7]
	s_waitcnt lgkmcnt(0)
	v_fma_f64 v[10:11], v[10:11], v[119:120], v[6:7]
	scratch_load_b128 v[6:9], off, off offset:264
	s_waitcnt vmcnt(4)
	v_fma_f64 v[10:11], v[103:104], v[121:122], v[10:11]
	ds_load_b128 v[115:118], v1 offset:576
	ds_load_b128 v[119:122], v1 offset:592
	s_waitcnt lgkmcnt(1)
	v_fma_f64 v[10:11], v[105:106], v[115:116], v[10:11]
	scratch_load_b128 v[103:106], off, off offset:280
	s_waitcnt vmcnt(4)
	v_fma_f64 v[10:11], v[107:108], v[117:118], v[10:11]
	s_waitcnt lgkmcnt(0)
	s_delay_alu instid0(VALU_DEP_1)
	v_fma_f64 v[10:11], v[109:110], v[119:120], v[10:11]
	scratch_load_b128 v[107:110], off, off offset:296
	s_waitcnt vmcnt(4)
	v_fma_f64 v[10:11], v[111:112], v[121:122], v[10:11]
	ds_load_b128 v[115:118], v1 offset:608
	ds_load_b128 v[119:122], v1 offset:624
	s_waitcnt lgkmcnt(1)
	v_fma_f64 v[10:11], v[113:114], v[115:116], v[10:11]
	scratch_load_b128 v[111:114], off, off offset:312
	s_waitcnt vmcnt(4)
	v_fma_f64 v[10:11], v[123:124], v[117:118], v[10:11]
	scratch_load_b128 v[115:118], off, off offset:328
	s_waitcnt lgkmcnt(0)
	v_fma_f64 v[10:11], v[125:126], v[119:120], v[10:11]
	s_waitcnt vmcnt(4)
	s_delay_alu instid0(VALU_DEP_1)
	v_fma_f64 v[6:7], v[6:7], v[121:122], v[10:11]
	ds_load_b128 v[119:122], v1 offset:640
	ds_load_b128 v[123:126], v1 offset:656
	s_waitcnt lgkmcnt(1)
	v_fma_f64 v[10:11], v[8:9], v[119:120], v[6:7]
	scratch_load_b128 v[6:9], off, off offset:344
	s_waitcnt vmcnt(4)
	v_fma_f64 v[10:11], v[103:104], v[121:122], v[10:11]
	s_waitcnt lgkmcnt(0)
	s_delay_alu instid0(VALU_DEP_1)
	v_fma_f64 v[10:11], v[105:106], v[123:124], v[10:11]
	ds_load_b128 v[103:106], v1 offset:672
	ds_load_b128 v[119:122], v1 offset:688
	s_waitcnt vmcnt(3)
	v_fma_f64 v[10:11], v[107:108], v[125:126], v[10:11]
	s_waitcnt lgkmcnt(1)
	s_delay_alu instid0(VALU_DEP_1) | instskip(SKIP_1) | instid1(VALU_DEP_1)
	v_fma_f64 v[10:11], v[109:110], v[103:104], v[10:11]
	s_waitcnt vmcnt(2)
	v_fma_f64 v[10:11], v[111:112], v[105:106], v[10:11]
	ds_load_b128 v[103:106], v1 offset:704
	ds_load_b64 v[107:108], v1 offset:720
	s_waitcnt lgkmcnt(2)
	v_fma_f64 v[10:11], v[113:114], v[119:120], v[10:11]
	s_waitcnt vmcnt(1)
	s_delay_alu instid0(VALU_DEP_1) | instskip(SKIP_1) | instid1(VALU_DEP_1)
	v_fma_f64 v[10:11], v[115:116], v[121:122], v[10:11]
	s_waitcnt lgkmcnt(1)
	v_fma_f64 v[10:11], v[117:118], v[103:104], v[10:11]
	s_waitcnt vmcnt(0)
	s_delay_alu instid0(VALU_DEP_1) | instskip(SKIP_1) | instid1(VALU_DEP_1)
	v_fma_f64 v[6:7], v[6:7], v[105:106], v[10:11]
	s_waitcnt lgkmcnt(0)
	v_fma_f64 v[6:7], v[8:9], v[107:108], v[6:7]
	s_delay_alu instid0(VALU_DEP_1)
	v_add_f64 v[4:5], v[4:5], -v[6:7]
	scratch_store_b64 off, v[4:5], off offset:168
	v_cmpx_lt_u32_e32 20, v0
	s_cbranch_execz .LBB108_239
; %bb.238:
	scratch_load_b64 v[4:5], off, off offset:160
	v_mov_b32_e32 v2, v1
	scratch_store_b64 off, v[1:2], off offset:160
	s_waitcnt vmcnt(0)
	ds_store_b64 v3, v[4:5]
.LBB108_239:
	s_or_b32 exec_lo, exec_lo, s0
	s_waitcnt lgkmcnt(0)
	s_waitcnt_vscnt null, 0x0
	s_barrier
	buffer_gl0_inv
	s_clause 0x4
	scratch_load_b128 v[4:7], off, off offset:160
	scratch_load_b128 v[8:11], off, off offset:176
	;; [unrolled: 1-line block ×5, first 2 shown]
	ds_load_2addr_b64 v[115:118], v1 offset0:67 offset1:68
	ds_load_2addr_b64 v[119:122], v1 offset0:69 offset1:70
	scratch_load_b128 v[123:126], off, off offset:240
	s_mov_b32 s0, exec_lo
	s_waitcnt vmcnt(5) lgkmcnt(1)
	v_fma_f64 v[6:7], v[6:7], v[115:116], 0
	s_waitcnt vmcnt(4)
	s_delay_alu instid0(VALU_DEP_1) | instskip(SKIP_1) | instid1(VALU_DEP_1)
	v_fma_f64 v[6:7], v[8:9], v[117:118], v[6:7]
	s_waitcnt lgkmcnt(0)
	v_fma_f64 v[10:11], v[10:11], v[119:120], v[6:7]
	scratch_load_b128 v[6:9], off, off offset:256
	s_waitcnt vmcnt(4)
	v_fma_f64 v[10:11], v[103:104], v[121:122], v[10:11]
	ds_load_2addr_b64 v[115:118], v1 offset0:71 offset1:72
	ds_load_2addr_b64 v[119:122], v1 offset0:73 offset1:74
	s_waitcnt lgkmcnt(1)
	v_fma_f64 v[10:11], v[105:106], v[115:116], v[10:11]
	scratch_load_b128 v[103:106], off, off offset:272
	s_waitcnt vmcnt(4)
	v_fma_f64 v[10:11], v[107:108], v[117:118], v[10:11]
	s_waitcnt lgkmcnt(0)
	s_delay_alu instid0(VALU_DEP_1)
	v_fma_f64 v[10:11], v[109:110], v[119:120], v[10:11]
	scratch_load_b128 v[107:110], off, off offset:288
	s_waitcnt vmcnt(4)
	v_fma_f64 v[10:11], v[111:112], v[121:122], v[10:11]
	ds_load_2addr_b64 v[115:118], v1 offset0:75 offset1:76
	ds_load_2addr_b64 v[119:122], v1 offset0:77 offset1:78
	s_waitcnt lgkmcnt(1)
	v_fma_f64 v[10:11], v[113:114], v[115:116], v[10:11]
	scratch_load_b128 v[111:114], off, off offset:304
	s_waitcnt vmcnt(4)
	v_fma_f64 v[10:11], v[123:124], v[117:118], v[10:11]
	scratch_load_b128 v[115:118], off, off offset:320
	s_waitcnt lgkmcnt(0)
	v_fma_f64 v[10:11], v[125:126], v[119:120], v[10:11]
	s_waitcnt vmcnt(4)
	s_delay_alu instid0(VALU_DEP_1)
	v_fma_f64 v[6:7], v[6:7], v[121:122], v[10:11]
	ds_load_2addr_b64 v[119:122], v1 offset0:79 offset1:80
	ds_load_2addr_b64 v[123:126], v1 offset0:81 offset1:82
	s_waitcnt lgkmcnt(1)
	v_fma_f64 v[10:11], v[8:9], v[119:120], v[6:7]
	scratch_load_b128 v[6:9], off, off offset:336
	s_waitcnt vmcnt(4)
	v_fma_f64 v[10:11], v[103:104], v[121:122], v[10:11]
	s_waitcnt lgkmcnt(0)
	s_delay_alu instid0(VALU_DEP_1)
	v_fma_f64 v[10:11], v[105:106], v[123:124], v[10:11]
	scratch_load_b64 v[123:124], off, off offset:352
	ds_load_2addr_b64 v[103:106], v1 offset0:83 offset1:84
	ds_load_2addr_b64 v[119:122], v1 offset0:85 offset1:86
	s_waitcnt vmcnt(4)
	v_fma_f64 v[10:11], v[107:108], v[125:126], v[10:11]
	s_waitcnt lgkmcnt(1)
	s_delay_alu instid0(VALU_DEP_1) | instskip(SKIP_1) | instid1(VALU_DEP_1)
	v_fma_f64 v[10:11], v[109:110], v[103:104], v[10:11]
	s_waitcnt vmcnt(3)
	v_fma_f64 v[10:11], v[111:112], v[105:106], v[10:11]
	ds_load_2addr_b64 v[103:106], v1 offset0:87 offset1:88
	ds_load_2addr_b64 v[107:110], v1 offset0:89 offset1:90
	s_waitcnt lgkmcnt(2)
	v_fma_f64 v[10:11], v[113:114], v[119:120], v[10:11]
	s_waitcnt vmcnt(2)
	s_delay_alu instid0(VALU_DEP_1) | instskip(SKIP_1) | instid1(VALU_DEP_1)
	v_fma_f64 v[10:11], v[115:116], v[121:122], v[10:11]
	s_waitcnt lgkmcnt(1)
	v_fma_f64 v[1:2], v[117:118], v[103:104], v[10:11]
	s_waitcnt vmcnt(1)
	s_delay_alu instid0(VALU_DEP_1) | instskip(SKIP_1) | instid1(VALU_DEP_1)
	v_fma_f64 v[1:2], v[6:7], v[105:106], v[1:2]
	s_waitcnt lgkmcnt(0)
	v_fma_f64 v[1:2], v[8:9], v[107:108], v[1:2]
	s_waitcnt vmcnt(0)
	s_delay_alu instid0(VALU_DEP_1) | instskip(NEXT) | instid1(VALU_DEP_1)
	v_fma_f64 v[1:2], v[123:124], v[109:110], v[1:2]
	v_add_f64 v[1:2], v[4:5], -v[1:2]
	scratch_store_b64 off, v[1:2], off offset:160
	v_cmpx_lt_u32_e32 19, v0
	s_cbranch_execz .LBB108_241
; %bb.240:
	scratch_load_b64 v[1:2], off, off offset:152
	v_mov_b32_e32 v4, 0
	s_delay_alu instid0(VALU_DEP_1)
	v_mov_b32_e32 v5, v4
	scratch_store_b64 off, v[4:5], off offset:152
	s_waitcnt vmcnt(0)
	ds_store_b64 v3, v[1:2]
.LBB108_241:
	s_or_b32 exec_lo, exec_lo, s0
	s_waitcnt lgkmcnt(0)
	s_waitcnt_vscnt null, 0x0
	s_barrier
	buffer_gl0_inv
	s_clause 0x4
	scratch_load_b128 v[4:7], off, off offset:152
	scratch_load_b128 v[8:11], off, off offset:168
	;; [unrolled: 1-line block ×5, first 2 shown]
	v_mov_b32_e32 v1, 0
	ds_load_b128 v[115:118], v1 offset:528
	ds_load_b128 v[119:122], v1 offset:544
	scratch_load_b128 v[123:126], off, off offset:232
	s_mov_b32 s0, exec_lo
	s_waitcnt vmcnt(5) lgkmcnt(1)
	v_fma_f64 v[6:7], v[6:7], v[115:116], 0
	s_waitcnt vmcnt(4)
	s_delay_alu instid0(VALU_DEP_1) | instskip(SKIP_1) | instid1(VALU_DEP_1)
	v_fma_f64 v[6:7], v[8:9], v[117:118], v[6:7]
	s_waitcnt lgkmcnt(0)
	v_fma_f64 v[10:11], v[10:11], v[119:120], v[6:7]
	scratch_load_b128 v[6:9], off, off offset:248
	s_waitcnt vmcnt(4)
	v_fma_f64 v[10:11], v[103:104], v[121:122], v[10:11]
	ds_load_b128 v[115:118], v1 offset:560
	ds_load_b128 v[119:122], v1 offset:576
	s_waitcnt lgkmcnt(1)
	v_fma_f64 v[10:11], v[105:106], v[115:116], v[10:11]
	scratch_load_b128 v[103:106], off, off offset:264
	s_waitcnt vmcnt(4)
	v_fma_f64 v[10:11], v[107:108], v[117:118], v[10:11]
	s_waitcnt lgkmcnt(0)
	s_delay_alu instid0(VALU_DEP_1)
	v_fma_f64 v[10:11], v[109:110], v[119:120], v[10:11]
	scratch_load_b128 v[107:110], off, off offset:280
	s_waitcnt vmcnt(4)
	v_fma_f64 v[10:11], v[111:112], v[121:122], v[10:11]
	ds_load_b128 v[115:118], v1 offset:592
	ds_load_b128 v[119:122], v1 offset:608
	s_waitcnt lgkmcnt(1)
	v_fma_f64 v[10:11], v[113:114], v[115:116], v[10:11]
	scratch_load_b128 v[111:114], off, off offset:296
	s_waitcnt vmcnt(4)
	v_fma_f64 v[10:11], v[123:124], v[117:118], v[10:11]
	scratch_load_b128 v[115:118], off, off offset:312
	s_waitcnt lgkmcnt(0)
	v_fma_f64 v[10:11], v[125:126], v[119:120], v[10:11]
	s_waitcnt vmcnt(4)
	s_delay_alu instid0(VALU_DEP_1)
	v_fma_f64 v[6:7], v[6:7], v[121:122], v[10:11]
	ds_load_b128 v[119:122], v1 offset:624
	ds_load_b128 v[123:126], v1 offset:640
	s_waitcnt lgkmcnt(1)
	v_fma_f64 v[10:11], v[8:9], v[119:120], v[6:7]
	scratch_load_b128 v[6:9], off, off offset:328
	s_waitcnt vmcnt(4)
	v_fma_f64 v[10:11], v[103:104], v[121:122], v[10:11]
	s_waitcnt lgkmcnt(0)
	s_delay_alu instid0(VALU_DEP_1)
	v_fma_f64 v[10:11], v[105:106], v[123:124], v[10:11]
	scratch_load_b128 v[103:106], off, off offset:344
	s_waitcnt vmcnt(4)
	v_fma_f64 v[10:11], v[107:108], v[125:126], v[10:11]
	ds_load_b128 v[119:122], v1 offset:656
	ds_load_b128 v[123:126], v1 offset:672
	s_waitcnt lgkmcnt(1)
	v_fma_f64 v[10:11], v[109:110], v[119:120], v[10:11]
	s_waitcnt vmcnt(3)
	s_delay_alu instid0(VALU_DEP_1) | instskip(SKIP_1) | instid1(VALU_DEP_1)
	v_fma_f64 v[10:11], v[111:112], v[121:122], v[10:11]
	s_waitcnt lgkmcnt(0)
	v_fma_f64 v[10:11], v[113:114], v[123:124], v[10:11]
	ds_load_b128 v[107:110], v1 offset:688
	ds_load_b128 v[111:114], v1 offset:704
	s_waitcnt vmcnt(2)
	v_fma_f64 v[10:11], v[115:116], v[125:126], v[10:11]
	s_waitcnt lgkmcnt(1)
	s_delay_alu instid0(VALU_DEP_1) | instskip(SKIP_1) | instid1(VALU_DEP_1)
	v_fma_f64 v[10:11], v[117:118], v[107:108], v[10:11]
	s_waitcnt vmcnt(1)
	v_fma_f64 v[6:7], v[6:7], v[109:110], v[10:11]
	s_waitcnt lgkmcnt(0)
	s_delay_alu instid0(VALU_DEP_1) | instskip(SKIP_4) | instid1(VALU_DEP_1)
	v_fma_f64 v[6:7], v[8:9], v[111:112], v[6:7]
	ds_load_b64 v[8:9], v1 offset:720
	s_waitcnt vmcnt(0)
	v_fma_f64 v[6:7], v[103:104], v[113:114], v[6:7]
	s_waitcnt lgkmcnt(0)
	v_fma_f64 v[6:7], v[105:106], v[8:9], v[6:7]
	s_delay_alu instid0(VALU_DEP_1)
	v_add_f64 v[4:5], v[4:5], -v[6:7]
	scratch_store_b64 off, v[4:5], off offset:152
	v_cmpx_lt_u32_e32 18, v0
	s_cbranch_execz .LBB108_243
; %bb.242:
	scratch_load_b64 v[4:5], off, off offset:144
	v_mov_b32_e32 v2, v1
	scratch_store_b64 off, v[1:2], off offset:144
	s_waitcnt vmcnt(0)
	ds_store_b64 v3, v[4:5]
.LBB108_243:
	s_or_b32 exec_lo, exec_lo, s0
	s_waitcnt lgkmcnt(0)
	s_waitcnt_vscnt null, 0x0
	s_barrier
	buffer_gl0_inv
	s_clause 0x4
	scratch_load_b128 v[4:7], off, off offset:144
	scratch_load_b128 v[8:11], off, off offset:160
	;; [unrolled: 1-line block ×5, first 2 shown]
	ds_load_2addr_b64 v[115:118], v1 offset0:65 offset1:66
	ds_load_2addr_b64 v[119:122], v1 offset0:67 offset1:68
	scratch_load_b128 v[123:126], off, off offset:224
	s_mov_b32 s0, exec_lo
	s_waitcnt vmcnt(5) lgkmcnt(1)
	v_fma_f64 v[6:7], v[6:7], v[115:116], 0
	s_waitcnt vmcnt(4)
	s_delay_alu instid0(VALU_DEP_1) | instskip(SKIP_1) | instid1(VALU_DEP_1)
	v_fma_f64 v[6:7], v[8:9], v[117:118], v[6:7]
	s_waitcnt lgkmcnt(0)
	v_fma_f64 v[10:11], v[10:11], v[119:120], v[6:7]
	scratch_load_b128 v[6:9], off, off offset:240
	s_waitcnt vmcnt(4)
	v_fma_f64 v[10:11], v[103:104], v[121:122], v[10:11]
	ds_load_2addr_b64 v[115:118], v1 offset0:69 offset1:70
	ds_load_2addr_b64 v[119:122], v1 offset0:71 offset1:72
	s_waitcnt lgkmcnt(1)
	v_fma_f64 v[10:11], v[105:106], v[115:116], v[10:11]
	scratch_load_b128 v[103:106], off, off offset:256
	s_waitcnt vmcnt(4)
	v_fma_f64 v[10:11], v[107:108], v[117:118], v[10:11]
	s_waitcnt lgkmcnt(0)
	s_delay_alu instid0(VALU_DEP_1)
	v_fma_f64 v[10:11], v[109:110], v[119:120], v[10:11]
	scratch_load_b128 v[107:110], off, off offset:272
	s_waitcnt vmcnt(4)
	v_fma_f64 v[10:11], v[111:112], v[121:122], v[10:11]
	ds_load_2addr_b64 v[115:118], v1 offset0:73 offset1:74
	ds_load_2addr_b64 v[119:122], v1 offset0:75 offset1:76
	s_waitcnt lgkmcnt(1)
	v_fma_f64 v[10:11], v[113:114], v[115:116], v[10:11]
	scratch_load_b128 v[111:114], off, off offset:288
	s_waitcnt vmcnt(4)
	v_fma_f64 v[10:11], v[123:124], v[117:118], v[10:11]
	scratch_load_b128 v[115:118], off, off offset:304
	s_waitcnt lgkmcnt(0)
	v_fma_f64 v[10:11], v[125:126], v[119:120], v[10:11]
	s_waitcnt vmcnt(4)
	s_delay_alu instid0(VALU_DEP_1)
	v_fma_f64 v[6:7], v[6:7], v[121:122], v[10:11]
	ds_load_2addr_b64 v[119:122], v1 offset0:77 offset1:78
	ds_load_2addr_b64 v[123:126], v1 offset0:79 offset1:80
	s_waitcnt lgkmcnt(1)
	v_fma_f64 v[10:11], v[8:9], v[119:120], v[6:7]
	scratch_load_b128 v[6:9], off, off offset:320
	s_waitcnt vmcnt(4)
	v_fma_f64 v[10:11], v[103:104], v[121:122], v[10:11]
	s_waitcnt lgkmcnt(0)
	s_delay_alu instid0(VALU_DEP_1)
	v_fma_f64 v[10:11], v[105:106], v[123:124], v[10:11]
	scratch_load_b128 v[103:106], off, off offset:336
	s_waitcnt vmcnt(4)
	v_fma_f64 v[10:11], v[107:108], v[125:126], v[10:11]
	ds_load_2addr_b64 v[119:122], v1 offset0:81 offset1:82
	ds_load_2addr_b64 v[123:126], v1 offset0:83 offset1:84
	s_waitcnt lgkmcnt(1)
	v_fma_f64 v[10:11], v[109:110], v[119:120], v[10:11]
	scratch_load_b64 v[119:120], off, off offset:352
	s_waitcnt vmcnt(4)
	v_fma_f64 v[10:11], v[111:112], v[121:122], v[10:11]
	s_waitcnt lgkmcnt(0)
	s_delay_alu instid0(VALU_DEP_1)
	v_fma_f64 v[10:11], v[113:114], v[123:124], v[10:11]
	ds_load_2addr_b64 v[107:110], v1 offset0:85 offset1:86
	ds_load_2addr_b64 v[111:114], v1 offset0:87 offset1:88
	s_waitcnt vmcnt(3)
	v_fma_f64 v[10:11], v[115:116], v[125:126], v[10:11]
	s_waitcnt lgkmcnt(1)
	s_delay_alu instid0(VALU_DEP_1) | instskip(SKIP_1) | instid1(VALU_DEP_1)
	v_fma_f64 v[10:11], v[117:118], v[107:108], v[10:11]
	s_waitcnt vmcnt(2)
	v_fma_f64 v[6:7], v[6:7], v[109:110], v[10:11]
	s_waitcnt lgkmcnt(0)
	s_delay_alu instid0(VALU_DEP_1) | instskip(SKIP_1) | instid1(VALU_DEP_1)
	v_fma_f64 v[6:7], v[8:9], v[111:112], v[6:7]
	s_waitcnt vmcnt(1)
	v_fma_f64 v[10:11], v[103:104], v[113:114], v[6:7]
	ds_load_2addr_b64 v[6:9], v1 offset0:89 offset1:90
	s_waitcnt lgkmcnt(0)
	v_fma_f64 v[1:2], v[105:106], v[6:7], v[10:11]
	s_waitcnt vmcnt(0)
	s_delay_alu instid0(VALU_DEP_1) | instskip(NEXT) | instid1(VALU_DEP_1)
	v_fma_f64 v[1:2], v[119:120], v[8:9], v[1:2]
	v_add_f64 v[1:2], v[4:5], -v[1:2]
	scratch_store_b64 off, v[1:2], off offset:144
	v_cmpx_lt_u32_e32 17, v0
	s_cbranch_execz .LBB108_245
; %bb.244:
	scratch_load_b64 v[1:2], off, off offset:136
	v_mov_b32_e32 v4, 0
	s_delay_alu instid0(VALU_DEP_1)
	v_mov_b32_e32 v5, v4
	scratch_store_b64 off, v[4:5], off offset:136
	s_waitcnt vmcnt(0)
	ds_store_b64 v3, v[1:2]
.LBB108_245:
	s_or_b32 exec_lo, exec_lo, s0
	s_waitcnt lgkmcnt(0)
	s_waitcnt_vscnt null, 0x0
	s_barrier
	buffer_gl0_inv
	s_clause 0x4
	scratch_load_b128 v[4:7], off, off offset:136
	scratch_load_b128 v[8:11], off, off offset:152
	scratch_load_b128 v[103:106], off, off offset:168
	scratch_load_b128 v[107:110], off, off offset:184
	scratch_load_b128 v[111:114], off, off offset:200
	v_mov_b32_e32 v1, 0
	ds_load_b128 v[115:118], v1 offset:512
	ds_load_b128 v[119:122], v1 offset:528
	scratch_load_b128 v[123:126], off, off offset:216
	s_mov_b32 s0, exec_lo
	s_waitcnt vmcnt(5) lgkmcnt(1)
	v_fma_f64 v[6:7], v[6:7], v[115:116], 0
	s_waitcnt vmcnt(4)
	s_delay_alu instid0(VALU_DEP_1) | instskip(SKIP_1) | instid1(VALU_DEP_1)
	v_fma_f64 v[6:7], v[8:9], v[117:118], v[6:7]
	s_waitcnt lgkmcnt(0)
	v_fma_f64 v[10:11], v[10:11], v[119:120], v[6:7]
	scratch_load_b128 v[6:9], off, off offset:232
	s_waitcnt vmcnt(4)
	v_fma_f64 v[10:11], v[103:104], v[121:122], v[10:11]
	ds_load_b128 v[115:118], v1 offset:544
	ds_load_b128 v[119:122], v1 offset:560
	s_waitcnt lgkmcnt(1)
	v_fma_f64 v[10:11], v[105:106], v[115:116], v[10:11]
	scratch_load_b128 v[103:106], off, off offset:248
	s_waitcnt vmcnt(4)
	v_fma_f64 v[10:11], v[107:108], v[117:118], v[10:11]
	s_waitcnt lgkmcnt(0)
	s_delay_alu instid0(VALU_DEP_1)
	v_fma_f64 v[10:11], v[109:110], v[119:120], v[10:11]
	scratch_load_b128 v[107:110], off, off offset:264
	s_waitcnt vmcnt(4)
	v_fma_f64 v[10:11], v[111:112], v[121:122], v[10:11]
	ds_load_b128 v[115:118], v1 offset:576
	ds_load_b128 v[119:122], v1 offset:592
	s_waitcnt lgkmcnt(1)
	v_fma_f64 v[10:11], v[113:114], v[115:116], v[10:11]
	scratch_load_b128 v[111:114], off, off offset:280
	s_waitcnt vmcnt(4)
	v_fma_f64 v[10:11], v[123:124], v[117:118], v[10:11]
	scratch_load_b128 v[115:118], off, off offset:296
	s_waitcnt lgkmcnt(0)
	v_fma_f64 v[10:11], v[125:126], v[119:120], v[10:11]
	s_waitcnt vmcnt(4)
	s_delay_alu instid0(VALU_DEP_1)
	v_fma_f64 v[6:7], v[6:7], v[121:122], v[10:11]
	ds_load_b128 v[119:122], v1 offset:608
	ds_load_b128 v[123:126], v1 offset:624
	s_waitcnt lgkmcnt(1)
	v_fma_f64 v[10:11], v[8:9], v[119:120], v[6:7]
	scratch_load_b128 v[6:9], off, off offset:312
	s_waitcnt vmcnt(4)
	v_fma_f64 v[10:11], v[103:104], v[121:122], v[10:11]
	s_waitcnt lgkmcnt(0)
	s_delay_alu instid0(VALU_DEP_1)
	v_fma_f64 v[10:11], v[105:106], v[123:124], v[10:11]
	scratch_load_b128 v[103:106], off, off offset:328
	s_waitcnt vmcnt(4)
	v_fma_f64 v[10:11], v[107:108], v[125:126], v[10:11]
	ds_load_b128 v[119:122], v1 offset:640
	ds_load_b128 v[123:126], v1 offset:656
	s_waitcnt lgkmcnt(1)
	v_fma_f64 v[10:11], v[109:110], v[119:120], v[10:11]
	scratch_load_b128 v[107:110], off, off offset:344
	s_waitcnt vmcnt(4)
	v_fma_f64 v[10:11], v[111:112], v[121:122], v[10:11]
	s_waitcnt lgkmcnt(0)
	s_delay_alu instid0(VALU_DEP_1)
	v_fma_f64 v[10:11], v[113:114], v[123:124], v[10:11]
	ds_load_b128 v[111:114], v1 offset:672
	ds_load_b128 v[119:122], v1 offset:688
	s_waitcnt vmcnt(3)
	v_fma_f64 v[10:11], v[115:116], v[125:126], v[10:11]
	s_waitcnt lgkmcnt(1)
	s_delay_alu instid0(VALU_DEP_1) | instskip(SKIP_1) | instid1(VALU_DEP_1)
	v_fma_f64 v[10:11], v[117:118], v[111:112], v[10:11]
	s_waitcnt vmcnt(2)
	v_fma_f64 v[6:7], v[6:7], v[113:114], v[10:11]
	s_waitcnt lgkmcnt(0)
	s_delay_alu instid0(VALU_DEP_1) | instskip(SKIP_1) | instid1(VALU_DEP_1)
	v_fma_f64 v[6:7], v[8:9], v[119:120], v[6:7]
	s_waitcnt vmcnt(1)
	v_fma_f64 v[10:11], v[103:104], v[121:122], v[6:7]
	ds_load_b128 v[6:9], v1 offset:704
	ds_load_b64 v[103:104], v1 offset:720
	s_waitcnt lgkmcnt(1)
	v_fma_f64 v[6:7], v[105:106], v[6:7], v[10:11]
	s_waitcnt vmcnt(0)
	s_delay_alu instid0(VALU_DEP_1) | instskip(SKIP_1) | instid1(VALU_DEP_1)
	v_fma_f64 v[6:7], v[107:108], v[8:9], v[6:7]
	s_waitcnt lgkmcnt(0)
	v_fma_f64 v[6:7], v[109:110], v[103:104], v[6:7]
	s_delay_alu instid0(VALU_DEP_1)
	v_add_f64 v[4:5], v[4:5], -v[6:7]
	scratch_store_b64 off, v[4:5], off offset:136
	v_cmpx_lt_u32_e32 16, v0
	s_cbranch_execz .LBB108_247
; %bb.246:
	scratch_load_b64 v[4:5], off, off offset:128
	v_mov_b32_e32 v2, v1
	scratch_store_b64 off, v[1:2], off offset:128
	s_waitcnt vmcnt(0)
	ds_store_b64 v3, v[4:5]
.LBB108_247:
	s_or_b32 exec_lo, exec_lo, s0
	s_waitcnt lgkmcnt(0)
	s_waitcnt_vscnt null, 0x0
	s_barrier
	buffer_gl0_inv
	s_clause 0x4
	scratch_load_b128 v[4:7], off, off offset:128
	scratch_load_b128 v[8:11], off, off offset:144
	;; [unrolled: 1-line block ×5, first 2 shown]
	ds_load_2addr_b64 v[115:118], v1 offset0:63 offset1:64
	ds_load_2addr_b64 v[119:122], v1 offset0:65 offset1:66
	scratch_load_b128 v[123:126], off, off offset:208
	s_mov_b32 s0, exec_lo
	s_waitcnt vmcnt(5) lgkmcnt(1)
	v_fma_f64 v[6:7], v[6:7], v[115:116], 0
	s_waitcnt vmcnt(4)
	s_delay_alu instid0(VALU_DEP_1) | instskip(SKIP_1) | instid1(VALU_DEP_1)
	v_fma_f64 v[6:7], v[8:9], v[117:118], v[6:7]
	s_waitcnt lgkmcnt(0)
	v_fma_f64 v[10:11], v[10:11], v[119:120], v[6:7]
	scratch_load_b128 v[6:9], off, off offset:224
	s_waitcnt vmcnt(4)
	v_fma_f64 v[10:11], v[103:104], v[121:122], v[10:11]
	ds_load_2addr_b64 v[115:118], v1 offset0:67 offset1:68
	ds_load_2addr_b64 v[119:122], v1 offset0:69 offset1:70
	s_waitcnt lgkmcnt(1)
	v_fma_f64 v[10:11], v[105:106], v[115:116], v[10:11]
	scratch_load_b128 v[103:106], off, off offset:240
	s_waitcnt vmcnt(4)
	v_fma_f64 v[10:11], v[107:108], v[117:118], v[10:11]
	s_waitcnt lgkmcnt(0)
	s_delay_alu instid0(VALU_DEP_1)
	v_fma_f64 v[10:11], v[109:110], v[119:120], v[10:11]
	scratch_load_b128 v[107:110], off, off offset:256
	s_waitcnt vmcnt(4)
	v_fma_f64 v[10:11], v[111:112], v[121:122], v[10:11]
	ds_load_2addr_b64 v[115:118], v1 offset0:71 offset1:72
	ds_load_2addr_b64 v[119:122], v1 offset0:73 offset1:74
	s_waitcnt lgkmcnt(1)
	v_fma_f64 v[10:11], v[113:114], v[115:116], v[10:11]
	scratch_load_b128 v[111:114], off, off offset:272
	s_waitcnt vmcnt(4)
	v_fma_f64 v[10:11], v[123:124], v[117:118], v[10:11]
	scratch_load_b128 v[115:118], off, off offset:288
	s_waitcnt lgkmcnt(0)
	v_fma_f64 v[10:11], v[125:126], v[119:120], v[10:11]
	s_waitcnt vmcnt(4)
	s_delay_alu instid0(VALU_DEP_1)
	v_fma_f64 v[6:7], v[6:7], v[121:122], v[10:11]
	ds_load_2addr_b64 v[119:122], v1 offset0:75 offset1:76
	ds_load_2addr_b64 v[123:126], v1 offset0:77 offset1:78
	s_waitcnt lgkmcnt(1)
	v_fma_f64 v[10:11], v[8:9], v[119:120], v[6:7]
	scratch_load_b128 v[6:9], off, off offset:304
	s_waitcnt vmcnt(4)
	v_fma_f64 v[10:11], v[103:104], v[121:122], v[10:11]
	s_waitcnt lgkmcnt(0)
	s_delay_alu instid0(VALU_DEP_1)
	v_fma_f64 v[10:11], v[105:106], v[123:124], v[10:11]
	scratch_load_b128 v[103:106], off, off offset:320
	s_waitcnt vmcnt(4)
	v_fma_f64 v[10:11], v[107:108], v[125:126], v[10:11]
	ds_load_2addr_b64 v[119:122], v1 offset0:79 offset1:80
	ds_load_2addr_b64 v[123:126], v1 offset0:81 offset1:82
	s_waitcnt lgkmcnt(1)
	v_fma_f64 v[10:11], v[109:110], v[119:120], v[10:11]
	scratch_load_b128 v[107:110], off, off offset:336
	s_waitcnt vmcnt(4)
	v_fma_f64 v[10:11], v[111:112], v[121:122], v[10:11]
	s_waitcnt lgkmcnt(0)
	s_delay_alu instid0(VALU_DEP_1)
	v_fma_f64 v[10:11], v[113:114], v[123:124], v[10:11]
	scratch_load_b64 v[123:124], off, off offset:352
	ds_load_2addr_b64 v[111:114], v1 offset0:83 offset1:84
	ds_load_2addr_b64 v[119:122], v1 offset0:85 offset1:86
	s_waitcnt vmcnt(4)
	v_fma_f64 v[10:11], v[115:116], v[125:126], v[10:11]
	s_waitcnt lgkmcnt(1)
	s_delay_alu instid0(VALU_DEP_1) | instskip(SKIP_1) | instid1(VALU_DEP_1)
	v_fma_f64 v[10:11], v[117:118], v[111:112], v[10:11]
	s_waitcnt vmcnt(3)
	v_fma_f64 v[6:7], v[6:7], v[113:114], v[10:11]
	s_waitcnt lgkmcnt(0)
	s_delay_alu instid0(VALU_DEP_1) | instskip(SKIP_1) | instid1(VALU_DEP_1)
	v_fma_f64 v[6:7], v[8:9], v[119:120], v[6:7]
	s_waitcnt vmcnt(2)
	v_fma_f64 v[10:11], v[103:104], v[121:122], v[6:7]
	ds_load_2addr_b64 v[6:9], v1 offset0:87 offset1:88
	ds_load_2addr_b64 v[111:114], v1 offset0:89 offset1:90
	s_waitcnt lgkmcnt(1)
	v_fma_f64 v[1:2], v[105:106], v[6:7], v[10:11]
	s_waitcnt vmcnt(1)
	s_delay_alu instid0(VALU_DEP_1) | instskip(SKIP_1) | instid1(VALU_DEP_1)
	v_fma_f64 v[1:2], v[107:108], v[8:9], v[1:2]
	s_waitcnt lgkmcnt(0)
	v_fma_f64 v[1:2], v[109:110], v[111:112], v[1:2]
	s_waitcnt vmcnt(0)
	s_delay_alu instid0(VALU_DEP_1) | instskip(NEXT) | instid1(VALU_DEP_1)
	v_fma_f64 v[1:2], v[123:124], v[113:114], v[1:2]
	v_add_f64 v[1:2], v[4:5], -v[1:2]
	scratch_store_b64 off, v[1:2], off offset:128
	v_cmpx_lt_u32_e32 15, v0
	s_cbranch_execz .LBB108_249
; %bb.248:
	scratch_load_b64 v[1:2], off, off offset:120
	v_mov_b32_e32 v4, 0
	s_delay_alu instid0(VALU_DEP_1)
	v_mov_b32_e32 v5, v4
	scratch_store_b64 off, v[4:5], off offset:120
	s_waitcnt vmcnt(0)
	ds_store_b64 v3, v[1:2]
.LBB108_249:
	s_or_b32 exec_lo, exec_lo, s0
	s_waitcnt lgkmcnt(0)
	s_waitcnt_vscnt null, 0x0
	s_barrier
	buffer_gl0_inv
	s_clause 0x4
	scratch_load_b128 v[4:7], off, off offset:120
	scratch_load_b128 v[8:11], off, off offset:136
	scratch_load_b128 v[103:106], off, off offset:152
	scratch_load_b128 v[107:110], off, off offset:168
	scratch_load_b128 v[111:114], off, off offset:184
	v_mov_b32_e32 v1, 0
	ds_load_b128 v[115:118], v1 offset:496
	ds_load_b128 v[119:122], v1 offset:512
	scratch_load_b128 v[123:126], off, off offset:200
	s_mov_b32 s0, exec_lo
	s_waitcnt vmcnt(5) lgkmcnt(1)
	v_fma_f64 v[6:7], v[6:7], v[115:116], 0
	s_waitcnt vmcnt(4)
	s_delay_alu instid0(VALU_DEP_1) | instskip(SKIP_1) | instid1(VALU_DEP_1)
	v_fma_f64 v[6:7], v[8:9], v[117:118], v[6:7]
	s_waitcnt lgkmcnt(0)
	v_fma_f64 v[10:11], v[10:11], v[119:120], v[6:7]
	scratch_load_b128 v[6:9], off, off offset:216
	s_waitcnt vmcnt(4)
	v_fma_f64 v[10:11], v[103:104], v[121:122], v[10:11]
	ds_load_b128 v[115:118], v1 offset:528
	ds_load_b128 v[119:122], v1 offset:544
	s_waitcnt lgkmcnt(1)
	v_fma_f64 v[10:11], v[105:106], v[115:116], v[10:11]
	scratch_load_b128 v[103:106], off, off offset:232
	s_waitcnt vmcnt(4)
	v_fma_f64 v[10:11], v[107:108], v[117:118], v[10:11]
	s_waitcnt lgkmcnt(0)
	s_delay_alu instid0(VALU_DEP_1)
	v_fma_f64 v[10:11], v[109:110], v[119:120], v[10:11]
	scratch_load_b128 v[107:110], off, off offset:248
	s_waitcnt vmcnt(4)
	v_fma_f64 v[10:11], v[111:112], v[121:122], v[10:11]
	ds_load_b128 v[115:118], v1 offset:560
	ds_load_b128 v[119:122], v1 offset:576
	s_waitcnt lgkmcnt(1)
	v_fma_f64 v[10:11], v[113:114], v[115:116], v[10:11]
	scratch_load_b128 v[111:114], off, off offset:264
	s_waitcnt vmcnt(4)
	v_fma_f64 v[10:11], v[123:124], v[117:118], v[10:11]
	scratch_load_b128 v[115:118], off, off offset:280
	s_waitcnt lgkmcnt(0)
	v_fma_f64 v[10:11], v[125:126], v[119:120], v[10:11]
	s_waitcnt vmcnt(4)
	s_delay_alu instid0(VALU_DEP_1)
	v_fma_f64 v[6:7], v[6:7], v[121:122], v[10:11]
	ds_load_b128 v[119:122], v1 offset:592
	ds_load_b128 v[123:126], v1 offset:608
	s_waitcnt lgkmcnt(1)
	v_fma_f64 v[10:11], v[8:9], v[119:120], v[6:7]
	scratch_load_b128 v[6:9], off, off offset:296
	s_waitcnt vmcnt(4)
	v_fma_f64 v[10:11], v[103:104], v[121:122], v[10:11]
	s_waitcnt lgkmcnt(0)
	s_delay_alu instid0(VALU_DEP_1)
	v_fma_f64 v[10:11], v[105:106], v[123:124], v[10:11]
	scratch_load_b128 v[103:106], off, off offset:312
	s_waitcnt vmcnt(4)
	v_fma_f64 v[10:11], v[107:108], v[125:126], v[10:11]
	ds_load_b128 v[119:122], v1 offset:624
	ds_load_b128 v[123:126], v1 offset:640
	s_waitcnt lgkmcnt(1)
	v_fma_f64 v[10:11], v[109:110], v[119:120], v[10:11]
	scratch_load_b128 v[107:110], off, off offset:328
	s_waitcnt vmcnt(4)
	v_fma_f64 v[10:11], v[111:112], v[121:122], v[10:11]
	s_waitcnt lgkmcnt(0)
	s_delay_alu instid0(VALU_DEP_1)
	v_fma_f64 v[10:11], v[113:114], v[123:124], v[10:11]
	scratch_load_b128 v[111:114], off, off offset:344
	s_waitcnt vmcnt(4)
	v_fma_f64 v[10:11], v[115:116], v[125:126], v[10:11]
	ds_load_b128 v[119:122], v1 offset:656
	ds_load_b128 v[123:126], v1 offset:672
	s_waitcnt lgkmcnt(1)
	v_fma_f64 v[10:11], v[117:118], v[119:120], v[10:11]
	s_waitcnt vmcnt(3)
	s_delay_alu instid0(VALU_DEP_1) | instskip(SKIP_1) | instid1(VALU_DEP_1)
	v_fma_f64 v[6:7], v[6:7], v[121:122], v[10:11]
	s_waitcnt lgkmcnt(0)
	v_fma_f64 v[6:7], v[8:9], v[123:124], v[6:7]
	s_waitcnt vmcnt(2)
	s_delay_alu instid0(VALU_DEP_1)
	v_fma_f64 v[10:11], v[103:104], v[125:126], v[6:7]
	ds_load_b128 v[6:9], v1 offset:688
	ds_load_b128 v[115:118], v1 offset:704
	s_waitcnt lgkmcnt(1)
	v_fma_f64 v[6:7], v[105:106], v[6:7], v[10:11]
	s_waitcnt vmcnt(1)
	s_delay_alu instid0(VALU_DEP_1) | instskip(SKIP_4) | instid1(VALU_DEP_1)
	v_fma_f64 v[6:7], v[107:108], v[8:9], v[6:7]
	ds_load_b64 v[8:9], v1 offset:720
	s_waitcnt lgkmcnt(1)
	v_fma_f64 v[6:7], v[109:110], v[115:116], v[6:7]
	s_waitcnt vmcnt(0)
	v_fma_f64 v[6:7], v[111:112], v[117:118], v[6:7]
	s_waitcnt lgkmcnt(0)
	s_delay_alu instid0(VALU_DEP_1) | instskip(NEXT) | instid1(VALU_DEP_1)
	v_fma_f64 v[6:7], v[113:114], v[8:9], v[6:7]
	v_add_f64 v[4:5], v[4:5], -v[6:7]
	scratch_store_b64 off, v[4:5], off offset:120
	v_cmpx_lt_u32_e32 14, v0
	s_cbranch_execz .LBB108_251
; %bb.250:
	scratch_load_b64 v[4:5], off, off offset:112
	v_mov_b32_e32 v2, v1
	scratch_store_b64 off, v[1:2], off offset:112
	s_waitcnt vmcnt(0)
	ds_store_b64 v3, v[4:5]
.LBB108_251:
	s_or_b32 exec_lo, exec_lo, s0
	s_waitcnt lgkmcnt(0)
	s_waitcnt_vscnt null, 0x0
	s_barrier
	buffer_gl0_inv
	s_clause 0x4
	scratch_load_b128 v[4:7], off, off offset:112
	scratch_load_b128 v[8:11], off, off offset:128
	;; [unrolled: 1-line block ×5, first 2 shown]
	ds_load_2addr_b64 v[115:118], v1 offset0:61 offset1:62
	ds_load_2addr_b64 v[119:122], v1 offset0:63 offset1:64
	scratch_load_b128 v[123:126], off, off offset:192
	s_mov_b32 s0, exec_lo
	s_waitcnt vmcnt(5) lgkmcnt(1)
	v_fma_f64 v[6:7], v[6:7], v[115:116], 0
	s_waitcnt vmcnt(4)
	s_delay_alu instid0(VALU_DEP_1) | instskip(SKIP_1) | instid1(VALU_DEP_1)
	v_fma_f64 v[6:7], v[8:9], v[117:118], v[6:7]
	s_waitcnt lgkmcnt(0)
	v_fma_f64 v[10:11], v[10:11], v[119:120], v[6:7]
	scratch_load_b128 v[6:9], off, off offset:208
	s_waitcnt vmcnt(4)
	v_fma_f64 v[10:11], v[103:104], v[121:122], v[10:11]
	ds_load_2addr_b64 v[115:118], v1 offset0:65 offset1:66
	ds_load_2addr_b64 v[119:122], v1 offset0:67 offset1:68
	s_waitcnt lgkmcnt(1)
	v_fma_f64 v[10:11], v[105:106], v[115:116], v[10:11]
	scratch_load_b128 v[103:106], off, off offset:224
	s_waitcnt vmcnt(4)
	v_fma_f64 v[10:11], v[107:108], v[117:118], v[10:11]
	s_waitcnt lgkmcnt(0)
	s_delay_alu instid0(VALU_DEP_1)
	v_fma_f64 v[10:11], v[109:110], v[119:120], v[10:11]
	scratch_load_b128 v[107:110], off, off offset:240
	s_waitcnt vmcnt(4)
	v_fma_f64 v[10:11], v[111:112], v[121:122], v[10:11]
	ds_load_2addr_b64 v[115:118], v1 offset0:69 offset1:70
	ds_load_2addr_b64 v[119:122], v1 offset0:71 offset1:72
	s_waitcnt lgkmcnt(1)
	v_fma_f64 v[10:11], v[113:114], v[115:116], v[10:11]
	scratch_load_b128 v[111:114], off, off offset:256
	s_waitcnt vmcnt(4)
	v_fma_f64 v[10:11], v[123:124], v[117:118], v[10:11]
	scratch_load_b128 v[115:118], off, off offset:272
	s_waitcnt lgkmcnt(0)
	v_fma_f64 v[10:11], v[125:126], v[119:120], v[10:11]
	s_waitcnt vmcnt(4)
	s_delay_alu instid0(VALU_DEP_1)
	v_fma_f64 v[6:7], v[6:7], v[121:122], v[10:11]
	ds_load_2addr_b64 v[119:122], v1 offset0:73 offset1:74
	ds_load_2addr_b64 v[123:126], v1 offset0:75 offset1:76
	s_waitcnt lgkmcnt(1)
	v_fma_f64 v[10:11], v[8:9], v[119:120], v[6:7]
	scratch_load_b128 v[6:9], off, off offset:288
	s_waitcnt vmcnt(4)
	v_fma_f64 v[10:11], v[103:104], v[121:122], v[10:11]
	s_waitcnt lgkmcnt(0)
	s_delay_alu instid0(VALU_DEP_1)
	v_fma_f64 v[10:11], v[105:106], v[123:124], v[10:11]
	scratch_load_b128 v[103:106], off, off offset:304
	s_waitcnt vmcnt(4)
	v_fma_f64 v[10:11], v[107:108], v[125:126], v[10:11]
	ds_load_2addr_b64 v[119:122], v1 offset0:77 offset1:78
	ds_load_2addr_b64 v[123:126], v1 offset0:79 offset1:80
	s_waitcnt lgkmcnt(1)
	v_fma_f64 v[10:11], v[109:110], v[119:120], v[10:11]
	scratch_load_b128 v[107:110], off, off offset:320
	s_waitcnt vmcnt(4)
	v_fma_f64 v[10:11], v[111:112], v[121:122], v[10:11]
	s_waitcnt lgkmcnt(0)
	s_delay_alu instid0(VALU_DEP_1)
	v_fma_f64 v[10:11], v[113:114], v[123:124], v[10:11]
	scratch_load_b128 v[111:114], off, off offset:336
	s_waitcnt vmcnt(4)
	v_fma_f64 v[10:11], v[115:116], v[125:126], v[10:11]
	ds_load_2addr_b64 v[119:122], v1 offset0:81 offset1:82
	ds_load_2addr_b64 v[123:126], v1 offset0:83 offset1:84
	s_waitcnt lgkmcnt(1)
	v_fma_f64 v[10:11], v[117:118], v[119:120], v[10:11]
	scratch_load_b64 v[119:120], off, off offset:352
	s_waitcnt vmcnt(4)
	v_fma_f64 v[6:7], v[6:7], v[121:122], v[10:11]
	s_waitcnt lgkmcnt(0)
	s_delay_alu instid0(VALU_DEP_1) | instskip(SKIP_1) | instid1(VALU_DEP_1)
	v_fma_f64 v[6:7], v[8:9], v[123:124], v[6:7]
	s_waitcnt vmcnt(3)
	v_fma_f64 v[10:11], v[103:104], v[125:126], v[6:7]
	ds_load_2addr_b64 v[6:9], v1 offset0:85 offset1:86
	ds_load_2addr_b64 v[115:118], v1 offset0:87 offset1:88
	s_waitcnt lgkmcnt(1)
	v_fma_f64 v[6:7], v[105:106], v[6:7], v[10:11]
	s_waitcnt vmcnt(2)
	s_delay_alu instid0(VALU_DEP_1) | instskip(SKIP_1) | instid1(VALU_DEP_1)
	v_fma_f64 v[6:7], v[107:108], v[8:9], v[6:7]
	s_waitcnt lgkmcnt(0)
	v_fma_f64 v[6:7], v[109:110], v[115:116], v[6:7]
	s_waitcnt vmcnt(1)
	s_delay_alu instid0(VALU_DEP_1) | instskip(SKIP_4) | instid1(VALU_DEP_1)
	v_fma_f64 v[10:11], v[111:112], v[117:118], v[6:7]
	ds_load_2addr_b64 v[6:9], v1 offset0:89 offset1:90
	s_waitcnt lgkmcnt(0)
	v_fma_f64 v[1:2], v[113:114], v[6:7], v[10:11]
	s_waitcnt vmcnt(0)
	v_fma_f64 v[1:2], v[119:120], v[8:9], v[1:2]
	s_delay_alu instid0(VALU_DEP_1)
	v_add_f64 v[1:2], v[4:5], -v[1:2]
	scratch_store_b64 off, v[1:2], off offset:112
	v_cmpx_lt_u32_e32 13, v0
	s_cbranch_execz .LBB108_253
; %bb.252:
	scratch_load_b64 v[1:2], off, off offset:104
	v_mov_b32_e32 v4, 0
	s_delay_alu instid0(VALU_DEP_1)
	v_mov_b32_e32 v5, v4
	scratch_store_b64 off, v[4:5], off offset:104
	s_waitcnt vmcnt(0)
	ds_store_b64 v3, v[1:2]
.LBB108_253:
	s_or_b32 exec_lo, exec_lo, s0
	s_waitcnt lgkmcnt(0)
	s_waitcnt_vscnt null, 0x0
	s_barrier
	buffer_gl0_inv
	s_clause 0x4
	scratch_load_b128 v[4:7], off, off offset:104
	scratch_load_b128 v[8:11], off, off offset:120
	;; [unrolled: 1-line block ×5, first 2 shown]
	v_mov_b32_e32 v1, 0
	ds_load_b128 v[115:118], v1 offset:480
	ds_load_b128 v[119:122], v1 offset:496
	scratch_load_b128 v[123:126], off, off offset:184
	s_mov_b32 s0, exec_lo
	s_waitcnt vmcnt(5) lgkmcnt(1)
	v_fma_f64 v[6:7], v[6:7], v[115:116], 0
	s_waitcnt vmcnt(4)
	s_delay_alu instid0(VALU_DEP_1) | instskip(SKIP_1) | instid1(VALU_DEP_1)
	v_fma_f64 v[6:7], v[8:9], v[117:118], v[6:7]
	s_waitcnt lgkmcnt(0)
	v_fma_f64 v[10:11], v[10:11], v[119:120], v[6:7]
	scratch_load_b128 v[6:9], off, off offset:200
	s_waitcnt vmcnt(4)
	v_fma_f64 v[10:11], v[103:104], v[121:122], v[10:11]
	ds_load_b128 v[115:118], v1 offset:512
	ds_load_b128 v[119:122], v1 offset:528
	s_waitcnt lgkmcnt(1)
	v_fma_f64 v[10:11], v[105:106], v[115:116], v[10:11]
	scratch_load_b128 v[103:106], off, off offset:216
	s_waitcnt vmcnt(4)
	v_fma_f64 v[10:11], v[107:108], v[117:118], v[10:11]
	s_waitcnt lgkmcnt(0)
	s_delay_alu instid0(VALU_DEP_1)
	v_fma_f64 v[10:11], v[109:110], v[119:120], v[10:11]
	scratch_load_b128 v[107:110], off, off offset:232
	s_waitcnt vmcnt(4)
	v_fma_f64 v[10:11], v[111:112], v[121:122], v[10:11]
	ds_load_b128 v[115:118], v1 offset:544
	ds_load_b128 v[119:122], v1 offset:560
	s_waitcnt lgkmcnt(1)
	v_fma_f64 v[10:11], v[113:114], v[115:116], v[10:11]
	scratch_load_b128 v[111:114], off, off offset:248
	s_waitcnt vmcnt(4)
	v_fma_f64 v[10:11], v[123:124], v[117:118], v[10:11]
	scratch_load_b128 v[115:118], off, off offset:264
	s_waitcnt lgkmcnt(0)
	v_fma_f64 v[10:11], v[125:126], v[119:120], v[10:11]
	s_waitcnt vmcnt(4)
	s_delay_alu instid0(VALU_DEP_1)
	v_fma_f64 v[6:7], v[6:7], v[121:122], v[10:11]
	ds_load_b128 v[119:122], v1 offset:576
	ds_load_b128 v[123:126], v1 offset:592
	s_waitcnt lgkmcnt(1)
	v_fma_f64 v[10:11], v[8:9], v[119:120], v[6:7]
	scratch_load_b128 v[6:9], off, off offset:280
	s_waitcnt vmcnt(4)
	v_fma_f64 v[10:11], v[103:104], v[121:122], v[10:11]
	s_waitcnt lgkmcnt(0)
	s_delay_alu instid0(VALU_DEP_1)
	v_fma_f64 v[10:11], v[105:106], v[123:124], v[10:11]
	scratch_load_b128 v[103:106], off, off offset:296
	s_waitcnt vmcnt(4)
	v_fma_f64 v[10:11], v[107:108], v[125:126], v[10:11]
	ds_load_b128 v[119:122], v1 offset:608
	ds_load_b128 v[123:126], v1 offset:624
	s_waitcnt lgkmcnt(1)
	v_fma_f64 v[10:11], v[109:110], v[119:120], v[10:11]
	scratch_load_b128 v[107:110], off, off offset:312
	s_waitcnt vmcnt(4)
	v_fma_f64 v[10:11], v[111:112], v[121:122], v[10:11]
	s_waitcnt lgkmcnt(0)
	s_delay_alu instid0(VALU_DEP_1)
	v_fma_f64 v[10:11], v[113:114], v[123:124], v[10:11]
	scratch_load_b128 v[111:114], off, off offset:328
	s_waitcnt vmcnt(4)
	v_fma_f64 v[10:11], v[115:116], v[125:126], v[10:11]
	ds_load_b128 v[119:122], v1 offset:640
	ds_load_b128 v[123:126], v1 offset:656
	s_waitcnt lgkmcnt(1)
	v_fma_f64 v[10:11], v[117:118], v[119:120], v[10:11]
	scratch_load_b128 v[115:118], off, off offset:344
	s_waitcnt vmcnt(4)
	v_fma_f64 v[6:7], v[6:7], v[121:122], v[10:11]
	s_waitcnt lgkmcnt(0)
	s_delay_alu instid0(VALU_DEP_1) | instskip(SKIP_1) | instid1(VALU_DEP_1)
	v_fma_f64 v[6:7], v[8:9], v[123:124], v[6:7]
	s_waitcnt vmcnt(3)
	v_fma_f64 v[10:11], v[103:104], v[125:126], v[6:7]
	ds_load_b128 v[6:9], v1 offset:672
	ds_load_b128 v[119:122], v1 offset:688
	s_waitcnt lgkmcnt(1)
	v_fma_f64 v[6:7], v[105:106], v[6:7], v[10:11]
	s_waitcnt vmcnt(2)
	s_delay_alu instid0(VALU_DEP_1) | instskip(SKIP_1) | instid1(VALU_DEP_1)
	v_fma_f64 v[6:7], v[107:108], v[8:9], v[6:7]
	s_waitcnt lgkmcnt(0)
	v_fma_f64 v[6:7], v[109:110], v[119:120], v[6:7]
	s_waitcnt vmcnt(1)
	s_delay_alu instid0(VALU_DEP_1)
	v_fma_f64 v[10:11], v[111:112], v[121:122], v[6:7]
	ds_load_b128 v[6:9], v1 offset:704
	ds_load_b64 v[103:104], v1 offset:720
	s_waitcnt lgkmcnt(1)
	v_fma_f64 v[6:7], v[113:114], v[6:7], v[10:11]
	s_waitcnt vmcnt(0)
	s_delay_alu instid0(VALU_DEP_1) | instskip(SKIP_1) | instid1(VALU_DEP_1)
	v_fma_f64 v[6:7], v[115:116], v[8:9], v[6:7]
	s_waitcnt lgkmcnt(0)
	v_fma_f64 v[6:7], v[117:118], v[103:104], v[6:7]
	s_delay_alu instid0(VALU_DEP_1)
	v_add_f64 v[4:5], v[4:5], -v[6:7]
	scratch_store_b64 off, v[4:5], off offset:104
	v_cmpx_lt_u32_e32 12, v0
	s_cbranch_execz .LBB108_255
; %bb.254:
	scratch_load_b64 v[4:5], off, off offset:96
	v_mov_b32_e32 v2, v1
	scratch_store_b64 off, v[1:2], off offset:96
	s_waitcnt vmcnt(0)
	ds_store_b64 v3, v[4:5]
.LBB108_255:
	s_or_b32 exec_lo, exec_lo, s0
	s_waitcnt lgkmcnt(0)
	s_waitcnt_vscnt null, 0x0
	s_barrier
	buffer_gl0_inv
	s_clause 0x4
	scratch_load_b128 v[4:7], off, off offset:96
	scratch_load_b128 v[8:11], off, off offset:112
	;; [unrolled: 1-line block ×5, first 2 shown]
	ds_load_2addr_b64 v[115:118], v1 offset0:59 offset1:60
	ds_load_2addr_b64 v[119:122], v1 offset0:61 offset1:62
	scratch_load_b128 v[123:126], off, off offset:176
	s_mov_b32 s0, exec_lo
	s_waitcnt vmcnt(5) lgkmcnt(1)
	v_fma_f64 v[6:7], v[6:7], v[115:116], 0
	s_waitcnt vmcnt(4)
	s_delay_alu instid0(VALU_DEP_1) | instskip(SKIP_1) | instid1(VALU_DEP_1)
	v_fma_f64 v[6:7], v[8:9], v[117:118], v[6:7]
	s_waitcnt lgkmcnt(0)
	v_fma_f64 v[10:11], v[10:11], v[119:120], v[6:7]
	scratch_load_b128 v[6:9], off, off offset:192
	s_waitcnt vmcnt(4)
	v_fma_f64 v[10:11], v[103:104], v[121:122], v[10:11]
	ds_load_2addr_b64 v[115:118], v1 offset0:63 offset1:64
	ds_load_2addr_b64 v[119:122], v1 offset0:65 offset1:66
	s_waitcnt lgkmcnt(1)
	v_fma_f64 v[10:11], v[105:106], v[115:116], v[10:11]
	scratch_load_b128 v[103:106], off, off offset:208
	s_waitcnt vmcnt(4)
	v_fma_f64 v[10:11], v[107:108], v[117:118], v[10:11]
	s_waitcnt lgkmcnt(0)
	s_delay_alu instid0(VALU_DEP_1)
	v_fma_f64 v[10:11], v[109:110], v[119:120], v[10:11]
	scratch_load_b128 v[107:110], off, off offset:224
	s_waitcnt vmcnt(4)
	v_fma_f64 v[10:11], v[111:112], v[121:122], v[10:11]
	ds_load_2addr_b64 v[115:118], v1 offset0:67 offset1:68
	ds_load_2addr_b64 v[119:122], v1 offset0:69 offset1:70
	s_waitcnt lgkmcnt(1)
	v_fma_f64 v[10:11], v[113:114], v[115:116], v[10:11]
	scratch_load_b128 v[111:114], off, off offset:240
	s_waitcnt vmcnt(4)
	v_fma_f64 v[10:11], v[123:124], v[117:118], v[10:11]
	scratch_load_b128 v[115:118], off, off offset:256
	s_waitcnt lgkmcnt(0)
	v_fma_f64 v[10:11], v[125:126], v[119:120], v[10:11]
	s_waitcnt vmcnt(4)
	s_delay_alu instid0(VALU_DEP_1)
	v_fma_f64 v[6:7], v[6:7], v[121:122], v[10:11]
	ds_load_2addr_b64 v[119:122], v1 offset0:71 offset1:72
	ds_load_2addr_b64 v[123:126], v1 offset0:73 offset1:74
	s_waitcnt lgkmcnt(1)
	v_fma_f64 v[10:11], v[8:9], v[119:120], v[6:7]
	scratch_load_b128 v[6:9], off, off offset:272
	s_waitcnt vmcnt(4)
	v_fma_f64 v[10:11], v[103:104], v[121:122], v[10:11]
	s_waitcnt lgkmcnt(0)
	s_delay_alu instid0(VALU_DEP_1)
	v_fma_f64 v[10:11], v[105:106], v[123:124], v[10:11]
	scratch_load_b128 v[103:106], off, off offset:288
	s_waitcnt vmcnt(4)
	v_fma_f64 v[10:11], v[107:108], v[125:126], v[10:11]
	ds_load_2addr_b64 v[119:122], v1 offset0:75 offset1:76
	ds_load_2addr_b64 v[123:126], v1 offset0:77 offset1:78
	s_waitcnt lgkmcnt(1)
	v_fma_f64 v[10:11], v[109:110], v[119:120], v[10:11]
	scratch_load_b128 v[107:110], off, off offset:304
	s_waitcnt vmcnt(4)
	v_fma_f64 v[10:11], v[111:112], v[121:122], v[10:11]
	s_waitcnt lgkmcnt(0)
	s_delay_alu instid0(VALU_DEP_1)
	v_fma_f64 v[10:11], v[113:114], v[123:124], v[10:11]
	scratch_load_b128 v[111:114], off, off offset:320
	s_waitcnt vmcnt(4)
	v_fma_f64 v[10:11], v[115:116], v[125:126], v[10:11]
	ds_load_2addr_b64 v[119:122], v1 offset0:79 offset1:80
	ds_load_2addr_b64 v[123:126], v1 offset0:81 offset1:82
	s_waitcnt lgkmcnt(1)
	v_fma_f64 v[10:11], v[117:118], v[119:120], v[10:11]
	scratch_load_b128 v[115:118], off, off offset:336
	s_waitcnt vmcnt(4)
	v_fma_f64 v[6:7], v[6:7], v[121:122], v[10:11]
	scratch_load_b64 v[10:11], off, off offset:352
	s_waitcnt lgkmcnt(0)
	v_fma_f64 v[6:7], v[8:9], v[123:124], v[6:7]
	s_waitcnt vmcnt(4)
	s_delay_alu instid0(VALU_DEP_1)
	v_fma_f64 v[103:104], v[103:104], v[125:126], v[6:7]
	ds_load_2addr_b64 v[6:9], v1 offset0:83 offset1:84
	ds_load_2addr_b64 v[119:122], v1 offset0:85 offset1:86
	s_waitcnt lgkmcnt(1)
	v_fma_f64 v[6:7], v[105:106], v[6:7], v[103:104]
	s_waitcnt vmcnt(3)
	s_delay_alu instid0(VALU_DEP_1) | instskip(SKIP_1) | instid1(VALU_DEP_1)
	v_fma_f64 v[6:7], v[107:108], v[8:9], v[6:7]
	s_waitcnt lgkmcnt(0)
	v_fma_f64 v[6:7], v[109:110], v[119:120], v[6:7]
	s_waitcnt vmcnt(2)
	s_delay_alu instid0(VALU_DEP_1)
	v_fma_f64 v[107:108], v[111:112], v[121:122], v[6:7]
	ds_load_2addr_b64 v[6:9], v1 offset0:87 offset1:88
	ds_load_2addr_b64 v[103:106], v1 offset0:89 offset1:90
	s_waitcnt lgkmcnt(1)
	v_fma_f64 v[1:2], v[113:114], v[6:7], v[107:108]
	s_waitcnt vmcnt(1)
	s_delay_alu instid0(VALU_DEP_1) | instskip(SKIP_1) | instid1(VALU_DEP_1)
	v_fma_f64 v[1:2], v[115:116], v[8:9], v[1:2]
	s_waitcnt lgkmcnt(0)
	v_fma_f64 v[1:2], v[117:118], v[103:104], v[1:2]
	s_waitcnt vmcnt(0)
	s_delay_alu instid0(VALU_DEP_1) | instskip(NEXT) | instid1(VALU_DEP_1)
	v_fma_f64 v[1:2], v[10:11], v[105:106], v[1:2]
	v_add_f64 v[1:2], v[4:5], -v[1:2]
	scratch_store_b64 off, v[1:2], off offset:96
	v_cmpx_lt_u32_e32 11, v0
	s_cbranch_execz .LBB108_257
; %bb.256:
	scratch_load_b64 v[1:2], off, off offset:88
	v_mov_b32_e32 v4, 0
	s_delay_alu instid0(VALU_DEP_1)
	v_mov_b32_e32 v5, v4
	scratch_store_b64 off, v[4:5], off offset:88
	s_waitcnt vmcnt(0)
	ds_store_b64 v3, v[1:2]
.LBB108_257:
	s_or_b32 exec_lo, exec_lo, s0
	s_waitcnt lgkmcnt(0)
	s_waitcnt_vscnt null, 0x0
	s_barrier
	buffer_gl0_inv
	s_clause 0x4
	scratch_load_b128 v[4:7], off, off offset:88
	scratch_load_b128 v[8:11], off, off offset:104
	;; [unrolled: 1-line block ×5, first 2 shown]
	v_mov_b32_e32 v1, 0
	ds_load_b128 v[115:118], v1 offset:464
	ds_load_b128 v[119:122], v1 offset:480
	scratch_load_b128 v[123:126], off, off offset:168
	s_mov_b32 s0, exec_lo
	s_waitcnt vmcnt(5) lgkmcnt(1)
	v_fma_f64 v[6:7], v[6:7], v[115:116], 0
	s_waitcnt vmcnt(4)
	s_delay_alu instid0(VALU_DEP_1) | instskip(SKIP_1) | instid1(VALU_DEP_1)
	v_fma_f64 v[6:7], v[8:9], v[117:118], v[6:7]
	s_waitcnt lgkmcnt(0)
	v_fma_f64 v[10:11], v[10:11], v[119:120], v[6:7]
	scratch_load_b128 v[6:9], off, off offset:184
	s_waitcnt vmcnt(4)
	v_fma_f64 v[10:11], v[103:104], v[121:122], v[10:11]
	ds_load_b128 v[115:118], v1 offset:496
	ds_load_b128 v[119:122], v1 offset:512
	s_waitcnt lgkmcnt(1)
	v_fma_f64 v[10:11], v[105:106], v[115:116], v[10:11]
	scratch_load_b128 v[103:106], off, off offset:200
	s_waitcnt vmcnt(4)
	v_fma_f64 v[10:11], v[107:108], v[117:118], v[10:11]
	s_waitcnt lgkmcnt(0)
	s_delay_alu instid0(VALU_DEP_1)
	v_fma_f64 v[10:11], v[109:110], v[119:120], v[10:11]
	scratch_load_b128 v[107:110], off, off offset:216
	s_waitcnt vmcnt(4)
	v_fma_f64 v[10:11], v[111:112], v[121:122], v[10:11]
	ds_load_b128 v[115:118], v1 offset:528
	ds_load_b128 v[119:122], v1 offset:544
	s_waitcnt lgkmcnt(1)
	v_fma_f64 v[10:11], v[113:114], v[115:116], v[10:11]
	scratch_load_b128 v[111:114], off, off offset:232
	s_waitcnt vmcnt(4)
	v_fma_f64 v[10:11], v[123:124], v[117:118], v[10:11]
	scratch_load_b128 v[115:118], off, off offset:248
	s_waitcnt lgkmcnt(0)
	v_fma_f64 v[10:11], v[125:126], v[119:120], v[10:11]
	s_waitcnt vmcnt(4)
	s_delay_alu instid0(VALU_DEP_1)
	v_fma_f64 v[6:7], v[6:7], v[121:122], v[10:11]
	ds_load_b128 v[119:122], v1 offset:560
	ds_load_b128 v[123:126], v1 offset:576
	s_waitcnt lgkmcnt(1)
	v_fma_f64 v[10:11], v[8:9], v[119:120], v[6:7]
	scratch_load_b128 v[6:9], off, off offset:264
	s_waitcnt vmcnt(4)
	v_fma_f64 v[10:11], v[103:104], v[121:122], v[10:11]
	s_waitcnt lgkmcnt(0)
	s_delay_alu instid0(VALU_DEP_1)
	v_fma_f64 v[10:11], v[105:106], v[123:124], v[10:11]
	scratch_load_b128 v[103:106], off, off offset:280
	s_waitcnt vmcnt(4)
	v_fma_f64 v[10:11], v[107:108], v[125:126], v[10:11]
	ds_load_b128 v[119:122], v1 offset:592
	ds_load_b128 v[123:126], v1 offset:608
	s_waitcnt lgkmcnt(1)
	v_fma_f64 v[10:11], v[109:110], v[119:120], v[10:11]
	scratch_load_b128 v[107:110], off, off offset:296
	s_waitcnt vmcnt(4)
	v_fma_f64 v[10:11], v[111:112], v[121:122], v[10:11]
	s_waitcnt lgkmcnt(0)
	s_delay_alu instid0(VALU_DEP_1)
	v_fma_f64 v[10:11], v[113:114], v[123:124], v[10:11]
	scratch_load_b128 v[111:114], off, off offset:312
	s_waitcnt vmcnt(4)
	;; [unrolled: 13-line block ×3, first 2 shown]
	v_fma_f64 v[10:11], v[103:104], v[125:126], v[10:11]
	ds_load_b128 v[119:122], v1 offset:656
	ds_load_b128 v[123:126], v1 offset:672
	s_waitcnt lgkmcnt(1)
	v_fma_f64 v[10:11], v[105:106], v[119:120], v[10:11]
	s_waitcnt vmcnt(3)
	s_delay_alu instid0(VALU_DEP_1) | instskip(SKIP_1) | instid1(VALU_DEP_1)
	v_fma_f64 v[10:11], v[107:108], v[121:122], v[10:11]
	s_waitcnt lgkmcnt(0)
	v_fma_f64 v[10:11], v[109:110], v[123:124], v[10:11]
	ds_load_b128 v[103:106], v1 offset:688
	ds_load_b128 v[107:110], v1 offset:704
	s_waitcnt vmcnt(2)
	v_fma_f64 v[10:11], v[111:112], v[125:126], v[10:11]
	s_waitcnt lgkmcnt(1)
	s_delay_alu instid0(VALU_DEP_1) | instskip(SKIP_1) | instid1(VALU_DEP_1)
	v_fma_f64 v[10:11], v[113:114], v[103:104], v[10:11]
	s_waitcnt vmcnt(1)
	v_fma_f64 v[10:11], v[115:116], v[105:106], v[10:11]
	s_waitcnt lgkmcnt(0)
	s_delay_alu instid0(VALU_DEP_1) | instskip(SKIP_1) | instid1(VALU_DEP_1)
	v_fma_f64 v[10:11], v[117:118], v[107:108], v[10:11]
	s_waitcnt vmcnt(0)
	v_fma_f64 v[6:7], v[6:7], v[109:110], v[10:11]
	ds_load_b64 v[10:11], v1 offset:720
	s_waitcnt lgkmcnt(0)
	v_fma_f64 v[6:7], v[8:9], v[10:11], v[6:7]
	s_delay_alu instid0(VALU_DEP_1)
	v_add_f64 v[4:5], v[4:5], -v[6:7]
	scratch_store_b64 off, v[4:5], off offset:88
	v_cmpx_lt_u32_e32 10, v0
	s_cbranch_execz .LBB108_259
; %bb.258:
	scratch_load_b64 v[4:5], off, off offset:80
	v_mov_b32_e32 v2, v1
	scratch_store_b64 off, v[1:2], off offset:80
	s_waitcnt vmcnt(0)
	ds_store_b64 v3, v[4:5]
.LBB108_259:
	s_or_b32 exec_lo, exec_lo, s0
	s_waitcnt lgkmcnt(0)
	s_waitcnt_vscnt null, 0x0
	s_barrier
	buffer_gl0_inv
	s_clause 0x4
	scratch_load_b128 v[4:7], off, off offset:80
	scratch_load_b128 v[8:11], off, off offset:96
	;; [unrolled: 1-line block ×5, first 2 shown]
	ds_load_2addr_b64 v[115:118], v1 offset0:57 offset1:58
	ds_load_2addr_b64 v[119:122], v1 offset0:59 offset1:60
	scratch_load_b128 v[123:126], off, off offset:160
	s_mov_b32 s0, exec_lo
	s_waitcnt vmcnt(5) lgkmcnt(1)
	v_fma_f64 v[6:7], v[6:7], v[115:116], 0
	s_waitcnt vmcnt(4)
	s_delay_alu instid0(VALU_DEP_1) | instskip(SKIP_1) | instid1(VALU_DEP_1)
	v_fma_f64 v[6:7], v[8:9], v[117:118], v[6:7]
	s_waitcnt lgkmcnt(0)
	v_fma_f64 v[10:11], v[10:11], v[119:120], v[6:7]
	scratch_load_b128 v[6:9], off, off offset:176
	s_waitcnt vmcnt(4)
	v_fma_f64 v[10:11], v[103:104], v[121:122], v[10:11]
	ds_load_2addr_b64 v[115:118], v1 offset0:61 offset1:62
	ds_load_2addr_b64 v[119:122], v1 offset0:63 offset1:64
	s_waitcnt lgkmcnt(1)
	v_fma_f64 v[10:11], v[105:106], v[115:116], v[10:11]
	scratch_load_b128 v[103:106], off, off offset:192
	s_waitcnt vmcnt(4)
	v_fma_f64 v[10:11], v[107:108], v[117:118], v[10:11]
	s_waitcnt lgkmcnt(0)
	s_delay_alu instid0(VALU_DEP_1)
	v_fma_f64 v[10:11], v[109:110], v[119:120], v[10:11]
	scratch_load_b128 v[107:110], off, off offset:208
	s_waitcnt vmcnt(4)
	v_fma_f64 v[10:11], v[111:112], v[121:122], v[10:11]
	ds_load_2addr_b64 v[115:118], v1 offset0:65 offset1:66
	ds_load_2addr_b64 v[119:122], v1 offset0:67 offset1:68
	s_waitcnt lgkmcnt(1)
	v_fma_f64 v[10:11], v[113:114], v[115:116], v[10:11]
	scratch_load_b128 v[111:114], off, off offset:224
	s_waitcnt vmcnt(4)
	v_fma_f64 v[10:11], v[123:124], v[117:118], v[10:11]
	scratch_load_b128 v[115:118], off, off offset:240
	s_waitcnt lgkmcnt(0)
	v_fma_f64 v[10:11], v[125:126], v[119:120], v[10:11]
	s_waitcnt vmcnt(4)
	s_delay_alu instid0(VALU_DEP_1)
	v_fma_f64 v[6:7], v[6:7], v[121:122], v[10:11]
	ds_load_2addr_b64 v[119:122], v1 offset0:69 offset1:70
	ds_load_2addr_b64 v[123:126], v1 offset0:71 offset1:72
	s_waitcnt lgkmcnt(1)
	v_fma_f64 v[10:11], v[8:9], v[119:120], v[6:7]
	scratch_load_b128 v[6:9], off, off offset:256
	s_waitcnt vmcnt(4)
	v_fma_f64 v[10:11], v[103:104], v[121:122], v[10:11]
	s_waitcnt lgkmcnt(0)
	s_delay_alu instid0(VALU_DEP_1)
	v_fma_f64 v[10:11], v[105:106], v[123:124], v[10:11]
	scratch_load_b128 v[103:106], off, off offset:272
	s_waitcnt vmcnt(4)
	v_fma_f64 v[10:11], v[107:108], v[125:126], v[10:11]
	ds_load_2addr_b64 v[119:122], v1 offset0:73 offset1:74
	ds_load_2addr_b64 v[123:126], v1 offset0:75 offset1:76
	s_waitcnt lgkmcnt(1)
	v_fma_f64 v[10:11], v[109:110], v[119:120], v[10:11]
	scratch_load_b128 v[107:110], off, off offset:288
	s_waitcnt vmcnt(4)
	v_fma_f64 v[10:11], v[111:112], v[121:122], v[10:11]
	s_waitcnt lgkmcnt(0)
	s_delay_alu instid0(VALU_DEP_1)
	v_fma_f64 v[10:11], v[113:114], v[123:124], v[10:11]
	scratch_load_b128 v[111:114], off, off offset:304
	s_waitcnt vmcnt(4)
	;; [unrolled: 13-line block ×3, first 2 shown]
	v_fma_f64 v[10:11], v[103:104], v[125:126], v[10:11]
	ds_load_2addr_b64 v[119:122], v1 offset0:81 offset1:82
	ds_load_2addr_b64 v[123:126], v1 offset0:83 offset1:84
	s_waitcnt lgkmcnt(1)
	v_fma_f64 v[10:11], v[105:106], v[119:120], v[10:11]
	scratch_load_b64 v[119:120], off, off offset:352
	s_waitcnt vmcnt(4)
	v_fma_f64 v[10:11], v[107:108], v[121:122], v[10:11]
	s_waitcnt lgkmcnt(0)
	s_delay_alu instid0(VALU_DEP_1)
	v_fma_f64 v[10:11], v[109:110], v[123:124], v[10:11]
	ds_load_2addr_b64 v[103:106], v1 offset0:85 offset1:86
	ds_load_2addr_b64 v[107:110], v1 offset0:87 offset1:88
	s_waitcnt vmcnt(3)
	v_fma_f64 v[10:11], v[111:112], v[125:126], v[10:11]
	s_waitcnt lgkmcnt(1)
	s_delay_alu instid0(VALU_DEP_1) | instskip(SKIP_1) | instid1(VALU_DEP_1)
	v_fma_f64 v[10:11], v[113:114], v[103:104], v[10:11]
	s_waitcnt vmcnt(2)
	v_fma_f64 v[10:11], v[115:116], v[105:106], v[10:11]
	ds_load_2addr_b64 v[103:106], v1 offset0:89 offset1:90
	s_waitcnt lgkmcnt(1)
	v_fma_f64 v[10:11], v[117:118], v[107:108], v[10:11]
	s_waitcnt vmcnt(1)
	s_delay_alu instid0(VALU_DEP_1) | instskip(SKIP_1) | instid1(VALU_DEP_1)
	v_fma_f64 v[6:7], v[6:7], v[109:110], v[10:11]
	s_waitcnt lgkmcnt(0)
	v_fma_f64 v[1:2], v[8:9], v[103:104], v[6:7]
	s_waitcnt vmcnt(0)
	s_delay_alu instid0(VALU_DEP_1) | instskip(NEXT) | instid1(VALU_DEP_1)
	v_fma_f64 v[1:2], v[119:120], v[105:106], v[1:2]
	v_add_f64 v[1:2], v[4:5], -v[1:2]
	scratch_store_b64 off, v[1:2], off offset:80
	v_cmpx_lt_u32_e32 9, v0
	s_cbranch_execz .LBB108_261
; %bb.260:
	scratch_load_b64 v[1:2], off, off offset:72
	v_mov_b32_e32 v4, 0
	s_delay_alu instid0(VALU_DEP_1)
	v_mov_b32_e32 v5, v4
	scratch_store_b64 off, v[4:5], off offset:72
	s_waitcnt vmcnt(0)
	ds_store_b64 v3, v[1:2]
.LBB108_261:
	s_or_b32 exec_lo, exec_lo, s0
	s_waitcnt lgkmcnt(0)
	s_waitcnt_vscnt null, 0x0
	s_barrier
	buffer_gl0_inv
	s_clause 0x4
	scratch_load_b128 v[4:7], off, off offset:72
	scratch_load_b128 v[8:11], off, off offset:88
	;; [unrolled: 1-line block ×5, first 2 shown]
	v_mov_b32_e32 v1, 0
	ds_load_b128 v[115:118], v1 offset:448
	ds_load_b128 v[119:122], v1 offset:464
	scratch_load_b128 v[123:126], off, off offset:152
	s_mov_b32 s0, exec_lo
	s_waitcnt vmcnt(5) lgkmcnt(1)
	v_fma_f64 v[6:7], v[6:7], v[115:116], 0
	s_waitcnt vmcnt(4)
	s_delay_alu instid0(VALU_DEP_1) | instskip(SKIP_1) | instid1(VALU_DEP_1)
	v_fma_f64 v[6:7], v[8:9], v[117:118], v[6:7]
	s_waitcnt lgkmcnt(0)
	v_fma_f64 v[10:11], v[10:11], v[119:120], v[6:7]
	scratch_load_b128 v[6:9], off, off offset:168
	s_waitcnt vmcnt(4)
	v_fma_f64 v[10:11], v[103:104], v[121:122], v[10:11]
	ds_load_b128 v[115:118], v1 offset:480
	ds_load_b128 v[119:122], v1 offset:496
	s_waitcnt lgkmcnt(1)
	v_fma_f64 v[10:11], v[105:106], v[115:116], v[10:11]
	scratch_load_b128 v[103:106], off, off offset:184
	s_waitcnt vmcnt(4)
	v_fma_f64 v[10:11], v[107:108], v[117:118], v[10:11]
	s_waitcnt lgkmcnt(0)
	s_delay_alu instid0(VALU_DEP_1)
	v_fma_f64 v[10:11], v[109:110], v[119:120], v[10:11]
	scratch_load_b128 v[107:110], off, off offset:200
	s_waitcnt vmcnt(4)
	v_fma_f64 v[10:11], v[111:112], v[121:122], v[10:11]
	ds_load_b128 v[115:118], v1 offset:512
	ds_load_b128 v[119:122], v1 offset:528
	s_waitcnt lgkmcnt(1)
	v_fma_f64 v[10:11], v[113:114], v[115:116], v[10:11]
	scratch_load_b128 v[111:114], off, off offset:216
	s_waitcnt vmcnt(4)
	v_fma_f64 v[10:11], v[123:124], v[117:118], v[10:11]
	scratch_load_b128 v[115:118], off, off offset:232
	s_waitcnt lgkmcnt(0)
	v_fma_f64 v[10:11], v[125:126], v[119:120], v[10:11]
	s_waitcnt vmcnt(4)
	s_delay_alu instid0(VALU_DEP_1)
	v_fma_f64 v[6:7], v[6:7], v[121:122], v[10:11]
	ds_load_b128 v[119:122], v1 offset:544
	ds_load_b128 v[123:126], v1 offset:560
	s_waitcnt lgkmcnt(1)
	v_fma_f64 v[10:11], v[8:9], v[119:120], v[6:7]
	scratch_load_b128 v[6:9], off, off offset:248
	s_waitcnt vmcnt(4)
	v_fma_f64 v[10:11], v[103:104], v[121:122], v[10:11]
	s_waitcnt lgkmcnt(0)
	s_delay_alu instid0(VALU_DEP_1)
	v_fma_f64 v[10:11], v[105:106], v[123:124], v[10:11]
	scratch_load_b128 v[103:106], off, off offset:264
	s_waitcnt vmcnt(4)
	v_fma_f64 v[10:11], v[107:108], v[125:126], v[10:11]
	ds_load_b128 v[119:122], v1 offset:576
	ds_load_b128 v[123:126], v1 offset:592
	s_waitcnt lgkmcnt(1)
	v_fma_f64 v[10:11], v[109:110], v[119:120], v[10:11]
	scratch_load_b128 v[107:110], off, off offset:280
	s_waitcnt vmcnt(4)
	v_fma_f64 v[10:11], v[111:112], v[121:122], v[10:11]
	s_waitcnt lgkmcnt(0)
	s_delay_alu instid0(VALU_DEP_1)
	v_fma_f64 v[10:11], v[113:114], v[123:124], v[10:11]
	scratch_load_b128 v[111:114], off, off offset:296
	s_waitcnt vmcnt(4)
	;; [unrolled: 13-line block ×3, first 2 shown]
	v_fma_f64 v[10:11], v[103:104], v[125:126], v[10:11]
	ds_load_b128 v[119:122], v1 offset:640
	ds_load_b128 v[123:126], v1 offset:656
	s_waitcnt lgkmcnt(1)
	v_fma_f64 v[10:11], v[105:106], v[119:120], v[10:11]
	scratch_load_b128 v[103:106], off, off offset:344
	s_waitcnt vmcnt(4)
	v_fma_f64 v[10:11], v[107:108], v[121:122], v[10:11]
	s_waitcnt lgkmcnt(0)
	s_delay_alu instid0(VALU_DEP_1)
	v_fma_f64 v[10:11], v[109:110], v[123:124], v[10:11]
	ds_load_b128 v[107:110], v1 offset:672
	ds_load_b128 v[119:122], v1 offset:688
	s_waitcnt vmcnt(3)
	v_fma_f64 v[10:11], v[111:112], v[125:126], v[10:11]
	s_waitcnt lgkmcnt(1)
	s_delay_alu instid0(VALU_DEP_1) | instskip(SKIP_1) | instid1(VALU_DEP_1)
	v_fma_f64 v[10:11], v[113:114], v[107:108], v[10:11]
	s_waitcnt vmcnt(2)
	v_fma_f64 v[10:11], v[115:116], v[109:110], v[10:11]
	s_waitcnt lgkmcnt(0)
	s_delay_alu instid0(VALU_DEP_1) | instskip(SKIP_1) | instid1(VALU_DEP_1)
	v_fma_f64 v[10:11], v[117:118], v[119:120], v[10:11]
	s_waitcnt vmcnt(1)
	v_fma_f64 v[6:7], v[6:7], v[121:122], v[10:11]
	ds_load_b128 v[107:110], v1 offset:704
	ds_load_b64 v[10:11], v1 offset:720
	s_waitcnt lgkmcnt(1)
	v_fma_f64 v[6:7], v[8:9], v[107:108], v[6:7]
	s_waitcnt vmcnt(0)
	s_delay_alu instid0(VALU_DEP_1) | instskip(SKIP_1) | instid1(VALU_DEP_1)
	v_fma_f64 v[6:7], v[103:104], v[109:110], v[6:7]
	s_waitcnt lgkmcnt(0)
	v_fma_f64 v[6:7], v[105:106], v[10:11], v[6:7]
	s_delay_alu instid0(VALU_DEP_1)
	v_add_f64 v[4:5], v[4:5], -v[6:7]
	scratch_store_b64 off, v[4:5], off offset:72
	v_cmpx_lt_u32_e32 8, v0
	s_cbranch_execz .LBB108_263
; %bb.262:
	scratch_load_b64 v[4:5], off, off offset:64
	v_mov_b32_e32 v2, v1
	scratch_store_b64 off, v[1:2], off offset:64
	s_waitcnt vmcnt(0)
	ds_store_b64 v3, v[4:5]
.LBB108_263:
	s_or_b32 exec_lo, exec_lo, s0
	s_waitcnt lgkmcnt(0)
	s_waitcnt_vscnt null, 0x0
	s_barrier
	buffer_gl0_inv
	s_clause 0x4
	scratch_load_b128 v[4:7], off, off offset:64
	scratch_load_b128 v[8:11], off, off offset:80
	;; [unrolled: 1-line block ×5, first 2 shown]
	ds_load_2addr_b64 v[115:118], v1 offset0:55 offset1:56
	ds_load_2addr_b64 v[119:122], v1 offset0:57 offset1:58
	scratch_load_b128 v[123:126], off, off offset:144
	s_mov_b32 s0, exec_lo
	s_waitcnt vmcnt(5) lgkmcnt(1)
	v_fma_f64 v[6:7], v[6:7], v[115:116], 0
	s_waitcnt vmcnt(4)
	s_delay_alu instid0(VALU_DEP_1) | instskip(SKIP_1) | instid1(VALU_DEP_1)
	v_fma_f64 v[6:7], v[8:9], v[117:118], v[6:7]
	s_waitcnt lgkmcnt(0)
	v_fma_f64 v[10:11], v[10:11], v[119:120], v[6:7]
	scratch_load_b128 v[6:9], off, off offset:160
	s_waitcnt vmcnt(4)
	v_fma_f64 v[10:11], v[103:104], v[121:122], v[10:11]
	ds_load_2addr_b64 v[115:118], v1 offset0:59 offset1:60
	ds_load_2addr_b64 v[119:122], v1 offset0:61 offset1:62
	s_waitcnt lgkmcnt(1)
	v_fma_f64 v[10:11], v[105:106], v[115:116], v[10:11]
	scratch_load_b128 v[103:106], off, off offset:176
	s_waitcnt vmcnt(4)
	v_fma_f64 v[10:11], v[107:108], v[117:118], v[10:11]
	s_waitcnt lgkmcnt(0)
	s_delay_alu instid0(VALU_DEP_1)
	v_fma_f64 v[10:11], v[109:110], v[119:120], v[10:11]
	scratch_load_b128 v[107:110], off, off offset:192
	s_waitcnt vmcnt(4)
	v_fma_f64 v[10:11], v[111:112], v[121:122], v[10:11]
	ds_load_2addr_b64 v[115:118], v1 offset0:63 offset1:64
	ds_load_2addr_b64 v[119:122], v1 offset0:65 offset1:66
	s_waitcnt lgkmcnt(1)
	v_fma_f64 v[10:11], v[113:114], v[115:116], v[10:11]
	scratch_load_b128 v[111:114], off, off offset:208
	s_waitcnt vmcnt(4)
	v_fma_f64 v[10:11], v[123:124], v[117:118], v[10:11]
	scratch_load_b128 v[115:118], off, off offset:224
	s_waitcnt lgkmcnt(0)
	v_fma_f64 v[10:11], v[125:126], v[119:120], v[10:11]
	s_waitcnt vmcnt(4)
	s_delay_alu instid0(VALU_DEP_1)
	v_fma_f64 v[6:7], v[6:7], v[121:122], v[10:11]
	ds_load_2addr_b64 v[119:122], v1 offset0:67 offset1:68
	ds_load_2addr_b64 v[123:126], v1 offset0:69 offset1:70
	s_waitcnt lgkmcnt(1)
	v_fma_f64 v[10:11], v[8:9], v[119:120], v[6:7]
	scratch_load_b128 v[6:9], off, off offset:240
	s_waitcnt vmcnt(4)
	v_fma_f64 v[10:11], v[103:104], v[121:122], v[10:11]
	s_waitcnt lgkmcnt(0)
	s_delay_alu instid0(VALU_DEP_1)
	v_fma_f64 v[10:11], v[105:106], v[123:124], v[10:11]
	scratch_load_b128 v[103:106], off, off offset:256
	s_waitcnt vmcnt(4)
	v_fma_f64 v[10:11], v[107:108], v[125:126], v[10:11]
	ds_load_2addr_b64 v[119:122], v1 offset0:71 offset1:72
	ds_load_2addr_b64 v[123:126], v1 offset0:73 offset1:74
	s_waitcnt lgkmcnt(1)
	v_fma_f64 v[10:11], v[109:110], v[119:120], v[10:11]
	scratch_load_b128 v[107:110], off, off offset:272
	s_waitcnt vmcnt(4)
	v_fma_f64 v[10:11], v[111:112], v[121:122], v[10:11]
	s_waitcnt lgkmcnt(0)
	s_delay_alu instid0(VALU_DEP_1)
	v_fma_f64 v[10:11], v[113:114], v[123:124], v[10:11]
	scratch_load_b128 v[111:114], off, off offset:288
	s_waitcnt vmcnt(4)
	;; [unrolled: 13-line block ×3, first 2 shown]
	v_fma_f64 v[10:11], v[103:104], v[125:126], v[10:11]
	ds_load_2addr_b64 v[119:122], v1 offset0:79 offset1:80
	ds_load_2addr_b64 v[123:126], v1 offset0:81 offset1:82
	s_waitcnt lgkmcnt(1)
	v_fma_f64 v[10:11], v[105:106], v[119:120], v[10:11]
	scratch_load_b128 v[103:106], off, off offset:336
	s_waitcnt vmcnt(4)
	v_fma_f64 v[10:11], v[107:108], v[121:122], v[10:11]
	s_waitcnt lgkmcnt(0)
	s_delay_alu instid0(VALU_DEP_1)
	v_fma_f64 v[10:11], v[109:110], v[123:124], v[10:11]
	scratch_load_b64 v[123:124], off, off offset:352
	ds_load_2addr_b64 v[107:110], v1 offset0:83 offset1:84
	ds_load_2addr_b64 v[119:122], v1 offset0:85 offset1:86
	s_waitcnt vmcnt(4)
	v_fma_f64 v[10:11], v[111:112], v[125:126], v[10:11]
	s_waitcnt lgkmcnt(1)
	s_delay_alu instid0(VALU_DEP_1) | instskip(SKIP_1) | instid1(VALU_DEP_1)
	v_fma_f64 v[10:11], v[113:114], v[107:108], v[10:11]
	s_waitcnt vmcnt(3)
	v_fma_f64 v[10:11], v[115:116], v[109:110], v[10:11]
	ds_load_2addr_b64 v[107:110], v1 offset0:87 offset1:88
	ds_load_2addr_b64 v[111:114], v1 offset0:89 offset1:90
	s_waitcnt lgkmcnt(2)
	v_fma_f64 v[10:11], v[117:118], v[119:120], v[10:11]
	s_waitcnt vmcnt(2)
	s_delay_alu instid0(VALU_DEP_1) | instskip(SKIP_1) | instid1(VALU_DEP_1)
	v_fma_f64 v[6:7], v[6:7], v[121:122], v[10:11]
	s_waitcnt lgkmcnt(1)
	v_fma_f64 v[1:2], v[8:9], v[107:108], v[6:7]
	s_waitcnt vmcnt(1)
	s_delay_alu instid0(VALU_DEP_1) | instskip(SKIP_1) | instid1(VALU_DEP_1)
	v_fma_f64 v[1:2], v[103:104], v[109:110], v[1:2]
	s_waitcnt lgkmcnt(0)
	v_fma_f64 v[1:2], v[105:106], v[111:112], v[1:2]
	s_waitcnt vmcnt(0)
	s_delay_alu instid0(VALU_DEP_1) | instskip(NEXT) | instid1(VALU_DEP_1)
	v_fma_f64 v[1:2], v[123:124], v[113:114], v[1:2]
	v_add_f64 v[1:2], v[4:5], -v[1:2]
	scratch_store_b64 off, v[1:2], off offset:64
	v_cmpx_lt_u32_e32 7, v0
	s_cbranch_execz .LBB108_265
; %bb.264:
	scratch_load_b64 v[1:2], off, off offset:56
	v_mov_b32_e32 v4, 0
	s_delay_alu instid0(VALU_DEP_1)
	v_mov_b32_e32 v5, v4
	scratch_store_b64 off, v[4:5], off offset:56
	s_waitcnt vmcnt(0)
	ds_store_b64 v3, v[1:2]
.LBB108_265:
	s_or_b32 exec_lo, exec_lo, s0
	s_waitcnt lgkmcnt(0)
	s_waitcnt_vscnt null, 0x0
	s_barrier
	buffer_gl0_inv
	s_clause 0x4
	scratch_load_b128 v[4:7], off, off offset:56
	scratch_load_b128 v[8:11], off, off offset:72
	;; [unrolled: 1-line block ×5, first 2 shown]
	v_mov_b32_e32 v1, 0
	ds_load_b128 v[115:118], v1 offset:432
	ds_load_b128 v[119:122], v1 offset:448
	scratch_load_b128 v[123:126], off, off offset:136
	s_mov_b32 s0, exec_lo
	s_waitcnt vmcnt(5) lgkmcnt(1)
	v_fma_f64 v[6:7], v[6:7], v[115:116], 0
	s_waitcnt vmcnt(4)
	s_delay_alu instid0(VALU_DEP_1) | instskip(SKIP_1) | instid1(VALU_DEP_1)
	v_fma_f64 v[6:7], v[8:9], v[117:118], v[6:7]
	s_waitcnt lgkmcnt(0)
	v_fma_f64 v[10:11], v[10:11], v[119:120], v[6:7]
	scratch_load_b128 v[6:9], off, off offset:152
	s_waitcnt vmcnt(4)
	v_fma_f64 v[10:11], v[103:104], v[121:122], v[10:11]
	ds_load_b128 v[115:118], v1 offset:464
	ds_load_b128 v[119:122], v1 offset:480
	s_waitcnt lgkmcnt(1)
	v_fma_f64 v[10:11], v[105:106], v[115:116], v[10:11]
	scratch_load_b128 v[103:106], off, off offset:168
	s_waitcnt vmcnt(4)
	v_fma_f64 v[10:11], v[107:108], v[117:118], v[10:11]
	s_waitcnt lgkmcnt(0)
	s_delay_alu instid0(VALU_DEP_1)
	v_fma_f64 v[10:11], v[109:110], v[119:120], v[10:11]
	scratch_load_b128 v[107:110], off, off offset:184
	s_waitcnt vmcnt(4)
	v_fma_f64 v[10:11], v[111:112], v[121:122], v[10:11]
	ds_load_b128 v[115:118], v1 offset:496
	ds_load_b128 v[119:122], v1 offset:512
	s_waitcnt lgkmcnt(1)
	v_fma_f64 v[10:11], v[113:114], v[115:116], v[10:11]
	scratch_load_b128 v[111:114], off, off offset:200
	s_waitcnt vmcnt(4)
	v_fma_f64 v[10:11], v[123:124], v[117:118], v[10:11]
	scratch_load_b128 v[115:118], off, off offset:216
	s_waitcnt lgkmcnt(0)
	v_fma_f64 v[10:11], v[125:126], v[119:120], v[10:11]
	s_waitcnt vmcnt(4)
	s_delay_alu instid0(VALU_DEP_1)
	v_fma_f64 v[6:7], v[6:7], v[121:122], v[10:11]
	ds_load_b128 v[119:122], v1 offset:528
	ds_load_b128 v[123:126], v1 offset:544
	s_waitcnt lgkmcnt(1)
	v_fma_f64 v[10:11], v[8:9], v[119:120], v[6:7]
	scratch_load_b128 v[6:9], off, off offset:232
	s_waitcnt vmcnt(4)
	v_fma_f64 v[10:11], v[103:104], v[121:122], v[10:11]
	s_waitcnt lgkmcnt(0)
	s_delay_alu instid0(VALU_DEP_1)
	v_fma_f64 v[10:11], v[105:106], v[123:124], v[10:11]
	scratch_load_b128 v[103:106], off, off offset:248
	s_waitcnt vmcnt(4)
	v_fma_f64 v[10:11], v[107:108], v[125:126], v[10:11]
	ds_load_b128 v[119:122], v1 offset:560
	ds_load_b128 v[123:126], v1 offset:576
	s_waitcnt lgkmcnt(1)
	v_fma_f64 v[10:11], v[109:110], v[119:120], v[10:11]
	scratch_load_b128 v[107:110], off, off offset:264
	s_waitcnt vmcnt(4)
	v_fma_f64 v[10:11], v[111:112], v[121:122], v[10:11]
	s_waitcnt lgkmcnt(0)
	s_delay_alu instid0(VALU_DEP_1)
	v_fma_f64 v[10:11], v[113:114], v[123:124], v[10:11]
	scratch_load_b128 v[111:114], off, off offset:280
	s_waitcnt vmcnt(4)
	;; [unrolled: 13-line block ×4, first 2 shown]
	v_fma_f64 v[10:11], v[111:112], v[125:126], v[10:11]
	ds_load_b128 v[119:122], v1 offset:656
	ds_load_b128 v[123:126], v1 offset:672
	s_waitcnt lgkmcnt(1)
	v_fma_f64 v[10:11], v[113:114], v[119:120], v[10:11]
	s_waitcnt vmcnt(3)
	s_delay_alu instid0(VALU_DEP_1) | instskip(SKIP_1) | instid1(VALU_DEP_1)
	v_fma_f64 v[10:11], v[115:116], v[121:122], v[10:11]
	s_waitcnt lgkmcnt(0)
	v_fma_f64 v[10:11], v[117:118], v[123:124], v[10:11]
	ds_load_b128 v[111:114], v1 offset:688
	ds_load_b128 v[115:118], v1 offset:704
	s_waitcnt vmcnt(2)
	v_fma_f64 v[6:7], v[6:7], v[125:126], v[10:11]
	s_waitcnt lgkmcnt(1)
	s_delay_alu instid0(VALU_DEP_1) | instskip(SKIP_4) | instid1(VALU_DEP_1)
	v_fma_f64 v[6:7], v[8:9], v[111:112], v[6:7]
	ds_load_b64 v[8:9], v1 offset:720
	s_waitcnt vmcnt(1)
	v_fma_f64 v[6:7], v[103:104], v[113:114], v[6:7]
	s_waitcnt lgkmcnt(1)
	v_fma_f64 v[6:7], v[105:106], v[115:116], v[6:7]
	s_waitcnt vmcnt(0)
	s_delay_alu instid0(VALU_DEP_1) | instskip(SKIP_1) | instid1(VALU_DEP_1)
	v_fma_f64 v[6:7], v[107:108], v[117:118], v[6:7]
	s_waitcnt lgkmcnt(0)
	v_fma_f64 v[6:7], v[109:110], v[8:9], v[6:7]
	s_delay_alu instid0(VALU_DEP_1)
	v_add_f64 v[4:5], v[4:5], -v[6:7]
	scratch_store_b64 off, v[4:5], off offset:56
	v_cmpx_lt_u32_e32 6, v0
	s_cbranch_execz .LBB108_267
; %bb.266:
	scratch_load_b64 v[4:5], off, off offset:48
	v_mov_b32_e32 v2, v1
	scratch_store_b64 off, v[1:2], off offset:48
	s_waitcnt vmcnt(0)
	ds_store_b64 v3, v[4:5]
.LBB108_267:
	s_or_b32 exec_lo, exec_lo, s0
	s_waitcnt lgkmcnt(0)
	s_waitcnt_vscnt null, 0x0
	s_barrier
	buffer_gl0_inv
	s_clause 0x4
	scratch_load_b128 v[4:7], off, off offset:48
	scratch_load_b128 v[8:11], off, off offset:64
	scratch_load_b128 v[103:106], off, off offset:80
	scratch_load_b128 v[107:110], off, off offset:96
	scratch_load_b128 v[111:114], off, off offset:112
	ds_load_2addr_b64 v[115:118], v1 offset0:53 offset1:54
	ds_load_2addr_b64 v[119:122], v1 offset0:55 offset1:56
	scratch_load_b128 v[123:126], off, off offset:128
	s_mov_b32 s0, exec_lo
	s_waitcnt vmcnt(5) lgkmcnt(1)
	v_fma_f64 v[6:7], v[6:7], v[115:116], 0
	s_waitcnt vmcnt(4)
	s_delay_alu instid0(VALU_DEP_1) | instskip(SKIP_1) | instid1(VALU_DEP_1)
	v_fma_f64 v[6:7], v[8:9], v[117:118], v[6:7]
	s_waitcnt lgkmcnt(0)
	v_fma_f64 v[10:11], v[10:11], v[119:120], v[6:7]
	scratch_load_b128 v[6:9], off, off offset:144
	s_waitcnt vmcnt(4)
	v_fma_f64 v[10:11], v[103:104], v[121:122], v[10:11]
	ds_load_2addr_b64 v[115:118], v1 offset0:57 offset1:58
	ds_load_2addr_b64 v[119:122], v1 offset0:59 offset1:60
	s_waitcnt lgkmcnt(1)
	v_fma_f64 v[10:11], v[105:106], v[115:116], v[10:11]
	scratch_load_b128 v[103:106], off, off offset:160
	s_waitcnt vmcnt(4)
	v_fma_f64 v[10:11], v[107:108], v[117:118], v[10:11]
	s_waitcnt lgkmcnt(0)
	s_delay_alu instid0(VALU_DEP_1)
	v_fma_f64 v[10:11], v[109:110], v[119:120], v[10:11]
	scratch_load_b128 v[107:110], off, off offset:176
	s_waitcnt vmcnt(4)
	v_fma_f64 v[10:11], v[111:112], v[121:122], v[10:11]
	ds_load_2addr_b64 v[115:118], v1 offset0:61 offset1:62
	ds_load_2addr_b64 v[119:122], v1 offset0:63 offset1:64
	s_waitcnt lgkmcnt(1)
	v_fma_f64 v[10:11], v[113:114], v[115:116], v[10:11]
	scratch_load_b128 v[111:114], off, off offset:192
	s_waitcnt vmcnt(4)
	v_fma_f64 v[10:11], v[123:124], v[117:118], v[10:11]
	scratch_load_b128 v[115:118], off, off offset:208
	s_waitcnt lgkmcnt(0)
	v_fma_f64 v[10:11], v[125:126], v[119:120], v[10:11]
	s_waitcnt vmcnt(4)
	s_delay_alu instid0(VALU_DEP_1)
	v_fma_f64 v[6:7], v[6:7], v[121:122], v[10:11]
	ds_load_2addr_b64 v[119:122], v1 offset0:65 offset1:66
	ds_load_2addr_b64 v[123:126], v1 offset0:67 offset1:68
	s_waitcnt lgkmcnt(1)
	v_fma_f64 v[10:11], v[8:9], v[119:120], v[6:7]
	scratch_load_b128 v[6:9], off, off offset:224
	s_waitcnt vmcnt(4)
	v_fma_f64 v[10:11], v[103:104], v[121:122], v[10:11]
	s_waitcnt lgkmcnt(0)
	s_delay_alu instid0(VALU_DEP_1)
	v_fma_f64 v[10:11], v[105:106], v[123:124], v[10:11]
	scratch_load_b128 v[103:106], off, off offset:240
	s_waitcnt vmcnt(4)
	v_fma_f64 v[10:11], v[107:108], v[125:126], v[10:11]
	ds_load_2addr_b64 v[119:122], v1 offset0:69 offset1:70
	ds_load_2addr_b64 v[123:126], v1 offset0:71 offset1:72
	s_waitcnt lgkmcnt(1)
	v_fma_f64 v[10:11], v[109:110], v[119:120], v[10:11]
	scratch_load_b128 v[107:110], off, off offset:256
	s_waitcnt vmcnt(4)
	v_fma_f64 v[10:11], v[111:112], v[121:122], v[10:11]
	s_waitcnt lgkmcnt(0)
	s_delay_alu instid0(VALU_DEP_1)
	v_fma_f64 v[10:11], v[113:114], v[123:124], v[10:11]
	scratch_load_b128 v[111:114], off, off offset:272
	s_waitcnt vmcnt(4)
	;; [unrolled: 13-line block ×4, first 2 shown]
	v_fma_f64 v[10:11], v[111:112], v[125:126], v[10:11]
	ds_load_2addr_b64 v[119:122], v1 offset0:81 offset1:82
	ds_load_2addr_b64 v[123:126], v1 offset0:83 offset1:84
	s_waitcnt lgkmcnt(1)
	v_fma_f64 v[10:11], v[113:114], v[119:120], v[10:11]
	scratch_load_b64 v[119:120], off, off offset:352
	s_waitcnt vmcnt(4)
	v_fma_f64 v[10:11], v[115:116], v[121:122], v[10:11]
	s_waitcnt lgkmcnt(0)
	s_delay_alu instid0(VALU_DEP_1)
	v_fma_f64 v[10:11], v[117:118], v[123:124], v[10:11]
	ds_load_2addr_b64 v[111:114], v1 offset0:85 offset1:86
	ds_load_2addr_b64 v[115:118], v1 offset0:87 offset1:88
	s_waitcnt vmcnt(3)
	v_fma_f64 v[6:7], v[6:7], v[125:126], v[10:11]
	s_waitcnt lgkmcnt(1)
	s_delay_alu instid0(VALU_DEP_1) | instskip(SKIP_1) | instid1(VALU_DEP_1)
	v_fma_f64 v[6:7], v[8:9], v[111:112], v[6:7]
	s_waitcnt vmcnt(2)
	v_fma_f64 v[6:7], v[103:104], v[113:114], v[6:7]
	s_waitcnt lgkmcnt(0)
	s_delay_alu instid0(VALU_DEP_1) | instskip(SKIP_1) | instid1(VALU_DEP_1)
	v_fma_f64 v[6:7], v[105:106], v[115:116], v[6:7]
	s_waitcnt vmcnt(1)
	v_fma_f64 v[10:11], v[107:108], v[117:118], v[6:7]
	ds_load_2addr_b64 v[6:9], v1 offset0:89 offset1:90
	s_waitcnt lgkmcnt(0)
	v_fma_f64 v[1:2], v[109:110], v[6:7], v[10:11]
	s_waitcnt vmcnt(0)
	s_delay_alu instid0(VALU_DEP_1) | instskip(NEXT) | instid1(VALU_DEP_1)
	v_fma_f64 v[1:2], v[119:120], v[8:9], v[1:2]
	v_add_f64 v[1:2], v[4:5], -v[1:2]
	scratch_store_b64 off, v[1:2], off offset:48
	v_cmpx_lt_u32_e32 5, v0
	s_cbranch_execz .LBB108_269
; %bb.268:
	scratch_load_b64 v[1:2], off, off offset:40
	v_mov_b32_e32 v4, 0
	s_delay_alu instid0(VALU_DEP_1)
	v_mov_b32_e32 v5, v4
	scratch_store_b64 off, v[4:5], off offset:40
	s_waitcnt vmcnt(0)
	ds_store_b64 v3, v[1:2]
.LBB108_269:
	s_or_b32 exec_lo, exec_lo, s0
	s_waitcnt lgkmcnt(0)
	s_waitcnt_vscnt null, 0x0
	s_barrier
	buffer_gl0_inv
	s_clause 0x4
	scratch_load_b128 v[4:7], off, off offset:40
	scratch_load_b128 v[8:11], off, off offset:56
	;; [unrolled: 1-line block ×5, first 2 shown]
	v_mov_b32_e32 v1, 0
	ds_load_b128 v[115:118], v1 offset:416
	ds_load_b128 v[119:122], v1 offset:432
	scratch_load_b128 v[123:126], off, off offset:120
	s_mov_b32 s0, exec_lo
	s_waitcnt vmcnt(5) lgkmcnt(1)
	v_fma_f64 v[6:7], v[6:7], v[115:116], 0
	s_waitcnt vmcnt(4)
	s_delay_alu instid0(VALU_DEP_1) | instskip(SKIP_1) | instid1(VALU_DEP_1)
	v_fma_f64 v[6:7], v[8:9], v[117:118], v[6:7]
	s_waitcnt lgkmcnt(0)
	v_fma_f64 v[10:11], v[10:11], v[119:120], v[6:7]
	scratch_load_b128 v[6:9], off, off offset:136
	s_waitcnt vmcnt(4)
	v_fma_f64 v[10:11], v[103:104], v[121:122], v[10:11]
	ds_load_b128 v[115:118], v1 offset:448
	ds_load_b128 v[119:122], v1 offset:464
	s_waitcnt lgkmcnt(1)
	v_fma_f64 v[10:11], v[105:106], v[115:116], v[10:11]
	scratch_load_b128 v[103:106], off, off offset:152
	s_waitcnt vmcnt(4)
	v_fma_f64 v[10:11], v[107:108], v[117:118], v[10:11]
	s_waitcnt lgkmcnt(0)
	s_delay_alu instid0(VALU_DEP_1)
	v_fma_f64 v[10:11], v[109:110], v[119:120], v[10:11]
	scratch_load_b128 v[107:110], off, off offset:168
	s_waitcnt vmcnt(4)
	v_fma_f64 v[10:11], v[111:112], v[121:122], v[10:11]
	ds_load_b128 v[115:118], v1 offset:480
	ds_load_b128 v[119:122], v1 offset:496
	s_waitcnt lgkmcnt(1)
	v_fma_f64 v[10:11], v[113:114], v[115:116], v[10:11]
	scratch_load_b128 v[111:114], off, off offset:184
	s_waitcnt vmcnt(4)
	v_fma_f64 v[10:11], v[123:124], v[117:118], v[10:11]
	scratch_load_b128 v[115:118], off, off offset:200
	s_waitcnt lgkmcnt(0)
	v_fma_f64 v[10:11], v[125:126], v[119:120], v[10:11]
	s_waitcnt vmcnt(4)
	s_delay_alu instid0(VALU_DEP_1)
	v_fma_f64 v[6:7], v[6:7], v[121:122], v[10:11]
	ds_load_b128 v[119:122], v1 offset:512
	ds_load_b128 v[123:126], v1 offset:528
	s_waitcnt lgkmcnt(1)
	v_fma_f64 v[10:11], v[8:9], v[119:120], v[6:7]
	scratch_load_b128 v[6:9], off, off offset:216
	s_waitcnt vmcnt(4)
	v_fma_f64 v[10:11], v[103:104], v[121:122], v[10:11]
	s_waitcnt lgkmcnt(0)
	s_delay_alu instid0(VALU_DEP_1)
	v_fma_f64 v[10:11], v[105:106], v[123:124], v[10:11]
	scratch_load_b128 v[103:106], off, off offset:232
	s_waitcnt vmcnt(4)
	v_fma_f64 v[10:11], v[107:108], v[125:126], v[10:11]
	ds_load_b128 v[119:122], v1 offset:544
	ds_load_b128 v[123:126], v1 offset:560
	s_waitcnt lgkmcnt(1)
	v_fma_f64 v[10:11], v[109:110], v[119:120], v[10:11]
	scratch_load_b128 v[107:110], off, off offset:248
	s_waitcnt vmcnt(4)
	v_fma_f64 v[10:11], v[111:112], v[121:122], v[10:11]
	s_waitcnt lgkmcnt(0)
	s_delay_alu instid0(VALU_DEP_1)
	v_fma_f64 v[10:11], v[113:114], v[123:124], v[10:11]
	scratch_load_b128 v[111:114], off, off offset:264
	s_waitcnt vmcnt(4)
	;; [unrolled: 13-line block ×4, first 2 shown]
	v_fma_f64 v[10:11], v[111:112], v[125:126], v[10:11]
	ds_load_b128 v[119:122], v1 offset:640
	ds_load_b128 v[123:126], v1 offset:656
	s_waitcnt lgkmcnt(1)
	v_fma_f64 v[10:11], v[113:114], v[119:120], v[10:11]
	scratch_load_b128 v[111:114], off, off offset:344
	s_waitcnt vmcnt(4)
	v_fma_f64 v[10:11], v[115:116], v[121:122], v[10:11]
	s_waitcnt lgkmcnt(0)
	s_delay_alu instid0(VALU_DEP_1)
	v_fma_f64 v[10:11], v[117:118], v[123:124], v[10:11]
	ds_load_b128 v[115:118], v1 offset:672
	ds_load_b128 v[119:122], v1 offset:688
	s_waitcnt vmcnt(3)
	v_fma_f64 v[6:7], v[6:7], v[125:126], v[10:11]
	s_waitcnt lgkmcnt(1)
	s_delay_alu instid0(VALU_DEP_1) | instskip(SKIP_1) | instid1(VALU_DEP_1)
	v_fma_f64 v[6:7], v[8:9], v[115:116], v[6:7]
	s_waitcnt vmcnt(2)
	v_fma_f64 v[6:7], v[103:104], v[117:118], v[6:7]
	s_waitcnt lgkmcnt(0)
	s_delay_alu instid0(VALU_DEP_1) | instskip(SKIP_1) | instid1(VALU_DEP_1)
	v_fma_f64 v[6:7], v[105:106], v[119:120], v[6:7]
	s_waitcnt vmcnt(1)
	v_fma_f64 v[10:11], v[107:108], v[121:122], v[6:7]
	ds_load_b128 v[6:9], v1 offset:704
	ds_load_b64 v[103:104], v1 offset:720
	s_waitcnt lgkmcnt(1)
	v_fma_f64 v[6:7], v[109:110], v[6:7], v[10:11]
	s_waitcnt vmcnt(0)
	s_delay_alu instid0(VALU_DEP_1) | instskip(SKIP_1) | instid1(VALU_DEP_1)
	v_fma_f64 v[6:7], v[111:112], v[8:9], v[6:7]
	s_waitcnt lgkmcnt(0)
	v_fma_f64 v[6:7], v[113:114], v[103:104], v[6:7]
	s_delay_alu instid0(VALU_DEP_1)
	v_add_f64 v[4:5], v[4:5], -v[6:7]
	scratch_store_b64 off, v[4:5], off offset:40
	v_cmpx_lt_u32_e32 4, v0
	s_cbranch_execz .LBB108_271
; %bb.270:
	scratch_load_b64 v[4:5], off, off offset:32
	v_mov_b32_e32 v2, v1
	scratch_store_b64 off, v[1:2], off offset:32
	s_waitcnt vmcnt(0)
	ds_store_b64 v3, v[4:5]
.LBB108_271:
	s_or_b32 exec_lo, exec_lo, s0
	s_waitcnt lgkmcnt(0)
	s_waitcnt_vscnt null, 0x0
	s_barrier
	buffer_gl0_inv
	s_clause 0x4
	scratch_load_b128 v[4:7], off, off offset:32
	scratch_load_b128 v[8:11], off, off offset:48
	;; [unrolled: 1-line block ×5, first 2 shown]
	ds_load_2addr_b64 v[115:118], v1 offset0:51 offset1:52
	ds_load_2addr_b64 v[119:122], v1 offset0:53 offset1:54
	scratch_load_b128 v[123:126], off, off offset:112
	s_mov_b32 s0, exec_lo
	s_waitcnt vmcnt(5) lgkmcnt(1)
	v_fma_f64 v[6:7], v[6:7], v[115:116], 0
	s_waitcnt vmcnt(4)
	s_delay_alu instid0(VALU_DEP_1) | instskip(SKIP_1) | instid1(VALU_DEP_1)
	v_fma_f64 v[6:7], v[8:9], v[117:118], v[6:7]
	s_waitcnt lgkmcnt(0)
	v_fma_f64 v[10:11], v[10:11], v[119:120], v[6:7]
	scratch_load_b128 v[6:9], off, off offset:128
	s_waitcnt vmcnt(4)
	v_fma_f64 v[10:11], v[103:104], v[121:122], v[10:11]
	ds_load_2addr_b64 v[115:118], v1 offset0:55 offset1:56
	ds_load_2addr_b64 v[119:122], v1 offset0:57 offset1:58
	s_waitcnt lgkmcnt(1)
	v_fma_f64 v[10:11], v[105:106], v[115:116], v[10:11]
	scratch_load_b128 v[103:106], off, off offset:144
	s_waitcnt vmcnt(4)
	v_fma_f64 v[10:11], v[107:108], v[117:118], v[10:11]
	s_waitcnt lgkmcnt(0)
	s_delay_alu instid0(VALU_DEP_1)
	v_fma_f64 v[10:11], v[109:110], v[119:120], v[10:11]
	scratch_load_b128 v[107:110], off, off offset:160
	s_waitcnt vmcnt(4)
	v_fma_f64 v[10:11], v[111:112], v[121:122], v[10:11]
	ds_load_2addr_b64 v[115:118], v1 offset0:59 offset1:60
	ds_load_2addr_b64 v[119:122], v1 offset0:61 offset1:62
	s_waitcnt lgkmcnt(1)
	v_fma_f64 v[10:11], v[113:114], v[115:116], v[10:11]
	scratch_load_b128 v[111:114], off, off offset:176
	s_waitcnt vmcnt(4)
	v_fma_f64 v[10:11], v[123:124], v[117:118], v[10:11]
	scratch_load_b128 v[115:118], off, off offset:192
	s_waitcnt lgkmcnt(0)
	v_fma_f64 v[10:11], v[125:126], v[119:120], v[10:11]
	s_waitcnt vmcnt(4)
	s_delay_alu instid0(VALU_DEP_1)
	v_fma_f64 v[6:7], v[6:7], v[121:122], v[10:11]
	ds_load_2addr_b64 v[119:122], v1 offset0:63 offset1:64
	ds_load_2addr_b64 v[123:126], v1 offset0:65 offset1:66
	s_waitcnt lgkmcnt(1)
	v_fma_f64 v[10:11], v[8:9], v[119:120], v[6:7]
	scratch_load_b128 v[6:9], off, off offset:208
	s_waitcnt vmcnt(4)
	v_fma_f64 v[10:11], v[103:104], v[121:122], v[10:11]
	s_waitcnt lgkmcnt(0)
	s_delay_alu instid0(VALU_DEP_1)
	v_fma_f64 v[10:11], v[105:106], v[123:124], v[10:11]
	scratch_load_b128 v[103:106], off, off offset:224
	s_waitcnt vmcnt(4)
	v_fma_f64 v[10:11], v[107:108], v[125:126], v[10:11]
	ds_load_2addr_b64 v[119:122], v1 offset0:67 offset1:68
	ds_load_2addr_b64 v[123:126], v1 offset0:69 offset1:70
	s_waitcnt lgkmcnt(1)
	v_fma_f64 v[10:11], v[109:110], v[119:120], v[10:11]
	scratch_load_b128 v[107:110], off, off offset:240
	s_waitcnt vmcnt(4)
	v_fma_f64 v[10:11], v[111:112], v[121:122], v[10:11]
	s_waitcnt lgkmcnt(0)
	s_delay_alu instid0(VALU_DEP_1)
	v_fma_f64 v[10:11], v[113:114], v[123:124], v[10:11]
	scratch_load_b128 v[111:114], off, off offset:256
	s_waitcnt vmcnt(4)
	;; [unrolled: 13-line block ×4, first 2 shown]
	v_fma_f64 v[10:11], v[111:112], v[125:126], v[10:11]
	ds_load_2addr_b64 v[119:122], v1 offset0:79 offset1:80
	ds_load_2addr_b64 v[123:126], v1 offset0:81 offset1:82
	s_waitcnt lgkmcnt(1)
	v_fma_f64 v[10:11], v[113:114], v[119:120], v[10:11]
	scratch_load_b128 v[111:114], off, off offset:336
	s_waitcnt vmcnt(4)
	v_fma_f64 v[10:11], v[115:116], v[121:122], v[10:11]
	s_waitcnt lgkmcnt(0)
	s_delay_alu instid0(VALU_DEP_1)
	v_fma_f64 v[10:11], v[117:118], v[123:124], v[10:11]
	scratch_load_b64 v[123:124], off, off offset:352
	ds_load_2addr_b64 v[115:118], v1 offset0:83 offset1:84
	ds_load_2addr_b64 v[119:122], v1 offset0:85 offset1:86
	s_waitcnt vmcnt(4)
	v_fma_f64 v[6:7], v[6:7], v[125:126], v[10:11]
	s_waitcnt lgkmcnt(1)
	s_delay_alu instid0(VALU_DEP_1) | instskip(SKIP_1) | instid1(VALU_DEP_1)
	v_fma_f64 v[6:7], v[8:9], v[115:116], v[6:7]
	s_waitcnt vmcnt(3)
	v_fma_f64 v[6:7], v[103:104], v[117:118], v[6:7]
	s_waitcnt lgkmcnt(0)
	s_delay_alu instid0(VALU_DEP_1) | instskip(SKIP_1) | instid1(VALU_DEP_1)
	v_fma_f64 v[6:7], v[105:106], v[119:120], v[6:7]
	s_waitcnt vmcnt(2)
	v_fma_f64 v[10:11], v[107:108], v[121:122], v[6:7]
	ds_load_2addr_b64 v[6:9], v1 offset0:87 offset1:88
	ds_load_2addr_b64 v[103:106], v1 offset0:89 offset1:90
	s_waitcnt lgkmcnt(1)
	v_fma_f64 v[1:2], v[109:110], v[6:7], v[10:11]
	s_waitcnt vmcnt(1)
	s_delay_alu instid0(VALU_DEP_1) | instskip(SKIP_1) | instid1(VALU_DEP_1)
	v_fma_f64 v[1:2], v[111:112], v[8:9], v[1:2]
	s_waitcnt lgkmcnt(0)
	v_fma_f64 v[1:2], v[113:114], v[103:104], v[1:2]
	s_waitcnt vmcnt(0)
	s_delay_alu instid0(VALU_DEP_1) | instskip(NEXT) | instid1(VALU_DEP_1)
	v_fma_f64 v[1:2], v[123:124], v[105:106], v[1:2]
	v_add_f64 v[1:2], v[4:5], -v[1:2]
	scratch_store_b64 off, v[1:2], off offset:32
	v_cmpx_lt_u32_e32 3, v0
	s_cbranch_execz .LBB108_273
; %bb.272:
	scratch_load_b64 v[1:2], off, off offset:24
	v_mov_b32_e32 v4, 0
	s_delay_alu instid0(VALU_DEP_1)
	v_mov_b32_e32 v5, v4
	scratch_store_b64 off, v[4:5], off offset:24
	s_waitcnt vmcnt(0)
	ds_store_b64 v3, v[1:2]
.LBB108_273:
	s_or_b32 exec_lo, exec_lo, s0
	s_waitcnt lgkmcnt(0)
	s_waitcnt_vscnt null, 0x0
	s_barrier
	buffer_gl0_inv
	s_clause 0x4
	scratch_load_b128 v[4:7], off, off offset:24
	scratch_load_b128 v[8:11], off, off offset:40
	;; [unrolled: 1-line block ×5, first 2 shown]
	v_mov_b32_e32 v1, 0
	ds_load_b128 v[115:118], v1 offset:400
	ds_load_b128 v[119:122], v1 offset:416
	scratch_load_b128 v[123:126], off, off offset:104
	s_mov_b32 s0, exec_lo
	s_waitcnt vmcnt(5) lgkmcnt(1)
	v_fma_f64 v[6:7], v[6:7], v[115:116], 0
	s_waitcnt vmcnt(4)
	s_delay_alu instid0(VALU_DEP_1) | instskip(SKIP_1) | instid1(VALU_DEP_1)
	v_fma_f64 v[6:7], v[8:9], v[117:118], v[6:7]
	s_waitcnt lgkmcnt(0)
	v_fma_f64 v[10:11], v[10:11], v[119:120], v[6:7]
	scratch_load_b128 v[6:9], off, off offset:120
	s_waitcnt vmcnt(4)
	v_fma_f64 v[10:11], v[103:104], v[121:122], v[10:11]
	ds_load_b128 v[115:118], v1 offset:432
	ds_load_b128 v[119:122], v1 offset:448
	s_waitcnt lgkmcnt(1)
	v_fma_f64 v[10:11], v[105:106], v[115:116], v[10:11]
	scratch_load_b128 v[103:106], off, off offset:136
	s_waitcnt vmcnt(4)
	v_fma_f64 v[10:11], v[107:108], v[117:118], v[10:11]
	s_waitcnt lgkmcnt(0)
	s_delay_alu instid0(VALU_DEP_1)
	v_fma_f64 v[10:11], v[109:110], v[119:120], v[10:11]
	scratch_load_b128 v[107:110], off, off offset:152
	s_waitcnt vmcnt(4)
	v_fma_f64 v[10:11], v[111:112], v[121:122], v[10:11]
	ds_load_b128 v[115:118], v1 offset:464
	ds_load_b128 v[119:122], v1 offset:480
	s_waitcnt lgkmcnt(1)
	v_fma_f64 v[10:11], v[113:114], v[115:116], v[10:11]
	scratch_load_b128 v[111:114], off, off offset:168
	s_waitcnt vmcnt(4)
	v_fma_f64 v[10:11], v[123:124], v[117:118], v[10:11]
	scratch_load_b128 v[115:118], off, off offset:184
	s_waitcnt lgkmcnt(0)
	v_fma_f64 v[10:11], v[125:126], v[119:120], v[10:11]
	s_waitcnt vmcnt(4)
	s_delay_alu instid0(VALU_DEP_1)
	v_fma_f64 v[6:7], v[6:7], v[121:122], v[10:11]
	ds_load_b128 v[119:122], v1 offset:496
	ds_load_b128 v[123:126], v1 offset:512
	s_waitcnt lgkmcnt(1)
	v_fma_f64 v[10:11], v[8:9], v[119:120], v[6:7]
	scratch_load_b128 v[6:9], off, off offset:200
	s_waitcnt vmcnt(4)
	v_fma_f64 v[10:11], v[103:104], v[121:122], v[10:11]
	s_waitcnt lgkmcnt(0)
	s_delay_alu instid0(VALU_DEP_1)
	v_fma_f64 v[10:11], v[105:106], v[123:124], v[10:11]
	scratch_load_b128 v[103:106], off, off offset:216
	s_waitcnt vmcnt(4)
	v_fma_f64 v[10:11], v[107:108], v[125:126], v[10:11]
	ds_load_b128 v[119:122], v1 offset:528
	ds_load_b128 v[123:126], v1 offset:544
	s_waitcnt lgkmcnt(1)
	v_fma_f64 v[10:11], v[109:110], v[119:120], v[10:11]
	scratch_load_b128 v[107:110], off, off offset:232
	s_waitcnt vmcnt(4)
	v_fma_f64 v[10:11], v[111:112], v[121:122], v[10:11]
	s_waitcnt lgkmcnt(0)
	s_delay_alu instid0(VALU_DEP_1)
	v_fma_f64 v[10:11], v[113:114], v[123:124], v[10:11]
	scratch_load_b128 v[111:114], off, off offset:248
	s_waitcnt vmcnt(4)
	;; [unrolled: 13-line block ×5, first 2 shown]
	v_fma_f64 v[6:7], v[6:7], v[125:126], v[10:11]
	ds_load_b128 v[119:122], v1 offset:656
	ds_load_b128 v[123:126], v1 offset:672
	s_waitcnt lgkmcnt(1)
	v_fma_f64 v[6:7], v[8:9], v[119:120], v[6:7]
	s_waitcnt vmcnt(3)
	s_delay_alu instid0(VALU_DEP_1) | instskip(SKIP_1) | instid1(VALU_DEP_1)
	v_fma_f64 v[6:7], v[103:104], v[121:122], v[6:7]
	s_waitcnt lgkmcnt(0)
	v_fma_f64 v[6:7], v[105:106], v[123:124], v[6:7]
	s_waitcnt vmcnt(2)
	s_delay_alu instid0(VALU_DEP_1)
	v_fma_f64 v[10:11], v[107:108], v[125:126], v[6:7]
	ds_load_b128 v[6:9], v1 offset:688
	ds_load_b128 v[103:106], v1 offset:704
	s_waitcnt lgkmcnt(1)
	v_fma_f64 v[6:7], v[109:110], v[6:7], v[10:11]
	s_waitcnt vmcnt(1)
	s_delay_alu instid0(VALU_DEP_1) | instskip(SKIP_4) | instid1(VALU_DEP_1)
	v_fma_f64 v[6:7], v[111:112], v[8:9], v[6:7]
	ds_load_b64 v[8:9], v1 offset:720
	s_waitcnt lgkmcnt(1)
	v_fma_f64 v[6:7], v[113:114], v[103:104], v[6:7]
	s_waitcnt vmcnt(0)
	v_fma_f64 v[6:7], v[115:116], v[105:106], v[6:7]
	s_waitcnt lgkmcnt(0)
	s_delay_alu instid0(VALU_DEP_1) | instskip(NEXT) | instid1(VALU_DEP_1)
	v_fma_f64 v[6:7], v[117:118], v[8:9], v[6:7]
	v_add_f64 v[4:5], v[4:5], -v[6:7]
	scratch_store_b64 off, v[4:5], off offset:24
	v_cmpx_lt_u32_e32 2, v0
	s_cbranch_execz .LBB108_275
; %bb.274:
	scratch_load_b64 v[4:5], off, off offset:16
	v_mov_b32_e32 v2, v1
	scratch_store_b64 off, v[1:2], off offset:16
	s_waitcnt vmcnt(0)
	ds_store_b64 v3, v[4:5]
.LBB108_275:
	s_or_b32 exec_lo, exec_lo, s0
	s_waitcnt lgkmcnt(0)
	s_waitcnt_vscnt null, 0x0
	s_barrier
	buffer_gl0_inv
	s_clause 0x4
	scratch_load_b128 v[4:7], off, off offset:16
	scratch_load_b128 v[8:11], off, off offset:32
	;; [unrolled: 1-line block ×5, first 2 shown]
	ds_load_2addr_b64 v[115:118], v1 offset0:49 offset1:50
	ds_load_2addr_b64 v[119:122], v1 offset0:51 offset1:52
	scratch_load_b128 v[123:126], off, off offset:96
	s_mov_b32 s0, exec_lo
	s_waitcnt vmcnt(5) lgkmcnt(1)
	v_fma_f64 v[6:7], v[6:7], v[115:116], 0
	s_waitcnt vmcnt(4)
	s_delay_alu instid0(VALU_DEP_1) | instskip(SKIP_1) | instid1(VALU_DEP_1)
	v_fma_f64 v[6:7], v[8:9], v[117:118], v[6:7]
	s_waitcnt lgkmcnt(0)
	v_fma_f64 v[10:11], v[10:11], v[119:120], v[6:7]
	scratch_load_b128 v[6:9], off, off offset:112
	s_waitcnt vmcnt(4)
	v_fma_f64 v[10:11], v[103:104], v[121:122], v[10:11]
	ds_load_2addr_b64 v[115:118], v1 offset0:53 offset1:54
	ds_load_2addr_b64 v[119:122], v1 offset0:55 offset1:56
	s_waitcnt lgkmcnt(1)
	v_fma_f64 v[10:11], v[105:106], v[115:116], v[10:11]
	scratch_load_b128 v[103:106], off, off offset:128
	s_waitcnt vmcnt(4)
	v_fma_f64 v[10:11], v[107:108], v[117:118], v[10:11]
	s_waitcnt lgkmcnt(0)
	s_delay_alu instid0(VALU_DEP_1)
	v_fma_f64 v[10:11], v[109:110], v[119:120], v[10:11]
	scratch_load_b128 v[107:110], off, off offset:144
	s_waitcnt vmcnt(4)
	v_fma_f64 v[10:11], v[111:112], v[121:122], v[10:11]
	ds_load_2addr_b64 v[115:118], v1 offset0:57 offset1:58
	ds_load_2addr_b64 v[119:122], v1 offset0:59 offset1:60
	s_waitcnt lgkmcnt(1)
	v_fma_f64 v[10:11], v[113:114], v[115:116], v[10:11]
	scratch_load_b128 v[111:114], off, off offset:160
	s_waitcnt vmcnt(4)
	v_fma_f64 v[10:11], v[123:124], v[117:118], v[10:11]
	scratch_load_b128 v[115:118], off, off offset:176
	s_waitcnt lgkmcnt(0)
	v_fma_f64 v[10:11], v[125:126], v[119:120], v[10:11]
	s_waitcnt vmcnt(4)
	s_delay_alu instid0(VALU_DEP_1)
	v_fma_f64 v[6:7], v[6:7], v[121:122], v[10:11]
	ds_load_2addr_b64 v[119:122], v1 offset0:61 offset1:62
	ds_load_2addr_b64 v[123:126], v1 offset0:63 offset1:64
	s_waitcnt lgkmcnt(1)
	v_fma_f64 v[10:11], v[8:9], v[119:120], v[6:7]
	scratch_load_b128 v[6:9], off, off offset:192
	s_waitcnt vmcnt(4)
	v_fma_f64 v[10:11], v[103:104], v[121:122], v[10:11]
	s_waitcnt lgkmcnt(0)
	s_delay_alu instid0(VALU_DEP_1)
	v_fma_f64 v[10:11], v[105:106], v[123:124], v[10:11]
	scratch_load_b128 v[103:106], off, off offset:208
	s_waitcnt vmcnt(4)
	v_fma_f64 v[10:11], v[107:108], v[125:126], v[10:11]
	ds_load_2addr_b64 v[119:122], v1 offset0:65 offset1:66
	ds_load_2addr_b64 v[123:126], v1 offset0:67 offset1:68
	s_waitcnt lgkmcnt(1)
	v_fma_f64 v[10:11], v[109:110], v[119:120], v[10:11]
	scratch_load_b128 v[107:110], off, off offset:224
	s_waitcnt vmcnt(4)
	v_fma_f64 v[10:11], v[111:112], v[121:122], v[10:11]
	s_waitcnt lgkmcnt(0)
	s_delay_alu instid0(VALU_DEP_1)
	v_fma_f64 v[10:11], v[113:114], v[123:124], v[10:11]
	scratch_load_b128 v[111:114], off, off offset:240
	s_waitcnt vmcnt(4)
	;; [unrolled: 13-line block ×5, first 2 shown]
	v_fma_f64 v[6:7], v[6:7], v[125:126], v[10:11]
	ds_load_2addr_b64 v[119:122], v1 offset0:81 offset1:82
	ds_load_2addr_b64 v[123:126], v1 offset0:83 offset1:84
	scratch_load_b64 v[10:11], off, off offset:352
	s_waitcnt lgkmcnt(1)
	v_fma_f64 v[6:7], v[8:9], v[119:120], v[6:7]
	s_waitcnt vmcnt(4)
	s_delay_alu instid0(VALU_DEP_1) | instskip(SKIP_1) | instid1(VALU_DEP_1)
	v_fma_f64 v[6:7], v[103:104], v[121:122], v[6:7]
	s_waitcnt lgkmcnt(0)
	v_fma_f64 v[6:7], v[105:106], v[123:124], v[6:7]
	s_waitcnt vmcnt(3)
	s_delay_alu instid0(VALU_DEP_1)
	v_fma_f64 v[107:108], v[107:108], v[125:126], v[6:7]
	ds_load_2addr_b64 v[6:9], v1 offset0:85 offset1:86
	ds_load_2addr_b64 v[103:106], v1 offset0:87 offset1:88
	s_waitcnt lgkmcnt(1)
	v_fma_f64 v[6:7], v[109:110], v[6:7], v[107:108]
	s_waitcnt vmcnt(2)
	s_delay_alu instid0(VALU_DEP_1) | instskip(SKIP_1) | instid1(VALU_DEP_1)
	v_fma_f64 v[6:7], v[111:112], v[8:9], v[6:7]
	s_waitcnt lgkmcnt(0)
	v_fma_f64 v[6:7], v[113:114], v[103:104], v[6:7]
	s_waitcnt vmcnt(1)
	s_delay_alu instid0(VALU_DEP_1) | instskip(SKIP_4) | instid1(VALU_DEP_1)
	v_fma_f64 v[103:104], v[115:116], v[105:106], v[6:7]
	ds_load_2addr_b64 v[6:9], v1 offset0:89 offset1:90
	s_waitcnt lgkmcnt(0)
	v_fma_f64 v[1:2], v[117:118], v[6:7], v[103:104]
	s_waitcnt vmcnt(0)
	v_fma_f64 v[1:2], v[10:11], v[8:9], v[1:2]
	s_delay_alu instid0(VALU_DEP_1)
	v_add_f64 v[1:2], v[4:5], -v[1:2]
	scratch_store_b64 off, v[1:2], off offset:16
	v_cmpx_lt_u32_e32 1, v0
	s_cbranch_execz .LBB108_277
; %bb.276:
	scratch_load_b64 v[1:2], off, off offset:8
	v_mov_b32_e32 v4, 0
	s_delay_alu instid0(VALU_DEP_1)
	v_mov_b32_e32 v5, v4
	scratch_store_b64 off, v[4:5], off offset:8
	s_waitcnt vmcnt(0)
	ds_store_b64 v3, v[1:2]
.LBB108_277:
	s_or_b32 exec_lo, exec_lo, s0
	s_waitcnt lgkmcnt(0)
	s_waitcnt_vscnt null, 0x0
	s_barrier
	buffer_gl0_inv
	s_clause 0x4
	scratch_load_b128 v[5:8], off, off offset:8
	scratch_load_b128 v[9:12], off, off offset:24
	;; [unrolled: 1-line block ×5, first 2 shown]
	v_mov_b32_e32 v4, 0
	ds_load_b128 v[115:118], v4 offset:384
	ds_load_b128 v[119:122], v4 offset:400
	scratch_load_b128 v[123:126], off, off offset:88
	s_mov_b32 s0, exec_lo
	s_waitcnt vmcnt(5) lgkmcnt(1)
	v_fma_f64 v[1:2], v[7:8], v[115:116], 0
	s_waitcnt vmcnt(4)
	s_delay_alu instid0(VALU_DEP_1) | instskip(SKIP_4) | instid1(VALU_DEP_1)
	v_fma_f64 v[1:2], v[9:10], v[117:118], v[1:2]
	scratch_load_b128 v[7:10], off, off offset:104
	s_waitcnt lgkmcnt(0)
	v_fma_f64 v[1:2], v[11:12], v[119:120], v[1:2]
	s_waitcnt vmcnt(4)
	v_fma_f64 v[1:2], v[103:104], v[121:122], v[1:2]
	ds_load_b128 v[115:118], v4 offset:416
	ds_load_b128 v[119:122], v4 offset:432
	s_waitcnt lgkmcnt(1)
	v_fma_f64 v[1:2], v[105:106], v[115:116], v[1:2]
	scratch_load_b128 v[103:106], off, off offset:120
	s_waitcnt vmcnt(4)
	v_fma_f64 v[1:2], v[107:108], v[117:118], v[1:2]
	s_waitcnt lgkmcnt(0)
	s_delay_alu instid0(VALU_DEP_1)
	v_fma_f64 v[1:2], v[109:110], v[119:120], v[1:2]
	scratch_load_b128 v[107:110], off, off offset:136
	s_waitcnt vmcnt(4)
	v_fma_f64 v[1:2], v[111:112], v[121:122], v[1:2]
	ds_load_b128 v[115:118], v4 offset:448
	ds_load_b128 v[119:122], v4 offset:464
	s_waitcnt lgkmcnt(1)
	v_fma_f64 v[1:2], v[113:114], v[115:116], v[1:2]
	scratch_load_b128 v[111:114], off, off offset:152
	s_waitcnt vmcnt(4)
	v_fma_f64 v[1:2], v[123:124], v[117:118], v[1:2]
	scratch_load_b128 v[115:118], off, off offset:168
	s_waitcnt lgkmcnt(0)
	v_fma_f64 v[1:2], v[125:126], v[119:120], v[1:2]
	s_waitcnt vmcnt(4)
	s_delay_alu instid0(VALU_DEP_1)
	v_fma_f64 v[1:2], v[7:8], v[121:122], v[1:2]
	ds_load_b128 v[119:122], v4 offset:480
	ds_load_b128 v[123:126], v4 offset:496
	s_waitcnt lgkmcnt(1)
	v_fma_f64 v[1:2], v[9:10], v[119:120], v[1:2]
	scratch_load_b128 v[7:10], off, off offset:184
	s_waitcnt vmcnt(4)
	v_fma_f64 v[1:2], v[103:104], v[121:122], v[1:2]
	s_waitcnt lgkmcnt(0)
	s_delay_alu instid0(VALU_DEP_1)
	v_fma_f64 v[1:2], v[105:106], v[123:124], v[1:2]
	scratch_load_b128 v[103:106], off, off offset:200
	s_waitcnt vmcnt(4)
	v_fma_f64 v[1:2], v[107:108], v[125:126], v[1:2]
	ds_load_b128 v[119:122], v4 offset:512
	ds_load_b128 v[123:126], v4 offset:528
	s_waitcnt lgkmcnt(1)
	v_fma_f64 v[1:2], v[109:110], v[119:120], v[1:2]
	scratch_load_b128 v[107:110], off, off offset:216
	s_waitcnt vmcnt(4)
	v_fma_f64 v[1:2], v[111:112], v[121:122], v[1:2]
	s_waitcnt lgkmcnt(0)
	s_delay_alu instid0(VALU_DEP_1)
	v_fma_f64 v[1:2], v[113:114], v[123:124], v[1:2]
	scratch_load_b128 v[111:114], off, off offset:232
	s_waitcnt vmcnt(4)
	;; [unrolled: 13-line block ×5, first 2 shown]
	v_fma_f64 v[1:2], v[7:8], v[125:126], v[1:2]
	ds_load_b128 v[119:122], v4 offset:640
	ds_load_b128 v[123:126], v4 offset:656
	s_waitcnt lgkmcnt(1)
	v_fma_f64 v[1:2], v[9:10], v[119:120], v[1:2]
	scratch_load_b128 v[7:10], off, off offset:344
	s_waitcnt vmcnt(4)
	v_fma_f64 v[1:2], v[103:104], v[121:122], v[1:2]
	s_waitcnt lgkmcnt(0)
	s_delay_alu instid0(VALU_DEP_1)
	v_fma_f64 v[1:2], v[105:106], v[123:124], v[1:2]
	ds_load_b128 v[103:106], v4 offset:672
	ds_load_b128 v[119:122], v4 offset:688
	s_waitcnt vmcnt(3)
	v_fma_f64 v[1:2], v[107:108], v[125:126], v[1:2]
	s_waitcnt lgkmcnt(1)
	s_delay_alu instid0(VALU_DEP_1) | instskip(SKIP_1) | instid1(VALU_DEP_1)
	v_fma_f64 v[1:2], v[109:110], v[103:104], v[1:2]
	s_waitcnt vmcnt(2)
	v_fma_f64 v[1:2], v[111:112], v[105:106], v[1:2]
	ds_load_b128 v[103:106], v4 offset:704
	ds_load_b64 v[11:12], v4 offset:720
	s_waitcnt lgkmcnt(2)
	v_fma_f64 v[1:2], v[113:114], v[119:120], v[1:2]
	s_waitcnt vmcnt(1)
	s_delay_alu instid0(VALU_DEP_1) | instskip(SKIP_1) | instid1(VALU_DEP_1)
	v_fma_f64 v[1:2], v[115:116], v[121:122], v[1:2]
	s_waitcnt lgkmcnt(1)
	v_fma_f64 v[1:2], v[117:118], v[103:104], v[1:2]
	s_waitcnt vmcnt(0)
	s_delay_alu instid0(VALU_DEP_1) | instskip(SKIP_1) | instid1(VALU_DEP_1)
	v_fma_f64 v[1:2], v[7:8], v[105:106], v[1:2]
	s_waitcnt lgkmcnt(0)
	v_fma_f64 v[1:2], v[9:10], v[11:12], v[1:2]
	s_delay_alu instid0(VALU_DEP_1)
	v_add_f64 v[1:2], v[5:6], -v[1:2]
	scratch_store_b64 off, v[1:2], off offset:8
	v_cmpx_ne_u32_e32 0, v0
	s_cbranch_execz .LBB108_279
; %bb.278:
	scratch_load_b64 v[0:1], off, off
	v_mov_b32_e32 v5, v4
	scratch_store_b64 off, v[4:5], off
	s_waitcnt vmcnt(0)
	ds_store_b64 v3, v[0:1]
.LBB108_279:
	s_or_b32 exec_lo, exec_lo, s0
	s_waitcnt lgkmcnt(0)
	s_waitcnt_vscnt null, 0x0
	s_barrier
	buffer_gl0_inv
	s_clause 0x4
	scratch_load_b128 v[5:8], off, off
	scratch_load_b128 v[0:3], off, off offset:16
	scratch_load_b128 v[9:12], off, off offset:32
	;; [unrolled: 1-line block ×4, first 2 shown]
	ds_load_2addr_b64 v[111:114], v4 offset0:47 offset1:48
	ds_load_2addr_b64 v[115:118], v4 offset0:49 offset1:50
	scratch_load_b128 v[119:122], off, off offset:80
	s_and_b32 vcc_lo, exec_lo, s12
	s_waitcnt vmcnt(5) lgkmcnt(1)
	v_fma_f64 v[7:8], v[7:8], v[111:112], 0
	s_waitcnt vmcnt(4)
	s_delay_alu instid0(VALU_DEP_1) | instskip(SKIP_1) | instid1(VALU_DEP_1)
	v_fma_f64 v[0:1], v[0:1], v[113:114], v[7:8]
	s_waitcnt lgkmcnt(0)
	v_fma_f64 v[7:8], v[2:3], v[115:116], v[0:1]
	scratch_load_b128 v[0:3], off, off offset:96
	s_waitcnt vmcnt(4)
	v_fma_f64 v[115:116], v[9:10], v[117:118], v[7:8]
	ds_load_2addr_b64 v[7:10], v4 offset0:51 offset1:52
	ds_load_2addr_b64 v[111:114], v4 offset0:53 offset1:54
	s_waitcnt lgkmcnt(1)
	v_fma_f64 v[7:8], v[11:12], v[7:8], v[115:116]
	scratch_load_b128 v[115:118], off, off offset:112
	s_waitcnt vmcnt(4)
	v_fma_f64 v[7:8], v[103:104], v[9:10], v[7:8]
	s_waitcnt lgkmcnt(0)
	s_delay_alu instid0(VALU_DEP_1)
	v_fma_f64 v[11:12], v[105:106], v[111:112], v[7:8]
	scratch_load_b128 v[7:10], off, off offset:128
	s_waitcnt vmcnt(4)
	v_fma_f64 v[11:12], v[107:108], v[113:114], v[11:12]
	ds_load_2addr_b64 v[103:106], v4 offset0:55 offset1:56
	ds_load_2addr_b64 v[111:114], v4 offset0:57 offset1:58
	s_waitcnt lgkmcnt(1)
	v_fma_f64 v[11:12], v[109:110], v[103:104], v[11:12]
	scratch_load_b128 v[107:110], off, off offset:144
	s_waitcnt vmcnt(4)
	v_fma_f64 v[11:12], v[119:120], v[105:106], v[11:12]
	scratch_load_b128 v[103:106], off, off offset:160
	s_waitcnt lgkmcnt(0)
	v_fma_f64 v[11:12], v[121:122], v[111:112], v[11:12]
	s_waitcnt vmcnt(4)
	s_delay_alu instid0(VALU_DEP_1)
	v_fma_f64 v[0:1], v[0:1], v[113:114], v[11:12]
	ds_load_2addr_b64 v[111:114], v4 offset0:59 offset1:60
	ds_load_2addr_b64 v[119:122], v4 offset0:61 offset1:62
	s_waitcnt lgkmcnt(1)
	v_fma_f64 v[11:12], v[2:3], v[111:112], v[0:1]
	scratch_load_b128 v[0:3], off, off offset:176
	s_waitcnt vmcnt(4)
	v_fma_f64 v[11:12], v[115:116], v[113:114], v[11:12]
	scratch_load_b128 v[111:114], off, off offset:192
	s_waitcnt lgkmcnt(0)
	v_fma_f64 v[11:12], v[117:118], v[119:120], v[11:12]
	s_waitcnt vmcnt(4)
	s_delay_alu instid0(VALU_DEP_1)
	v_fma_f64 v[7:8], v[7:8], v[121:122], v[11:12]
	ds_load_2addr_b64 v[115:118], v4 offset0:63 offset1:64
	ds_load_2addr_b64 v[119:122], v4 offset0:65 offset1:66
	s_waitcnt lgkmcnt(1)
	v_fma_f64 v[11:12], v[9:10], v[115:116], v[7:8]
	scratch_load_b128 v[7:10], off, off offset:208
	s_waitcnt vmcnt(4)
	v_fma_f64 v[11:12], v[107:108], v[117:118], v[11:12]
	s_waitcnt lgkmcnt(0)
	s_delay_alu instid0(VALU_DEP_1)
	v_fma_f64 v[11:12], v[109:110], v[119:120], v[11:12]
	scratch_load_b128 v[107:110], off, off offset:224
	s_waitcnt vmcnt(4)
	v_fma_f64 v[11:12], v[103:104], v[121:122], v[11:12]
	ds_load_2addr_b64 v[115:118], v4 offset0:67 offset1:68
	ds_load_2addr_b64 v[119:122], v4 offset0:69 offset1:70
	s_waitcnt lgkmcnt(1)
	v_fma_f64 v[11:12], v[105:106], v[115:116], v[11:12]
	scratch_load_b128 v[103:106], off, off offset:240
	s_waitcnt vmcnt(4)
	v_fma_f64 v[0:1], v[0:1], v[117:118], v[11:12]
	s_waitcnt lgkmcnt(0)
	s_delay_alu instid0(VALU_DEP_1)
	v_fma_f64 v[11:12], v[2:3], v[119:120], v[0:1]
	scratch_load_b128 v[0:3], off, off offset:256
	s_waitcnt vmcnt(4)
	;; [unrolled: 13-line block ×4, first 2 shown]
	v_fma_f64 v[0:1], v[0:1], v[121:122], v[11:12]
	ds_load_2addr_b64 v[115:118], v4 offset0:79 offset1:80
	ds_load_2addr_b64 v[119:122], v4 offset0:81 offset1:82
	s_waitcnt lgkmcnt(1)
	v_fma_f64 v[11:12], v[2:3], v[115:116], v[0:1]
	scratch_load_b128 v[0:3], off, off offset:336
	s_waitcnt vmcnt(4)
	v_fma_f64 v[11:12], v[111:112], v[117:118], v[11:12]
	s_waitcnt lgkmcnt(0)
	s_delay_alu instid0(VALU_DEP_1)
	v_fma_f64 v[11:12], v[113:114], v[119:120], v[11:12]
	scratch_load_b64 v[119:120], off, off offset:352
	ds_load_2addr_b64 v[111:114], v4 offset0:83 offset1:84
	ds_load_2addr_b64 v[115:118], v4 offset0:85 offset1:86
	s_waitcnt vmcnt(4)
	v_fma_f64 v[7:8], v[7:8], v[121:122], v[11:12]
	s_waitcnt lgkmcnt(1)
	s_delay_alu instid0(VALU_DEP_1) | instskip(SKIP_1) | instid1(VALU_DEP_1)
	v_fma_f64 v[7:8], v[9:10], v[111:112], v[7:8]
	s_waitcnt vmcnt(3)
	v_fma_f64 v[7:8], v[107:108], v[113:114], v[7:8]
	s_waitcnt lgkmcnt(0)
	s_delay_alu instid0(VALU_DEP_1) | instskip(SKIP_1) | instid1(VALU_DEP_1)
	v_fma_f64 v[7:8], v[109:110], v[115:116], v[7:8]
	s_waitcnt vmcnt(2)
	v_fma_f64 v[11:12], v[103:104], v[117:118], v[7:8]
	ds_load_2addr_b64 v[7:10], v4 offset0:87 offset1:88
	ds_load_2addr_b64 v[107:110], v4 offset0:89 offset1:90
	s_waitcnt lgkmcnt(1)
	v_fma_f64 v[7:8], v[105:106], v[7:8], v[11:12]
	s_waitcnt vmcnt(1)
	s_delay_alu instid0(VALU_DEP_1) | instskip(SKIP_1) | instid1(VALU_DEP_1)
	v_fma_f64 v[0:1], v[0:1], v[9:10], v[7:8]
	s_waitcnt lgkmcnt(0)
	v_fma_f64 v[0:1], v[2:3], v[107:108], v[0:1]
	s_waitcnt vmcnt(0)
	s_delay_alu instid0(VALU_DEP_1) | instskip(NEXT) | instid1(VALU_DEP_1)
	v_fma_f64 v[0:1], v[119:120], v[109:110], v[0:1]
	v_add_f64 v[0:1], v[5:6], -v[0:1]
	scratch_store_b64 off, v[0:1], off
	s_cbranch_vccz .LBB108_369
; %bb.280:
	v_dual_mov_b32 v0, s2 :: v_dual_mov_b32 v1, s3
	s_mov_b32 s0, exec_lo
	flat_load_b32 v0, v[0:1] offset:172
	s_waitcnt vmcnt(0) lgkmcnt(0)
	v_cmpx_ne_u32_e32 44, v0
	s_cbranch_execz .LBB108_282
; %bb.281:
	v_lshl_add_u32 v4, v0, 3, 0
	scratch_load_b64 v[0:1], v4, off offset:-8
	s_waitcnt vmcnt(0)
	scratch_store_b64 off, v[0:1], off offset:344
	scratch_store_b64 v4, v[2:3], off offset:-8
.LBB108_282:
	s_or_b32 exec_lo, exec_lo, s0
	v_dual_mov_b32 v0, s2 :: v_dual_mov_b32 v1, s3
	s_mov_b32 s0, exec_lo
	flat_load_b32 v0, v[0:1] offset:168
	s_waitcnt vmcnt(0) lgkmcnt(0)
	v_cmpx_ne_u32_e32 43, v0
	s_cbranch_execz .LBB108_284
; %bb.283:
	v_lshl_add_u32 v4, v0, 3, 0
	scratch_load_b64 v[0:1], v4, off offset:-8
	scratch_load_b64 v[2:3], off, off offset:336
	s_waitcnt vmcnt(1)
	scratch_store_b64 off, v[0:1], off offset:336
	s_waitcnt vmcnt(0)
	scratch_store_b64 v4, v[2:3], off offset:-8
.LBB108_284:
	s_or_b32 exec_lo, exec_lo, s0
	v_dual_mov_b32 v0, s2 :: v_dual_mov_b32 v1, s3
	s_mov_b32 s0, exec_lo
	flat_load_b32 v0, v[0:1] offset:164
	s_waitcnt vmcnt(0) lgkmcnt(0)
	v_cmpx_ne_u32_e32 42, v0
	s_cbranch_execz .LBB108_286
; %bb.285:
	v_lshl_add_u32 v4, v0, 3, 0
	scratch_load_b64 v[0:1], v4, off offset:-8
	scratch_load_b64 v[2:3], off, off offset:328
	s_waitcnt vmcnt(1)
	scratch_store_b64 off, v[0:1], off offset:328
	s_waitcnt vmcnt(0)
	scratch_store_b64 v4, v[2:3], off offset:-8
.LBB108_286:
	s_or_b32 exec_lo, exec_lo, s0
	v_dual_mov_b32 v0, s2 :: v_dual_mov_b32 v1, s3
	s_mov_b32 s0, exec_lo
	flat_load_b32 v0, v[0:1] offset:160
	s_waitcnt vmcnt(0) lgkmcnt(0)
	v_cmpx_ne_u32_e32 41, v0
	s_cbranch_execz .LBB108_288
; %bb.287:
	v_lshl_add_u32 v4, v0, 3, 0
	scratch_load_b64 v[0:1], v4, off offset:-8
	scratch_load_b64 v[2:3], off, off offset:320
	s_waitcnt vmcnt(1)
	scratch_store_b64 off, v[0:1], off offset:320
	s_waitcnt vmcnt(0)
	scratch_store_b64 v4, v[2:3], off offset:-8
.LBB108_288:
	s_or_b32 exec_lo, exec_lo, s0
	v_dual_mov_b32 v0, s2 :: v_dual_mov_b32 v1, s3
	s_mov_b32 s0, exec_lo
	flat_load_b32 v0, v[0:1] offset:156
	s_waitcnt vmcnt(0) lgkmcnt(0)
	v_cmpx_ne_u32_e32 40, v0
	s_cbranch_execz .LBB108_290
; %bb.289:
	v_lshl_add_u32 v4, v0, 3, 0
	scratch_load_b64 v[0:1], v4, off offset:-8
	scratch_load_b64 v[2:3], off, off offset:312
	s_waitcnt vmcnt(1)
	scratch_store_b64 off, v[0:1], off offset:312
	s_waitcnt vmcnt(0)
	scratch_store_b64 v4, v[2:3], off offset:-8
.LBB108_290:
	s_or_b32 exec_lo, exec_lo, s0
	v_dual_mov_b32 v0, s2 :: v_dual_mov_b32 v1, s3
	s_mov_b32 s0, exec_lo
	flat_load_b32 v0, v[0:1] offset:152
	s_waitcnt vmcnt(0) lgkmcnt(0)
	v_cmpx_ne_u32_e32 39, v0
	s_cbranch_execz .LBB108_292
; %bb.291:
	v_lshl_add_u32 v4, v0, 3, 0
	scratch_load_b64 v[0:1], v4, off offset:-8
	scratch_load_b64 v[2:3], off, off offset:304
	s_waitcnt vmcnt(1)
	scratch_store_b64 off, v[0:1], off offset:304
	s_waitcnt vmcnt(0)
	scratch_store_b64 v4, v[2:3], off offset:-8
.LBB108_292:
	s_or_b32 exec_lo, exec_lo, s0
	v_dual_mov_b32 v0, s2 :: v_dual_mov_b32 v1, s3
	s_mov_b32 s0, exec_lo
	flat_load_b32 v0, v[0:1] offset:148
	s_waitcnt vmcnt(0) lgkmcnt(0)
	v_cmpx_ne_u32_e32 38, v0
	s_cbranch_execz .LBB108_294
; %bb.293:
	v_lshl_add_u32 v4, v0, 3, 0
	scratch_load_b64 v[0:1], v4, off offset:-8
	scratch_load_b64 v[2:3], off, off offset:296
	s_waitcnt vmcnt(1)
	scratch_store_b64 off, v[0:1], off offset:296
	s_waitcnt vmcnt(0)
	scratch_store_b64 v4, v[2:3], off offset:-8
.LBB108_294:
	s_or_b32 exec_lo, exec_lo, s0
	v_dual_mov_b32 v0, s2 :: v_dual_mov_b32 v1, s3
	s_mov_b32 s0, exec_lo
	flat_load_b32 v0, v[0:1] offset:144
	s_waitcnt vmcnt(0) lgkmcnt(0)
	v_cmpx_ne_u32_e32 37, v0
	s_cbranch_execz .LBB108_296
; %bb.295:
	v_lshl_add_u32 v4, v0, 3, 0
	scratch_load_b64 v[0:1], v4, off offset:-8
	scratch_load_b64 v[2:3], off, off offset:288
	s_waitcnt vmcnt(1)
	scratch_store_b64 off, v[0:1], off offset:288
	s_waitcnt vmcnt(0)
	scratch_store_b64 v4, v[2:3], off offset:-8
.LBB108_296:
	s_or_b32 exec_lo, exec_lo, s0
	v_dual_mov_b32 v0, s2 :: v_dual_mov_b32 v1, s3
	s_mov_b32 s0, exec_lo
	flat_load_b32 v0, v[0:1] offset:140
	s_waitcnt vmcnt(0) lgkmcnt(0)
	v_cmpx_ne_u32_e32 36, v0
	s_cbranch_execz .LBB108_298
; %bb.297:
	v_lshl_add_u32 v4, v0, 3, 0
	scratch_load_b64 v[0:1], v4, off offset:-8
	scratch_load_b64 v[2:3], off, off offset:280
	s_waitcnt vmcnt(1)
	scratch_store_b64 off, v[0:1], off offset:280
	s_waitcnt vmcnt(0)
	scratch_store_b64 v4, v[2:3], off offset:-8
.LBB108_298:
	s_or_b32 exec_lo, exec_lo, s0
	v_dual_mov_b32 v0, s2 :: v_dual_mov_b32 v1, s3
	s_mov_b32 s0, exec_lo
	flat_load_b32 v0, v[0:1] offset:136
	s_waitcnt vmcnt(0) lgkmcnt(0)
	v_cmpx_ne_u32_e32 35, v0
	s_cbranch_execz .LBB108_300
; %bb.299:
	v_lshl_add_u32 v4, v0, 3, 0
	scratch_load_b64 v[0:1], v4, off offset:-8
	scratch_load_b64 v[2:3], off, off offset:272
	s_waitcnt vmcnt(1)
	scratch_store_b64 off, v[0:1], off offset:272
	s_waitcnt vmcnt(0)
	scratch_store_b64 v4, v[2:3], off offset:-8
.LBB108_300:
	s_or_b32 exec_lo, exec_lo, s0
	v_dual_mov_b32 v0, s2 :: v_dual_mov_b32 v1, s3
	s_mov_b32 s0, exec_lo
	flat_load_b32 v0, v[0:1] offset:132
	s_waitcnt vmcnt(0) lgkmcnt(0)
	v_cmpx_ne_u32_e32 34, v0
	s_cbranch_execz .LBB108_302
; %bb.301:
	v_lshl_add_u32 v4, v0, 3, 0
	scratch_load_b64 v[0:1], v4, off offset:-8
	scratch_load_b64 v[2:3], off, off offset:264
	s_waitcnt vmcnt(1)
	scratch_store_b64 off, v[0:1], off offset:264
	s_waitcnt vmcnt(0)
	scratch_store_b64 v4, v[2:3], off offset:-8
.LBB108_302:
	s_or_b32 exec_lo, exec_lo, s0
	v_dual_mov_b32 v0, s2 :: v_dual_mov_b32 v1, s3
	s_mov_b32 s0, exec_lo
	flat_load_b32 v0, v[0:1] offset:128
	s_waitcnt vmcnt(0) lgkmcnt(0)
	v_cmpx_ne_u32_e32 33, v0
	s_cbranch_execz .LBB108_304
; %bb.303:
	v_lshl_add_u32 v4, v0, 3, 0
	scratch_load_b64 v[0:1], v4, off offset:-8
	scratch_load_b64 v[2:3], off, off offset:256
	s_waitcnt vmcnt(1)
	scratch_store_b64 off, v[0:1], off offset:256
	s_waitcnt vmcnt(0)
	scratch_store_b64 v4, v[2:3], off offset:-8
.LBB108_304:
	s_or_b32 exec_lo, exec_lo, s0
	v_dual_mov_b32 v0, s2 :: v_dual_mov_b32 v1, s3
	s_mov_b32 s0, exec_lo
	flat_load_b32 v0, v[0:1] offset:124
	s_waitcnt vmcnt(0) lgkmcnt(0)
	v_cmpx_ne_u32_e32 32, v0
	s_cbranch_execz .LBB108_306
; %bb.305:
	v_lshl_add_u32 v4, v0, 3, 0
	scratch_load_b64 v[0:1], v4, off offset:-8
	scratch_load_b64 v[2:3], off, off offset:248
	s_waitcnt vmcnt(1)
	scratch_store_b64 off, v[0:1], off offset:248
	s_waitcnt vmcnt(0)
	scratch_store_b64 v4, v[2:3], off offset:-8
.LBB108_306:
	s_or_b32 exec_lo, exec_lo, s0
	v_dual_mov_b32 v0, s2 :: v_dual_mov_b32 v1, s3
	s_mov_b32 s0, exec_lo
	flat_load_b32 v0, v[0:1] offset:120
	s_waitcnt vmcnt(0) lgkmcnt(0)
	v_cmpx_ne_u32_e32 31, v0
	s_cbranch_execz .LBB108_308
; %bb.307:
	v_lshl_add_u32 v4, v0, 3, 0
	scratch_load_b64 v[0:1], v4, off offset:-8
	scratch_load_b64 v[2:3], off, off offset:240
	s_waitcnt vmcnt(1)
	scratch_store_b64 off, v[0:1], off offset:240
	s_waitcnt vmcnt(0)
	scratch_store_b64 v4, v[2:3], off offset:-8
.LBB108_308:
	s_or_b32 exec_lo, exec_lo, s0
	v_dual_mov_b32 v0, s2 :: v_dual_mov_b32 v1, s3
	s_mov_b32 s0, exec_lo
	flat_load_b32 v0, v[0:1] offset:116
	s_waitcnt vmcnt(0) lgkmcnt(0)
	v_cmpx_ne_u32_e32 30, v0
	s_cbranch_execz .LBB108_310
; %bb.309:
	v_lshl_add_u32 v4, v0, 3, 0
	scratch_load_b64 v[0:1], v4, off offset:-8
	scratch_load_b64 v[2:3], off, off offset:232
	s_waitcnt vmcnt(1)
	scratch_store_b64 off, v[0:1], off offset:232
	s_waitcnt vmcnt(0)
	scratch_store_b64 v4, v[2:3], off offset:-8
.LBB108_310:
	s_or_b32 exec_lo, exec_lo, s0
	v_dual_mov_b32 v0, s2 :: v_dual_mov_b32 v1, s3
	s_mov_b32 s0, exec_lo
	flat_load_b32 v0, v[0:1] offset:112
	s_waitcnt vmcnt(0) lgkmcnt(0)
	v_cmpx_ne_u32_e32 29, v0
	s_cbranch_execz .LBB108_312
; %bb.311:
	v_lshl_add_u32 v4, v0, 3, 0
	scratch_load_b64 v[0:1], v4, off offset:-8
	scratch_load_b64 v[2:3], off, off offset:224
	s_waitcnt vmcnt(1)
	scratch_store_b64 off, v[0:1], off offset:224
	s_waitcnt vmcnt(0)
	scratch_store_b64 v4, v[2:3], off offset:-8
.LBB108_312:
	s_or_b32 exec_lo, exec_lo, s0
	v_dual_mov_b32 v0, s2 :: v_dual_mov_b32 v1, s3
	s_mov_b32 s0, exec_lo
	flat_load_b32 v0, v[0:1] offset:108
	s_waitcnt vmcnt(0) lgkmcnt(0)
	v_cmpx_ne_u32_e32 28, v0
	s_cbranch_execz .LBB108_314
; %bb.313:
	v_lshl_add_u32 v4, v0, 3, 0
	scratch_load_b64 v[0:1], v4, off offset:-8
	scratch_load_b64 v[2:3], off, off offset:216
	s_waitcnt vmcnt(1)
	scratch_store_b64 off, v[0:1], off offset:216
	s_waitcnt vmcnt(0)
	scratch_store_b64 v4, v[2:3], off offset:-8
.LBB108_314:
	s_or_b32 exec_lo, exec_lo, s0
	v_dual_mov_b32 v0, s2 :: v_dual_mov_b32 v1, s3
	s_mov_b32 s0, exec_lo
	flat_load_b32 v0, v[0:1] offset:104
	s_waitcnt vmcnt(0) lgkmcnt(0)
	v_cmpx_ne_u32_e32 27, v0
	s_cbranch_execz .LBB108_316
; %bb.315:
	v_lshl_add_u32 v4, v0, 3, 0
	scratch_load_b64 v[0:1], v4, off offset:-8
	scratch_load_b64 v[2:3], off, off offset:208
	s_waitcnt vmcnt(1)
	scratch_store_b64 off, v[0:1], off offset:208
	s_waitcnt vmcnt(0)
	scratch_store_b64 v4, v[2:3], off offset:-8
.LBB108_316:
	s_or_b32 exec_lo, exec_lo, s0
	v_dual_mov_b32 v0, s2 :: v_dual_mov_b32 v1, s3
	s_mov_b32 s0, exec_lo
	flat_load_b32 v0, v[0:1] offset:100
	s_waitcnt vmcnt(0) lgkmcnt(0)
	v_cmpx_ne_u32_e32 26, v0
	s_cbranch_execz .LBB108_318
; %bb.317:
	v_lshl_add_u32 v4, v0, 3, 0
	scratch_load_b64 v[0:1], v4, off offset:-8
	scratch_load_b64 v[2:3], off, off offset:200
	s_waitcnt vmcnt(1)
	scratch_store_b64 off, v[0:1], off offset:200
	s_waitcnt vmcnt(0)
	scratch_store_b64 v4, v[2:3], off offset:-8
.LBB108_318:
	s_or_b32 exec_lo, exec_lo, s0
	v_dual_mov_b32 v0, s2 :: v_dual_mov_b32 v1, s3
	s_mov_b32 s0, exec_lo
	flat_load_b32 v0, v[0:1] offset:96
	s_waitcnt vmcnt(0) lgkmcnt(0)
	v_cmpx_ne_u32_e32 25, v0
	s_cbranch_execz .LBB108_320
; %bb.319:
	v_lshl_add_u32 v4, v0, 3, 0
	scratch_load_b64 v[0:1], v4, off offset:-8
	scratch_load_b64 v[2:3], off, off offset:192
	s_waitcnt vmcnt(1)
	scratch_store_b64 off, v[0:1], off offset:192
	s_waitcnt vmcnt(0)
	scratch_store_b64 v4, v[2:3], off offset:-8
.LBB108_320:
	s_or_b32 exec_lo, exec_lo, s0
	v_dual_mov_b32 v0, s2 :: v_dual_mov_b32 v1, s3
	s_mov_b32 s0, exec_lo
	flat_load_b32 v0, v[0:1] offset:92
	s_waitcnt vmcnt(0) lgkmcnt(0)
	v_cmpx_ne_u32_e32 24, v0
	s_cbranch_execz .LBB108_322
; %bb.321:
	v_lshl_add_u32 v4, v0, 3, 0
	scratch_load_b64 v[0:1], v4, off offset:-8
	scratch_load_b64 v[2:3], off, off offset:184
	s_waitcnt vmcnt(1)
	scratch_store_b64 off, v[0:1], off offset:184
	s_waitcnt vmcnt(0)
	scratch_store_b64 v4, v[2:3], off offset:-8
.LBB108_322:
	s_or_b32 exec_lo, exec_lo, s0
	v_dual_mov_b32 v0, s2 :: v_dual_mov_b32 v1, s3
	s_mov_b32 s0, exec_lo
	flat_load_b32 v0, v[0:1] offset:88
	s_waitcnt vmcnt(0) lgkmcnt(0)
	v_cmpx_ne_u32_e32 23, v0
	s_cbranch_execz .LBB108_324
; %bb.323:
	v_lshl_add_u32 v4, v0, 3, 0
	scratch_load_b64 v[0:1], v4, off offset:-8
	scratch_load_b64 v[2:3], off, off offset:176
	s_waitcnt vmcnt(1)
	scratch_store_b64 off, v[0:1], off offset:176
	s_waitcnt vmcnt(0)
	scratch_store_b64 v4, v[2:3], off offset:-8
.LBB108_324:
	s_or_b32 exec_lo, exec_lo, s0
	v_dual_mov_b32 v0, s2 :: v_dual_mov_b32 v1, s3
	s_mov_b32 s0, exec_lo
	flat_load_b32 v0, v[0:1] offset:84
	s_waitcnt vmcnt(0) lgkmcnt(0)
	v_cmpx_ne_u32_e32 22, v0
	s_cbranch_execz .LBB108_326
; %bb.325:
	v_lshl_add_u32 v4, v0, 3, 0
	scratch_load_b64 v[0:1], v4, off offset:-8
	scratch_load_b64 v[2:3], off, off offset:168
	s_waitcnt vmcnt(1)
	scratch_store_b64 off, v[0:1], off offset:168
	s_waitcnt vmcnt(0)
	scratch_store_b64 v4, v[2:3], off offset:-8
.LBB108_326:
	s_or_b32 exec_lo, exec_lo, s0
	v_dual_mov_b32 v0, s2 :: v_dual_mov_b32 v1, s3
	s_mov_b32 s0, exec_lo
	flat_load_b32 v0, v[0:1] offset:80
	s_waitcnt vmcnt(0) lgkmcnt(0)
	v_cmpx_ne_u32_e32 21, v0
	s_cbranch_execz .LBB108_328
; %bb.327:
	v_lshl_add_u32 v4, v0, 3, 0
	scratch_load_b64 v[0:1], v4, off offset:-8
	scratch_load_b64 v[2:3], off, off offset:160
	s_waitcnt vmcnt(1)
	scratch_store_b64 off, v[0:1], off offset:160
	s_waitcnt vmcnt(0)
	scratch_store_b64 v4, v[2:3], off offset:-8
.LBB108_328:
	s_or_b32 exec_lo, exec_lo, s0
	v_dual_mov_b32 v0, s2 :: v_dual_mov_b32 v1, s3
	s_mov_b32 s0, exec_lo
	flat_load_b32 v0, v[0:1] offset:76
	s_waitcnt vmcnt(0) lgkmcnt(0)
	v_cmpx_ne_u32_e32 20, v0
	s_cbranch_execz .LBB108_330
; %bb.329:
	v_lshl_add_u32 v4, v0, 3, 0
	scratch_load_b64 v[0:1], v4, off offset:-8
	scratch_load_b64 v[2:3], off, off offset:152
	s_waitcnt vmcnt(1)
	scratch_store_b64 off, v[0:1], off offset:152
	s_waitcnt vmcnt(0)
	scratch_store_b64 v4, v[2:3], off offset:-8
.LBB108_330:
	s_or_b32 exec_lo, exec_lo, s0
	v_dual_mov_b32 v0, s2 :: v_dual_mov_b32 v1, s3
	s_mov_b32 s0, exec_lo
	flat_load_b32 v0, v[0:1] offset:72
	s_waitcnt vmcnt(0) lgkmcnt(0)
	v_cmpx_ne_u32_e32 19, v0
	s_cbranch_execz .LBB108_332
; %bb.331:
	v_lshl_add_u32 v4, v0, 3, 0
	scratch_load_b64 v[0:1], v4, off offset:-8
	scratch_load_b64 v[2:3], off, off offset:144
	s_waitcnt vmcnt(1)
	scratch_store_b64 off, v[0:1], off offset:144
	s_waitcnt vmcnt(0)
	scratch_store_b64 v4, v[2:3], off offset:-8
.LBB108_332:
	s_or_b32 exec_lo, exec_lo, s0
	v_dual_mov_b32 v0, s2 :: v_dual_mov_b32 v1, s3
	s_mov_b32 s0, exec_lo
	flat_load_b32 v0, v[0:1] offset:68
	s_waitcnt vmcnt(0) lgkmcnt(0)
	v_cmpx_ne_u32_e32 18, v0
	s_cbranch_execz .LBB108_334
; %bb.333:
	v_lshl_add_u32 v4, v0, 3, 0
	scratch_load_b64 v[0:1], v4, off offset:-8
	scratch_load_b64 v[2:3], off, off offset:136
	s_waitcnt vmcnt(1)
	scratch_store_b64 off, v[0:1], off offset:136
	s_waitcnt vmcnt(0)
	scratch_store_b64 v4, v[2:3], off offset:-8
.LBB108_334:
	s_or_b32 exec_lo, exec_lo, s0
	v_dual_mov_b32 v0, s2 :: v_dual_mov_b32 v1, s3
	s_mov_b32 s0, exec_lo
	flat_load_b32 v0, v[0:1] offset:64
	s_waitcnt vmcnt(0) lgkmcnt(0)
	v_cmpx_ne_u32_e32 17, v0
	s_cbranch_execz .LBB108_336
; %bb.335:
	v_lshl_add_u32 v4, v0, 3, 0
	scratch_load_b64 v[0:1], v4, off offset:-8
	scratch_load_b64 v[2:3], off, off offset:128
	s_waitcnt vmcnt(1)
	scratch_store_b64 off, v[0:1], off offset:128
	s_waitcnt vmcnt(0)
	scratch_store_b64 v4, v[2:3], off offset:-8
.LBB108_336:
	s_or_b32 exec_lo, exec_lo, s0
	v_dual_mov_b32 v0, s2 :: v_dual_mov_b32 v1, s3
	s_mov_b32 s0, exec_lo
	flat_load_b32 v0, v[0:1] offset:60
	s_waitcnt vmcnt(0) lgkmcnt(0)
	v_cmpx_ne_u32_e32 16, v0
	s_cbranch_execz .LBB108_338
; %bb.337:
	v_lshl_add_u32 v4, v0, 3, 0
	scratch_load_b64 v[0:1], v4, off offset:-8
	scratch_load_b64 v[2:3], off, off offset:120
	s_waitcnt vmcnt(1)
	scratch_store_b64 off, v[0:1], off offset:120
	s_waitcnt vmcnt(0)
	scratch_store_b64 v4, v[2:3], off offset:-8
.LBB108_338:
	s_or_b32 exec_lo, exec_lo, s0
	v_dual_mov_b32 v0, s2 :: v_dual_mov_b32 v1, s3
	s_mov_b32 s0, exec_lo
	flat_load_b32 v0, v[0:1] offset:56
	s_waitcnt vmcnt(0) lgkmcnt(0)
	v_cmpx_ne_u32_e32 15, v0
	s_cbranch_execz .LBB108_340
; %bb.339:
	v_lshl_add_u32 v4, v0, 3, 0
	scratch_load_b64 v[0:1], v4, off offset:-8
	scratch_load_b64 v[2:3], off, off offset:112
	s_waitcnt vmcnt(1)
	scratch_store_b64 off, v[0:1], off offset:112
	s_waitcnt vmcnt(0)
	scratch_store_b64 v4, v[2:3], off offset:-8
.LBB108_340:
	s_or_b32 exec_lo, exec_lo, s0
	v_dual_mov_b32 v0, s2 :: v_dual_mov_b32 v1, s3
	s_mov_b32 s0, exec_lo
	flat_load_b32 v0, v[0:1] offset:52
	s_waitcnt vmcnt(0) lgkmcnt(0)
	v_cmpx_ne_u32_e32 14, v0
	s_cbranch_execz .LBB108_342
; %bb.341:
	v_lshl_add_u32 v4, v0, 3, 0
	scratch_load_b64 v[0:1], v4, off offset:-8
	scratch_load_b64 v[2:3], off, off offset:104
	s_waitcnt vmcnt(1)
	scratch_store_b64 off, v[0:1], off offset:104
	s_waitcnt vmcnt(0)
	scratch_store_b64 v4, v[2:3], off offset:-8
.LBB108_342:
	s_or_b32 exec_lo, exec_lo, s0
	v_dual_mov_b32 v0, s2 :: v_dual_mov_b32 v1, s3
	s_mov_b32 s0, exec_lo
	flat_load_b32 v0, v[0:1] offset:48
	s_waitcnt vmcnt(0) lgkmcnt(0)
	v_cmpx_ne_u32_e32 13, v0
	s_cbranch_execz .LBB108_344
; %bb.343:
	v_lshl_add_u32 v4, v0, 3, 0
	scratch_load_b64 v[0:1], v4, off offset:-8
	scratch_load_b64 v[2:3], off, off offset:96
	s_waitcnt vmcnt(1)
	scratch_store_b64 off, v[0:1], off offset:96
	s_waitcnt vmcnt(0)
	scratch_store_b64 v4, v[2:3], off offset:-8
.LBB108_344:
	s_or_b32 exec_lo, exec_lo, s0
	v_dual_mov_b32 v0, s2 :: v_dual_mov_b32 v1, s3
	s_mov_b32 s0, exec_lo
	flat_load_b32 v0, v[0:1] offset:44
	s_waitcnt vmcnt(0) lgkmcnt(0)
	v_cmpx_ne_u32_e32 12, v0
	s_cbranch_execz .LBB108_346
; %bb.345:
	v_lshl_add_u32 v4, v0, 3, 0
	scratch_load_b64 v[0:1], v4, off offset:-8
	scratch_load_b64 v[2:3], off, off offset:88
	s_waitcnt vmcnt(1)
	scratch_store_b64 off, v[0:1], off offset:88
	s_waitcnt vmcnt(0)
	scratch_store_b64 v4, v[2:3], off offset:-8
.LBB108_346:
	s_or_b32 exec_lo, exec_lo, s0
	v_dual_mov_b32 v0, s2 :: v_dual_mov_b32 v1, s3
	s_mov_b32 s0, exec_lo
	flat_load_b32 v0, v[0:1] offset:40
	s_waitcnt vmcnt(0) lgkmcnt(0)
	v_cmpx_ne_u32_e32 11, v0
	s_cbranch_execz .LBB108_348
; %bb.347:
	v_lshl_add_u32 v4, v0, 3, 0
	scratch_load_b64 v[0:1], v4, off offset:-8
	scratch_load_b64 v[2:3], off, off offset:80
	s_waitcnt vmcnt(1)
	scratch_store_b64 off, v[0:1], off offset:80
	s_waitcnt vmcnt(0)
	scratch_store_b64 v4, v[2:3], off offset:-8
.LBB108_348:
	s_or_b32 exec_lo, exec_lo, s0
	v_dual_mov_b32 v0, s2 :: v_dual_mov_b32 v1, s3
	s_mov_b32 s0, exec_lo
	flat_load_b32 v0, v[0:1] offset:36
	s_waitcnt vmcnt(0) lgkmcnt(0)
	v_cmpx_ne_u32_e32 10, v0
	s_cbranch_execz .LBB108_350
; %bb.349:
	v_lshl_add_u32 v4, v0, 3, 0
	scratch_load_b64 v[0:1], v4, off offset:-8
	scratch_load_b64 v[2:3], off, off offset:72
	s_waitcnt vmcnt(1)
	scratch_store_b64 off, v[0:1], off offset:72
	s_waitcnt vmcnt(0)
	scratch_store_b64 v4, v[2:3], off offset:-8
.LBB108_350:
	s_or_b32 exec_lo, exec_lo, s0
	v_dual_mov_b32 v0, s2 :: v_dual_mov_b32 v1, s3
	s_mov_b32 s0, exec_lo
	flat_load_b32 v0, v[0:1] offset:32
	s_waitcnt vmcnt(0) lgkmcnt(0)
	v_cmpx_ne_u32_e32 9, v0
	s_cbranch_execz .LBB108_352
; %bb.351:
	v_lshl_add_u32 v4, v0, 3, 0
	scratch_load_b64 v[0:1], v4, off offset:-8
	scratch_load_b64 v[2:3], off, off offset:64
	s_waitcnt vmcnt(1)
	scratch_store_b64 off, v[0:1], off offset:64
	s_waitcnt vmcnt(0)
	scratch_store_b64 v4, v[2:3], off offset:-8
.LBB108_352:
	s_or_b32 exec_lo, exec_lo, s0
	v_dual_mov_b32 v0, s2 :: v_dual_mov_b32 v1, s3
	s_mov_b32 s0, exec_lo
	flat_load_b32 v0, v[0:1] offset:28
	s_waitcnt vmcnt(0) lgkmcnt(0)
	v_cmpx_ne_u32_e32 8, v0
	s_cbranch_execz .LBB108_354
; %bb.353:
	v_lshl_add_u32 v4, v0, 3, 0
	scratch_load_b64 v[0:1], v4, off offset:-8
	scratch_load_b64 v[2:3], off, off offset:56
	s_waitcnt vmcnt(1)
	scratch_store_b64 off, v[0:1], off offset:56
	s_waitcnt vmcnt(0)
	scratch_store_b64 v4, v[2:3], off offset:-8
.LBB108_354:
	s_or_b32 exec_lo, exec_lo, s0
	v_dual_mov_b32 v0, s2 :: v_dual_mov_b32 v1, s3
	s_mov_b32 s0, exec_lo
	flat_load_b32 v0, v[0:1] offset:24
	s_waitcnt vmcnt(0) lgkmcnt(0)
	v_cmpx_ne_u32_e32 7, v0
	s_cbranch_execz .LBB108_356
; %bb.355:
	v_lshl_add_u32 v4, v0, 3, 0
	scratch_load_b64 v[0:1], v4, off offset:-8
	scratch_load_b64 v[2:3], off, off offset:48
	s_waitcnt vmcnt(1)
	scratch_store_b64 off, v[0:1], off offset:48
	s_waitcnt vmcnt(0)
	scratch_store_b64 v4, v[2:3], off offset:-8
.LBB108_356:
	s_or_b32 exec_lo, exec_lo, s0
	v_dual_mov_b32 v0, s2 :: v_dual_mov_b32 v1, s3
	s_mov_b32 s0, exec_lo
	flat_load_b32 v0, v[0:1] offset:20
	s_waitcnt vmcnt(0) lgkmcnt(0)
	v_cmpx_ne_u32_e32 6, v0
	s_cbranch_execz .LBB108_358
; %bb.357:
	v_lshl_add_u32 v4, v0, 3, 0
	scratch_load_b64 v[0:1], v4, off offset:-8
	scratch_load_b64 v[2:3], off, off offset:40
	s_waitcnt vmcnt(1)
	scratch_store_b64 off, v[0:1], off offset:40
	s_waitcnt vmcnt(0)
	scratch_store_b64 v4, v[2:3], off offset:-8
.LBB108_358:
	s_or_b32 exec_lo, exec_lo, s0
	v_dual_mov_b32 v0, s2 :: v_dual_mov_b32 v1, s3
	s_mov_b32 s0, exec_lo
	flat_load_b32 v0, v[0:1] offset:16
	s_waitcnt vmcnt(0) lgkmcnt(0)
	v_cmpx_ne_u32_e32 5, v0
	s_cbranch_execz .LBB108_360
; %bb.359:
	v_lshl_add_u32 v4, v0, 3, 0
	scratch_load_b64 v[0:1], v4, off offset:-8
	scratch_load_b64 v[2:3], off, off offset:32
	s_waitcnt vmcnt(1)
	scratch_store_b64 off, v[0:1], off offset:32
	s_waitcnt vmcnt(0)
	scratch_store_b64 v4, v[2:3], off offset:-8
.LBB108_360:
	s_or_b32 exec_lo, exec_lo, s0
	v_dual_mov_b32 v0, s2 :: v_dual_mov_b32 v1, s3
	s_mov_b32 s0, exec_lo
	flat_load_b32 v0, v[0:1] offset:12
	s_waitcnt vmcnt(0) lgkmcnt(0)
	v_cmpx_ne_u32_e32 4, v0
	s_cbranch_execz .LBB108_362
; %bb.361:
	v_lshl_add_u32 v4, v0, 3, 0
	scratch_load_b64 v[0:1], v4, off offset:-8
	scratch_load_b64 v[2:3], off, off offset:24
	s_waitcnt vmcnt(1)
	scratch_store_b64 off, v[0:1], off offset:24
	s_waitcnt vmcnt(0)
	scratch_store_b64 v4, v[2:3], off offset:-8
.LBB108_362:
	s_or_b32 exec_lo, exec_lo, s0
	v_dual_mov_b32 v0, s2 :: v_dual_mov_b32 v1, s3
	s_mov_b32 s0, exec_lo
	flat_load_b32 v0, v[0:1] offset:8
	s_waitcnt vmcnt(0) lgkmcnt(0)
	v_cmpx_ne_u32_e32 3, v0
	s_cbranch_execz .LBB108_364
; %bb.363:
	v_lshl_add_u32 v4, v0, 3, 0
	scratch_load_b64 v[0:1], v4, off offset:-8
	scratch_load_b64 v[2:3], off, off offset:16
	s_waitcnt vmcnt(1)
	scratch_store_b64 off, v[0:1], off offset:16
	s_waitcnt vmcnt(0)
	scratch_store_b64 v4, v[2:3], off offset:-8
.LBB108_364:
	s_or_b32 exec_lo, exec_lo, s0
	v_dual_mov_b32 v0, s2 :: v_dual_mov_b32 v1, s3
	s_mov_b32 s0, exec_lo
	flat_load_b32 v0, v[0:1] offset:4
	s_waitcnt vmcnt(0) lgkmcnt(0)
	v_cmpx_ne_u32_e32 2, v0
	s_cbranch_execz .LBB108_366
; %bb.365:
	v_lshl_add_u32 v4, v0, 3, 0
	scratch_load_b64 v[0:1], v4, off offset:-8
	scratch_load_b64 v[2:3], off, off offset:8
	s_waitcnt vmcnt(1)
	scratch_store_b64 off, v[0:1], off offset:8
	s_waitcnt vmcnt(0)
	scratch_store_b64 v4, v[2:3], off offset:-8
.LBB108_366:
	s_or_b32 exec_lo, exec_lo, s0
	v_dual_mov_b32 v0, s2 :: v_dual_mov_b32 v1, s3
	s_mov_b32 s0, exec_lo
	flat_load_b32 v2, v[0:1]
	scratch_load_b64 v[0:1], off, off
	s_waitcnt vmcnt(1) lgkmcnt(0)
	v_cmpx_ne_u32_e32 1, v2
	s_cbranch_execz .LBB108_368
; %bb.367:
	v_lshl_add_u32 v4, v2, 3, 0
	scratch_load_b64 v[2:3], v4, off offset:-8
	s_waitcnt vmcnt(0)
	scratch_store_b64 off, v[2:3], off
	scratch_store_b64 v4, v[0:1], off offset:-8
	scratch_load_b64 v[0:1], off, off
.LBB108_368:
	s_or_b32 exec_lo, exec_lo, s0
.LBB108_369:
	s_clause 0xa
	scratch_load_b128 v[2:5], off, off offset:8
	scratch_load_b128 v[6:9], off, off offset:24
	;; [unrolled: 1-line block ×11, first 2 shown]
	s_waitcnt vmcnt(11)
	global_store_b64 v[13:14], v[0:1], off
	s_clause 0x1
	scratch_load_b128 v[10:13], off, off offset:184
	scratch_load_b128 v[139:142], off, off offset:264
	s_waitcnt vmcnt(12)
	global_store_b64 v[15:16], v[2:3], off
	scratch_load_b128 v[0:3], off, off offset:200
	global_store_b64 v[17:18], v[4:5], off
	scratch_load_b128 v[14:17], off, off offset:216
	s_waitcnt vmcnt(13)
	global_store_b64 v[19:20], v[6:7], off
	scratch_load_b128 v[4:7], off, off offset:232
	global_store_b64 v[21:22], v[8:9], off
	scratch_load_b128 v[18:21], off, off offset:248
	s_waitcnt vmcnt(14)
	s_clause 0x1
	global_store_b64 v[23:24], v[103:104], off
	global_store_b64 v[25:26], v[105:106], off
	s_clause 0x1
	scratch_load_b128 v[22:25], off, off offset:280
	scratch_load_b128 v[103:106], off, off offset:296
	s_waitcnt vmcnt(15)
	s_clause 0x1
	global_store_b64 v[27:28], v[107:108], off
	global_store_b64 v[29:30], v[109:110], off
	s_clause 0x1
	scratch_load_b128 v[26:29], off, off offset:312
	scratch_load_b128 v[107:110], off, off offset:328
	s_waitcnt vmcnt(16)
	s_clause 0x1
	global_store_b64 v[31:32], v[111:112], off
	global_store_b64 v[33:34], v[113:114], off
	scratch_load_b128 v[30:33], off, off offset:344
	s_waitcnt vmcnt(16)
	s_clause 0x1
	global_store_b64 v[35:36], v[115:116], off
	global_store_b64 v[37:38], v[117:118], off
	s_waitcnt vmcnt(15)
	s_clause 0x1
	global_store_b64 v[39:40], v[119:120], off
	global_store_b64 v[41:42], v[121:122], off
	;; [unrolled: 4-line block ×11, first 2 shown]
	global_store_b64 v[79:80], v[139:140], off
	global_store_b64 v[81:82], v[141:142], off
	s_waitcnt vmcnt(4)
	s_clause 0x1
	global_store_b64 v[83:84], v[22:23], off
	global_store_b64 v[85:86], v[24:25], off
	s_waitcnt vmcnt(3)
	s_clause 0x1
	;; [unrolled: 4-line block ×5, first 2 shown]
	global_store_b64 v[95:96], v[30:31], off
	global_store_b64 v[99:100], v[32:33], off
	s_endpgm
	.section	.rodata,"a",@progbits
	.p2align	6, 0x0
	.amdhsa_kernel _ZN9rocsolver6v33100L18getri_kernel_smallILi45EdPKPdEEvT1_iilPiilS6_bb
		.amdhsa_group_segment_fixed_size 728
		.amdhsa_private_segment_fixed_size 368
		.amdhsa_kernarg_size 60
		.amdhsa_user_sgpr_count 15
		.amdhsa_user_sgpr_dispatch_ptr 0
		.amdhsa_user_sgpr_queue_ptr 0
		.amdhsa_user_sgpr_kernarg_segment_ptr 1
		.amdhsa_user_sgpr_dispatch_id 0
		.amdhsa_user_sgpr_private_segment_size 0
		.amdhsa_wavefront_size32 1
		.amdhsa_uses_dynamic_stack 0
		.amdhsa_enable_private_segment 1
		.amdhsa_system_sgpr_workgroup_id_x 1
		.amdhsa_system_sgpr_workgroup_id_y 0
		.amdhsa_system_sgpr_workgroup_id_z 0
		.amdhsa_system_sgpr_workgroup_info 0
		.amdhsa_system_vgpr_workitem_id 0
		.amdhsa_next_free_vgpr 143
		.amdhsa_next_free_sgpr 17
		.amdhsa_reserve_vcc 1
		.amdhsa_float_round_mode_32 0
		.amdhsa_float_round_mode_16_64 0
		.amdhsa_float_denorm_mode_32 3
		.amdhsa_float_denorm_mode_16_64 3
		.amdhsa_dx10_clamp 1
		.amdhsa_ieee_mode 1
		.amdhsa_fp16_overflow 0
		.amdhsa_workgroup_processor_mode 1
		.amdhsa_memory_ordered 1
		.amdhsa_forward_progress 0
		.amdhsa_shared_vgpr_count 0
		.amdhsa_exception_fp_ieee_invalid_op 0
		.amdhsa_exception_fp_denorm_src 0
		.amdhsa_exception_fp_ieee_div_zero 0
		.amdhsa_exception_fp_ieee_overflow 0
		.amdhsa_exception_fp_ieee_underflow 0
		.amdhsa_exception_fp_ieee_inexact 0
		.amdhsa_exception_int_div_zero 0
	.end_amdhsa_kernel
	.section	.text._ZN9rocsolver6v33100L18getri_kernel_smallILi45EdPKPdEEvT1_iilPiilS6_bb,"axG",@progbits,_ZN9rocsolver6v33100L18getri_kernel_smallILi45EdPKPdEEvT1_iilPiilS6_bb,comdat
.Lfunc_end108:
	.size	_ZN9rocsolver6v33100L18getri_kernel_smallILi45EdPKPdEEvT1_iilPiilS6_bb, .Lfunc_end108-_ZN9rocsolver6v33100L18getri_kernel_smallILi45EdPKPdEEvT1_iilPiilS6_bb
                                        ; -- End function
	.section	.AMDGPU.csdata,"",@progbits
; Kernel info:
; codeLenInByte = 41052
; NumSgprs: 19
; NumVgprs: 143
; ScratchSize: 368
; MemoryBound: 0
; FloatMode: 240
; IeeeMode: 1
; LDSByteSize: 728 bytes/workgroup (compile time only)
; SGPRBlocks: 2
; VGPRBlocks: 17
; NumSGPRsForWavesPerEU: 19
; NumVGPRsForWavesPerEU: 143
; Occupancy: 10
; WaveLimiterHint : 1
; COMPUTE_PGM_RSRC2:SCRATCH_EN: 1
; COMPUTE_PGM_RSRC2:USER_SGPR: 15
; COMPUTE_PGM_RSRC2:TRAP_HANDLER: 0
; COMPUTE_PGM_RSRC2:TGID_X_EN: 1
; COMPUTE_PGM_RSRC2:TGID_Y_EN: 0
; COMPUTE_PGM_RSRC2:TGID_Z_EN: 0
; COMPUTE_PGM_RSRC2:TIDIG_COMP_CNT: 0
	.section	.text._ZN9rocsolver6v33100L18getri_kernel_smallILi46EdPKPdEEvT1_iilPiilS6_bb,"axG",@progbits,_ZN9rocsolver6v33100L18getri_kernel_smallILi46EdPKPdEEvT1_iilPiilS6_bb,comdat
	.globl	_ZN9rocsolver6v33100L18getri_kernel_smallILi46EdPKPdEEvT1_iilPiilS6_bb ; -- Begin function _ZN9rocsolver6v33100L18getri_kernel_smallILi46EdPKPdEEvT1_iilPiilS6_bb
	.p2align	8
	.type	_ZN9rocsolver6v33100L18getri_kernel_smallILi46EdPKPdEEvT1_iilPiilS6_bb,@function
_ZN9rocsolver6v33100L18getri_kernel_smallILi46EdPKPdEEvT1_iilPiilS6_bb: ; @_ZN9rocsolver6v33100L18getri_kernel_smallILi46EdPKPdEEvT1_iilPiilS6_bb
; %bb.0:
	s_mov_b32 s2, exec_lo
	v_cmpx_gt_u32_e32 46, v0
	s_cbranch_execz .LBB109_194
; %bb.1:
	s_clause 0x1
	s_load_b32 s13, s[0:1], 0x38
	s_load_b64 s[2:3], s[0:1], 0x0
	s_mov_b32 s8, s15
	s_load_b128 s[4:7], s[0:1], 0x28
	s_waitcnt lgkmcnt(0)
	s_bitcmp1_b32 s13, 8
	s_cselect_b32 s12, -1, 0
	s_ashr_i32 s9, s15, 31
	s_delay_alu instid0(SALU_CYCLE_1) | instskip(NEXT) | instid1(SALU_CYCLE_1)
	s_lshl_b64 s[10:11], s[8:9], 3
	s_add_u32 s2, s2, s10
	s_addc_u32 s3, s3, s11
	s_load_b64 s[10:11], s[2:3], 0x0
	s_bfe_u32 s2, s13, 0x10008
	s_delay_alu instid0(SALU_CYCLE_1)
	s_cmp_eq_u32 s2, 0
                                        ; implicit-def: $sgpr2_sgpr3
	s_cbranch_scc1 .LBB109_3
; %bb.2:
	s_clause 0x1
	s_load_b32 s2, s[0:1], 0x20
	s_load_b64 s[14:15], s[0:1], 0x18
	s_mul_i32 s3, s8, s5
	s_mul_hi_u32 s5, s8, s4
	s_mul_i32 s16, s9, s4
	s_add_i32 s3, s5, s3
	s_mul_i32 s4, s8, s4
	s_add_i32 s5, s3, s16
	s_delay_alu instid0(SALU_CYCLE_1)
	s_lshl_b64 s[4:5], s[4:5], 2
	s_waitcnt lgkmcnt(0)
	s_ashr_i32 s3, s2, 31
	s_add_u32 s4, s14, s4
	s_addc_u32 s5, s15, s5
	s_lshl_b64 s[2:3], s[2:3], 2
	s_delay_alu instid0(SALU_CYCLE_1)
	s_add_u32 s2, s4, s2
	s_addc_u32 s3, s5, s3
.LBB109_3:
	s_load_b64 s[0:1], s[0:1], 0x8
	v_lshlrev_b32_e32 v3, 3, v0
	s_waitcnt lgkmcnt(0)
	s_ashr_i32 s5, s0, 31
	s_mov_b32 s4, s0
	v_add3_u32 v1, s1, s1, v0
	s_lshl_b64 s[4:5], s[4:5], 3
	s_mov_b32 s14, s1
	s_add_u32 s4, s10, s4
	s_addc_u32 s5, s11, s5
	v_add_co_u32 v24, s0, s4, v3
	s_ashr_i32 s15, s1, 31
	v_add_co_ci_u32_e64 v25, null, s5, 0, s0
	s_lshl_b64 s[10:11], s[14:15], 3
	v_add_nc_u32_e32 v4, s1, v1
	v_add_co_u32 v14, vcc_lo, v24, s10
	v_ashrrev_i32_e32 v2, 31, v1
	v_add_co_ci_u32_e32 v15, vcc_lo, s11, v25, vcc_lo
	s_delay_alu instid0(VALU_DEP_4)
	v_ashrrev_i32_e32 v5, 31, v4
	s_clause 0x1
	global_load_b64 v[52:53], v3, s[4:5]
	global_load_b64 v[54:55], v[14:15], off
	v_lshlrev_b64 v[1:2], 3, v[1:2]
	s_bitcmp0_b32 s13, 0
	v_lshlrev_b64 v[6:7], 3, v[4:5]
	s_delay_alu instid0(VALU_DEP_2) | instskip(NEXT) | instid1(VALU_DEP_3)
	v_add_co_u32 v10, vcc_lo, s4, v1
	v_add_co_ci_u32_e32 v11, vcc_lo, s5, v2, vcc_lo
	s_delay_alu instid0(VALU_DEP_3) | instskip(NEXT) | instid1(VALU_DEP_4)
	v_add_co_u32 v6, vcc_lo, s4, v6
	v_add_co_ci_u32_e32 v7, vcc_lo, s5, v7, vcc_lo
	s_clause 0x1
	global_load_b64 v[56:57], v[10:11], off
	global_load_b64 v[58:59], v[6:7], off
	v_add_nc_u32_e32 v1, s1, v4
	s_delay_alu instid0(VALU_DEP_1) | instskip(SKIP_1) | instid1(VALU_DEP_2)
	v_add_nc_u32_e32 v4, s1, v1
	v_ashrrev_i32_e32 v2, 31, v1
	v_add_nc_u32_e32 v8, s1, v4
	s_delay_alu instid0(VALU_DEP_2) | instskip(SKIP_1) | instid1(VALU_DEP_3)
	v_lshlrev_b64 v[1:2], 3, v[1:2]
	v_ashrrev_i32_e32 v5, 31, v4
	v_add_nc_u32_e32 v12, s1, v8
	v_ashrrev_i32_e32 v9, 31, v8
	s_delay_alu instid0(VALU_DEP_4) | instskip(NEXT) | instid1(VALU_DEP_4)
	v_add_co_u32 v34, vcc_lo, s4, v1
	v_lshlrev_b64 v[4:5], 3, v[4:5]
	s_delay_alu instid0(VALU_DEP_4) | instskip(SKIP_3) | instid1(VALU_DEP_4)
	v_add_nc_u32_e32 v16, s1, v12
	v_ashrrev_i32_e32 v13, 31, v12
	v_add_co_ci_u32_e32 v35, vcc_lo, s5, v2, vcc_lo
	v_lshlrev_b64 v[8:9], 3, v[8:9]
	v_add_nc_u32_e32 v18, s1, v16
	v_add_co_u32 v32, vcc_lo, s4, v4
	v_add_co_ci_u32_e32 v33, vcc_lo, s5, v5, vcc_lo
	s_delay_alu instid0(VALU_DEP_3) | instskip(SKIP_3) | instid1(VALU_DEP_4)
	v_add_nc_u32_e32 v22, s1, v18
	v_lshlrev_b64 v[4:5], 3, v[12:13]
	v_ashrrev_i32_e32 v17, 31, v16
	v_add_co_u32 v26, vcc_lo, s4, v8
	v_add_nc_u32_e32 v30, s1, v22
	v_ashrrev_i32_e32 v19, 31, v18
	v_add_co_ci_u32_e32 v27, vcc_lo, s5, v9, vcc_lo
	v_lshlrev_b64 v[8:9], 3, v[16:17]
	s_delay_alu instid0(VALU_DEP_4) | instskip(SKIP_2) | instid1(VALU_DEP_3)
	v_add_nc_u32_e32 v36, s1, v30
	v_add_co_u32 v28, vcc_lo, s4, v4
	v_add_co_ci_u32_e32 v29, vcc_lo, s5, v5, vcc_lo
	v_add_nc_u32_e32 v38, s1, v36
	v_lshlrev_b64 v[4:5], 3, v[18:19]
	v_ashrrev_i32_e32 v23, 31, v22
	v_add_co_u32 v20, vcc_lo, s4, v8
	s_delay_alu instid0(VALU_DEP_4)
	v_add_nc_u32_e32 v40, s1, v38
	v_ashrrev_i32_e32 v31, 31, v30
	s_clause 0x1
	global_load_b64 v[60:61], v[34:35], off
	global_load_b64 v[62:63], v[32:33], off
	v_add_co_ci_u32_e32 v21, vcc_lo, s5, v9, vcc_lo
	v_add_nc_u32_e32 v42, s1, v40
	v_lshlrev_b64 v[8:9], 3, v[22:23]
	v_add_co_u32 v18, vcc_lo, s4, v4
	v_add_co_ci_u32_e32 v19, vcc_lo, s5, v5, vcc_lo
	s_delay_alu instid0(VALU_DEP_4) | instskip(SKIP_3) | instid1(VALU_DEP_4)
	v_add_nc_u32_e32 v44, s1, v42
	v_lshlrev_b64 v[4:5], 3, v[30:31]
	v_ashrrev_i32_e32 v37, 31, v36
	v_add_co_u32 v16, vcc_lo, s4, v8
	v_add_nc_u32_e32 v46, s1, v44
	v_ashrrev_i32_e32 v39, 31, v38
	v_add_co_ci_u32_e32 v17, vcc_lo, s5, v9, vcc_lo
	v_lshlrev_b64 v[12:13], 3, v[36:37]
	s_delay_alu instid0(VALU_DEP_4) | instskip(SKIP_2) | instid1(VALU_DEP_3)
	v_add_nc_u32_e32 v48, s1, v46
	v_add_co_u32 v8, vcc_lo, s4, v4
	v_add_co_ci_u32_e32 v9, vcc_lo, s5, v5, vcc_lo
	v_add_nc_u32_e32 v50, s1, v48
	v_lshlrev_b64 v[4:5], 3, v[38:39]
	v_ashrrev_i32_e32 v41, 31, v40
	s_clause 0x3
	global_load_b64 v[66:67], v[26:27], off
	global_load_b64 v[68:69], v[28:29], off
	;; [unrolled: 1-line block ×4, first 2 shown]
	v_add_nc_u32_e32 v64, s1, v50
	v_add_co_u32 v12, vcc_lo, s4, v12
	v_ashrrev_i32_e32 v43, 31, v42
	v_add_co_ci_u32_e32 v13, vcc_lo, s5, v13, vcc_lo
	s_delay_alu instid0(VALU_DEP_4) | instskip(SKIP_3) | instid1(VALU_DEP_4)
	v_add_nc_u32_e32 v90, s1, v64
	v_lshlrev_b64 v[30:31], 3, v[40:41]
	v_add_co_u32 v22, vcc_lo, s4, v4
	v_add_co_ci_u32_e32 v23, vcc_lo, s5, v5, vcc_lo
	v_add_nc_u32_e32 v98, s1, v90
	v_lshlrev_b64 v[4:5], 3, v[42:43]
	v_ashrrev_i32_e32 v45, 31, v44
	v_add_co_u32 v30, vcc_lo, s4, v30
	s_delay_alu instid0(VALU_DEP_4) | instskip(SKIP_3) | instid1(VALU_DEP_4)
	v_add_nc_u32_e32 v102, s1, v98
	v_ashrrev_i32_e32 v47, 31, v46
	v_add_co_ci_u32_e32 v31, vcc_lo, s5, v31, vcc_lo
	v_lshlrev_b64 v[38:39], 3, v[44:45]
	v_add_nc_u32_e32 v106, s1, v102
	v_add_co_u32 v36, vcc_lo, s4, v4
	v_add_co_ci_u32_e32 v37, vcc_lo, s5, v5, vcc_lo
	s_delay_alu instid0(VALU_DEP_3)
	v_add_nc_u32_e32 v108, s1, v106
	v_lshlrev_b64 v[4:5], 3, v[46:47]
	s_clause 0x3
	global_load_b64 v[74:75], v[16:17], off
	global_load_b64 v[76:77], v[8:9], off
	;; [unrolled: 1-line block ×4, first 2 shown]
	v_add_co_u32 v38, vcc_lo, s4, v38
	v_add_nc_u32_e32 v110, s1, v108
	v_ashrrev_i32_e32 v49, 31, v48
	v_add_co_ci_u32_e32 v39, vcc_lo, s5, v39, vcc_lo
	v_add_co_u32 v40, vcc_lo, s4, v4
	s_delay_alu instid0(VALU_DEP_4) | instskip(NEXT) | instid1(VALU_DEP_4)
	v_add_nc_u32_e32 v112, s1, v110
	v_lshlrev_b64 v[42:43], 3, v[48:49]
	v_ashrrev_i32_e32 v51, 31, v50
	v_ashrrev_i32_e32 v65, 31, v64
	v_add_co_ci_u32_e32 v41, vcc_lo, s5, v5, vcc_lo
	v_add_nc_u32_e32 v1, s1, v112
	s_delay_alu instid0(VALU_DEP_4)
	v_lshlrev_b64 v[46:47], 3, v[50:51]
	v_add_co_u32 v44, vcc_lo, s4, v42
	s_clause 0x2
	global_load_b64 v[82:83], v[30:31], off
	global_load_b64 v[84:85], v[36:37], off
	global_load_b64 v[86:87], v[38:39], off
	v_add_nc_u32_e32 v114, s1, v1
	v_add_co_ci_u32_e32 v45, vcc_lo, s5, v43, vcc_lo
	v_lshlrev_b64 v[42:43], 3, v[64:65]
	global_load_b64 v[88:89], v[40:41], off
	v_add_nc_u32_e32 v116, s1, v114
	v_ashrrev_i32_e32 v91, 31, v90
	v_add_co_u32 v46, vcc_lo, s4, v46
	v_add_co_ci_u32_e32 v47, vcc_lo, s5, v47, vcc_lo
	s_delay_alu instid0(VALU_DEP_4) | instskip(NEXT) | instid1(VALU_DEP_4)
	v_add_nc_u32_e32 v118, s1, v116
	v_lshlrev_b64 v[50:51], 3, v[90:91]
	v_ashrrev_i32_e32 v99, 31, v98
	v_ashrrev_i32_e32 v103, 31, v102
	;; [unrolled: 1-line block ×3, first 2 shown]
	v_add_nc_u32_e32 v120, s1, v118
	v_ashrrev_i32_e32 v109, 31, v108
	v_ashrrev_i32_e32 v111, 31, v110
	;; [unrolled: 1-line block ×4, first 2 shown]
	v_add_nc_u32_e32 v122, s1, v120
	v_ashrrev_i32_e32 v115, 31, v114
	v_ashrrev_i32_e32 v117, 31, v116
	;; [unrolled: 1-line block ×3, first 2 shown]
	v_lshlrev_b64 v[1:2], 3, v[1:2]
	v_add_nc_u32_e32 v124, s1, v122
	v_ashrrev_i32_e32 v121, 31, v120
	v_ashrrev_i32_e32 v123, 31, v122
	s_delay_alu instid0(VALU_DEP_3) | instskip(SKIP_1) | instid1(VALU_DEP_2)
	v_add_nc_u32_e32 v126, s1, v124
	v_ashrrev_i32_e32 v125, 31, v124
	v_add_nc_u32_e32 v128, s1, v126
	v_ashrrev_i32_e32 v127, 31, v126
	s_delay_alu instid0(VALU_DEP_2) | instskip(SKIP_1) | instid1(VALU_DEP_2)
	v_add_nc_u32_e32 v130, s1, v128
	v_ashrrev_i32_e32 v129, 31, v128
	v_add_nc_u32_e32 v132, s1, v130
	v_ashrrev_i32_e32 v131, 31, v130
	s_delay_alu instid0(VALU_DEP_2) | instskip(SKIP_1) | instid1(VALU_DEP_2)
	;; [unrolled: 5-line block ×4, first 2 shown]
	v_add_nc_u32_e32 v142, s1, v140
	v_ashrrev_i32_e32 v141, 31, v140
	v_add_nc_u32_e32 v4, s1, v142
	v_ashrrev_i32_e32 v143, 31, v142
	s_delay_alu instid0(VALU_DEP_2) | instskip(SKIP_2) | instid1(VALU_DEP_2)
	v_add_nc_u32_e32 v48, s1, v4
	v_ashrrev_i32_e32 v5, 31, v4
	s_mov_b32 s1, -1
	v_ashrrev_i32_e32 v49, 31, v48
	s_delay_alu instid0(VALU_DEP_1) | instskip(SKIP_2) | instid1(VALU_DEP_3)
	v_lshlrev_b64 v[64:65], 3, v[48:49]
	v_add_co_u32 v48, vcc_lo, s4, v42
	v_add_co_ci_u32_e32 v49, vcc_lo, s5, v43, vcc_lo
	v_add_co_u32 v42, vcc_lo, s4, v64
	s_delay_alu instid0(VALU_DEP_4)
	v_add_co_ci_u32_e32 v43, vcc_lo, s5, v65, vcc_lo
	v_add_co_u32 v50, vcc_lo, s4, v50
	v_add_co_ci_u32_e32 v51, vcc_lo, s5, v51, vcc_lo
	global_load_b64 v[100:101], v[42:43], off
	v_lshlrev_b64 v[64:65], 3, v[110:111]
	s_waitcnt vmcnt(17)
	scratch_store_b128 off, v[52:55], off
	v_lshlrev_b64 v[52:53], 3, v[98:99]
	s_clause 0x3
	global_load_b64 v[90:91], v[44:45], off
	global_load_b64 v[92:93], v[46:47], off
	;; [unrolled: 1-line block ×4, first 2 shown]
	v_lshlrev_b64 v[54:55], 3, v[102:103]
	v_lshlrev_b64 v[98:99], 3, v[114:115]
	v_add_co_u32 v52, vcc_lo, s4, v52
	v_add_co_ci_u32_e32 v53, vcc_lo, s5, v53, vcc_lo
	s_delay_alu instid0(VALU_DEP_4)
	v_add_co_u32 v54, vcc_lo, s4, v54
	v_add_co_ci_u32_e32 v55, vcc_lo, s5, v55, vcc_lo
	s_waitcnt vmcnt(19)
	scratch_store_b128 off, v[56:59], off offset:16
	s_clause 0x1
	global_load_b64 v[102:103], v[52:53], off
	global_load_b64 v[104:105], v[54:55], off
	v_lshlrev_b64 v[56:57], 3, v[106:107]
	v_lshlrev_b64 v[58:59], 3, v[108:109]
	s_delay_alu instid0(VALU_DEP_2) | instskip(NEXT) | instid1(VALU_DEP_3)
	v_add_co_u32 v56, vcc_lo, s4, v56
	v_add_co_ci_u32_e32 v57, vcc_lo, s5, v57, vcc_lo
	s_delay_alu instid0(VALU_DEP_3) | instskip(NEXT) | instid1(VALU_DEP_4)
	v_add_co_u32 v58, vcc_lo, s4, v58
	v_add_co_ci_u32_e32 v59, vcc_lo, s5, v59, vcc_lo
	global_load_b64 v[106:107], v[56:57], off
	s_waitcnt vmcnt(20)
	scratch_store_b128 off, v[60:63], off offset:32
	v_lshlrev_b64 v[62:63], 3, v[112:113]
	v_add_co_u32 v60, vcc_lo, s4, v64
	v_add_co_ci_u32_e32 v61, vcc_lo, s5, v65, vcc_lo
	s_waitcnt vmcnt(18)
	scratch_store_b128 off, v[66:69], off offset:48
	s_waitcnt vmcnt(16)
	scratch_store_b128 off, v[70:73], off offset:64
	v_add_co_u32 v62, vcc_lo, s4, v62
	v_add_co_ci_u32_e32 v63, vcc_lo, s5, v63, vcc_lo
	v_add_co_u32 v64, vcc_lo, s4, v1
	v_add_co_ci_u32_e32 v65, vcc_lo, s5, v2, vcc_lo
	v_lshlrev_b64 v[1:2], 3, v[116:117]
	v_add_co_u32 v66, vcc_lo, s4, v98
	v_add_co_ci_u32_e32 v67, vcc_lo, s5, v99, vcc_lo
	v_lshlrev_b64 v[70:71], 3, v[118:119]
	s_delay_alu instid0(VALU_DEP_4) | instskip(SKIP_2) | instid1(VALU_DEP_4)
	v_add_co_u32 v68, vcc_lo, s4, v1
	v_add_co_ci_u32_e32 v69, vcc_lo, s5, v2, vcc_lo
	v_lshlrev_b64 v[1:2], 3, v[120:121]
	v_add_co_u32 v70, vcc_lo, s4, v70
	v_add_co_ci_u32_e32 v71, vcc_lo, s5, v71, vcc_lo
	v_lshlrev_b64 v[98:99], 3, v[122:123]
	s_delay_alu instid0(VALU_DEP_4)
	v_add_co_u32 v72, vcc_lo, s4, v1
	v_add_co_ci_u32_e32 v73, vcc_lo, s5, v2, vcc_lo
	v_lshlrev_b64 v[1:2], 3, v[124:125]
	s_clause 0x3
	global_load_b64 v[108:109], v[58:59], off
	global_load_b64 v[110:111], v[60:61], off
	;; [unrolled: 1-line block ×4, first 2 shown]
	s_waitcnt vmcnt(18)
	scratch_store_b128 off, v[74:77], off offset:80
	s_waitcnt vmcnt(16)
	scratch_store_b128 off, v[78:81], off offset:96
	v_add_co_u32 v74, vcc_lo, s4, v98
	v_add_co_ci_u32_e32 v75, vcc_lo, s5, v99, vcc_lo
	v_lshlrev_b64 v[78:79], 3, v[126:127]
	v_add_co_u32 v76, vcc_lo, s4, v1
	v_add_co_ci_u32_e32 v77, vcc_lo, s5, v2, vcc_lo
	v_lshlrev_b64 v[1:2], 3, v[128:129]
	s_delay_alu instid0(VALU_DEP_4) | instskip(SKIP_2) | instid1(VALU_DEP_4)
	v_add_co_u32 v78, vcc_lo, s4, v78
	v_add_co_ci_u32_e32 v79, vcc_lo, s5, v79, vcc_lo
	v_lshlrev_b64 v[98:99], 3, v[130:131]
	v_add_co_u32 v80, vcc_lo, s4, v1
	v_add_co_ci_u32_e32 v81, vcc_lo, s5, v2, vcc_lo
	v_lshlrev_b64 v[1:2], 3, v[132:133]
	s_clause 0x3
	global_load_b64 v[116:117], v[66:67], off
	global_load_b64 v[118:119], v[68:69], off
	;; [unrolled: 1-line block ×4, first 2 shown]
	s_waitcnt vmcnt(18)
	scratch_store_b128 off, v[82:85], off offset:112
	s_waitcnt vmcnt(16)
	scratch_store_b128 off, v[86:89], off offset:128
	v_add_co_u32 v82, vcc_lo, s4, v98
	v_add_co_ci_u32_e32 v83, vcc_lo, s5, v99, vcc_lo
	v_lshlrev_b64 v[86:87], 3, v[134:135]
	v_add_co_u32 v84, vcc_lo, s4, v1
	v_add_co_ci_u32_e32 v85, vcc_lo, s5, v2, vcc_lo
	v_lshlrev_b64 v[1:2], 3, v[136:137]
	s_delay_alu instid0(VALU_DEP_4) | instskip(SKIP_2) | instid1(VALU_DEP_4)
	v_add_co_u32 v86, vcc_lo, s4, v86
	v_add_co_ci_u32_e32 v87, vcc_lo, s5, v87, vcc_lo
	v_lshlrev_b64 v[98:99], 3, v[138:139]
	v_add_co_u32 v88, vcc_lo, s4, v1
	v_add_co_ci_u32_e32 v89, vcc_lo, s5, v2, vcc_lo
	v_lshlrev_b64 v[1:2], 3, v[140:141]
	s_clause 0x3
	global_load_b64 v[124:125], v[74:75], off
	global_load_b64 v[126:127], v[76:77], off
	;; [unrolled: 1-line block ×4, first 2 shown]
	s_waitcnt vmcnt(17)
	scratch_store_b128 off, v[90:93], off offset:144
	s_waitcnt vmcnt(15)
	scratch_store_b128 off, v[94:97], off offset:160
	v_add_co_u32 v90, vcc_lo, s4, v98
	v_add_co_ci_u32_e32 v91, vcc_lo, s5, v99, vcc_lo
	v_lshlrev_b64 v[94:95], 3, v[142:143]
	v_add_co_u32 v92, vcc_lo, s4, v1
	v_add_co_ci_u32_e32 v93, vcc_lo, s5, v2, vcc_lo
	v_lshlrev_b64 v[1:2], 3, v[4:5]
	s_delay_alu instid0(VALU_DEP_4)
	v_add_co_u32 v94, vcc_lo, s4, v94
	v_add_co_ci_u32_e32 v95, vcc_lo, s5, v95, vcc_lo
	s_clause 0x3
	global_load_b64 v[132:133], v[82:83], off
	global_load_b64 v[134:135], v[84:85], off
	;; [unrolled: 1-line block ×4, first 2 shown]
	v_add_co_u32 v96, vcc_lo, s4, v1
	v_add_co_ci_u32_e32 v97, vcc_lo, s5, v2, vcc_lo
	s_waitcnt vmcnt(17)
	scratch_store_b128 off, v[102:105], off offset:176
	s_clause 0x3
	global_load_b64 v[140:141], v[90:91], off
	global_load_b64 v[102:103], v[92:93], off
	;; [unrolled: 1-line block ×4, first 2 shown]
	s_waitcnt vmcnt(19)
	scratch_store_b128 off, v[106:109], off offset:192
	s_waitcnt vmcnt(17)
	scratch_store_b128 off, v[110:113], off offset:208
	;; [unrolled: 2-line block ×11, first 2 shown]
	s_cbranch_scc1 .LBB109_192
; %bb.4:
	v_cmp_eq_u32_e64 s0, 0, v0
	s_delay_alu instid0(VALU_DEP_1)
	s_and_saveexec_b32 s1, s0
	s_cbranch_execz .LBB109_6
; %bb.5:
	v_mov_b32_e32 v1, 0
	ds_store_b32 v1, v1 offset:736
.LBB109_6:
	s_or_b32 exec_lo, exec_lo, s1
	s_waitcnt lgkmcnt(0)
	s_waitcnt_vscnt null, 0x0
	s_barrier
	buffer_gl0_inv
	scratch_load_b64 v[1:2], v3, off
	s_mov_b32 s4, exec_lo
	s_waitcnt vmcnt(0)
	v_cmpx_eq_f64_e32 0, v[1:2]
	s_cbranch_execz .LBB109_10
; %bb.7:
	v_mov_b32_e32 v1, 0
	s_mov_b32 s5, 0
	ds_load_b32 v2, v1 offset:736
	s_waitcnt lgkmcnt(0)
	v_readfirstlane_b32 s1, v2
	v_add_nc_u32_e32 v2, 1, v0
	s_delay_alu instid0(VALU_DEP_2) | instskip(NEXT) | instid1(VALU_DEP_1)
	s_cmp_eq_u32 s1, 0
	v_cmp_gt_i32_e32 vcc_lo, s1, v2
	s_cselect_b32 s10, -1, 0
	s_delay_alu instid0(SALU_CYCLE_1) | instskip(NEXT) | instid1(SALU_CYCLE_1)
	s_or_b32 s10, s10, vcc_lo
	s_and_b32 exec_lo, exec_lo, s10
	s_cbranch_execz .LBB109_10
; %bb.8:
	v_mov_b32_e32 v4, s1
.LBB109_9:                              ; =>This Inner Loop Header: Depth=1
	ds_cmpstore_rtn_b32 v4, v1, v2, v4 offset:736
	s_waitcnt lgkmcnt(0)
	v_cmp_ne_u32_e32 vcc_lo, 0, v4
	v_cmp_le_i32_e64 s1, v4, v2
	s_delay_alu instid0(VALU_DEP_1) | instskip(NEXT) | instid1(SALU_CYCLE_1)
	s_and_b32 s1, vcc_lo, s1
	s_and_b32 s1, exec_lo, s1
	s_delay_alu instid0(SALU_CYCLE_1) | instskip(NEXT) | instid1(SALU_CYCLE_1)
	s_or_b32 s5, s1, s5
	s_and_not1_b32 exec_lo, exec_lo, s5
	s_cbranch_execnz .LBB109_9
.LBB109_10:
	s_or_b32 exec_lo, exec_lo, s4
	v_mov_b32_e32 v1, 0
	s_barrier
	buffer_gl0_inv
	ds_load_b32 v2, v1 offset:736
	s_and_saveexec_b32 s1, s0
	s_cbranch_execz .LBB109_12
; %bb.11:
	s_lshl_b64 s[4:5], s[8:9], 2
	s_delay_alu instid0(SALU_CYCLE_1)
	s_add_u32 s4, s6, s4
	s_addc_u32 s5, s7, s5
	s_waitcnt lgkmcnt(0)
	global_store_b32 v1, v2, s[4:5]
.LBB109_12:
	s_or_b32 exec_lo, exec_lo, s1
	s_waitcnt lgkmcnt(0)
	v_cmp_ne_u32_e32 vcc_lo, 0, v2
	s_mov_b32 s1, 0
	s_cbranch_vccnz .LBB109_192
; %bb.13:
	v_add_nc_u32_e32 v4, 0, v3
	v_add_nc_u32_e32 v5, 0x170, v3
	scratch_load_b64 v[1:2], v4, off
	s_waitcnt vmcnt(0)
	v_div_scale_f64 v[98:99], null, v[1:2], v[1:2], 1.0
	v_div_scale_f64 v[104:105], vcc_lo, 1.0, v[1:2], 1.0
	s_delay_alu instid0(VALU_DEP_2) | instskip(SKIP_2) | instid1(VALU_DEP_1)
	v_rcp_f64_e32 v[100:101], v[98:99]
	s_waitcnt_depctr 0xfff
	v_fma_f64 v[102:103], -v[98:99], v[100:101], 1.0
	v_fma_f64 v[100:101], v[100:101], v[102:103], v[100:101]
	s_delay_alu instid0(VALU_DEP_1) | instskip(NEXT) | instid1(VALU_DEP_1)
	v_fma_f64 v[102:103], -v[98:99], v[100:101], 1.0
	v_fma_f64 v[100:101], v[100:101], v[102:103], v[100:101]
	s_delay_alu instid0(VALU_DEP_1) | instskip(NEXT) | instid1(VALU_DEP_1)
	v_mul_f64 v[102:103], v[104:105], v[100:101]
	v_fma_f64 v[98:99], -v[98:99], v[102:103], v[104:105]
	s_delay_alu instid0(VALU_DEP_1) | instskip(NEXT) | instid1(VALU_DEP_1)
	v_div_fmas_f64 v[98:99], v[98:99], v[100:101], v[102:103]
	v_div_fixup_f64 v[1:2], v[98:99], v[1:2], 1.0
	scratch_store_b64 v4, v[1:2], off
	scratch_load_b64 v[98:99], off, off offset:8
	v_xor_b32_e32 v2, 0x80000000, v2
	s_waitcnt vmcnt(0)
	ds_store_2addr_b64 v3, v[1:2], v[98:99] offset1:46
	s_waitcnt lgkmcnt(0)
	s_waitcnt_vscnt null, 0x0
	s_barrier
	buffer_gl0_inv
	s_and_saveexec_b32 s1, s0
	s_cbranch_execz .LBB109_15
; %bb.14:
	scratch_load_b64 v[1:2], v4, off
	ds_load_b64 v[98:99], v5
	s_waitcnt vmcnt(0) lgkmcnt(0)
	v_fma_f64 v[1:2], v[1:2], v[98:99], 0
	v_mov_b32_e32 v98, 0
	ds_load_b64 v[98:99], v98 offset:8
	s_waitcnt lgkmcnt(0)
	v_mul_f64 v[1:2], v[1:2], v[98:99]
	scratch_store_b64 off, v[1:2], off offset:8
.LBB109_15:
	s_or_b32 exec_lo, exec_lo, s1
	s_waitcnt_vscnt null, 0x0
	s_barrier
	buffer_gl0_inv
	scratch_load_b64 v[1:2], off, off offset:16
	s_mov_b32 s1, exec_lo
	s_waitcnt vmcnt(0)
	ds_store_b64 v5, v[1:2]
	s_waitcnt lgkmcnt(0)
	s_barrier
	buffer_gl0_inv
	v_cmpx_gt_u32_e32 2, v0
	s_cbranch_execz .LBB109_19
; %bb.16:
	scratch_load_b64 v[1:2], v4, off
	ds_load_b64 v[98:99], v5
	s_waitcnt vmcnt(0) lgkmcnt(0)
	v_fma_f64 v[1:2], v[1:2], v[98:99], 0
	s_and_saveexec_b32 s4, s0
	s_cbranch_execz .LBB109_18
; %bb.17:
	scratch_load_b64 v[98:99], off, off offset:8
	v_mov_b32_e32 v100, 0
	ds_load_b64 v[100:101], v100 offset:376
	s_waitcnt vmcnt(0) lgkmcnt(0)
	v_fma_f64 v[1:2], v[98:99], v[100:101], v[1:2]
.LBB109_18:
	s_or_b32 exec_lo, exec_lo, s4
	v_mov_b32_e32 v98, 0
	ds_load_b64 v[98:99], v98 offset:16
	s_waitcnt lgkmcnt(0)
	v_mul_f64 v[1:2], v[1:2], v[98:99]
	scratch_store_b64 off, v[1:2], off offset:16
.LBB109_19:
	s_or_b32 exec_lo, exec_lo, s1
	s_waitcnt_vscnt null, 0x0
	s_barrier
	buffer_gl0_inv
	scratch_load_b64 v[1:2], off, off offset:24
	v_add_nc_u32_e32 v98, -1, v0
	s_mov_b32 s0, exec_lo
	s_waitcnt vmcnt(0)
	ds_store_b64 v5, v[1:2]
	s_waitcnt lgkmcnt(0)
	s_barrier
	buffer_gl0_inv
	v_cmpx_gt_u32_e32 3, v0
	s_cbranch_execz .LBB109_23
; %bb.20:
	v_dual_mov_b32 v1, 0 :: v_dual_add_nc_u32 v100, 0x170, v3
	v_dual_mov_b32 v2, 0 :: v_dual_add_nc_u32 v99, -1, v0
	v_add_nc_u32_e32 v101, 0, v3
	s_mov_b32 s1, 0
.LBB109_21:                             ; =>This Inner Loop Header: Depth=1
	scratch_load_b64 v[102:103], v101, off
	ds_load_b64 v[104:105], v100
	v_add_nc_u32_e32 v99, 1, v99
	v_add_nc_u32_e32 v100, 8, v100
	v_add_nc_u32_e32 v101, 8, v101
	s_delay_alu instid0(VALU_DEP_3)
	v_cmp_lt_u32_e32 vcc_lo, 1, v99
	s_or_b32 s1, vcc_lo, s1
	s_waitcnt vmcnt(0) lgkmcnt(0)
	v_fma_f64 v[1:2], v[102:103], v[104:105], v[1:2]
	s_and_not1_b32 exec_lo, exec_lo, s1
	s_cbranch_execnz .LBB109_21
; %bb.22:
	s_or_b32 exec_lo, exec_lo, s1
	v_mov_b32_e32 v99, 0
	ds_load_b64 v[99:100], v99 offset:24
	s_waitcnt lgkmcnt(0)
	v_mul_f64 v[1:2], v[1:2], v[99:100]
	scratch_store_b64 off, v[1:2], off offset:24
.LBB109_23:
	s_or_b32 exec_lo, exec_lo, s0
	s_waitcnt_vscnt null, 0x0
	s_barrier
	buffer_gl0_inv
	scratch_load_b64 v[1:2], off, off offset:32
	s_mov_b32 s0, exec_lo
	s_waitcnt vmcnt(0)
	ds_store_b64 v5, v[1:2]
	s_waitcnt lgkmcnt(0)
	s_barrier
	buffer_gl0_inv
	v_cmpx_gt_u32_e32 4, v0
	s_cbranch_execz .LBB109_27
; %bb.24:
	v_dual_mov_b32 v1, 0 :: v_dual_add_nc_u32 v100, 0x170, v3
	v_dual_mov_b32 v2, 0 :: v_dual_add_nc_u32 v99, -1, v0
	v_add_nc_u32_e32 v101, 0, v3
	s_mov_b32 s1, 0
.LBB109_25:                             ; =>This Inner Loop Header: Depth=1
	scratch_load_b64 v[102:103], v101, off
	ds_load_b64 v[104:105], v100
	v_add_nc_u32_e32 v99, 1, v99
	v_add_nc_u32_e32 v100, 8, v100
	v_add_nc_u32_e32 v101, 8, v101
	s_delay_alu instid0(VALU_DEP_3)
	v_cmp_lt_u32_e32 vcc_lo, 2, v99
	s_or_b32 s1, vcc_lo, s1
	s_waitcnt vmcnt(0) lgkmcnt(0)
	v_fma_f64 v[1:2], v[102:103], v[104:105], v[1:2]
	s_and_not1_b32 exec_lo, exec_lo, s1
	s_cbranch_execnz .LBB109_25
; %bb.26:
	s_or_b32 exec_lo, exec_lo, s1
	v_mov_b32_e32 v99, 0
	ds_load_b64 v[99:100], v99 offset:32
	s_waitcnt lgkmcnt(0)
	v_mul_f64 v[1:2], v[1:2], v[99:100]
	scratch_store_b64 off, v[1:2], off offset:32
.LBB109_27:
	s_or_b32 exec_lo, exec_lo, s0
	s_waitcnt_vscnt null, 0x0
	s_barrier
	buffer_gl0_inv
	scratch_load_b64 v[1:2], off, off offset:40
	;; [unrolled: 39-line block ×20, first 2 shown]
	s_mov_b32 s0, exec_lo
	s_waitcnt vmcnt(0)
	ds_store_b64 v5, v[1:2]
	s_waitcnt lgkmcnt(0)
	s_barrier
	buffer_gl0_inv
	v_cmpx_gt_u32_e32 23, v0
	s_cbranch_execz .LBB109_103
; %bb.100:
	v_dual_mov_b32 v1, 0 :: v_dual_add_nc_u32 v100, 0x170, v3
	v_dual_mov_b32 v2, 0 :: v_dual_add_nc_u32 v99, -1, v0
	v_add_nc_u32_e32 v101, 0, v3
	s_mov_b32 s1, 0
.LBB109_101:                            ; =>This Inner Loop Header: Depth=1
	scratch_load_b64 v[102:103], v101, off
	ds_load_b64 v[104:105], v100
	v_add_nc_u32_e32 v99, 1, v99
	v_add_nc_u32_e32 v100, 8, v100
	v_add_nc_u32_e32 v101, 8, v101
	s_delay_alu instid0(VALU_DEP_3)
	v_cmp_lt_u32_e32 vcc_lo, 21, v99
	s_or_b32 s1, vcc_lo, s1
	s_waitcnt vmcnt(0) lgkmcnt(0)
	v_fma_f64 v[1:2], v[102:103], v[104:105], v[1:2]
	s_and_not1_b32 exec_lo, exec_lo, s1
	s_cbranch_execnz .LBB109_101
; %bb.102:
	s_or_b32 exec_lo, exec_lo, s1
	v_mov_b32_e32 v99, 0
	ds_load_b64 v[99:100], v99 offset:184
	s_waitcnt lgkmcnt(0)
	v_mul_f64 v[1:2], v[1:2], v[99:100]
	scratch_store_b64 off, v[1:2], off offset:184
.LBB109_103:
	s_or_b32 exec_lo, exec_lo, s0
	s_waitcnt_vscnt null, 0x0
	s_barrier
	buffer_gl0_inv
	scratch_load_b64 v[1:2], off, off offset:192
	s_mov_b32 s0, exec_lo
	s_waitcnt vmcnt(0)
	ds_store_b64 v5, v[1:2]
	s_waitcnt lgkmcnt(0)
	s_barrier
	buffer_gl0_inv
	v_cmpx_gt_u32_e32 24, v0
	s_cbranch_execz .LBB109_107
; %bb.104:
	v_dual_mov_b32 v1, 0 :: v_dual_add_nc_u32 v100, 0x170, v3
	v_dual_mov_b32 v2, 0 :: v_dual_add_nc_u32 v99, -1, v0
	v_add_nc_u32_e32 v101, 0, v3
	s_mov_b32 s1, 0
.LBB109_105:                            ; =>This Inner Loop Header: Depth=1
	scratch_load_b64 v[102:103], v101, off
	ds_load_b64 v[104:105], v100
	v_add_nc_u32_e32 v99, 1, v99
	v_add_nc_u32_e32 v100, 8, v100
	v_add_nc_u32_e32 v101, 8, v101
	s_delay_alu instid0(VALU_DEP_3)
	v_cmp_lt_u32_e32 vcc_lo, 22, v99
	s_or_b32 s1, vcc_lo, s1
	s_waitcnt vmcnt(0) lgkmcnt(0)
	v_fma_f64 v[1:2], v[102:103], v[104:105], v[1:2]
	s_and_not1_b32 exec_lo, exec_lo, s1
	s_cbranch_execnz .LBB109_105
; %bb.106:
	s_or_b32 exec_lo, exec_lo, s1
	v_mov_b32_e32 v99, 0
	ds_load_b64 v[99:100], v99 offset:192
	s_waitcnt lgkmcnt(0)
	v_mul_f64 v[1:2], v[1:2], v[99:100]
	scratch_store_b64 off, v[1:2], off offset:192
.LBB109_107:
	s_or_b32 exec_lo, exec_lo, s0
	s_waitcnt_vscnt null, 0x0
	s_barrier
	buffer_gl0_inv
	scratch_load_b64 v[1:2], off, off offset:200
	;; [unrolled: 39-line block ×22, first 2 shown]
	s_mov_b32 s0, exec_lo
	s_waitcnt vmcnt(0)
	ds_store_b64 v5, v[1:2]
	s_waitcnt lgkmcnt(0)
	s_barrier
	buffer_gl0_inv
	v_cmpx_ne_u32_e32 45, v0
	s_cbranch_execz .LBB109_191
; %bb.188:
	v_mov_b32_e32 v1, 0
	v_mov_b32_e32 v2, 0
	s_mov_b32 s1, 0
.LBB109_189:                            ; =>This Inner Loop Header: Depth=1
	scratch_load_b64 v[99:100], v4, off
	ds_load_b64 v[101:102], v5
	v_add_nc_u32_e32 v98, 1, v98
	v_add_nc_u32_e32 v5, 8, v5
	;; [unrolled: 1-line block ×3, first 2 shown]
	s_delay_alu instid0(VALU_DEP_3)
	v_cmp_lt_u32_e32 vcc_lo, 43, v98
	s_or_b32 s1, vcc_lo, s1
	s_waitcnt vmcnt(0) lgkmcnt(0)
	v_fma_f64 v[1:2], v[99:100], v[101:102], v[1:2]
	s_and_not1_b32 exec_lo, exec_lo, s1
	s_cbranch_execnz .LBB109_189
; %bb.190:
	s_or_b32 exec_lo, exec_lo, s1
	v_mov_b32_e32 v3, 0
	ds_load_b64 v[3:4], v3 offset:360
	s_waitcnt lgkmcnt(0)
	v_mul_f64 v[1:2], v[1:2], v[3:4]
	scratch_store_b64 off, v[1:2], off offset:360
.LBB109_191:
	s_or_b32 exec_lo, exec_lo, s0
	s_mov_b32 s1, -1
	s_waitcnt_vscnt null, 0x0
	s_barrier
	buffer_gl0_inv
.LBB109_192:
	s_and_b32 vcc_lo, exec_lo, s1
	s_cbranch_vccz .LBB109_194
; %bb.193:
	s_lshl_b64 s[0:1], s[8:9], 2
	v_mov_b32_e32 v1, 0
	s_add_u32 s0, s6, s0
	s_addc_u32 s1, s7, s1
	global_load_b32 v1, v1, s[0:1]
	s_waitcnt vmcnt(0)
	v_cmp_ne_u32_e32 vcc_lo, 0, v1
	s_cbranch_vccz .LBB109_195
.LBB109_194:
	s_endpgm
.LBB109_195:
	v_lshl_add_u32 v3, v0, 3, 0x170
	s_mov_b32 s0, exec_lo
	v_cmpx_eq_u32_e32 45, v0
	s_cbranch_execz .LBB109_197
; %bb.196:
	scratch_load_b64 v[1:2], off, off offset:352
	v_mov_b32_e32 v4, 0
	s_delay_alu instid0(VALU_DEP_1)
	v_mov_b32_e32 v5, v4
	scratch_store_b64 off, v[4:5], off offset:352
	s_waitcnt vmcnt(0)
	ds_store_b64 v3, v[1:2]
.LBB109_197:
	s_or_b32 exec_lo, exec_lo, s0
	s_waitcnt lgkmcnt(0)
	s_waitcnt_vscnt null, 0x0
	s_barrier
	buffer_gl0_inv
	scratch_load_b128 v[98:101], off, off offset:352
	v_mov_b32_e32 v1, 0
	s_mov_b32 s0, exec_lo
	ds_load_b64 v[4:5], v1 offset:728
	s_waitcnt vmcnt(0) lgkmcnt(0)
	v_fma_f64 v[4:5], v[100:101], v[4:5], 0
	s_delay_alu instid0(VALU_DEP_1)
	v_add_f64 v[4:5], v[98:99], -v[4:5]
	scratch_store_b64 off, v[4:5], off offset:352
	v_cmpx_lt_u32_e32 43, v0
	s_cbranch_execz .LBB109_199
; %bb.198:
	scratch_load_b64 v[4:5], off, off offset:344
	v_mov_b32_e32 v2, v1
	scratch_store_b64 off, v[1:2], off offset:344
	s_waitcnt vmcnt(0)
	ds_store_b64 v3, v[4:5]
.LBB109_199:
	s_or_b32 exec_lo, exec_lo, s0
	s_waitcnt lgkmcnt(0)
	s_waitcnt_vscnt null, 0x0
	s_barrier
	buffer_gl0_inv
	s_clause 0x1
	scratch_load_b128 v[98:101], off, off offset:344
	scratch_load_b64 v[4:5], off, off offset:360
	ds_load_b128 v[102:105], v1 offset:720
	s_mov_b32 s0, exec_lo
	s_waitcnt vmcnt(1) lgkmcnt(0)
	v_fma_f64 v[1:2], v[100:101], v[102:103], 0
	s_waitcnt vmcnt(0)
	s_delay_alu instid0(VALU_DEP_1) | instskip(NEXT) | instid1(VALU_DEP_1)
	v_fma_f64 v[1:2], v[4:5], v[104:105], v[1:2]
	v_add_f64 v[1:2], v[98:99], -v[1:2]
	scratch_store_b64 off, v[1:2], off offset:344
	v_cmpx_lt_u32_e32 42, v0
	s_cbranch_execz .LBB109_201
; %bb.200:
	scratch_load_b64 v[1:2], off, off offset:336
	v_mov_b32_e32 v4, 0
	s_delay_alu instid0(VALU_DEP_1)
	v_mov_b32_e32 v5, v4
	scratch_store_b64 off, v[4:5], off offset:336
	s_waitcnt vmcnt(0)
	ds_store_b64 v3, v[1:2]
.LBB109_201:
	s_or_b32 exec_lo, exec_lo, s0
	s_waitcnt lgkmcnt(0)
	s_waitcnt_vscnt null, 0x0
	s_barrier
	buffer_gl0_inv
	s_clause 0x1
	scratch_load_b128 v[98:101], off, off offset:336
	scratch_load_b128 v[102:105], off, off offset:352
	v_mov_b32_e32 v1, 0
	ds_load_2addr_b64 v[106:109], v1 offset0:89 offset1:90
	ds_load_b64 v[4:5], v1 offset:728
	s_mov_b32 s0, exec_lo
	s_waitcnt vmcnt(1) lgkmcnt(1)
	v_fma_f64 v[100:101], v[100:101], v[106:107], 0
	s_waitcnt vmcnt(0)
	s_delay_alu instid0(VALU_DEP_1) | instskip(SKIP_1) | instid1(VALU_DEP_1)
	v_fma_f64 v[100:101], v[102:103], v[108:109], v[100:101]
	s_waitcnt lgkmcnt(0)
	v_fma_f64 v[4:5], v[104:105], v[4:5], v[100:101]
	s_delay_alu instid0(VALU_DEP_1)
	v_add_f64 v[4:5], v[98:99], -v[4:5]
	scratch_store_b64 off, v[4:5], off offset:336
	v_cmpx_lt_u32_e32 41, v0
	s_cbranch_execz .LBB109_203
; %bb.202:
	scratch_load_b64 v[4:5], off, off offset:328
	v_mov_b32_e32 v2, v1
	scratch_store_b64 off, v[1:2], off offset:328
	s_waitcnt vmcnt(0)
	ds_store_b64 v3, v[4:5]
.LBB109_203:
	s_or_b32 exec_lo, exec_lo, s0
	s_waitcnt lgkmcnt(0)
	s_waitcnt_vscnt null, 0x0
	s_barrier
	buffer_gl0_inv
	s_clause 0x2
	scratch_load_b128 v[98:101], off, off offset:328
	scratch_load_b128 v[102:105], off, off offset:344
	scratch_load_b64 v[4:5], off, off offset:360
	ds_load_b128 v[106:109], v1 offset:704
	ds_load_b128 v[110:113], v1 offset:720
	s_mov_b32 s0, exec_lo
	s_waitcnt vmcnt(2) lgkmcnt(1)
	v_fma_f64 v[1:2], v[100:101], v[106:107], 0
	s_waitcnt vmcnt(1)
	s_delay_alu instid0(VALU_DEP_1) | instskip(SKIP_1) | instid1(VALU_DEP_1)
	v_fma_f64 v[1:2], v[102:103], v[108:109], v[1:2]
	s_waitcnt lgkmcnt(0)
	v_fma_f64 v[1:2], v[104:105], v[110:111], v[1:2]
	s_waitcnt vmcnt(0)
	s_delay_alu instid0(VALU_DEP_1) | instskip(NEXT) | instid1(VALU_DEP_1)
	v_fma_f64 v[1:2], v[4:5], v[112:113], v[1:2]
	v_add_f64 v[1:2], v[98:99], -v[1:2]
	scratch_store_b64 off, v[1:2], off offset:328
	v_cmpx_lt_u32_e32 40, v0
	s_cbranch_execz .LBB109_205
; %bb.204:
	scratch_load_b64 v[1:2], off, off offset:320
	v_mov_b32_e32 v4, 0
	s_delay_alu instid0(VALU_DEP_1)
	v_mov_b32_e32 v5, v4
	scratch_store_b64 off, v[4:5], off offset:320
	s_waitcnt vmcnt(0)
	ds_store_b64 v3, v[1:2]
.LBB109_205:
	s_or_b32 exec_lo, exec_lo, s0
	s_waitcnt lgkmcnt(0)
	s_waitcnt_vscnt null, 0x0
	s_barrier
	buffer_gl0_inv
	s_clause 0x2
	scratch_load_b128 v[98:101], off, off offset:320
	scratch_load_b128 v[102:105], off, off offset:336
	scratch_load_b128 v[106:109], off, off offset:352
	v_mov_b32_e32 v1, 0
	ds_load_2addr_b64 v[110:113], v1 offset0:87 offset1:88
	ds_load_2addr_b64 v[114:117], v1 offset0:89 offset1:90
	s_mov_b32 s0, exec_lo
	s_waitcnt vmcnt(2) lgkmcnt(1)
	v_fma_f64 v[4:5], v[100:101], v[110:111], 0
	ds_load_b64 v[100:101], v1 offset:728
	s_waitcnt vmcnt(1)
	v_fma_f64 v[4:5], v[102:103], v[112:113], v[4:5]
	s_waitcnt lgkmcnt(1)
	s_delay_alu instid0(VALU_DEP_1) | instskip(SKIP_1) | instid1(VALU_DEP_1)
	v_fma_f64 v[4:5], v[104:105], v[114:115], v[4:5]
	s_waitcnt vmcnt(0)
	v_fma_f64 v[4:5], v[106:107], v[116:117], v[4:5]
	s_waitcnt lgkmcnt(0)
	s_delay_alu instid0(VALU_DEP_1) | instskip(NEXT) | instid1(VALU_DEP_1)
	v_fma_f64 v[4:5], v[108:109], v[100:101], v[4:5]
	v_add_f64 v[4:5], v[98:99], -v[4:5]
	scratch_store_b64 off, v[4:5], off offset:320
	v_cmpx_lt_u32_e32 39, v0
	s_cbranch_execz .LBB109_207
; %bb.206:
	scratch_load_b64 v[4:5], off, off offset:312
	v_mov_b32_e32 v2, v1
	scratch_store_b64 off, v[1:2], off offset:312
	s_waitcnt vmcnt(0)
	ds_store_b64 v3, v[4:5]
.LBB109_207:
	s_or_b32 exec_lo, exec_lo, s0
	s_waitcnt lgkmcnt(0)
	s_waitcnt_vscnt null, 0x0
	s_barrier
	buffer_gl0_inv
	s_clause 0x3
	scratch_load_b128 v[98:101], off, off offset:312
	scratch_load_b128 v[102:105], off, off offset:328
	;; [unrolled: 1-line block ×3, first 2 shown]
	scratch_load_b64 v[4:5], off, off offset:360
	ds_load_b128 v[110:113], v1 offset:688
	ds_load_b128 v[114:117], v1 offset:704
	s_mov_b32 s0, exec_lo
	s_waitcnt vmcnt(3) lgkmcnt(1)
	v_fma_f64 v[100:101], v[100:101], v[110:111], 0
	s_waitcnt vmcnt(2)
	s_delay_alu instid0(VALU_DEP_1) | instskip(SKIP_1) | instid1(VALU_DEP_1)
	v_fma_f64 v[100:101], v[102:103], v[112:113], v[100:101]
	s_waitcnt lgkmcnt(0)
	v_fma_f64 v[100:101], v[104:105], v[114:115], v[100:101]
	s_waitcnt vmcnt(1)
	s_delay_alu instid0(VALU_DEP_1) | instskip(SKIP_4) | instid1(VALU_DEP_1)
	v_fma_f64 v[104:105], v[106:107], v[116:117], v[100:101]
	ds_load_b128 v[100:103], v1 offset:720
	s_waitcnt lgkmcnt(0)
	v_fma_f64 v[1:2], v[108:109], v[100:101], v[104:105]
	s_waitcnt vmcnt(0)
	v_fma_f64 v[1:2], v[4:5], v[102:103], v[1:2]
	s_delay_alu instid0(VALU_DEP_1)
	v_add_f64 v[1:2], v[98:99], -v[1:2]
	scratch_store_b64 off, v[1:2], off offset:312
	v_cmpx_lt_u32_e32 38, v0
	s_cbranch_execz .LBB109_209
; %bb.208:
	scratch_load_b64 v[1:2], off, off offset:304
	v_mov_b32_e32 v4, 0
	s_delay_alu instid0(VALU_DEP_1)
	v_mov_b32_e32 v5, v4
	scratch_store_b64 off, v[4:5], off offset:304
	s_waitcnt vmcnt(0)
	ds_store_b64 v3, v[1:2]
.LBB109_209:
	s_or_b32 exec_lo, exec_lo, s0
	s_waitcnt lgkmcnt(0)
	s_waitcnt_vscnt null, 0x0
	s_barrier
	buffer_gl0_inv
	s_clause 0x3
	scratch_load_b128 v[98:101], off, off offset:304
	scratch_load_b128 v[102:105], off, off offset:320
	;; [unrolled: 1-line block ×4, first 2 shown]
	v_mov_b32_e32 v1, 0
	s_mov_b32 s0, exec_lo
	ds_load_2addr_b64 v[114:117], v1 offset0:85 offset1:86
	s_waitcnt vmcnt(3) lgkmcnt(0)
	v_fma_f64 v[4:5], v[100:101], v[114:115], 0
	s_waitcnt vmcnt(2)
	s_delay_alu instid0(VALU_DEP_1) | instskip(SKIP_4) | instid1(VALU_DEP_1)
	v_fma_f64 v[4:5], v[102:103], v[116:117], v[4:5]
	ds_load_2addr_b64 v[100:103], v1 offset0:87 offset1:88
	s_waitcnt lgkmcnt(0)
	v_fma_f64 v[4:5], v[104:105], v[100:101], v[4:5]
	s_waitcnt vmcnt(1)
	v_fma_f64 v[4:5], v[106:107], v[102:103], v[4:5]
	ds_load_2addr_b64 v[100:103], v1 offset0:89 offset1:90
	s_waitcnt lgkmcnt(0)
	v_fma_f64 v[4:5], v[108:109], v[100:101], v[4:5]
	ds_load_b64 v[100:101], v1 offset:728
	s_waitcnt vmcnt(0)
	v_fma_f64 v[4:5], v[110:111], v[102:103], v[4:5]
	s_waitcnt lgkmcnt(0)
	s_delay_alu instid0(VALU_DEP_1) | instskip(NEXT) | instid1(VALU_DEP_1)
	v_fma_f64 v[4:5], v[112:113], v[100:101], v[4:5]
	v_add_f64 v[4:5], v[98:99], -v[4:5]
	scratch_store_b64 off, v[4:5], off offset:304
	v_cmpx_lt_u32_e32 37, v0
	s_cbranch_execz .LBB109_211
; %bb.210:
	scratch_load_b64 v[4:5], off, off offset:296
	v_mov_b32_e32 v2, v1
	scratch_store_b64 off, v[1:2], off offset:296
	s_waitcnt vmcnt(0)
	ds_store_b64 v3, v[4:5]
.LBB109_211:
	s_or_b32 exec_lo, exec_lo, s0
	s_waitcnt lgkmcnt(0)
	s_waitcnt_vscnt null, 0x0
	s_barrier
	buffer_gl0_inv
	s_clause 0x4
	scratch_load_b128 v[98:101], off, off offset:296
	scratch_load_b128 v[102:105], off, off offset:312
	;; [unrolled: 1-line block ×4, first 2 shown]
	scratch_load_b64 v[4:5], off, off offset:360
	ds_load_b128 v[114:117], v1 offset:672
	s_mov_b32 s0, exec_lo
	s_waitcnt vmcnt(4) lgkmcnt(0)
	v_fma_f64 v[100:101], v[100:101], v[114:115], 0
	s_waitcnt vmcnt(3)
	s_delay_alu instid0(VALU_DEP_1) | instskip(SKIP_4) | instid1(VALU_DEP_1)
	v_fma_f64 v[114:115], v[102:103], v[116:117], v[100:101]
	ds_load_b128 v[100:103], v1 offset:688
	s_waitcnt lgkmcnt(0)
	v_fma_f64 v[100:101], v[104:105], v[100:101], v[114:115]
	s_waitcnt vmcnt(2)
	v_fma_f64 v[104:105], v[106:107], v[102:103], v[100:101]
	ds_load_b128 v[100:103], v1 offset:704
	s_waitcnt lgkmcnt(0)
	v_fma_f64 v[100:101], v[108:109], v[100:101], v[104:105]
	s_waitcnt vmcnt(1)
	s_delay_alu instid0(VALU_DEP_1) | instskip(SKIP_4) | instid1(VALU_DEP_1)
	v_fma_f64 v[104:105], v[110:111], v[102:103], v[100:101]
	ds_load_b128 v[100:103], v1 offset:720
	s_waitcnt lgkmcnt(0)
	v_fma_f64 v[1:2], v[112:113], v[100:101], v[104:105]
	s_waitcnt vmcnt(0)
	v_fma_f64 v[1:2], v[4:5], v[102:103], v[1:2]
	s_delay_alu instid0(VALU_DEP_1)
	v_add_f64 v[1:2], v[98:99], -v[1:2]
	scratch_store_b64 off, v[1:2], off offset:296
	v_cmpx_lt_u32_e32 36, v0
	s_cbranch_execz .LBB109_213
; %bb.212:
	scratch_load_b64 v[1:2], off, off offset:288
	v_mov_b32_e32 v4, 0
	s_delay_alu instid0(VALU_DEP_1)
	v_mov_b32_e32 v5, v4
	scratch_store_b64 off, v[4:5], off offset:288
	s_waitcnt vmcnt(0)
	ds_store_b64 v3, v[1:2]
.LBB109_213:
	s_or_b32 exec_lo, exec_lo, s0
	s_waitcnt lgkmcnt(0)
	s_waitcnt_vscnt null, 0x0
	s_barrier
	buffer_gl0_inv
	s_clause 0x4
	scratch_load_b128 v[98:101], off, off offset:288
	scratch_load_b128 v[102:105], off, off offset:304
	;; [unrolled: 1-line block ×5, first 2 shown]
	v_mov_b32_e32 v1, 0
	s_mov_b32 s0, exec_lo
	ds_load_2addr_b64 v[118:121], v1 offset0:83 offset1:84
	s_waitcnt vmcnt(4) lgkmcnt(0)
	v_fma_f64 v[4:5], v[100:101], v[118:119], 0
	s_waitcnt vmcnt(3)
	s_delay_alu instid0(VALU_DEP_1) | instskip(SKIP_4) | instid1(VALU_DEP_1)
	v_fma_f64 v[4:5], v[102:103], v[120:121], v[4:5]
	ds_load_2addr_b64 v[100:103], v1 offset0:85 offset1:86
	s_waitcnt lgkmcnt(0)
	v_fma_f64 v[4:5], v[104:105], v[100:101], v[4:5]
	s_waitcnt vmcnt(2)
	v_fma_f64 v[4:5], v[106:107], v[102:103], v[4:5]
	ds_load_2addr_b64 v[100:103], v1 offset0:87 offset1:88
	s_waitcnt lgkmcnt(0)
	v_fma_f64 v[4:5], v[108:109], v[100:101], v[4:5]
	s_waitcnt vmcnt(1)
	s_delay_alu instid0(VALU_DEP_1)
	v_fma_f64 v[4:5], v[110:111], v[102:103], v[4:5]
	ds_load_2addr_b64 v[100:103], v1 offset0:89 offset1:90
	s_waitcnt lgkmcnt(0)
	v_fma_f64 v[4:5], v[112:113], v[100:101], v[4:5]
	ds_load_b64 v[100:101], v1 offset:728
	s_waitcnt vmcnt(0)
	v_fma_f64 v[4:5], v[114:115], v[102:103], v[4:5]
	s_waitcnt lgkmcnt(0)
	s_delay_alu instid0(VALU_DEP_1) | instskip(NEXT) | instid1(VALU_DEP_1)
	v_fma_f64 v[4:5], v[116:117], v[100:101], v[4:5]
	v_add_f64 v[4:5], v[98:99], -v[4:5]
	scratch_store_b64 off, v[4:5], off offset:288
	v_cmpx_lt_u32_e32 35, v0
	s_cbranch_execz .LBB109_215
; %bb.214:
	scratch_load_b64 v[4:5], off, off offset:280
	v_mov_b32_e32 v2, v1
	scratch_store_b64 off, v[1:2], off offset:280
	s_waitcnt vmcnt(0)
	ds_store_b64 v3, v[4:5]
.LBB109_215:
	s_or_b32 exec_lo, exec_lo, s0
	s_waitcnt lgkmcnt(0)
	s_waitcnt_vscnt null, 0x0
	s_barrier
	buffer_gl0_inv
	s_clause 0x4
	scratch_load_b128 v[98:101], off, off offset:280
	scratch_load_b128 v[102:105], off, off offset:296
	;; [unrolled: 1-line block ×5, first 2 shown]
	ds_load_b128 v[118:121], v1 offset:656
	ds_load_b128 v[122:125], v1 offset:672
	s_mov_b32 s0, exec_lo
	s_waitcnt vmcnt(4) lgkmcnt(1)
	v_fma_f64 v[4:5], v[100:101], v[118:119], 0
	scratch_load_b64 v[118:119], off, off offset:360
	s_waitcnt vmcnt(4)
	v_fma_f64 v[4:5], v[102:103], v[120:121], v[4:5]
	s_waitcnt lgkmcnt(0)
	s_delay_alu instid0(VALU_DEP_1) | instskip(SKIP_1) | instid1(VALU_DEP_1)
	v_fma_f64 v[4:5], v[104:105], v[122:123], v[4:5]
	s_waitcnt vmcnt(3)
	v_fma_f64 v[4:5], v[106:107], v[124:125], v[4:5]
	ds_load_b128 v[100:103], v1 offset:688
	ds_load_b128 v[104:107], v1 offset:704
	s_waitcnt lgkmcnt(1)
	v_fma_f64 v[4:5], v[108:109], v[100:101], v[4:5]
	s_waitcnt vmcnt(2)
	s_delay_alu instid0(VALU_DEP_1) | instskip(SKIP_4) | instid1(VALU_DEP_1)
	v_fma_f64 v[4:5], v[110:111], v[102:103], v[4:5]
	ds_load_b128 v[100:103], v1 offset:720
	s_waitcnt lgkmcnt(1)
	v_fma_f64 v[4:5], v[112:113], v[104:105], v[4:5]
	s_waitcnt vmcnt(1)
	v_fma_f64 v[4:5], v[114:115], v[106:107], v[4:5]
	s_waitcnt lgkmcnt(0)
	s_delay_alu instid0(VALU_DEP_1) | instskip(SKIP_1) | instid1(VALU_DEP_1)
	v_fma_f64 v[1:2], v[116:117], v[100:101], v[4:5]
	s_waitcnt vmcnt(0)
	v_fma_f64 v[1:2], v[118:119], v[102:103], v[1:2]
	s_delay_alu instid0(VALU_DEP_1)
	v_add_f64 v[1:2], v[98:99], -v[1:2]
	scratch_store_b64 off, v[1:2], off offset:280
	v_cmpx_lt_u32_e32 34, v0
	s_cbranch_execz .LBB109_217
; %bb.216:
	scratch_load_b64 v[1:2], off, off offset:272
	v_mov_b32_e32 v4, 0
	s_delay_alu instid0(VALU_DEP_1)
	v_mov_b32_e32 v5, v4
	scratch_store_b64 off, v[4:5], off offset:272
	s_waitcnt vmcnt(0)
	ds_store_b64 v3, v[1:2]
.LBB109_217:
	s_or_b32 exec_lo, exec_lo, s0
	s_waitcnt lgkmcnt(0)
	s_waitcnt_vscnt null, 0x0
	s_barrier
	buffer_gl0_inv
	s_clause 0x4
	scratch_load_b128 v[98:101], off, off offset:272
	scratch_load_b128 v[102:105], off, off offset:288
	;; [unrolled: 1-line block ×5, first 2 shown]
	v_mov_b32_e32 v1, 0
	ds_load_2addr_b64 v[118:121], v1 offset0:81 offset1:82
	ds_load_2addr_b64 v[122:125], v1 offset0:83 offset1:84
	scratch_load_b128 v[126:129], off, off offset:352
	s_mov_b32 s0, exec_lo
	s_waitcnt vmcnt(5) lgkmcnt(1)
	v_fma_f64 v[4:5], v[100:101], v[118:119], 0
	s_waitcnt vmcnt(4)
	s_delay_alu instid0(VALU_DEP_1) | instskip(SKIP_1) | instid1(VALU_DEP_1)
	v_fma_f64 v[4:5], v[102:103], v[120:121], v[4:5]
	s_waitcnt lgkmcnt(0)
	v_fma_f64 v[4:5], v[104:105], v[122:123], v[4:5]
	s_waitcnt vmcnt(3)
	s_delay_alu instid0(VALU_DEP_1)
	v_fma_f64 v[4:5], v[106:107], v[124:125], v[4:5]
	ds_load_2addr_b64 v[100:103], v1 offset0:85 offset1:86
	ds_load_2addr_b64 v[104:107], v1 offset0:87 offset1:88
	s_waitcnt lgkmcnt(1)
	v_fma_f64 v[4:5], v[108:109], v[100:101], v[4:5]
	s_waitcnt vmcnt(2)
	s_delay_alu instid0(VALU_DEP_1) | instskip(SKIP_1) | instid1(VALU_DEP_1)
	v_fma_f64 v[4:5], v[110:111], v[102:103], v[4:5]
	s_waitcnt lgkmcnt(0)
	v_fma_f64 v[4:5], v[112:113], v[104:105], v[4:5]
	ds_load_2addr_b64 v[100:103], v1 offset0:89 offset1:90
	ds_load_b64 v[104:105], v1 offset:728
	s_waitcnt vmcnt(1)
	v_fma_f64 v[4:5], v[114:115], v[106:107], v[4:5]
	s_waitcnt lgkmcnt(1)
	s_delay_alu instid0(VALU_DEP_1) | instskip(SKIP_1) | instid1(VALU_DEP_1)
	v_fma_f64 v[4:5], v[116:117], v[100:101], v[4:5]
	s_waitcnt vmcnt(0)
	v_fma_f64 v[4:5], v[126:127], v[102:103], v[4:5]
	s_waitcnt lgkmcnt(0)
	s_delay_alu instid0(VALU_DEP_1) | instskip(NEXT) | instid1(VALU_DEP_1)
	v_fma_f64 v[4:5], v[128:129], v[104:105], v[4:5]
	v_add_f64 v[4:5], v[98:99], -v[4:5]
	scratch_store_b64 off, v[4:5], off offset:272
	v_cmpx_lt_u32_e32 33, v0
	s_cbranch_execz .LBB109_219
; %bb.218:
	scratch_load_b64 v[4:5], off, off offset:264
	v_mov_b32_e32 v2, v1
	scratch_store_b64 off, v[1:2], off offset:264
	s_waitcnt vmcnt(0)
	ds_store_b64 v3, v[4:5]
.LBB109_219:
	s_or_b32 exec_lo, exec_lo, s0
	s_waitcnt lgkmcnt(0)
	s_waitcnt_vscnt null, 0x0
	s_barrier
	buffer_gl0_inv
	s_clause 0x4
	scratch_load_b128 v[98:101], off, off offset:264
	scratch_load_b128 v[102:105], off, off offset:280
	;; [unrolled: 1-line block ×5, first 2 shown]
	ds_load_b128 v[118:121], v1 offset:640
	ds_load_b128 v[122:125], v1 offset:656
	scratch_load_b128 v[126:129], off, off offset:344
	s_mov_b32 s0, exec_lo
	s_waitcnt vmcnt(5) lgkmcnt(1)
	v_fma_f64 v[4:5], v[100:101], v[118:119], 0
	scratch_load_b64 v[118:119], off, off offset:360
	s_waitcnt vmcnt(5)
	v_fma_f64 v[4:5], v[102:103], v[120:121], v[4:5]
	s_waitcnt lgkmcnt(0)
	s_delay_alu instid0(VALU_DEP_1) | instskip(SKIP_1) | instid1(VALU_DEP_1)
	v_fma_f64 v[4:5], v[104:105], v[122:123], v[4:5]
	s_waitcnt vmcnt(4)
	v_fma_f64 v[4:5], v[106:107], v[124:125], v[4:5]
	ds_load_b128 v[100:103], v1 offset:672
	ds_load_b128 v[104:107], v1 offset:688
	s_waitcnt lgkmcnt(1)
	v_fma_f64 v[4:5], v[108:109], v[100:101], v[4:5]
	s_waitcnt vmcnt(3)
	s_delay_alu instid0(VALU_DEP_1) | instskip(SKIP_1) | instid1(VALU_DEP_1)
	v_fma_f64 v[4:5], v[110:111], v[102:103], v[4:5]
	s_waitcnt lgkmcnt(0)
	v_fma_f64 v[4:5], v[112:113], v[104:105], v[4:5]
	s_waitcnt vmcnt(2)
	s_delay_alu instid0(VALU_DEP_1)
	v_fma_f64 v[4:5], v[114:115], v[106:107], v[4:5]
	ds_load_b128 v[100:103], v1 offset:704
	ds_load_b128 v[104:107], v1 offset:720
	s_waitcnt lgkmcnt(1)
	v_fma_f64 v[1:2], v[116:117], v[100:101], v[4:5]
	s_waitcnt vmcnt(1)
	s_delay_alu instid0(VALU_DEP_1) | instskip(SKIP_1) | instid1(VALU_DEP_1)
	v_fma_f64 v[1:2], v[126:127], v[102:103], v[1:2]
	s_waitcnt lgkmcnt(0)
	v_fma_f64 v[1:2], v[128:129], v[104:105], v[1:2]
	s_waitcnt vmcnt(0)
	s_delay_alu instid0(VALU_DEP_1) | instskip(NEXT) | instid1(VALU_DEP_1)
	v_fma_f64 v[1:2], v[118:119], v[106:107], v[1:2]
	v_add_f64 v[1:2], v[98:99], -v[1:2]
	scratch_store_b64 off, v[1:2], off offset:264
	v_cmpx_lt_u32_e32 32, v0
	s_cbranch_execz .LBB109_221
; %bb.220:
	scratch_load_b64 v[1:2], off, off offset:256
	v_mov_b32_e32 v4, 0
	s_delay_alu instid0(VALU_DEP_1)
	v_mov_b32_e32 v5, v4
	scratch_store_b64 off, v[4:5], off offset:256
	s_waitcnt vmcnt(0)
	ds_store_b64 v3, v[1:2]
.LBB109_221:
	s_or_b32 exec_lo, exec_lo, s0
	s_waitcnt lgkmcnt(0)
	s_waitcnt_vscnt null, 0x0
	s_barrier
	buffer_gl0_inv
	s_clause 0x4
	scratch_load_b128 v[98:101], off, off offset:256
	scratch_load_b128 v[102:105], off, off offset:272
	;; [unrolled: 1-line block ×5, first 2 shown]
	v_mov_b32_e32 v1, 0
	ds_load_2addr_b64 v[118:121], v1 offset0:79 offset1:80
	ds_load_2addr_b64 v[122:125], v1 offset0:81 offset1:82
	scratch_load_b128 v[126:129], off, off offset:336
	s_mov_b32 s0, exec_lo
	s_waitcnt vmcnt(5) lgkmcnt(1)
	v_fma_f64 v[4:5], v[100:101], v[118:119], 0
	s_waitcnt vmcnt(4)
	s_delay_alu instid0(VALU_DEP_1) | instskip(SKIP_4) | instid1(VALU_DEP_1)
	v_fma_f64 v[4:5], v[102:103], v[120:121], v[4:5]
	scratch_load_b128 v[100:103], off, off offset:352
	s_waitcnt lgkmcnt(0)
	v_fma_f64 v[4:5], v[104:105], v[122:123], v[4:5]
	s_waitcnt vmcnt(4)
	v_fma_f64 v[4:5], v[106:107], v[124:125], v[4:5]
	ds_load_2addr_b64 v[104:107], v1 offset0:83 offset1:84
	ds_load_2addr_b64 v[118:121], v1 offset0:85 offset1:86
	s_waitcnt lgkmcnt(1)
	v_fma_f64 v[4:5], v[108:109], v[104:105], v[4:5]
	s_waitcnt vmcnt(3)
	s_delay_alu instid0(VALU_DEP_1)
	v_fma_f64 v[4:5], v[110:111], v[106:107], v[4:5]
	ds_load_2addr_b64 v[104:107], v1 offset0:87 offset1:88
	ds_load_2addr_b64 v[108:111], v1 offset0:89 offset1:90
	s_waitcnt lgkmcnt(2)
	v_fma_f64 v[4:5], v[112:113], v[118:119], v[4:5]
	s_waitcnt vmcnt(2)
	s_delay_alu instid0(VALU_DEP_1) | instskip(SKIP_1) | instid1(VALU_DEP_1)
	v_fma_f64 v[4:5], v[114:115], v[120:121], v[4:5]
	s_waitcnt lgkmcnt(1)
	v_fma_f64 v[4:5], v[116:117], v[104:105], v[4:5]
	s_waitcnt vmcnt(1)
	s_delay_alu instid0(VALU_DEP_1) | instskip(SKIP_1) | instid1(VALU_DEP_1)
	v_fma_f64 v[4:5], v[126:127], v[106:107], v[4:5]
	s_waitcnt lgkmcnt(0)
	v_fma_f64 v[4:5], v[128:129], v[108:109], v[4:5]
	s_waitcnt vmcnt(0)
	s_delay_alu instid0(VALU_DEP_1) | instskip(SKIP_3) | instid1(VALU_DEP_1)
	v_fma_f64 v[4:5], v[100:101], v[110:111], v[4:5]
	ds_load_b64 v[100:101], v1 offset:728
	s_waitcnt lgkmcnt(0)
	v_fma_f64 v[4:5], v[102:103], v[100:101], v[4:5]
	v_add_f64 v[4:5], v[98:99], -v[4:5]
	scratch_store_b64 off, v[4:5], off offset:256
	v_cmpx_lt_u32_e32 31, v0
	s_cbranch_execz .LBB109_223
; %bb.222:
	scratch_load_b64 v[4:5], off, off offset:248
	v_mov_b32_e32 v2, v1
	scratch_store_b64 off, v[1:2], off offset:248
	s_waitcnt vmcnt(0)
	ds_store_b64 v3, v[4:5]
.LBB109_223:
	s_or_b32 exec_lo, exec_lo, s0
	s_waitcnt lgkmcnt(0)
	s_waitcnt_vscnt null, 0x0
	s_barrier
	buffer_gl0_inv
	s_clause 0x4
	scratch_load_b128 v[98:101], off, off offset:248
	scratch_load_b128 v[102:105], off, off offset:264
	;; [unrolled: 1-line block ×5, first 2 shown]
	ds_load_b128 v[118:121], v1 offset:624
	ds_load_b128 v[122:125], v1 offset:640
	scratch_load_b128 v[126:129], off, off offset:328
	s_mov_b32 s0, exec_lo
	s_waitcnt vmcnt(5) lgkmcnt(1)
	v_fma_f64 v[4:5], v[100:101], v[118:119], 0
	s_waitcnt vmcnt(4)
	s_delay_alu instid0(VALU_DEP_1) | instskip(SKIP_4) | instid1(VALU_DEP_1)
	v_fma_f64 v[4:5], v[102:103], v[120:121], v[4:5]
	scratch_load_b128 v[100:103], off, off offset:344
	s_waitcnt lgkmcnt(0)
	v_fma_f64 v[4:5], v[104:105], v[122:123], v[4:5]
	s_waitcnt vmcnt(4)
	v_fma_f64 v[4:5], v[106:107], v[124:125], v[4:5]
	ds_load_b128 v[104:107], v1 offset:656
	ds_load_b128 v[118:121], v1 offset:672
	scratch_load_b64 v[122:123], off, off offset:360
	s_waitcnt lgkmcnt(1)
	v_fma_f64 v[4:5], v[108:109], v[104:105], v[4:5]
	s_waitcnt vmcnt(4)
	s_delay_alu instid0(VALU_DEP_1)
	v_fma_f64 v[4:5], v[110:111], v[106:107], v[4:5]
	ds_load_b128 v[104:107], v1 offset:688
	ds_load_b128 v[108:111], v1 offset:704
	s_waitcnt lgkmcnt(2)
	v_fma_f64 v[4:5], v[112:113], v[118:119], v[4:5]
	s_waitcnt vmcnt(3)
	s_delay_alu instid0(VALU_DEP_1) | instskip(SKIP_1) | instid1(VALU_DEP_1)
	v_fma_f64 v[4:5], v[114:115], v[120:121], v[4:5]
	s_waitcnt lgkmcnt(1)
	v_fma_f64 v[4:5], v[116:117], v[104:105], v[4:5]
	s_waitcnt vmcnt(2)
	s_delay_alu instid0(VALU_DEP_1) | instskip(SKIP_4) | instid1(VALU_DEP_1)
	v_fma_f64 v[4:5], v[126:127], v[106:107], v[4:5]
	ds_load_b128 v[104:107], v1 offset:720
	s_waitcnt lgkmcnt(1)
	v_fma_f64 v[4:5], v[128:129], v[108:109], v[4:5]
	s_waitcnt vmcnt(1)
	v_fma_f64 v[4:5], v[100:101], v[110:111], v[4:5]
	s_waitcnt lgkmcnt(0)
	s_delay_alu instid0(VALU_DEP_1) | instskip(SKIP_1) | instid1(VALU_DEP_1)
	v_fma_f64 v[1:2], v[102:103], v[104:105], v[4:5]
	s_waitcnt vmcnt(0)
	v_fma_f64 v[1:2], v[122:123], v[106:107], v[1:2]
	s_delay_alu instid0(VALU_DEP_1)
	v_add_f64 v[1:2], v[98:99], -v[1:2]
	scratch_store_b64 off, v[1:2], off offset:248
	v_cmpx_lt_u32_e32 30, v0
	s_cbranch_execz .LBB109_225
; %bb.224:
	scratch_load_b64 v[1:2], off, off offset:240
	v_mov_b32_e32 v4, 0
	s_delay_alu instid0(VALU_DEP_1)
	v_mov_b32_e32 v5, v4
	scratch_store_b64 off, v[4:5], off offset:240
	s_waitcnt vmcnt(0)
	ds_store_b64 v3, v[1:2]
.LBB109_225:
	s_or_b32 exec_lo, exec_lo, s0
	s_waitcnt lgkmcnt(0)
	s_waitcnt_vscnt null, 0x0
	s_barrier
	buffer_gl0_inv
	s_clause 0x4
	scratch_load_b128 v[98:101], off, off offset:240
	scratch_load_b128 v[102:105], off, off offset:256
	;; [unrolled: 1-line block ×5, first 2 shown]
	v_mov_b32_e32 v1, 0
	ds_load_2addr_b64 v[118:121], v1 offset0:77 offset1:78
	ds_load_2addr_b64 v[122:125], v1 offset0:79 offset1:80
	scratch_load_b128 v[126:129], off, off offset:320
	s_mov_b32 s0, exec_lo
	s_waitcnt vmcnt(5) lgkmcnt(1)
	v_fma_f64 v[4:5], v[100:101], v[118:119], 0
	s_waitcnt vmcnt(4)
	s_delay_alu instid0(VALU_DEP_1) | instskip(SKIP_4) | instid1(VALU_DEP_1)
	v_fma_f64 v[4:5], v[102:103], v[120:121], v[4:5]
	scratch_load_b128 v[100:103], off, off offset:336
	s_waitcnt lgkmcnt(0)
	v_fma_f64 v[4:5], v[104:105], v[122:123], v[4:5]
	s_waitcnt vmcnt(4)
	v_fma_f64 v[4:5], v[106:107], v[124:125], v[4:5]
	ds_load_2addr_b64 v[104:107], v1 offset0:81 offset1:82
	ds_load_2addr_b64 v[118:121], v1 offset0:83 offset1:84
	scratch_load_b128 v[122:125], off, off offset:352
	s_waitcnt lgkmcnt(1)
	v_fma_f64 v[4:5], v[108:109], v[104:105], v[4:5]
	s_waitcnt vmcnt(4)
	s_delay_alu instid0(VALU_DEP_1)
	v_fma_f64 v[4:5], v[110:111], v[106:107], v[4:5]
	ds_load_2addr_b64 v[104:107], v1 offset0:85 offset1:86
	ds_load_2addr_b64 v[108:111], v1 offset0:87 offset1:88
	s_waitcnt lgkmcnt(2)
	v_fma_f64 v[4:5], v[112:113], v[118:119], v[4:5]
	s_waitcnt vmcnt(3)
	s_delay_alu instid0(VALU_DEP_1) | instskip(SKIP_1) | instid1(VALU_DEP_1)
	v_fma_f64 v[4:5], v[114:115], v[120:121], v[4:5]
	s_waitcnt lgkmcnt(1)
	v_fma_f64 v[4:5], v[116:117], v[104:105], v[4:5]
	s_waitcnt vmcnt(2)
	s_delay_alu instid0(VALU_DEP_1) | instskip(SKIP_1) | instid1(VALU_DEP_1)
	v_fma_f64 v[4:5], v[126:127], v[106:107], v[4:5]
	s_waitcnt lgkmcnt(0)
	v_fma_f64 v[4:5], v[128:129], v[108:109], v[4:5]
	s_waitcnt vmcnt(1)
	s_delay_alu instid0(VALU_DEP_1)
	v_fma_f64 v[4:5], v[100:101], v[110:111], v[4:5]
	ds_load_2addr_b64 v[104:107], v1 offset0:89 offset1:90
	ds_load_b64 v[100:101], v1 offset:728
	s_waitcnt lgkmcnt(1)
	v_fma_f64 v[4:5], v[102:103], v[104:105], v[4:5]
	s_waitcnt vmcnt(0)
	s_delay_alu instid0(VALU_DEP_1) | instskip(SKIP_1) | instid1(VALU_DEP_1)
	v_fma_f64 v[4:5], v[122:123], v[106:107], v[4:5]
	s_waitcnt lgkmcnt(0)
	v_fma_f64 v[4:5], v[124:125], v[100:101], v[4:5]
	s_delay_alu instid0(VALU_DEP_1)
	v_add_f64 v[4:5], v[98:99], -v[4:5]
	scratch_store_b64 off, v[4:5], off offset:240
	v_cmpx_lt_u32_e32 29, v0
	s_cbranch_execz .LBB109_227
; %bb.226:
	scratch_load_b64 v[4:5], off, off offset:232
	v_mov_b32_e32 v2, v1
	scratch_store_b64 off, v[1:2], off offset:232
	s_waitcnt vmcnt(0)
	ds_store_b64 v3, v[4:5]
.LBB109_227:
	s_or_b32 exec_lo, exec_lo, s0
	s_waitcnt lgkmcnt(0)
	s_waitcnt_vscnt null, 0x0
	s_barrier
	buffer_gl0_inv
	s_clause 0x4
	scratch_load_b128 v[98:101], off, off offset:232
	scratch_load_b128 v[102:105], off, off offset:248
	;; [unrolled: 1-line block ×5, first 2 shown]
	ds_load_b128 v[118:121], v1 offset:608
	ds_load_b128 v[122:125], v1 offset:624
	scratch_load_b128 v[126:129], off, off offset:312
	s_mov_b32 s0, exec_lo
	s_waitcnt vmcnt(5) lgkmcnt(1)
	v_fma_f64 v[4:5], v[100:101], v[118:119], 0
	s_waitcnt vmcnt(4)
	s_delay_alu instid0(VALU_DEP_1) | instskip(SKIP_4) | instid1(VALU_DEP_1)
	v_fma_f64 v[4:5], v[102:103], v[120:121], v[4:5]
	scratch_load_b128 v[100:103], off, off offset:328
	s_waitcnt lgkmcnt(0)
	v_fma_f64 v[4:5], v[104:105], v[122:123], v[4:5]
	s_waitcnt vmcnt(4)
	v_fma_f64 v[4:5], v[106:107], v[124:125], v[4:5]
	ds_load_b128 v[104:107], v1 offset:640
	ds_load_b128 v[118:121], v1 offset:656
	scratch_load_b128 v[122:125], off, off offset:344
	s_waitcnt lgkmcnt(1)
	v_fma_f64 v[4:5], v[108:109], v[104:105], v[4:5]
	s_waitcnt vmcnt(4)
	s_delay_alu instid0(VALU_DEP_1) | instskip(SKIP_1) | instid1(VALU_DEP_1)
	v_fma_f64 v[4:5], v[110:111], v[106:107], v[4:5]
	s_waitcnt lgkmcnt(0)
	v_fma_f64 v[4:5], v[112:113], v[118:119], v[4:5]
	scratch_load_b64 v[112:113], off, off offset:360
	ds_load_b128 v[104:107], v1 offset:672
	ds_load_b128 v[108:111], v1 offset:688
	s_waitcnt vmcnt(4)
	v_fma_f64 v[4:5], v[114:115], v[120:121], v[4:5]
	s_waitcnt lgkmcnt(1)
	s_delay_alu instid0(VALU_DEP_1) | instskip(SKIP_1) | instid1(VALU_DEP_1)
	v_fma_f64 v[4:5], v[116:117], v[104:105], v[4:5]
	s_waitcnt vmcnt(3)
	v_fma_f64 v[4:5], v[126:127], v[106:107], v[4:5]
	s_waitcnt lgkmcnt(0)
	s_delay_alu instid0(VALU_DEP_1) | instskip(SKIP_1) | instid1(VALU_DEP_1)
	v_fma_f64 v[4:5], v[128:129], v[108:109], v[4:5]
	s_waitcnt vmcnt(2)
	v_fma_f64 v[4:5], v[100:101], v[110:111], v[4:5]
	ds_load_b128 v[104:107], v1 offset:704
	ds_load_b128 v[108:111], v1 offset:720
	s_waitcnt lgkmcnt(1)
	v_fma_f64 v[1:2], v[102:103], v[104:105], v[4:5]
	s_waitcnt vmcnt(1)
	s_delay_alu instid0(VALU_DEP_1) | instskip(SKIP_1) | instid1(VALU_DEP_1)
	v_fma_f64 v[1:2], v[122:123], v[106:107], v[1:2]
	s_waitcnt lgkmcnt(0)
	v_fma_f64 v[1:2], v[124:125], v[108:109], v[1:2]
	s_waitcnt vmcnt(0)
	s_delay_alu instid0(VALU_DEP_1) | instskip(NEXT) | instid1(VALU_DEP_1)
	v_fma_f64 v[1:2], v[112:113], v[110:111], v[1:2]
	v_add_f64 v[1:2], v[98:99], -v[1:2]
	scratch_store_b64 off, v[1:2], off offset:232
	v_cmpx_lt_u32_e32 28, v0
	s_cbranch_execz .LBB109_229
; %bb.228:
	scratch_load_b64 v[1:2], off, off offset:224
	v_mov_b32_e32 v4, 0
	s_delay_alu instid0(VALU_DEP_1)
	v_mov_b32_e32 v5, v4
	scratch_store_b64 off, v[4:5], off offset:224
	s_waitcnt vmcnt(0)
	ds_store_b64 v3, v[1:2]
.LBB109_229:
	s_or_b32 exec_lo, exec_lo, s0
	s_waitcnt lgkmcnt(0)
	s_waitcnt_vscnt null, 0x0
	s_barrier
	buffer_gl0_inv
	s_clause 0x4
	scratch_load_b128 v[98:101], off, off offset:224
	scratch_load_b128 v[102:105], off, off offset:240
	;; [unrolled: 1-line block ×5, first 2 shown]
	v_mov_b32_e32 v1, 0
	ds_load_2addr_b64 v[118:121], v1 offset0:75 offset1:76
	ds_load_2addr_b64 v[122:125], v1 offset0:77 offset1:78
	scratch_load_b128 v[126:129], off, off offset:304
	s_mov_b32 s0, exec_lo
	s_waitcnt vmcnt(5) lgkmcnt(1)
	v_fma_f64 v[4:5], v[100:101], v[118:119], 0
	s_waitcnt vmcnt(4)
	s_delay_alu instid0(VALU_DEP_1) | instskip(SKIP_4) | instid1(VALU_DEP_1)
	v_fma_f64 v[4:5], v[102:103], v[120:121], v[4:5]
	scratch_load_b128 v[100:103], off, off offset:320
	s_waitcnt lgkmcnt(0)
	v_fma_f64 v[4:5], v[104:105], v[122:123], v[4:5]
	s_waitcnt vmcnt(4)
	v_fma_f64 v[4:5], v[106:107], v[124:125], v[4:5]
	ds_load_2addr_b64 v[104:107], v1 offset0:79 offset1:80
	ds_load_2addr_b64 v[118:121], v1 offset0:81 offset1:82
	scratch_load_b128 v[122:125], off, off offset:336
	s_waitcnt lgkmcnt(1)
	v_fma_f64 v[4:5], v[108:109], v[104:105], v[4:5]
	s_waitcnt vmcnt(4)
	s_delay_alu instid0(VALU_DEP_1) | instskip(SKIP_4) | instid1(VALU_DEP_1)
	v_fma_f64 v[4:5], v[110:111], v[106:107], v[4:5]
	scratch_load_b128 v[104:107], off, off offset:352
	s_waitcnt lgkmcnt(0)
	v_fma_f64 v[4:5], v[112:113], v[118:119], v[4:5]
	s_waitcnt vmcnt(4)
	v_fma_f64 v[4:5], v[114:115], v[120:121], v[4:5]
	ds_load_2addr_b64 v[108:111], v1 offset0:83 offset1:84
	ds_load_2addr_b64 v[112:115], v1 offset0:85 offset1:86
	s_waitcnt lgkmcnt(1)
	v_fma_f64 v[4:5], v[116:117], v[108:109], v[4:5]
	s_waitcnt vmcnt(3)
	s_delay_alu instid0(VALU_DEP_1) | instskip(SKIP_1) | instid1(VALU_DEP_1)
	v_fma_f64 v[4:5], v[126:127], v[110:111], v[4:5]
	s_waitcnt lgkmcnt(0)
	v_fma_f64 v[4:5], v[128:129], v[112:113], v[4:5]
	s_waitcnt vmcnt(2)
	s_delay_alu instid0(VALU_DEP_1)
	v_fma_f64 v[4:5], v[100:101], v[114:115], v[4:5]
	ds_load_2addr_b64 v[108:111], v1 offset0:87 offset1:88
	ds_load_2addr_b64 v[112:115], v1 offset0:89 offset1:90
	ds_load_b64 v[100:101], v1 offset:728
	s_waitcnt lgkmcnt(2)
	v_fma_f64 v[4:5], v[102:103], v[108:109], v[4:5]
	s_waitcnt vmcnt(1)
	s_delay_alu instid0(VALU_DEP_1) | instskip(SKIP_1) | instid1(VALU_DEP_1)
	v_fma_f64 v[4:5], v[122:123], v[110:111], v[4:5]
	s_waitcnt lgkmcnt(1)
	v_fma_f64 v[4:5], v[124:125], v[112:113], v[4:5]
	s_waitcnt vmcnt(0)
	s_delay_alu instid0(VALU_DEP_1) | instskip(SKIP_1) | instid1(VALU_DEP_1)
	v_fma_f64 v[4:5], v[104:105], v[114:115], v[4:5]
	s_waitcnt lgkmcnt(0)
	v_fma_f64 v[4:5], v[106:107], v[100:101], v[4:5]
	s_delay_alu instid0(VALU_DEP_1)
	v_add_f64 v[4:5], v[98:99], -v[4:5]
	scratch_store_b64 off, v[4:5], off offset:224
	v_cmpx_lt_u32_e32 27, v0
	s_cbranch_execz .LBB109_231
; %bb.230:
	scratch_load_b64 v[4:5], off, off offset:216
	v_mov_b32_e32 v2, v1
	scratch_store_b64 off, v[1:2], off offset:216
	s_waitcnt vmcnt(0)
	ds_store_b64 v3, v[4:5]
.LBB109_231:
	s_or_b32 exec_lo, exec_lo, s0
	s_waitcnt lgkmcnt(0)
	s_waitcnt_vscnt null, 0x0
	s_barrier
	buffer_gl0_inv
	s_clause 0x4
	scratch_load_b128 v[98:101], off, off offset:216
	scratch_load_b128 v[102:105], off, off offset:232
	;; [unrolled: 1-line block ×5, first 2 shown]
	ds_load_b128 v[118:121], v1 offset:592
	ds_load_b128 v[122:125], v1 offset:608
	scratch_load_b128 v[126:129], off, off offset:296
	s_mov_b32 s0, exec_lo
	s_waitcnt vmcnt(5) lgkmcnt(1)
	v_fma_f64 v[4:5], v[100:101], v[118:119], 0
	s_waitcnt vmcnt(4)
	s_delay_alu instid0(VALU_DEP_1) | instskip(SKIP_4) | instid1(VALU_DEP_1)
	v_fma_f64 v[4:5], v[102:103], v[120:121], v[4:5]
	scratch_load_b128 v[100:103], off, off offset:312
	s_waitcnt lgkmcnt(0)
	v_fma_f64 v[4:5], v[104:105], v[122:123], v[4:5]
	s_waitcnt vmcnt(4)
	v_fma_f64 v[4:5], v[106:107], v[124:125], v[4:5]
	ds_load_b128 v[104:107], v1 offset:624
	ds_load_b128 v[118:121], v1 offset:640
	scratch_load_b128 v[122:125], off, off offset:328
	s_waitcnt lgkmcnt(1)
	v_fma_f64 v[4:5], v[108:109], v[104:105], v[4:5]
	s_waitcnt vmcnt(4)
	s_delay_alu instid0(VALU_DEP_1) | instskip(SKIP_4) | instid1(VALU_DEP_1)
	v_fma_f64 v[4:5], v[110:111], v[106:107], v[4:5]
	scratch_load_b128 v[104:107], off, off offset:344
	s_waitcnt lgkmcnt(0)
	v_fma_f64 v[4:5], v[112:113], v[118:119], v[4:5]
	s_waitcnt vmcnt(4)
	v_fma_f64 v[4:5], v[114:115], v[120:121], v[4:5]
	ds_load_b128 v[108:111], v1 offset:656
	ds_load_b128 v[112:115], v1 offset:672
	s_waitcnt lgkmcnt(1)
	v_fma_f64 v[4:5], v[116:117], v[108:109], v[4:5]
	scratch_load_b64 v[116:117], off, off offset:360
	s_waitcnt vmcnt(4)
	v_fma_f64 v[4:5], v[126:127], v[110:111], v[4:5]
	s_waitcnt lgkmcnt(0)
	s_delay_alu instid0(VALU_DEP_1) | instskip(SKIP_1) | instid1(VALU_DEP_1)
	v_fma_f64 v[4:5], v[128:129], v[112:113], v[4:5]
	s_waitcnt vmcnt(3)
	v_fma_f64 v[4:5], v[100:101], v[114:115], v[4:5]
	ds_load_b128 v[108:111], v1 offset:688
	ds_load_b128 v[112:115], v1 offset:704
	s_waitcnt lgkmcnt(1)
	v_fma_f64 v[4:5], v[102:103], v[108:109], v[4:5]
	ds_load_b128 v[100:103], v1 offset:720
	s_waitcnt vmcnt(2)
	v_fma_f64 v[4:5], v[122:123], v[110:111], v[4:5]
	s_waitcnt lgkmcnt(1)
	s_delay_alu instid0(VALU_DEP_1) | instskip(SKIP_1) | instid1(VALU_DEP_1)
	v_fma_f64 v[4:5], v[124:125], v[112:113], v[4:5]
	s_waitcnt vmcnt(1)
	v_fma_f64 v[4:5], v[104:105], v[114:115], v[4:5]
	s_waitcnt lgkmcnt(0)
	s_delay_alu instid0(VALU_DEP_1) | instskip(SKIP_1) | instid1(VALU_DEP_1)
	v_fma_f64 v[1:2], v[106:107], v[100:101], v[4:5]
	s_waitcnt vmcnt(0)
	v_fma_f64 v[1:2], v[116:117], v[102:103], v[1:2]
	s_delay_alu instid0(VALU_DEP_1)
	v_add_f64 v[1:2], v[98:99], -v[1:2]
	scratch_store_b64 off, v[1:2], off offset:216
	v_cmpx_lt_u32_e32 26, v0
	s_cbranch_execz .LBB109_233
; %bb.232:
	scratch_load_b64 v[1:2], off, off offset:208
	v_mov_b32_e32 v4, 0
	s_delay_alu instid0(VALU_DEP_1)
	v_mov_b32_e32 v5, v4
	scratch_store_b64 off, v[4:5], off offset:208
	s_waitcnt vmcnt(0)
	ds_store_b64 v3, v[1:2]
.LBB109_233:
	s_or_b32 exec_lo, exec_lo, s0
	s_waitcnt lgkmcnt(0)
	s_waitcnt_vscnt null, 0x0
	s_barrier
	buffer_gl0_inv
	s_clause 0x4
	scratch_load_b128 v[98:101], off, off offset:208
	scratch_load_b128 v[102:105], off, off offset:224
	;; [unrolled: 1-line block ×5, first 2 shown]
	v_mov_b32_e32 v1, 0
	ds_load_2addr_b64 v[118:121], v1 offset0:73 offset1:74
	ds_load_2addr_b64 v[122:125], v1 offset0:75 offset1:76
	scratch_load_b128 v[126:129], off, off offset:288
	s_mov_b32 s0, exec_lo
	s_waitcnt vmcnt(5) lgkmcnt(1)
	v_fma_f64 v[4:5], v[100:101], v[118:119], 0
	s_waitcnt vmcnt(4)
	s_delay_alu instid0(VALU_DEP_1) | instskip(SKIP_4) | instid1(VALU_DEP_1)
	v_fma_f64 v[4:5], v[102:103], v[120:121], v[4:5]
	scratch_load_b128 v[100:103], off, off offset:304
	s_waitcnt lgkmcnt(0)
	v_fma_f64 v[4:5], v[104:105], v[122:123], v[4:5]
	s_waitcnt vmcnt(4)
	v_fma_f64 v[4:5], v[106:107], v[124:125], v[4:5]
	ds_load_2addr_b64 v[104:107], v1 offset0:77 offset1:78
	ds_load_2addr_b64 v[118:121], v1 offset0:79 offset1:80
	scratch_load_b128 v[122:125], off, off offset:320
	s_waitcnt lgkmcnt(1)
	v_fma_f64 v[4:5], v[108:109], v[104:105], v[4:5]
	s_waitcnt vmcnt(4)
	s_delay_alu instid0(VALU_DEP_1) | instskip(SKIP_4) | instid1(VALU_DEP_1)
	v_fma_f64 v[4:5], v[110:111], v[106:107], v[4:5]
	scratch_load_b128 v[104:107], off, off offset:336
	s_waitcnt lgkmcnt(0)
	v_fma_f64 v[4:5], v[112:113], v[118:119], v[4:5]
	s_waitcnt vmcnt(4)
	v_fma_f64 v[4:5], v[114:115], v[120:121], v[4:5]
	ds_load_2addr_b64 v[108:111], v1 offset0:81 offset1:82
	ds_load_2addr_b64 v[112:115], v1 offset0:83 offset1:84
	s_waitcnt lgkmcnt(1)
	v_fma_f64 v[4:5], v[116:117], v[108:109], v[4:5]
	scratch_load_b128 v[116:119], off, off offset:352
	s_waitcnt vmcnt(4)
	v_fma_f64 v[4:5], v[126:127], v[110:111], v[4:5]
	s_waitcnt lgkmcnt(0)
	s_delay_alu instid0(VALU_DEP_1) | instskip(SKIP_1) | instid1(VALU_DEP_1)
	v_fma_f64 v[4:5], v[128:129], v[112:113], v[4:5]
	s_waitcnt vmcnt(3)
	v_fma_f64 v[4:5], v[100:101], v[114:115], v[4:5]
	ds_load_2addr_b64 v[108:111], v1 offset0:85 offset1:86
	ds_load_2addr_b64 v[112:115], v1 offset0:87 offset1:88
	s_waitcnt lgkmcnt(1)
	v_fma_f64 v[4:5], v[102:103], v[108:109], v[4:5]
	s_waitcnt vmcnt(2)
	s_delay_alu instid0(VALU_DEP_1) | instskip(SKIP_1) | instid1(VALU_DEP_1)
	v_fma_f64 v[4:5], v[122:123], v[110:111], v[4:5]
	s_waitcnt lgkmcnt(0)
	v_fma_f64 v[4:5], v[124:125], v[112:113], v[4:5]
	s_waitcnt vmcnt(1)
	s_delay_alu instid0(VALU_DEP_1)
	v_fma_f64 v[4:5], v[104:105], v[114:115], v[4:5]
	ds_load_2addr_b64 v[100:103], v1 offset0:89 offset1:90
	ds_load_b64 v[104:105], v1 offset:728
	s_waitcnt lgkmcnt(1)
	v_fma_f64 v[4:5], v[106:107], v[100:101], v[4:5]
	s_waitcnt vmcnt(0)
	s_delay_alu instid0(VALU_DEP_1) | instskip(SKIP_1) | instid1(VALU_DEP_1)
	v_fma_f64 v[4:5], v[116:117], v[102:103], v[4:5]
	s_waitcnt lgkmcnt(0)
	v_fma_f64 v[4:5], v[118:119], v[104:105], v[4:5]
	s_delay_alu instid0(VALU_DEP_1)
	v_add_f64 v[4:5], v[98:99], -v[4:5]
	scratch_store_b64 off, v[4:5], off offset:208
	v_cmpx_lt_u32_e32 25, v0
	s_cbranch_execz .LBB109_235
; %bb.234:
	scratch_load_b64 v[4:5], off, off offset:200
	v_mov_b32_e32 v2, v1
	scratch_store_b64 off, v[1:2], off offset:200
	s_waitcnt vmcnt(0)
	ds_store_b64 v3, v[4:5]
.LBB109_235:
	s_or_b32 exec_lo, exec_lo, s0
	s_waitcnt lgkmcnt(0)
	s_waitcnt_vscnt null, 0x0
	s_barrier
	buffer_gl0_inv
	s_clause 0x4
	scratch_load_b128 v[98:101], off, off offset:200
	scratch_load_b128 v[102:105], off, off offset:216
	;; [unrolled: 1-line block ×5, first 2 shown]
	ds_load_b128 v[118:121], v1 offset:576
	ds_load_b128 v[122:125], v1 offset:592
	scratch_load_b128 v[126:129], off, off offset:280
	s_mov_b32 s0, exec_lo
	s_waitcnt vmcnt(5) lgkmcnt(1)
	v_fma_f64 v[4:5], v[100:101], v[118:119], 0
	s_waitcnt vmcnt(4)
	s_delay_alu instid0(VALU_DEP_1) | instskip(SKIP_4) | instid1(VALU_DEP_1)
	v_fma_f64 v[4:5], v[102:103], v[120:121], v[4:5]
	scratch_load_b128 v[100:103], off, off offset:296
	s_waitcnt lgkmcnt(0)
	v_fma_f64 v[4:5], v[104:105], v[122:123], v[4:5]
	s_waitcnt vmcnt(4)
	v_fma_f64 v[4:5], v[106:107], v[124:125], v[4:5]
	ds_load_b128 v[104:107], v1 offset:608
	ds_load_b128 v[118:121], v1 offset:624
	scratch_load_b128 v[122:125], off, off offset:312
	s_waitcnt lgkmcnt(1)
	v_fma_f64 v[4:5], v[108:109], v[104:105], v[4:5]
	s_waitcnt vmcnt(4)
	s_delay_alu instid0(VALU_DEP_1) | instskip(SKIP_4) | instid1(VALU_DEP_1)
	v_fma_f64 v[4:5], v[110:111], v[106:107], v[4:5]
	scratch_load_b128 v[104:107], off, off offset:328
	s_waitcnt lgkmcnt(0)
	v_fma_f64 v[4:5], v[112:113], v[118:119], v[4:5]
	s_waitcnt vmcnt(4)
	v_fma_f64 v[4:5], v[114:115], v[120:121], v[4:5]
	ds_load_b128 v[108:111], v1 offset:640
	ds_load_b128 v[112:115], v1 offset:656
	scratch_load_b64 v[120:121], off, off offset:360
	s_waitcnt lgkmcnt(1)
	v_fma_f64 v[4:5], v[116:117], v[108:109], v[4:5]
	scratch_load_b128 v[116:119], off, off offset:344
	s_waitcnt vmcnt(5)
	v_fma_f64 v[4:5], v[126:127], v[110:111], v[4:5]
	s_waitcnt lgkmcnt(0)
	s_delay_alu instid0(VALU_DEP_1) | instskip(SKIP_1) | instid1(VALU_DEP_1)
	v_fma_f64 v[4:5], v[128:129], v[112:113], v[4:5]
	s_waitcnt vmcnt(4)
	v_fma_f64 v[4:5], v[100:101], v[114:115], v[4:5]
	ds_load_b128 v[108:111], v1 offset:672
	ds_load_b128 v[112:115], v1 offset:688
	s_waitcnt lgkmcnt(1)
	v_fma_f64 v[4:5], v[102:103], v[108:109], v[4:5]
	s_waitcnt vmcnt(3)
	s_delay_alu instid0(VALU_DEP_1)
	v_fma_f64 v[4:5], v[122:123], v[110:111], v[4:5]
	ds_load_b128 v[100:103], v1 offset:704
	ds_load_b128 v[108:111], v1 offset:720
	s_waitcnt lgkmcnt(2)
	v_fma_f64 v[4:5], v[124:125], v[112:113], v[4:5]
	s_waitcnt vmcnt(2)
	s_delay_alu instid0(VALU_DEP_1) | instskip(SKIP_1) | instid1(VALU_DEP_1)
	v_fma_f64 v[4:5], v[104:105], v[114:115], v[4:5]
	s_waitcnt lgkmcnt(1)
	v_fma_f64 v[1:2], v[106:107], v[100:101], v[4:5]
	s_waitcnt vmcnt(0)
	s_delay_alu instid0(VALU_DEP_1) | instskip(SKIP_1) | instid1(VALU_DEP_1)
	v_fma_f64 v[1:2], v[116:117], v[102:103], v[1:2]
	s_waitcnt lgkmcnt(0)
	v_fma_f64 v[1:2], v[118:119], v[108:109], v[1:2]
	s_delay_alu instid0(VALU_DEP_1) | instskip(NEXT) | instid1(VALU_DEP_1)
	v_fma_f64 v[1:2], v[120:121], v[110:111], v[1:2]
	v_add_f64 v[1:2], v[98:99], -v[1:2]
	scratch_store_b64 off, v[1:2], off offset:200
	v_cmpx_lt_u32_e32 24, v0
	s_cbranch_execz .LBB109_237
; %bb.236:
	scratch_load_b64 v[1:2], off, off offset:192
	v_mov_b32_e32 v4, 0
	s_delay_alu instid0(VALU_DEP_1)
	v_mov_b32_e32 v5, v4
	scratch_store_b64 off, v[4:5], off offset:192
	s_waitcnt vmcnt(0)
	ds_store_b64 v3, v[1:2]
.LBB109_237:
	s_or_b32 exec_lo, exec_lo, s0
	s_waitcnt lgkmcnt(0)
	s_waitcnt_vscnt null, 0x0
	s_barrier
	buffer_gl0_inv
	s_clause 0x4
	scratch_load_b128 v[98:101], off, off offset:192
	scratch_load_b128 v[102:105], off, off offset:208
	;; [unrolled: 1-line block ×5, first 2 shown]
	v_mov_b32_e32 v1, 0
	ds_load_2addr_b64 v[118:121], v1 offset0:71 offset1:72
	ds_load_2addr_b64 v[122:125], v1 offset0:73 offset1:74
	scratch_load_b128 v[126:129], off, off offset:272
	s_mov_b32 s0, exec_lo
	s_waitcnt vmcnt(5) lgkmcnt(1)
	v_fma_f64 v[4:5], v[100:101], v[118:119], 0
	s_waitcnt vmcnt(4)
	s_delay_alu instid0(VALU_DEP_1) | instskip(SKIP_4) | instid1(VALU_DEP_1)
	v_fma_f64 v[4:5], v[102:103], v[120:121], v[4:5]
	scratch_load_b128 v[100:103], off, off offset:288
	s_waitcnt lgkmcnt(0)
	v_fma_f64 v[4:5], v[104:105], v[122:123], v[4:5]
	s_waitcnt vmcnt(4)
	v_fma_f64 v[4:5], v[106:107], v[124:125], v[4:5]
	ds_load_2addr_b64 v[104:107], v1 offset0:75 offset1:76
	ds_load_2addr_b64 v[118:121], v1 offset0:77 offset1:78
	scratch_load_b128 v[122:125], off, off offset:304
	s_waitcnt lgkmcnt(1)
	v_fma_f64 v[4:5], v[108:109], v[104:105], v[4:5]
	s_waitcnt vmcnt(4)
	s_delay_alu instid0(VALU_DEP_1) | instskip(SKIP_4) | instid1(VALU_DEP_1)
	v_fma_f64 v[4:5], v[110:111], v[106:107], v[4:5]
	scratch_load_b128 v[104:107], off, off offset:320
	s_waitcnt lgkmcnt(0)
	v_fma_f64 v[4:5], v[112:113], v[118:119], v[4:5]
	s_waitcnt vmcnt(4)
	v_fma_f64 v[4:5], v[114:115], v[120:121], v[4:5]
	ds_load_2addr_b64 v[108:111], v1 offset0:79 offset1:80
	ds_load_2addr_b64 v[112:115], v1 offset0:81 offset1:82
	s_waitcnt lgkmcnt(1)
	v_fma_f64 v[4:5], v[116:117], v[108:109], v[4:5]
	scratch_load_b128 v[116:119], off, off offset:336
	s_waitcnt vmcnt(4)
	v_fma_f64 v[4:5], v[126:127], v[110:111], v[4:5]
	scratch_load_b128 v[108:111], off, off offset:352
	s_waitcnt lgkmcnt(0)
	v_fma_f64 v[4:5], v[128:129], v[112:113], v[4:5]
	s_waitcnt vmcnt(4)
	s_delay_alu instid0(VALU_DEP_1)
	v_fma_f64 v[4:5], v[100:101], v[114:115], v[4:5]
	ds_load_2addr_b64 v[112:115], v1 offset0:83 offset1:84
	ds_load_2addr_b64 v[126:129], v1 offset0:85 offset1:86
	s_waitcnt lgkmcnt(1)
	v_fma_f64 v[4:5], v[102:103], v[112:113], v[4:5]
	s_waitcnt vmcnt(3)
	s_delay_alu instid0(VALU_DEP_1)
	v_fma_f64 v[4:5], v[122:123], v[114:115], v[4:5]
	ds_load_2addr_b64 v[100:103], v1 offset0:87 offset1:88
	ds_load_2addr_b64 v[112:115], v1 offset0:89 offset1:90
	s_waitcnt lgkmcnt(2)
	v_fma_f64 v[4:5], v[124:125], v[126:127], v[4:5]
	s_waitcnt vmcnt(2)
	s_delay_alu instid0(VALU_DEP_1) | instskip(SKIP_1) | instid1(VALU_DEP_1)
	v_fma_f64 v[4:5], v[104:105], v[128:129], v[4:5]
	s_waitcnt lgkmcnt(1)
	v_fma_f64 v[4:5], v[106:107], v[100:101], v[4:5]
	ds_load_b64 v[100:101], v1 offset:728
	s_waitcnt vmcnt(1)
	v_fma_f64 v[4:5], v[116:117], v[102:103], v[4:5]
	s_waitcnt lgkmcnt(1)
	s_delay_alu instid0(VALU_DEP_1) | instskip(SKIP_1) | instid1(VALU_DEP_1)
	v_fma_f64 v[4:5], v[118:119], v[112:113], v[4:5]
	s_waitcnt vmcnt(0)
	v_fma_f64 v[4:5], v[108:109], v[114:115], v[4:5]
	s_waitcnt lgkmcnt(0)
	s_delay_alu instid0(VALU_DEP_1) | instskip(NEXT) | instid1(VALU_DEP_1)
	v_fma_f64 v[4:5], v[110:111], v[100:101], v[4:5]
	v_add_f64 v[4:5], v[98:99], -v[4:5]
	scratch_store_b64 off, v[4:5], off offset:192
	v_cmpx_lt_u32_e32 23, v0
	s_cbranch_execz .LBB109_239
; %bb.238:
	scratch_load_b64 v[4:5], off, off offset:184
	v_mov_b32_e32 v2, v1
	scratch_store_b64 off, v[1:2], off offset:184
	s_waitcnt vmcnt(0)
	ds_store_b64 v3, v[4:5]
.LBB109_239:
	s_or_b32 exec_lo, exec_lo, s0
	s_waitcnt lgkmcnt(0)
	s_waitcnt_vscnt null, 0x0
	s_barrier
	buffer_gl0_inv
	s_clause 0x4
	scratch_load_b128 v[98:101], off, off offset:184
	scratch_load_b128 v[102:105], off, off offset:200
	;; [unrolled: 1-line block ×5, first 2 shown]
	ds_load_b128 v[118:121], v1 offset:560
	ds_load_b128 v[122:125], v1 offset:576
	scratch_load_b128 v[126:129], off, off offset:264
	s_mov_b32 s0, exec_lo
	s_waitcnt vmcnt(5) lgkmcnt(1)
	v_fma_f64 v[4:5], v[100:101], v[118:119], 0
	s_waitcnt vmcnt(4)
	s_delay_alu instid0(VALU_DEP_1) | instskip(SKIP_4) | instid1(VALU_DEP_1)
	v_fma_f64 v[4:5], v[102:103], v[120:121], v[4:5]
	scratch_load_b128 v[100:103], off, off offset:280
	s_waitcnt lgkmcnt(0)
	v_fma_f64 v[4:5], v[104:105], v[122:123], v[4:5]
	s_waitcnt vmcnt(4)
	v_fma_f64 v[4:5], v[106:107], v[124:125], v[4:5]
	ds_load_b128 v[104:107], v1 offset:592
	ds_load_b128 v[118:121], v1 offset:608
	scratch_load_b128 v[122:125], off, off offset:296
	s_waitcnt lgkmcnt(1)
	v_fma_f64 v[4:5], v[108:109], v[104:105], v[4:5]
	s_waitcnt vmcnt(4)
	s_delay_alu instid0(VALU_DEP_1) | instskip(SKIP_4) | instid1(VALU_DEP_1)
	v_fma_f64 v[4:5], v[110:111], v[106:107], v[4:5]
	scratch_load_b128 v[104:107], off, off offset:312
	s_waitcnt lgkmcnt(0)
	v_fma_f64 v[4:5], v[112:113], v[118:119], v[4:5]
	s_waitcnt vmcnt(4)
	v_fma_f64 v[4:5], v[114:115], v[120:121], v[4:5]
	ds_load_b128 v[108:111], v1 offset:624
	ds_load_b128 v[112:115], v1 offset:640
	s_waitcnt lgkmcnt(1)
	v_fma_f64 v[4:5], v[116:117], v[108:109], v[4:5]
	scratch_load_b128 v[116:119], off, off offset:328
	s_waitcnt vmcnt(4)
	v_fma_f64 v[4:5], v[126:127], v[110:111], v[4:5]
	scratch_load_b128 v[108:111], off, off offset:344
	s_waitcnt lgkmcnt(0)
	v_fma_f64 v[4:5], v[128:129], v[112:113], v[4:5]
	s_waitcnt vmcnt(4)
	s_delay_alu instid0(VALU_DEP_1)
	v_fma_f64 v[4:5], v[100:101], v[114:115], v[4:5]
	ds_load_b128 v[112:115], v1 offset:656
	ds_load_b128 v[126:129], v1 offset:672
	scratch_load_b64 v[120:121], off, off offset:360
	s_waitcnt lgkmcnt(1)
	v_fma_f64 v[4:5], v[102:103], v[112:113], v[4:5]
	s_waitcnt vmcnt(4)
	s_delay_alu instid0(VALU_DEP_1)
	v_fma_f64 v[4:5], v[122:123], v[114:115], v[4:5]
	ds_load_b128 v[100:103], v1 offset:688
	ds_load_b128 v[112:115], v1 offset:704
	s_waitcnt lgkmcnt(2)
	v_fma_f64 v[4:5], v[124:125], v[126:127], v[4:5]
	s_waitcnt vmcnt(3)
	s_delay_alu instid0(VALU_DEP_1) | instskip(SKIP_1) | instid1(VALU_DEP_1)
	v_fma_f64 v[4:5], v[104:105], v[128:129], v[4:5]
	s_waitcnt lgkmcnt(1)
	v_fma_f64 v[4:5], v[106:107], v[100:101], v[4:5]
	s_waitcnt vmcnt(2)
	s_delay_alu instid0(VALU_DEP_1) | instskip(SKIP_4) | instid1(VALU_DEP_1)
	v_fma_f64 v[4:5], v[116:117], v[102:103], v[4:5]
	ds_load_b128 v[100:103], v1 offset:720
	s_waitcnt lgkmcnt(1)
	v_fma_f64 v[4:5], v[118:119], v[112:113], v[4:5]
	s_waitcnt vmcnt(1)
	v_fma_f64 v[4:5], v[108:109], v[114:115], v[4:5]
	s_waitcnt lgkmcnt(0)
	s_delay_alu instid0(VALU_DEP_1) | instskip(SKIP_1) | instid1(VALU_DEP_1)
	v_fma_f64 v[1:2], v[110:111], v[100:101], v[4:5]
	s_waitcnt vmcnt(0)
	v_fma_f64 v[1:2], v[120:121], v[102:103], v[1:2]
	s_delay_alu instid0(VALU_DEP_1)
	v_add_f64 v[1:2], v[98:99], -v[1:2]
	scratch_store_b64 off, v[1:2], off offset:184
	v_cmpx_lt_u32_e32 22, v0
	s_cbranch_execz .LBB109_241
; %bb.240:
	scratch_load_b64 v[1:2], off, off offset:176
	v_mov_b32_e32 v4, 0
	s_delay_alu instid0(VALU_DEP_1)
	v_mov_b32_e32 v5, v4
	scratch_store_b64 off, v[4:5], off offset:176
	s_waitcnt vmcnt(0)
	ds_store_b64 v3, v[1:2]
.LBB109_241:
	s_or_b32 exec_lo, exec_lo, s0
	s_waitcnt lgkmcnt(0)
	s_waitcnt_vscnt null, 0x0
	s_barrier
	buffer_gl0_inv
	s_clause 0x4
	scratch_load_b128 v[98:101], off, off offset:176
	scratch_load_b128 v[102:105], off, off offset:192
	;; [unrolled: 1-line block ×5, first 2 shown]
	v_mov_b32_e32 v1, 0
	ds_load_2addr_b64 v[118:121], v1 offset0:69 offset1:70
	ds_load_2addr_b64 v[122:125], v1 offset0:71 offset1:72
	scratch_load_b128 v[126:129], off, off offset:256
	s_mov_b32 s0, exec_lo
	s_waitcnt vmcnt(5) lgkmcnt(1)
	v_fma_f64 v[4:5], v[100:101], v[118:119], 0
	s_waitcnt vmcnt(4)
	s_delay_alu instid0(VALU_DEP_1) | instskip(SKIP_4) | instid1(VALU_DEP_1)
	v_fma_f64 v[4:5], v[102:103], v[120:121], v[4:5]
	scratch_load_b128 v[100:103], off, off offset:272
	s_waitcnt lgkmcnt(0)
	v_fma_f64 v[4:5], v[104:105], v[122:123], v[4:5]
	s_waitcnt vmcnt(4)
	v_fma_f64 v[4:5], v[106:107], v[124:125], v[4:5]
	ds_load_2addr_b64 v[104:107], v1 offset0:73 offset1:74
	ds_load_2addr_b64 v[118:121], v1 offset0:75 offset1:76
	scratch_load_b128 v[122:125], off, off offset:288
	s_waitcnt lgkmcnt(1)
	v_fma_f64 v[4:5], v[108:109], v[104:105], v[4:5]
	s_waitcnt vmcnt(4)
	s_delay_alu instid0(VALU_DEP_1) | instskip(SKIP_4) | instid1(VALU_DEP_1)
	v_fma_f64 v[4:5], v[110:111], v[106:107], v[4:5]
	scratch_load_b128 v[104:107], off, off offset:304
	s_waitcnt lgkmcnt(0)
	v_fma_f64 v[4:5], v[112:113], v[118:119], v[4:5]
	s_waitcnt vmcnt(4)
	v_fma_f64 v[4:5], v[114:115], v[120:121], v[4:5]
	ds_load_2addr_b64 v[108:111], v1 offset0:77 offset1:78
	ds_load_2addr_b64 v[112:115], v1 offset0:79 offset1:80
	s_waitcnt lgkmcnt(1)
	v_fma_f64 v[4:5], v[116:117], v[108:109], v[4:5]
	scratch_load_b128 v[116:119], off, off offset:320
	s_waitcnt vmcnt(4)
	v_fma_f64 v[4:5], v[126:127], v[110:111], v[4:5]
	scratch_load_b128 v[108:111], off, off offset:336
	s_waitcnt lgkmcnt(0)
	v_fma_f64 v[4:5], v[128:129], v[112:113], v[4:5]
	s_waitcnt vmcnt(4)
	s_delay_alu instid0(VALU_DEP_1)
	v_fma_f64 v[4:5], v[100:101], v[114:115], v[4:5]
	ds_load_2addr_b64 v[112:115], v1 offset0:81 offset1:82
	ds_load_2addr_b64 v[126:129], v1 offset0:83 offset1:84
	s_waitcnt lgkmcnt(1)
	v_fma_f64 v[4:5], v[102:103], v[112:113], v[4:5]
	scratch_load_b128 v[100:103], off, off offset:352
	s_waitcnt vmcnt(4)
	v_fma_f64 v[4:5], v[122:123], v[114:115], v[4:5]
	ds_load_2addr_b64 v[112:115], v1 offset0:85 offset1:86
	ds_load_2addr_b64 v[120:123], v1 offset0:87 offset1:88
	s_waitcnt lgkmcnt(2)
	v_fma_f64 v[4:5], v[124:125], v[126:127], v[4:5]
	s_waitcnt vmcnt(3)
	s_delay_alu instid0(VALU_DEP_1) | instskip(SKIP_1) | instid1(VALU_DEP_1)
	v_fma_f64 v[4:5], v[104:105], v[128:129], v[4:5]
	s_waitcnt lgkmcnt(1)
	v_fma_f64 v[4:5], v[106:107], v[112:113], v[4:5]
	s_waitcnt vmcnt(2)
	s_delay_alu instid0(VALU_DEP_1) | instskip(SKIP_1) | instid1(VALU_DEP_1)
	v_fma_f64 v[4:5], v[116:117], v[114:115], v[4:5]
	s_waitcnt lgkmcnt(0)
	v_fma_f64 v[4:5], v[118:119], v[120:121], v[4:5]
	s_waitcnt vmcnt(1)
	s_delay_alu instid0(VALU_DEP_1)
	v_fma_f64 v[4:5], v[108:109], v[122:123], v[4:5]
	ds_load_2addr_b64 v[104:107], v1 offset0:89 offset1:90
	ds_load_b64 v[108:109], v1 offset:728
	s_waitcnt lgkmcnt(1)
	v_fma_f64 v[4:5], v[110:111], v[104:105], v[4:5]
	s_waitcnt vmcnt(0)
	s_delay_alu instid0(VALU_DEP_1) | instskip(SKIP_1) | instid1(VALU_DEP_1)
	v_fma_f64 v[4:5], v[100:101], v[106:107], v[4:5]
	s_waitcnt lgkmcnt(0)
	v_fma_f64 v[4:5], v[102:103], v[108:109], v[4:5]
	s_delay_alu instid0(VALU_DEP_1)
	v_add_f64 v[4:5], v[98:99], -v[4:5]
	scratch_store_b64 off, v[4:5], off offset:176
	v_cmpx_lt_u32_e32 21, v0
	s_cbranch_execz .LBB109_243
; %bb.242:
	scratch_load_b64 v[4:5], off, off offset:168
	v_mov_b32_e32 v2, v1
	scratch_store_b64 off, v[1:2], off offset:168
	s_waitcnt vmcnt(0)
	ds_store_b64 v3, v[4:5]
.LBB109_243:
	s_or_b32 exec_lo, exec_lo, s0
	s_waitcnt lgkmcnt(0)
	s_waitcnt_vscnt null, 0x0
	s_barrier
	buffer_gl0_inv
	s_clause 0x4
	scratch_load_b128 v[98:101], off, off offset:168
	scratch_load_b128 v[102:105], off, off offset:184
	;; [unrolled: 1-line block ×5, first 2 shown]
	ds_load_b128 v[118:121], v1 offset:544
	ds_load_b128 v[122:125], v1 offset:560
	scratch_load_b128 v[126:129], off, off offset:248
	s_mov_b32 s0, exec_lo
	s_waitcnt vmcnt(5) lgkmcnt(1)
	v_fma_f64 v[4:5], v[100:101], v[118:119], 0
	s_waitcnt vmcnt(4)
	s_delay_alu instid0(VALU_DEP_1) | instskip(SKIP_4) | instid1(VALU_DEP_1)
	v_fma_f64 v[4:5], v[102:103], v[120:121], v[4:5]
	scratch_load_b128 v[100:103], off, off offset:264
	s_waitcnt lgkmcnt(0)
	v_fma_f64 v[4:5], v[104:105], v[122:123], v[4:5]
	s_waitcnt vmcnt(4)
	v_fma_f64 v[4:5], v[106:107], v[124:125], v[4:5]
	ds_load_b128 v[104:107], v1 offset:576
	ds_load_b128 v[118:121], v1 offset:592
	scratch_load_b128 v[122:125], off, off offset:280
	s_waitcnt lgkmcnt(1)
	v_fma_f64 v[4:5], v[108:109], v[104:105], v[4:5]
	s_waitcnt vmcnt(4)
	s_delay_alu instid0(VALU_DEP_1) | instskip(SKIP_4) | instid1(VALU_DEP_1)
	v_fma_f64 v[4:5], v[110:111], v[106:107], v[4:5]
	scratch_load_b128 v[104:107], off, off offset:296
	s_waitcnt lgkmcnt(0)
	v_fma_f64 v[4:5], v[112:113], v[118:119], v[4:5]
	s_waitcnt vmcnt(4)
	v_fma_f64 v[4:5], v[114:115], v[120:121], v[4:5]
	ds_load_b128 v[108:111], v1 offset:608
	ds_load_b128 v[112:115], v1 offset:624
	s_waitcnt lgkmcnt(1)
	v_fma_f64 v[4:5], v[116:117], v[108:109], v[4:5]
	scratch_load_b128 v[116:119], off, off offset:312
	s_waitcnt vmcnt(4)
	v_fma_f64 v[4:5], v[126:127], v[110:111], v[4:5]
	scratch_load_b128 v[108:111], off, off offset:328
	s_waitcnt lgkmcnt(0)
	v_fma_f64 v[4:5], v[128:129], v[112:113], v[4:5]
	s_waitcnt vmcnt(4)
	s_delay_alu instid0(VALU_DEP_1)
	v_fma_f64 v[4:5], v[100:101], v[114:115], v[4:5]
	ds_load_b128 v[112:115], v1 offset:640
	ds_load_b128 v[126:129], v1 offset:656
	s_waitcnt lgkmcnt(1)
	v_fma_f64 v[4:5], v[102:103], v[112:113], v[4:5]
	scratch_load_b128 v[100:103], off, off offset:344
	s_waitcnt vmcnt(4)
	v_fma_f64 v[4:5], v[122:123], v[114:115], v[4:5]
	s_waitcnt lgkmcnt(0)
	s_delay_alu instid0(VALU_DEP_1)
	v_fma_f64 v[4:5], v[124:125], v[126:127], v[4:5]
	scratch_load_b64 v[124:125], off, off offset:360
	ds_load_b128 v[112:115], v1 offset:672
	ds_load_b128 v[120:123], v1 offset:688
	s_waitcnt vmcnt(4)
	v_fma_f64 v[4:5], v[104:105], v[128:129], v[4:5]
	s_waitcnt lgkmcnt(1)
	s_delay_alu instid0(VALU_DEP_1) | instskip(SKIP_1) | instid1(VALU_DEP_1)
	v_fma_f64 v[4:5], v[106:107], v[112:113], v[4:5]
	s_waitcnt vmcnt(3)
	v_fma_f64 v[4:5], v[116:117], v[114:115], v[4:5]
	ds_load_b128 v[104:107], v1 offset:704
	ds_load_b128 v[112:115], v1 offset:720
	s_waitcnt lgkmcnt(2)
	v_fma_f64 v[4:5], v[118:119], v[120:121], v[4:5]
	s_waitcnt vmcnt(2)
	s_delay_alu instid0(VALU_DEP_1) | instskip(SKIP_1) | instid1(VALU_DEP_1)
	v_fma_f64 v[4:5], v[108:109], v[122:123], v[4:5]
	s_waitcnt lgkmcnt(1)
	v_fma_f64 v[1:2], v[110:111], v[104:105], v[4:5]
	s_waitcnt vmcnt(1)
	s_delay_alu instid0(VALU_DEP_1) | instskip(SKIP_1) | instid1(VALU_DEP_1)
	v_fma_f64 v[1:2], v[100:101], v[106:107], v[1:2]
	s_waitcnt lgkmcnt(0)
	v_fma_f64 v[1:2], v[102:103], v[112:113], v[1:2]
	s_waitcnt vmcnt(0)
	s_delay_alu instid0(VALU_DEP_1) | instskip(NEXT) | instid1(VALU_DEP_1)
	v_fma_f64 v[1:2], v[124:125], v[114:115], v[1:2]
	v_add_f64 v[1:2], v[98:99], -v[1:2]
	scratch_store_b64 off, v[1:2], off offset:168
	v_cmpx_lt_u32_e32 20, v0
	s_cbranch_execz .LBB109_245
; %bb.244:
	scratch_load_b64 v[1:2], off, off offset:160
	v_mov_b32_e32 v4, 0
	s_delay_alu instid0(VALU_DEP_1)
	v_mov_b32_e32 v5, v4
	scratch_store_b64 off, v[4:5], off offset:160
	s_waitcnt vmcnt(0)
	ds_store_b64 v3, v[1:2]
.LBB109_245:
	s_or_b32 exec_lo, exec_lo, s0
	s_waitcnt lgkmcnt(0)
	s_waitcnt_vscnt null, 0x0
	s_barrier
	buffer_gl0_inv
	s_clause 0x4
	scratch_load_b128 v[98:101], off, off offset:160
	scratch_load_b128 v[102:105], off, off offset:176
	;; [unrolled: 1-line block ×5, first 2 shown]
	v_mov_b32_e32 v1, 0
	ds_load_2addr_b64 v[118:121], v1 offset0:67 offset1:68
	ds_load_2addr_b64 v[122:125], v1 offset0:69 offset1:70
	scratch_load_b128 v[126:129], off, off offset:240
	s_mov_b32 s0, exec_lo
	s_waitcnt vmcnt(5) lgkmcnt(1)
	v_fma_f64 v[4:5], v[100:101], v[118:119], 0
	s_waitcnt vmcnt(4)
	s_delay_alu instid0(VALU_DEP_1) | instskip(SKIP_4) | instid1(VALU_DEP_1)
	v_fma_f64 v[4:5], v[102:103], v[120:121], v[4:5]
	scratch_load_b128 v[100:103], off, off offset:256
	s_waitcnt lgkmcnt(0)
	v_fma_f64 v[4:5], v[104:105], v[122:123], v[4:5]
	s_waitcnt vmcnt(4)
	v_fma_f64 v[4:5], v[106:107], v[124:125], v[4:5]
	ds_load_2addr_b64 v[104:107], v1 offset0:71 offset1:72
	ds_load_2addr_b64 v[118:121], v1 offset0:73 offset1:74
	scratch_load_b128 v[122:125], off, off offset:272
	s_waitcnt lgkmcnt(1)
	v_fma_f64 v[4:5], v[108:109], v[104:105], v[4:5]
	s_waitcnt vmcnt(4)
	s_delay_alu instid0(VALU_DEP_1) | instskip(SKIP_4) | instid1(VALU_DEP_1)
	v_fma_f64 v[4:5], v[110:111], v[106:107], v[4:5]
	scratch_load_b128 v[104:107], off, off offset:288
	s_waitcnt lgkmcnt(0)
	v_fma_f64 v[4:5], v[112:113], v[118:119], v[4:5]
	s_waitcnt vmcnt(4)
	v_fma_f64 v[4:5], v[114:115], v[120:121], v[4:5]
	ds_load_2addr_b64 v[108:111], v1 offset0:75 offset1:76
	ds_load_2addr_b64 v[112:115], v1 offset0:77 offset1:78
	s_waitcnt lgkmcnt(1)
	v_fma_f64 v[4:5], v[116:117], v[108:109], v[4:5]
	scratch_load_b128 v[116:119], off, off offset:304
	s_waitcnt vmcnt(4)
	v_fma_f64 v[4:5], v[126:127], v[110:111], v[4:5]
	scratch_load_b128 v[108:111], off, off offset:320
	s_waitcnt lgkmcnt(0)
	v_fma_f64 v[4:5], v[128:129], v[112:113], v[4:5]
	s_waitcnt vmcnt(4)
	s_delay_alu instid0(VALU_DEP_1)
	v_fma_f64 v[4:5], v[100:101], v[114:115], v[4:5]
	ds_load_2addr_b64 v[112:115], v1 offset0:79 offset1:80
	ds_load_2addr_b64 v[126:129], v1 offset0:81 offset1:82
	s_waitcnt lgkmcnt(1)
	v_fma_f64 v[4:5], v[102:103], v[112:113], v[4:5]
	scratch_load_b128 v[100:103], off, off offset:336
	s_waitcnt vmcnt(4)
	v_fma_f64 v[4:5], v[122:123], v[114:115], v[4:5]
	scratch_load_b128 v[112:115], off, off offset:352
	s_waitcnt lgkmcnt(0)
	v_fma_f64 v[4:5], v[124:125], v[126:127], v[4:5]
	ds_load_2addr_b64 v[120:123], v1 offset0:83 offset1:84
	ds_load_2addr_b64 v[124:127], v1 offset0:85 offset1:86
	s_waitcnt vmcnt(4)
	v_fma_f64 v[4:5], v[104:105], v[128:129], v[4:5]
	s_waitcnt lgkmcnt(1)
	s_delay_alu instid0(VALU_DEP_1) | instskip(SKIP_1) | instid1(VALU_DEP_1)
	v_fma_f64 v[4:5], v[106:107], v[120:121], v[4:5]
	s_waitcnt vmcnt(3)
	v_fma_f64 v[4:5], v[116:117], v[122:123], v[4:5]
	s_waitcnt lgkmcnt(0)
	s_delay_alu instid0(VALU_DEP_1)
	v_fma_f64 v[4:5], v[118:119], v[124:125], v[4:5]
	ds_load_2addr_b64 v[104:107], v1 offset0:87 offset1:88
	ds_load_2addr_b64 v[116:119], v1 offset0:89 offset1:90
	s_waitcnt vmcnt(2)
	v_fma_f64 v[4:5], v[108:109], v[126:127], v[4:5]
	s_waitcnt lgkmcnt(1)
	s_delay_alu instid0(VALU_DEP_1) | instskip(SKIP_1) | instid1(VALU_DEP_1)
	v_fma_f64 v[4:5], v[110:111], v[104:105], v[4:5]
	s_waitcnt vmcnt(1)
	v_fma_f64 v[4:5], v[100:101], v[106:107], v[4:5]
	ds_load_b64 v[100:101], v1 offset:728
	s_waitcnt lgkmcnt(1)
	v_fma_f64 v[4:5], v[102:103], v[116:117], v[4:5]
	s_waitcnt vmcnt(0)
	s_delay_alu instid0(VALU_DEP_1) | instskip(SKIP_1) | instid1(VALU_DEP_1)
	v_fma_f64 v[4:5], v[112:113], v[118:119], v[4:5]
	s_waitcnt lgkmcnt(0)
	v_fma_f64 v[4:5], v[114:115], v[100:101], v[4:5]
	s_delay_alu instid0(VALU_DEP_1)
	v_add_f64 v[4:5], v[98:99], -v[4:5]
	scratch_store_b64 off, v[4:5], off offset:160
	v_cmpx_lt_u32_e32 19, v0
	s_cbranch_execz .LBB109_247
; %bb.246:
	scratch_load_b64 v[4:5], off, off offset:152
	v_mov_b32_e32 v2, v1
	scratch_store_b64 off, v[1:2], off offset:152
	s_waitcnt vmcnt(0)
	ds_store_b64 v3, v[4:5]
.LBB109_247:
	s_or_b32 exec_lo, exec_lo, s0
	s_waitcnt lgkmcnt(0)
	s_waitcnt_vscnt null, 0x0
	s_barrier
	buffer_gl0_inv
	s_clause 0x4
	scratch_load_b128 v[98:101], off, off offset:152
	scratch_load_b128 v[102:105], off, off offset:168
	;; [unrolled: 1-line block ×5, first 2 shown]
	ds_load_b128 v[118:121], v1 offset:528
	ds_load_b128 v[122:125], v1 offset:544
	scratch_load_b128 v[126:129], off, off offset:232
	s_mov_b32 s0, exec_lo
	s_waitcnt vmcnt(5) lgkmcnt(1)
	v_fma_f64 v[4:5], v[100:101], v[118:119], 0
	s_waitcnt vmcnt(4)
	s_delay_alu instid0(VALU_DEP_1) | instskip(SKIP_4) | instid1(VALU_DEP_1)
	v_fma_f64 v[4:5], v[102:103], v[120:121], v[4:5]
	scratch_load_b128 v[100:103], off, off offset:248
	s_waitcnt lgkmcnt(0)
	v_fma_f64 v[4:5], v[104:105], v[122:123], v[4:5]
	s_waitcnt vmcnt(4)
	v_fma_f64 v[4:5], v[106:107], v[124:125], v[4:5]
	ds_load_b128 v[104:107], v1 offset:560
	ds_load_b128 v[118:121], v1 offset:576
	scratch_load_b128 v[122:125], off, off offset:264
	s_waitcnt lgkmcnt(1)
	v_fma_f64 v[4:5], v[108:109], v[104:105], v[4:5]
	s_waitcnt vmcnt(4)
	s_delay_alu instid0(VALU_DEP_1) | instskip(SKIP_4) | instid1(VALU_DEP_1)
	v_fma_f64 v[4:5], v[110:111], v[106:107], v[4:5]
	scratch_load_b128 v[104:107], off, off offset:280
	s_waitcnt lgkmcnt(0)
	v_fma_f64 v[4:5], v[112:113], v[118:119], v[4:5]
	s_waitcnt vmcnt(4)
	v_fma_f64 v[4:5], v[114:115], v[120:121], v[4:5]
	ds_load_b128 v[108:111], v1 offset:592
	ds_load_b128 v[112:115], v1 offset:608
	s_waitcnt lgkmcnt(1)
	v_fma_f64 v[4:5], v[116:117], v[108:109], v[4:5]
	scratch_load_b128 v[116:119], off, off offset:296
	s_waitcnt vmcnt(4)
	v_fma_f64 v[4:5], v[126:127], v[110:111], v[4:5]
	scratch_load_b128 v[108:111], off, off offset:312
	s_waitcnt lgkmcnt(0)
	v_fma_f64 v[4:5], v[128:129], v[112:113], v[4:5]
	s_waitcnt vmcnt(4)
	s_delay_alu instid0(VALU_DEP_1)
	v_fma_f64 v[4:5], v[100:101], v[114:115], v[4:5]
	ds_load_b128 v[112:115], v1 offset:624
	ds_load_b128 v[126:129], v1 offset:640
	s_waitcnt lgkmcnt(1)
	v_fma_f64 v[4:5], v[102:103], v[112:113], v[4:5]
	scratch_load_b128 v[100:103], off, off offset:328
	s_waitcnt vmcnt(4)
	v_fma_f64 v[4:5], v[122:123], v[114:115], v[4:5]
	scratch_load_b128 v[112:115], off, off offset:344
	s_waitcnt lgkmcnt(0)
	v_fma_f64 v[4:5], v[124:125], v[126:127], v[4:5]
	ds_load_b128 v[120:123], v1 offset:656
	ds_load_b128 v[124:127], v1 offset:672
	s_waitcnt vmcnt(4)
	v_fma_f64 v[4:5], v[104:105], v[128:129], v[4:5]
	s_waitcnt lgkmcnt(1)
	s_delay_alu instid0(VALU_DEP_1) | instskip(SKIP_4) | instid1(VALU_DEP_1)
	v_fma_f64 v[4:5], v[106:107], v[120:121], v[4:5]
	scratch_load_b64 v[120:121], off, off offset:360
	s_waitcnt vmcnt(4)
	v_fma_f64 v[4:5], v[116:117], v[122:123], v[4:5]
	s_waitcnt lgkmcnt(0)
	v_fma_f64 v[4:5], v[118:119], v[124:125], v[4:5]
	ds_load_b128 v[104:107], v1 offset:688
	ds_load_b128 v[116:119], v1 offset:704
	s_waitcnt vmcnt(3)
	v_fma_f64 v[4:5], v[108:109], v[126:127], v[4:5]
	s_waitcnt lgkmcnt(1)
	s_delay_alu instid0(VALU_DEP_1) | instskip(SKIP_1) | instid1(VALU_DEP_1)
	v_fma_f64 v[4:5], v[110:111], v[104:105], v[4:5]
	s_waitcnt vmcnt(2)
	v_fma_f64 v[4:5], v[100:101], v[106:107], v[4:5]
	s_waitcnt lgkmcnt(0)
	s_delay_alu instid0(VALU_DEP_1) | instskip(SKIP_4) | instid1(VALU_DEP_1)
	v_fma_f64 v[4:5], v[102:103], v[116:117], v[4:5]
	ds_load_b128 v[100:103], v1 offset:720
	s_waitcnt vmcnt(1)
	v_fma_f64 v[4:5], v[112:113], v[118:119], v[4:5]
	s_waitcnt lgkmcnt(0)
	v_fma_f64 v[1:2], v[114:115], v[100:101], v[4:5]
	s_waitcnt vmcnt(0)
	s_delay_alu instid0(VALU_DEP_1) | instskip(NEXT) | instid1(VALU_DEP_1)
	v_fma_f64 v[1:2], v[120:121], v[102:103], v[1:2]
	v_add_f64 v[1:2], v[98:99], -v[1:2]
	scratch_store_b64 off, v[1:2], off offset:152
	v_cmpx_lt_u32_e32 18, v0
	s_cbranch_execz .LBB109_249
; %bb.248:
	scratch_load_b64 v[1:2], off, off offset:144
	v_mov_b32_e32 v4, 0
	s_delay_alu instid0(VALU_DEP_1)
	v_mov_b32_e32 v5, v4
	scratch_store_b64 off, v[4:5], off offset:144
	s_waitcnt vmcnt(0)
	ds_store_b64 v3, v[1:2]
.LBB109_249:
	s_or_b32 exec_lo, exec_lo, s0
	s_waitcnt lgkmcnt(0)
	s_waitcnt_vscnt null, 0x0
	s_barrier
	buffer_gl0_inv
	s_clause 0x4
	scratch_load_b128 v[98:101], off, off offset:144
	scratch_load_b128 v[102:105], off, off offset:160
	;; [unrolled: 1-line block ×5, first 2 shown]
	v_mov_b32_e32 v1, 0
	ds_load_2addr_b64 v[118:121], v1 offset0:65 offset1:66
	ds_load_2addr_b64 v[122:125], v1 offset0:67 offset1:68
	scratch_load_b128 v[126:129], off, off offset:224
	s_mov_b32 s0, exec_lo
	s_waitcnt vmcnt(5) lgkmcnt(1)
	v_fma_f64 v[4:5], v[100:101], v[118:119], 0
	s_waitcnt vmcnt(4)
	s_delay_alu instid0(VALU_DEP_1) | instskip(SKIP_4) | instid1(VALU_DEP_1)
	v_fma_f64 v[4:5], v[102:103], v[120:121], v[4:5]
	scratch_load_b128 v[100:103], off, off offset:240
	s_waitcnt lgkmcnt(0)
	v_fma_f64 v[4:5], v[104:105], v[122:123], v[4:5]
	s_waitcnt vmcnt(4)
	v_fma_f64 v[4:5], v[106:107], v[124:125], v[4:5]
	ds_load_2addr_b64 v[104:107], v1 offset0:69 offset1:70
	ds_load_2addr_b64 v[118:121], v1 offset0:71 offset1:72
	scratch_load_b128 v[122:125], off, off offset:256
	s_waitcnt lgkmcnt(1)
	v_fma_f64 v[4:5], v[108:109], v[104:105], v[4:5]
	s_waitcnt vmcnt(4)
	s_delay_alu instid0(VALU_DEP_1) | instskip(SKIP_4) | instid1(VALU_DEP_1)
	v_fma_f64 v[4:5], v[110:111], v[106:107], v[4:5]
	scratch_load_b128 v[104:107], off, off offset:272
	s_waitcnt lgkmcnt(0)
	v_fma_f64 v[4:5], v[112:113], v[118:119], v[4:5]
	s_waitcnt vmcnt(4)
	v_fma_f64 v[4:5], v[114:115], v[120:121], v[4:5]
	ds_load_2addr_b64 v[108:111], v1 offset0:73 offset1:74
	ds_load_2addr_b64 v[112:115], v1 offset0:75 offset1:76
	s_waitcnt lgkmcnt(1)
	v_fma_f64 v[4:5], v[116:117], v[108:109], v[4:5]
	scratch_load_b128 v[116:119], off, off offset:288
	s_waitcnt vmcnt(4)
	v_fma_f64 v[4:5], v[126:127], v[110:111], v[4:5]
	scratch_load_b128 v[108:111], off, off offset:304
	s_waitcnt lgkmcnt(0)
	v_fma_f64 v[4:5], v[128:129], v[112:113], v[4:5]
	s_waitcnt vmcnt(4)
	s_delay_alu instid0(VALU_DEP_1)
	v_fma_f64 v[4:5], v[100:101], v[114:115], v[4:5]
	ds_load_2addr_b64 v[112:115], v1 offset0:77 offset1:78
	ds_load_2addr_b64 v[126:129], v1 offset0:79 offset1:80
	s_waitcnt lgkmcnt(1)
	v_fma_f64 v[4:5], v[102:103], v[112:113], v[4:5]
	scratch_load_b128 v[100:103], off, off offset:320
	s_waitcnt vmcnt(4)
	v_fma_f64 v[4:5], v[122:123], v[114:115], v[4:5]
	scratch_load_b128 v[112:115], off, off offset:336
	s_waitcnt lgkmcnt(0)
	v_fma_f64 v[4:5], v[124:125], v[126:127], v[4:5]
	ds_load_2addr_b64 v[120:123], v1 offset0:81 offset1:82
	ds_load_2addr_b64 v[124:127], v1 offset0:83 offset1:84
	s_waitcnt vmcnt(4)
	v_fma_f64 v[4:5], v[104:105], v[128:129], v[4:5]
	s_waitcnt lgkmcnt(1)
	s_delay_alu instid0(VALU_DEP_1) | instskip(SKIP_4) | instid1(VALU_DEP_1)
	v_fma_f64 v[4:5], v[106:107], v[120:121], v[4:5]
	scratch_load_b128 v[104:107], off, off offset:352
	s_waitcnt vmcnt(4)
	v_fma_f64 v[4:5], v[116:117], v[122:123], v[4:5]
	s_waitcnt lgkmcnt(0)
	v_fma_f64 v[4:5], v[118:119], v[124:125], v[4:5]
	ds_load_2addr_b64 v[116:119], v1 offset0:85 offset1:86
	ds_load_2addr_b64 v[120:123], v1 offset0:87 offset1:88
	s_waitcnt vmcnt(3)
	v_fma_f64 v[4:5], v[108:109], v[126:127], v[4:5]
	s_waitcnt lgkmcnt(1)
	s_delay_alu instid0(VALU_DEP_1) | instskip(SKIP_1) | instid1(VALU_DEP_1)
	v_fma_f64 v[4:5], v[110:111], v[116:117], v[4:5]
	s_waitcnt vmcnt(2)
	v_fma_f64 v[4:5], v[100:101], v[118:119], v[4:5]
	s_waitcnt lgkmcnt(0)
	s_delay_alu instid0(VALU_DEP_1)
	v_fma_f64 v[4:5], v[102:103], v[120:121], v[4:5]
	ds_load_2addr_b64 v[100:103], v1 offset0:89 offset1:90
	ds_load_b64 v[108:109], v1 offset:728
	s_waitcnt vmcnt(1)
	v_fma_f64 v[4:5], v[112:113], v[122:123], v[4:5]
	s_waitcnt lgkmcnt(1)
	s_delay_alu instid0(VALU_DEP_1) | instskip(SKIP_1) | instid1(VALU_DEP_1)
	v_fma_f64 v[4:5], v[114:115], v[100:101], v[4:5]
	s_waitcnt vmcnt(0)
	v_fma_f64 v[4:5], v[104:105], v[102:103], v[4:5]
	s_waitcnt lgkmcnt(0)
	s_delay_alu instid0(VALU_DEP_1) | instskip(NEXT) | instid1(VALU_DEP_1)
	v_fma_f64 v[4:5], v[106:107], v[108:109], v[4:5]
	v_add_f64 v[4:5], v[98:99], -v[4:5]
	scratch_store_b64 off, v[4:5], off offset:144
	v_cmpx_lt_u32_e32 17, v0
	s_cbranch_execz .LBB109_251
; %bb.250:
	scratch_load_b64 v[4:5], off, off offset:136
	v_mov_b32_e32 v2, v1
	scratch_store_b64 off, v[1:2], off offset:136
	s_waitcnt vmcnt(0)
	ds_store_b64 v3, v[4:5]
.LBB109_251:
	s_or_b32 exec_lo, exec_lo, s0
	s_waitcnt lgkmcnt(0)
	s_waitcnt_vscnt null, 0x0
	s_barrier
	buffer_gl0_inv
	s_clause 0x4
	scratch_load_b128 v[98:101], off, off offset:136
	scratch_load_b128 v[102:105], off, off offset:152
	scratch_load_b128 v[106:109], off, off offset:168
	scratch_load_b128 v[110:113], off, off offset:184
	scratch_load_b128 v[114:117], off, off offset:200
	ds_load_b128 v[118:121], v1 offset:512
	ds_load_b128 v[122:125], v1 offset:528
	scratch_load_b128 v[126:129], off, off offset:216
	s_mov_b32 s0, exec_lo
	s_waitcnt vmcnt(5) lgkmcnt(1)
	v_fma_f64 v[4:5], v[100:101], v[118:119], 0
	s_waitcnt vmcnt(4)
	s_delay_alu instid0(VALU_DEP_1) | instskip(SKIP_4) | instid1(VALU_DEP_1)
	v_fma_f64 v[4:5], v[102:103], v[120:121], v[4:5]
	scratch_load_b128 v[100:103], off, off offset:232
	s_waitcnt lgkmcnt(0)
	v_fma_f64 v[4:5], v[104:105], v[122:123], v[4:5]
	s_waitcnt vmcnt(4)
	v_fma_f64 v[4:5], v[106:107], v[124:125], v[4:5]
	ds_load_b128 v[104:107], v1 offset:544
	ds_load_b128 v[118:121], v1 offset:560
	scratch_load_b128 v[122:125], off, off offset:248
	s_waitcnt lgkmcnt(1)
	v_fma_f64 v[4:5], v[108:109], v[104:105], v[4:5]
	s_waitcnt vmcnt(4)
	s_delay_alu instid0(VALU_DEP_1) | instskip(SKIP_4) | instid1(VALU_DEP_1)
	v_fma_f64 v[4:5], v[110:111], v[106:107], v[4:5]
	scratch_load_b128 v[104:107], off, off offset:264
	s_waitcnt lgkmcnt(0)
	v_fma_f64 v[4:5], v[112:113], v[118:119], v[4:5]
	s_waitcnt vmcnt(4)
	v_fma_f64 v[4:5], v[114:115], v[120:121], v[4:5]
	ds_load_b128 v[108:111], v1 offset:576
	ds_load_b128 v[112:115], v1 offset:592
	s_waitcnt lgkmcnt(1)
	v_fma_f64 v[4:5], v[116:117], v[108:109], v[4:5]
	scratch_load_b128 v[116:119], off, off offset:280
	s_waitcnt vmcnt(4)
	v_fma_f64 v[4:5], v[126:127], v[110:111], v[4:5]
	scratch_load_b128 v[108:111], off, off offset:296
	s_waitcnt lgkmcnt(0)
	v_fma_f64 v[4:5], v[128:129], v[112:113], v[4:5]
	s_waitcnt vmcnt(4)
	s_delay_alu instid0(VALU_DEP_1)
	v_fma_f64 v[4:5], v[100:101], v[114:115], v[4:5]
	ds_load_b128 v[112:115], v1 offset:608
	ds_load_b128 v[126:129], v1 offset:624
	s_waitcnt lgkmcnt(1)
	v_fma_f64 v[4:5], v[102:103], v[112:113], v[4:5]
	scratch_load_b128 v[100:103], off, off offset:312
	s_waitcnt vmcnt(4)
	v_fma_f64 v[4:5], v[122:123], v[114:115], v[4:5]
	scratch_load_b128 v[112:115], off, off offset:328
	s_waitcnt lgkmcnt(0)
	v_fma_f64 v[4:5], v[124:125], v[126:127], v[4:5]
	ds_load_b128 v[120:123], v1 offset:640
	ds_load_b128 v[124:127], v1 offset:656
	s_waitcnt vmcnt(4)
	v_fma_f64 v[4:5], v[104:105], v[128:129], v[4:5]
	s_waitcnt lgkmcnt(1)
	s_delay_alu instid0(VALU_DEP_1) | instskip(SKIP_4) | instid1(VALU_DEP_1)
	v_fma_f64 v[4:5], v[106:107], v[120:121], v[4:5]
	scratch_load_b128 v[104:107], off, off offset:344
	s_waitcnt vmcnt(4)
	v_fma_f64 v[4:5], v[116:117], v[122:123], v[4:5]
	s_waitcnt lgkmcnt(0)
	v_fma_f64 v[4:5], v[118:119], v[124:125], v[4:5]
	scratch_load_b64 v[124:125], off, off offset:360
	ds_load_b128 v[116:119], v1 offset:672
	ds_load_b128 v[120:123], v1 offset:688
	s_waitcnt vmcnt(4)
	v_fma_f64 v[4:5], v[108:109], v[126:127], v[4:5]
	s_waitcnt lgkmcnt(1)
	s_delay_alu instid0(VALU_DEP_1) | instskip(SKIP_1) | instid1(VALU_DEP_1)
	v_fma_f64 v[4:5], v[110:111], v[116:117], v[4:5]
	s_waitcnt vmcnt(3)
	v_fma_f64 v[4:5], v[100:101], v[118:119], v[4:5]
	s_waitcnt lgkmcnt(0)
	s_delay_alu instid0(VALU_DEP_1)
	v_fma_f64 v[4:5], v[102:103], v[120:121], v[4:5]
	ds_load_b128 v[100:103], v1 offset:704
	ds_load_b128 v[108:111], v1 offset:720
	s_waitcnt vmcnt(2)
	v_fma_f64 v[4:5], v[112:113], v[122:123], v[4:5]
	s_waitcnt lgkmcnt(1)
	s_delay_alu instid0(VALU_DEP_1) | instskip(SKIP_1) | instid1(VALU_DEP_1)
	v_fma_f64 v[1:2], v[114:115], v[100:101], v[4:5]
	s_waitcnt vmcnt(1)
	v_fma_f64 v[1:2], v[104:105], v[102:103], v[1:2]
	s_waitcnt lgkmcnt(0)
	s_delay_alu instid0(VALU_DEP_1) | instskip(SKIP_1) | instid1(VALU_DEP_1)
	v_fma_f64 v[1:2], v[106:107], v[108:109], v[1:2]
	s_waitcnt vmcnt(0)
	v_fma_f64 v[1:2], v[124:125], v[110:111], v[1:2]
	s_delay_alu instid0(VALU_DEP_1)
	v_add_f64 v[1:2], v[98:99], -v[1:2]
	scratch_store_b64 off, v[1:2], off offset:136
	v_cmpx_lt_u32_e32 16, v0
	s_cbranch_execz .LBB109_253
; %bb.252:
	scratch_load_b64 v[1:2], off, off offset:128
	v_mov_b32_e32 v4, 0
	s_delay_alu instid0(VALU_DEP_1)
	v_mov_b32_e32 v5, v4
	scratch_store_b64 off, v[4:5], off offset:128
	s_waitcnt vmcnt(0)
	ds_store_b64 v3, v[1:2]
.LBB109_253:
	s_or_b32 exec_lo, exec_lo, s0
	s_waitcnt lgkmcnt(0)
	s_waitcnt_vscnt null, 0x0
	s_barrier
	buffer_gl0_inv
	s_clause 0x4
	scratch_load_b128 v[98:101], off, off offset:128
	scratch_load_b128 v[102:105], off, off offset:144
	;; [unrolled: 1-line block ×5, first 2 shown]
	v_mov_b32_e32 v1, 0
	ds_load_2addr_b64 v[118:121], v1 offset0:63 offset1:64
	ds_load_2addr_b64 v[122:125], v1 offset0:65 offset1:66
	scratch_load_b128 v[126:129], off, off offset:208
	s_mov_b32 s0, exec_lo
	s_waitcnt vmcnt(5) lgkmcnt(1)
	v_fma_f64 v[4:5], v[100:101], v[118:119], 0
	s_waitcnt vmcnt(4)
	s_delay_alu instid0(VALU_DEP_1) | instskip(SKIP_4) | instid1(VALU_DEP_1)
	v_fma_f64 v[4:5], v[102:103], v[120:121], v[4:5]
	scratch_load_b128 v[100:103], off, off offset:224
	s_waitcnt lgkmcnt(0)
	v_fma_f64 v[4:5], v[104:105], v[122:123], v[4:5]
	s_waitcnt vmcnt(4)
	v_fma_f64 v[4:5], v[106:107], v[124:125], v[4:5]
	ds_load_2addr_b64 v[104:107], v1 offset0:67 offset1:68
	ds_load_2addr_b64 v[118:121], v1 offset0:69 offset1:70
	scratch_load_b128 v[122:125], off, off offset:240
	s_waitcnt lgkmcnt(1)
	v_fma_f64 v[4:5], v[108:109], v[104:105], v[4:5]
	s_waitcnt vmcnt(4)
	s_delay_alu instid0(VALU_DEP_1) | instskip(SKIP_4) | instid1(VALU_DEP_1)
	v_fma_f64 v[4:5], v[110:111], v[106:107], v[4:5]
	scratch_load_b128 v[104:107], off, off offset:256
	s_waitcnt lgkmcnt(0)
	v_fma_f64 v[4:5], v[112:113], v[118:119], v[4:5]
	s_waitcnt vmcnt(4)
	v_fma_f64 v[4:5], v[114:115], v[120:121], v[4:5]
	ds_load_2addr_b64 v[108:111], v1 offset0:71 offset1:72
	ds_load_2addr_b64 v[112:115], v1 offset0:73 offset1:74
	s_waitcnt lgkmcnt(1)
	v_fma_f64 v[4:5], v[116:117], v[108:109], v[4:5]
	scratch_load_b128 v[116:119], off, off offset:272
	s_waitcnt vmcnt(4)
	v_fma_f64 v[4:5], v[126:127], v[110:111], v[4:5]
	scratch_load_b128 v[108:111], off, off offset:288
	s_waitcnt lgkmcnt(0)
	v_fma_f64 v[4:5], v[128:129], v[112:113], v[4:5]
	s_waitcnt vmcnt(4)
	s_delay_alu instid0(VALU_DEP_1)
	v_fma_f64 v[4:5], v[100:101], v[114:115], v[4:5]
	ds_load_2addr_b64 v[112:115], v1 offset0:75 offset1:76
	ds_load_2addr_b64 v[126:129], v1 offset0:77 offset1:78
	s_waitcnt lgkmcnt(1)
	v_fma_f64 v[4:5], v[102:103], v[112:113], v[4:5]
	scratch_load_b128 v[100:103], off, off offset:304
	s_waitcnt vmcnt(4)
	v_fma_f64 v[4:5], v[122:123], v[114:115], v[4:5]
	scratch_load_b128 v[112:115], off, off offset:320
	s_waitcnt lgkmcnt(0)
	v_fma_f64 v[4:5], v[124:125], v[126:127], v[4:5]
	ds_load_2addr_b64 v[120:123], v1 offset0:79 offset1:80
	ds_load_2addr_b64 v[124:127], v1 offset0:81 offset1:82
	s_waitcnt vmcnt(4)
	v_fma_f64 v[4:5], v[104:105], v[128:129], v[4:5]
	s_waitcnt lgkmcnt(1)
	s_delay_alu instid0(VALU_DEP_1) | instskip(SKIP_4) | instid1(VALU_DEP_1)
	v_fma_f64 v[4:5], v[106:107], v[120:121], v[4:5]
	scratch_load_b128 v[104:107], off, off offset:336
	s_waitcnt vmcnt(4)
	v_fma_f64 v[4:5], v[116:117], v[122:123], v[4:5]
	s_waitcnt lgkmcnt(0)
	v_fma_f64 v[4:5], v[118:119], v[124:125], v[4:5]
	scratch_load_b128 v[116:119], off, off offset:352
	s_waitcnt vmcnt(4)
	v_fma_f64 v[4:5], v[108:109], v[126:127], v[4:5]
	ds_load_2addr_b64 v[120:123], v1 offset0:83 offset1:84
	ds_load_2addr_b64 v[124:127], v1 offset0:85 offset1:86
	s_waitcnt lgkmcnt(1)
	v_fma_f64 v[4:5], v[110:111], v[120:121], v[4:5]
	s_waitcnt vmcnt(3)
	s_delay_alu instid0(VALU_DEP_1) | instskip(SKIP_1) | instid1(VALU_DEP_1)
	v_fma_f64 v[4:5], v[100:101], v[122:123], v[4:5]
	s_waitcnt lgkmcnt(0)
	v_fma_f64 v[4:5], v[102:103], v[124:125], v[4:5]
	ds_load_2addr_b64 v[100:103], v1 offset0:87 offset1:88
	ds_load_2addr_b64 v[108:111], v1 offset0:89 offset1:90
	s_waitcnt vmcnt(2)
	v_fma_f64 v[4:5], v[112:113], v[126:127], v[4:5]
	s_waitcnt lgkmcnt(1)
	s_delay_alu instid0(VALU_DEP_1) | instskip(SKIP_4) | instid1(VALU_DEP_1)
	v_fma_f64 v[4:5], v[114:115], v[100:101], v[4:5]
	ds_load_b64 v[100:101], v1 offset:728
	s_waitcnt vmcnt(1)
	v_fma_f64 v[4:5], v[104:105], v[102:103], v[4:5]
	s_waitcnt lgkmcnt(1)
	v_fma_f64 v[4:5], v[106:107], v[108:109], v[4:5]
	s_waitcnt vmcnt(0)
	s_delay_alu instid0(VALU_DEP_1) | instskip(SKIP_1) | instid1(VALU_DEP_1)
	v_fma_f64 v[4:5], v[116:117], v[110:111], v[4:5]
	s_waitcnt lgkmcnt(0)
	v_fma_f64 v[4:5], v[118:119], v[100:101], v[4:5]
	s_delay_alu instid0(VALU_DEP_1)
	v_add_f64 v[4:5], v[98:99], -v[4:5]
	scratch_store_b64 off, v[4:5], off offset:128
	v_cmpx_lt_u32_e32 15, v0
	s_cbranch_execz .LBB109_255
; %bb.254:
	scratch_load_b64 v[4:5], off, off offset:120
	v_mov_b32_e32 v2, v1
	scratch_store_b64 off, v[1:2], off offset:120
	s_waitcnt vmcnt(0)
	ds_store_b64 v3, v[4:5]
.LBB109_255:
	s_or_b32 exec_lo, exec_lo, s0
	s_waitcnt lgkmcnt(0)
	s_waitcnt_vscnt null, 0x0
	s_barrier
	buffer_gl0_inv
	s_clause 0x4
	scratch_load_b128 v[98:101], off, off offset:120
	scratch_load_b128 v[102:105], off, off offset:136
	;; [unrolled: 1-line block ×5, first 2 shown]
	ds_load_b128 v[118:121], v1 offset:496
	ds_load_b128 v[122:125], v1 offset:512
	scratch_load_b128 v[126:129], off, off offset:200
	s_mov_b32 s0, exec_lo
	s_waitcnt vmcnt(5) lgkmcnt(1)
	v_fma_f64 v[4:5], v[100:101], v[118:119], 0
	s_waitcnt vmcnt(4)
	s_delay_alu instid0(VALU_DEP_1) | instskip(SKIP_4) | instid1(VALU_DEP_1)
	v_fma_f64 v[4:5], v[102:103], v[120:121], v[4:5]
	scratch_load_b128 v[100:103], off, off offset:216
	s_waitcnt lgkmcnt(0)
	v_fma_f64 v[4:5], v[104:105], v[122:123], v[4:5]
	s_waitcnt vmcnt(4)
	v_fma_f64 v[4:5], v[106:107], v[124:125], v[4:5]
	ds_load_b128 v[104:107], v1 offset:528
	ds_load_b128 v[118:121], v1 offset:544
	scratch_load_b128 v[122:125], off, off offset:232
	s_waitcnt lgkmcnt(1)
	v_fma_f64 v[4:5], v[108:109], v[104:105], v[4:5]
	s_waitcnt vmcnt(4)
	s_delay_alu instid0(VALU_DEP_1) | instskip(SKIP_4) | instid1(VALU_DEP_1)
	v_fma_f64 v[4:5], v[110:111], v[106:107], v[4:5]
	scratch_load_b128 v[104:107], off, off offset:248
	s_waitcnt lgkmcnt(0)
	v_fma_f64 v[4:5], v[112:113], v[118:119], v[4:5]
	s_waitcnt vmcnt(4)
	v_fma_f64 v[4:5], v[114:115], v[120:121], v[4:5]
	ds_load_b128 v[108:111], v1 offset:560
	ds_load_b128 v[112:115], v1 offset:576
	s_waitcnt lgkmcnt(1)
	v_fma_f64 v[4:5], v[116:117], v[108:109], v[4:5]
	scratch_load_b128 v[116:119], off, off offset:264
	s_waitcnt vmcnt(4)
	v_fma_f64 v[4:5], v[126:127], v[110:111], v[4:5]
	scratch_load_b128 v[108:111], off, off offset:280
	s_waitcnt lgkmcnt(0)
	v_fma_f64 v[4:5], v[128:129], v[112:113], v[4:5]
	s_waitcnt vmcnt(4)
	s_delay_alu instid0(VALU_DEP_1)
	v_fma_f64 v[4:5], v[100:101], v[114:115], v[4:5]
	ds_load_b128 v[112:115], v1 offset:592
	ds_load_b128 v[126:129], v1 offset:608
	s_waitcnt lgkmcnt(1)
	v_fma_f64 v[4:5], v[102:103], v[112:113], v[4:5]
	scratch_load_b128 v[100:103], off, off offset:296
	s_waitcnt vmcnt(4)
	v_fma_f64 v[4:5], v[122:123], v[114:115], v[4:5]
	scratch_load_b128 v[112:115], off, off offset:312
	s_waitcnt lgkmcnt(0)
	v_fma_f64 v[4:5], v[124:125], v[126:127], v[4:5]
	ds_load_b128 v[120:123], v1 offset:624
	ds_load_b128 v[124:127], v1 offset:640
	s_waitcnt vmcnt(4)
	v_fma_f64 v[4:5], v[104:105], v[128:129], v[4:5]
	s_waitcnt lgkmcnt(1)
	s_delay_alu instid0(VALU_DEP_1) | instskip(SKIP_4) | instid1(VALU_DEP_1)
	v_fma_f64 v[4:5], v[106:107], v[120:121], v[4:5]
	scratch_load_b128 v[104:107], off, off offset:328
	s_waitcnt vmcnt(4)
	v_fma_f64 v[4:5], v[116:117], v[122:123], v[4:5]
	s_waitcnt lgkmcnt(0)
	v_fma_f64 v[4:5], v[118:119], v[124:125], v[4:5]
	scratch_load_b128 v[116:119], off, off offset:344
	s_waitcnt vmcnt(4)
	v_fma_f64 v[4:5], v[108:109], v[126:127], v[4:5]
	ds_load_b128 v[120:123], v1 offset:656
	ds_load_b128 v[124:127], v1 offset:672
	s_waitcnt lgkmcnt(1)
	v_fma_f64 v[4:5], v[110:111], v[120:121], v[4:5]
	scratch_load_b64 v[120:121], off, off offset:360
	s_waitcnt vmcnt(4)
	v_fma_f64 v[4:5], v[100:101], v[122:123], v[4:5]
	s_waitcnt lgkmcnt(0)
	s_delay_alu instid0(VALU_DEP_1)
	v_fma_f64 v[4:5], v[102:103], v[124:125], v[4:5]
	ds_load_b128 v[100:103], v1 offset:688
	ds_load_b128 v[108:111], v1 offset:704
	s_waitcnt vmcnt(3)
	v_fma_f64 v[4:5], v[112:113], v[126:127], v[4:5]
	s_waitcnt lgkmcnt(1)
	s_delay_alu instid0(VALU_DEP_1) | instskip(SKIP_1) | instid1(VALU_DEP_1)
	v_fma_f64 v[4:5], v[114:115], v[100:101], v[4:5]
	s_waitcnt vmcnt(2)
	v_fma_f64 v[4:5], v[104:105], v[102:103], v[4:5]
	ds_load_b128 v[100:103], v1 offset:720
	s_waitcnt lgkmcnt(1)
	v_fma_f64 v[4:5], v[106:107], v[108:109], v[4:5]
	s_waitcnt vmcnt(1)
	s_delay_alu instid0(VALU_DEP_1) | instskip(SKIP_1) | instid1(VALU_DEP_1)
	v_fma_f64 v[4:5], v[116:117], v[110:111], v[4:5]
	s_waitcnt lgkmcnt(0)
	v_fma_f64 v[1:2], v[118:119], v[100:101], v[4:5]
	s_waitcnt vmcnt(0)
	s_delay_alu instid0(VALU_DEP_1) | instskip(NEXT) | instid1(VALU_DEP_1)
	v_fma_f64 v[1:2], v[120:121], v[102:103], v[1:2]
	v_add_f64 v[1:2], v[98:99], -v[1:2]
	scratch_store_b64 off, v[1:2], off offset:120
	v_cmpx_lt_u32_e32 14, v0
	s_cbranch_execz .LBB109_257
; %bb.256:
	scratch_load_b64 v[1:2], off, off offset:112
	v_mov_b32_e32 v4, 0
	s_delay_alu instid0(VALU_DEP_1)
	v_mov_b32_e32 v5, v4
	scratch_store_b64 off, v[4:5], off offset:112
	s_waitcnt vmcnt(0)
	ds_store_b64 v3, v[1:2]
.LBB109_257:
	s_or_b32 exec_lo, exec_lo, s0
	s_waitcnt lgkmcnt(0)
	s_waitcnt_vscnt null, 0x0
	s_barrier
	buffer_gl0_inv
	s_clause 0x4
	scratch_load_b128 v[98:101], off, off offset:112
	scratch_load_b128 v[102:105], off, off offset:128
	;; [unrolled: 1-line block ×5, first 2 shown]
	v_mov_b32_e32 v1, 0
	ds_load_2addr_b64 v[118:121], v1 offset0:61 offset1:62
	ds_load_2addr_b64 v[122:125], v1 offset0:63 offset1:64
	scratch_load_b128 v[126:129], off, off offset:192
	s_mov_b32 s0, exec_lo
	s_waitcnt vmcnt(5) lgkmcnt(1)
	v_fma_f64 v[4:5], v[100:101], v[118:119], 0
	s_waitcnt vmcnt(4)
	s_delay_alu instid0(VALU_DEP_1) | instskip(SKIP_4) | instid1(VALU_DEP_1)
	v_fma_f64 v[4:5], v[102:103], v[120:121], v[4:5]
	scratch_load_b128 v[100:103], off, off offset:208
	s_waitcnt lgkmcnt(0)
	v_fma_f64 v[4:5], v[104:105], v[122:123], v[4:5]
	s_waitcnt vmcnt(4)
	v_fma_f64 v[4:5], v[106:107], v[124:125], v[4:5]
	ds_load_2addr_b64 v[104:107], v1 offset0:65 offset1:66
	ds_load_2addr_b64 v[118:121], v1 offset0:67 offset1:68
	scratch_load_b128 v[122:125], off, off offset:224
	s_waitcnt lgkmcnt(1)
	v_fma_f64 v[4:5], v[108:109], v[104:105], v[4:5]
	s_waitcnt vmcnt(4)
	s_delay_alu instid0(VALU_DEP_1) | instskip(SKIP_4) | instid1(VALU_DEP_1)
	v_fma_f64 v[4:5], v[110:111], v[106:107], v[4:5]
	scratch_load_b128 v[104:107], off, off offset:240
	s_waitcnt lgkmcnt(0)
	v_fma_f64 v[4:5], v[112:113], v[118:119], v[4:5]
	s_waitcnt vmcnt(4)
	v_fma_f64 v[4:5], v[114:115], v[120:121], v[4:5]
	ds_load_2addr_b64 v[108:111], v1 offset0:69 offset1:70
	ds_load_2addr_b64 v[112:115], v1 offset0:71 offset1:72
	s_waitcnt lgkmcnt(1)
	v_fma_f64 v[4:5], v[116:117], v[108:109], v[4:5]
	scratch_load_b128 v[116:119], off, off offset:256
	s_waitcnt vmcnt(4)
	v_fma_f64 v[4:5], v[126:127], v[110:111], v[4:5]
	scratch_load_b128 v[108:111], off, off offset:272
	s_waitcnt lgkmcnt(0)
	v_fma_f64 v[4:5], v[128:129], v[112:113], v[4:5]
	s_waitcnt vmcnt(4)
	s_delay_alu instid0(VALU_DEP_1)
	v_fma_f64 v[4:5], v[100:101], v[114:115], v[4:5]
	ds_load_2addr_b64 v[112:115], v1 offset0:73 offset1:74
	ds_load_2addr_b64 v[126:129], v1 offset0:75 offset1:76
	s_waitcnt lgkmcnt(1)
	v_fma_f64 v[4:5], v[102:103], v[112:113], v[4:5]
	scratch_load_b128 v[100:103], off, off offset:288
	s_waitcnt vmcnt(4)
	v_fma_f64 v[4:5], v[122:123], v[114:115], v[4:5]
	scratch_load_b128 v[112:115], off, off offset:304
	s_waitcnt lgkmcnt(0)
	v_fma_f64 v[4:5], v[124:125], v[126:127], v[4:5]
	ds_load_2addr_b64 v[120:123], v1 offset0:77 offset1:78
	ds_load_2addr_b64 v[124:127], v1 offset0:79 offset1:80
	s_waitcnt vmcnt(4)
	v_fma_f64 v[4:5], v[104:105], v[128:129], v[4:5]
	s_waitcnt lgkmcnt(1)
	s_delay_alu instid0(VALU_DEP_1) | instskip(SKIP_4) | instid1(VALU_DEP_1)
	v_fma_f64 v[4:5], v[106:107], v[120:121], v[4:5]
	scratch_load_b128 v[104:107], off, off offset:320
	s_waitcnt vmcnt(4)
	v_fma_f64 v[4:5], v[116:117], v[122:123], v[4:5]
	s_waitcnt lgkmcnt(0)
	v_fma_f64 v[4:5], v[118:119], v[124:125], v[4:5]
	scratch_load_b128 v[116:119], off, off offset:336
	s_waitcnt vmcnt(4)
	v_fma_f64 v[4:5], v[108:109], v[126:127], v[4:5]
	ds_load_2addr_b64 v[120:123], v1 offset0:81 offset1:82
	ds_load_2addr_b64 v[124:127], v1 offset0:83 offset1:84
	s_waitcnt lgkmcnt(1)
	v_fma_f64 v[4:5], v[110:111], v[120:121], v[4:5]
	scratch_load_b128 v[108:111], off, off offset:352
	s_waitcnt vmcnt(4)
	v_fma_f64 v[4:5], v[100:101], v[122:123], v[4:5]
	s_waitcnt lgkmcnt(0)
	s_delay_alu instid0(VALU_DEP_1)
	v_fma_f64 v[4:5], v[102:103], v[124:125], v[4:5]
	ds_load_2addr_b64 v[100:103], v1 offset0:85 offset1:86
	ds_load_2addr_b64 v[120:123], v1 offset0:87 offset1:88
	s_waitcnt vmcnt(3)
	v_fma_f64 v[4:5], v[112:113], v[126:127], v[4:5]
	s_waitcnt lgkmcnt(1)
	s_delay_alu instid0(VALU_DEP_1) | instskip(SKIP_1) | instid1(VALU_DEP_1)
	v_fma_f64 v[4:5], v[114:115], v[100:101], v[4:5]
	s_waitcnt vmcnt(2)
	v_fma_f64 v[4:5], v[104:105], v[102:103], v[4:5]
	ds_load_2addr_b64 v[100:103], v1 offset0:89 offset1:90
	ds_load_b64 v[104:105], v1 offset:728
	s_waitcnt lgkmcnt(2)
	v_fma_f64 v[4:5], v[106:107], v[120:121], v[4:5]
	s_waitcnt vmcnt(1)
	s_delay_alu instid0(VALU_DEP_1) | instskip(SKIP_1) | instid1(VALU_DEP_1)
	v_fma_f64 v[4:5], v[116:117], v[122:123], v[4:5]
	s_waitcnt lgkmcnt(1)
	v_fma_f64 v[4:5], v[118:119], v[100:101], v[4:5]
	s_waitcnt vmcnt(0)
	s_delay_alu instid0(VALU_DEP_1) | instskip(SKIP_1) | instid1(VALU_DEP_1)
	v_fma_f64 v[4:5], v[108:109], v[102:103], v[4:5]
	s_waitcnt lgkmcnt(0)
	v_fma_f64 v[4:5], v[110:111], v[104:105], v[4:5]
	s_delay_alu instid0(VALU_DEP_1)
	v_add_f64 v[4:5], v[98:99], -v[4:5]
	scratch_store_b64 off, v[4:5], off offset:112
	v_cmpx_lt_u32_e32 13, v0
	s_cbranch_execz .LBB109_259
; %bb.258:
	scratch_load_b64 v[4:5], off, off offset:104
	v_mov_b32_e32 v2, v1
	scratch_store_b64 off, v[1:2], off offset:104
	s_waitcnt vmcnt(0)
	ds_store_b64 v3, v[4:5]
.LBB109_259:
	s_or_b32 exec_lo, exec_lo, s0
	s_waitcnt lgkmcnt(0)
	s_waitcnt_vscnt null, 0x0
	s_barrier
	buffer_gl0_inv
	s_clause 0x4
	scratch_load_b128 v[98:101], off, off offset:104
	scratch_load_b128 v[102:105], off, off offset:120
	;; [unrolled: 1-line block ×5, first 2 shown]
	ds_load_b128 v[118:121], v1 offset:480
	ds_load_b128 v[122:125], v1 offset:496
	scratch_load_b128 v[126:129], off, off offset:184
	s_mov_b32 s0, exec_lo
	s_waitcnt vmcnt(5) lgkmcnt(1)
	v_fma_f64 v[4:5], v[100:101], v[118:119], 0
	s_waitcnt vmcnt(4)
	s_delay_alu instid0(VALU_DEP_1) | instskip(SKIP_4) | instid1(VALU_DEP_1)
	v_fma_f64 v[4:5], v[102:103], v[120:121], v[4:5]
	scratch_load_b128 v[100:103], off, off offset:200
	s_waitcnt lgkmcnt(0)
	v_fma_f64 v[4:5], v[104:105], v[122:123], v[4:5]
	s_waitcnt vmcnt(4)
	v_fma_f64 v[4:5], v[106:107], v[124:125], v[4:5]
	ds_load_b128 v[104:107], v1 offset:512
	ds_load_b128 v[118:121], v1 offset:528
	scratch_load_b128 v[122:125], off, off offset:216
	s_waitcnt lgkmcnt(1)
	v_fma_f64 v[4:5], v[108:109], v[104:105], v[4:5]
	s_waitcnt vmcnt(4)
	s_delay_alu instid0(VALU_DEP_1) | instskip(SKIP_4) | instid1(VALU_DEP_1)
	v_fma_f64 v[4:5], v[110:111], v[106:107], v[4:5]
	scratch_load_b128 v[104:107], off, off offset:232
	s_waitcnt lgkmcnt(0)
	v_fma_f64 v[4:5], v[112:113], v[118:119], v[4:5]
	s_waitcnt vmcnt(4)
	v_fma_f64 v[4:5], v[114:115], v[120:121], v[4:5]
	ds_load_b128 v[108:111], v1 offset:544
	ds_load_b128 v[112:115], v1 offset:560
	s_waitcnt lgkmcnt(1)
	v_fma_f64 v[4:5], v[116:117], v[108:109], v[4:5]
	scratch_load_b128 v[116:119], off, off offset:248
	s_waitcnt vmcnt(4)
	v_fma_f64 v[4:5], v[126:127], v[110:111], v[4:5]
	scratch_load_b128 v[108:111], off, off offset:264
	s_waitcnt lgkmcnt(0)
	v_fma_f64 v[4:5], v[128:129], v[112:113], v[4:5]
	s_waitcnt vmcnt(4)
	s_delay_alu instid0(VALU_DEP_1)
	v_fma_f64 v[4:5], v[100:101], v[114:115], v[4:5]
	ds_load_b128 v[112:115], v1 offset:576
	ds_load_b128 v[126:129], v1 offset:592
	s_waitcnt lgkmcnt(1)
	v_fma_f64 v[4:5], v[102:103], v[112:113], v[4:5]
	scratch_load_b128 v[100:103], off, off offset:280
	s_waitcnt vmcnt(4)
	v_fma_f64 v[4:5], v[122:123], v[114:115], v[4:5]
	scratch_load_b128 v[112:115], off, off offset:296
	s_waitcnt lgkmcnt(0)
	v_fma_f64 v[4:5], v[124:125], v[126:127], v[4:5]
	ds_load_b128 v[120:123], v1 offset:608
	ds_load_b128 v[124:127], v1 offset:624
	s_waitcnt vmcnt(4)
	v_fma_f64 v[4:5], v[104:105], v[128:129], v[4:5]
	s_waitcnt lgkmcnt(1)
	s_delay_alu instid0(VALU_DEP_1) | instskip(SKIP_4) | instid1(VALU_DEP_1)
	v_fma_f64 v[4:5], v[106:107], v[120:121], v[4:5]
	scratch_load_b128 v[104:107], off, off offset:312
	s_waitcnt vmcnt(4)
	v_fma_f64 v[4:5], v[116:117], v[122:123], v[4:5]
	s_waitcnt lgkmcnt(0)
	v_fma_f64 v[4:5], v[118:119], v[124:125], v[4:5]
	scratch_load_b128 v[116:119], off, off offset:328
	s_waitcnt vmcnt(4)
	v_fma_f64 v[4:5], v[108:109], v[126:127], v[4:5]
	ds_load_b128 v[120:123], v1 offset:640
	ds_load_b128 v[124:127], v1 offset:656
	s_waitcnt lgkmcnt(1)
	v_fma_f64 v[4:5], v[110:111], v[120:121], v[4:5]
	scratch_load_b128 v[108:111], off, off offset:344
	s_waitcnt vmcnt(4)
	v_fma_f64 v[4:5], v[100:101], v[122:123], v[4:5]
	s_waitcnt lgkmcnt(0)
	s_delay_alu instid0(VALU_DEP_1)
	v_fma_f64 v[4:5], v[102:103], v[124:125], v[4:5]
	scratch_load_b64 v[124:125], off, off offset:360
	ds_load_b128 v[100:103], v1 offset:672
	ds_load_b128 v[120:123], v1 offset:688
	s_waitcnt vmcnt(4)
	v_fma_f64 v[4:5], v[112:113], v[126:127], v[4:5]
	s_waitcnt lgkmcnt(1)
	s_delay_alu instid0(VALU_DEP_1) | instskip(SKIP_1) | instid1(VALU_DEP_1)
	v_fma_f64 v[4:5], v[114:115], v[100:101], v[4:5]
	s_waitcnt vmcnt(3)
	v_fma_f64 v[4:5], v[104:105], v[102:103], v[4:5]
	s_waitcnt lgkmcnt(0)
	s_delay_alu instid0(VALU_DEP_1)
	v_fma_f64 v[4:5], v[106:107], v[120:121], v[4:5]
	ds_load_b128 v[100:103], v1 offset:704
	ds_load_b128 v[104:107], v1 offset:720
	s_waitcnt vmcnt(2)
	v_fma_f64 v[4:5], v[116:117], v[122:123], v[4:5]
	s_waitcnt lgkmcnt(1)
	s_delay_alu instid0(VALU_DEP_1) | instskip(SKIP_1) | instid1(VALU_DEP_1)
	v_fma_f64 v[1:2], v[118:119], v[100:101], v[4:5]
	s_waitcnt vmcnt(1)
	v_fma_f64 v[1:2], v[108:109], v[102:103], v[1:2]
	s_waitcnt lgkmcnt(0)
	s_delay_alu instid0(VALU_DEP_1) | instskip(SKIP_1) | instid1(VALU_DEP_1)
	v_fma_f64 v[1:2], v[110:111], v[104:105], v[1:2]
	s_waitcnt vmcnt(0)
	v_fma_f64 v[1:2], v[124:125], v[106:107], v[1:2]
	s_delay_alu instid0(VALU_DEP_1)
	v_add_f64 v[1:2], v[98:99], -v[1:2]
	scratch_store_b64 off, v[1:2], off offset:104
	v_cmpx_lt_u32_e32 12, v0
	s_cbranch_execz .LBB109_261
; %bb.260:
	scratch_load_b64 v[1:2], off, off offset:96
	v_mov_b32_e32 v4, 0
	s_delay_alu instid0(VALU_DEP_1)
	v_mov_b32_e32 v5, v4
	scratch_store_b64 off, v[4:5], off offset:96
	s_waitcnt vmcnt(0)
	ds_store_b64 v3, v[1:2]
.LBB109_261:
	s_or_b32 exec_lo, exec_lo, s0
	s_waitcnt lgkmcnt(0)
	s_waitcnt_vscnt null, 0x0
	s_barrier
	buffer_gl0_inv
	s_clause 0x4
	scratch_load_b128 v[98:101], off, off offset:96
	scratch_load_b128 v[102:105], off, off offset:112
	;; [unrolled: 1-line block ×5, first 2 shown]
	v_mov_b32_e32 v1, 0
	ds_load_2addr_b64 v[118:121], v1 offset0:59 offset1:60
	ds_load_2addr_b64 v[122:125], v1 offset0:61 offset1:62
	scratch_load_b128 v[126:129], off, off offset:176
	s_mov_b32 s0, exec_lo
	s_waitcnt vmcnt(5) lgkmcnt(1)
	v_fma_f64 v[4:5], v[100:101], v[118:119], 0
	s_waitcnt vmcnt(4)
	s_delay_alu instid0(VALU_DEP_1) | instskip(SKIP_4) | instid1(VALU_DEP_1)
	v_fma_f64 v[4:5], v[102:103], v[120:121], v[4:5]
	scratch_load_b128 v[100:103], off, off offset:192
	s_waitcnt lgkmcnt(0)
	v_fma_f64 v[4:5], v[104:105], v[122:123], v[4:5]
	s_waitcnt vmcnt(4)
	v_fma_f64 v[4:5], v[106:107], v[124:125], v[4:5]
	ds_load_2addr_b64 v[104:107], v1 offset0:63 offset1:64
	ds_load_2addr_b64 v[118:121], v1 offset0:65 offset1:66
	scratch_load_b128 v[122:125], off, off offset:208
	s_waitcnt lgkmcnt(1)
	v_fma_f64 v[4:5], v[108:109], v[104:105], v[4:5]
	s_waitcnt vmcnt(4)
	s_delay_alu instid0(VALU_DEP_1) | instskip(SKIP_4) | instid1(VALU_DEP_1)
	v_fma_f64 v[4:5], v[110:111], v[106:107], v[4:5]
	scratch_load_b128 v[104:107], off, off offset:224
	s_waitcnt lgkmcnt(0)
	v_fma_f64 v[4:5], v[112:113], v[118:119], v[4:5]
	s_waitcnt vmcnt(4)
	v_fma_f64 v[4:5], v[114:115], v[120:121], v[4:5]
	ds_load_2addr_b64 v[108:111], v1 offset0:67 offset1:68
	ds_load_2addr_b64 v[112:115], v1 offset0:69 offset1:70
	s_waitcnt lgkmcnt(1)
	v_fma_f64 v[4:5], v[116:117], v[108:109], v[4:5]
	scratch_load_b128 v[116:119], off, off offset:240
	s_waitcnt vmcnt(4)
	v_fma_f64 v[4:5], v[126:127], v[110:111], v[4:5]
	scratch_load_b128 v[108:111], off, off offset:256
	s_waitcnt lgkmcnt(0)
	v_fma_f64 v[4:5], v[128:129], v[112:113], v[4:5]
	s_waitcnt vmcnt(4)
	s_delay_alu instid0(VALU_DEP_1)
	v_fma_f64 v[4:5], v[100:101], v[114:115], v[4:5]
	ds_load_2addr_b64 v[112:115], v1 offset0:71 offset1:72
	ds_load_2addr_b64 v[126:129], v1 offset0:73 offset1:74
	s_waitcnt lgkmcnt(1)
	v_fma_f64 v[4:5], v[102:103], v[112:113], v[4:5]
	scratch_load_b128 v[100:103], off, off offset:272
	s_waitcnt vmcnt(4)
	v_fma_f64 v[4:5], v[122:123], v[114:115], v[4:5]
	scratch_load_b128 v[112:115], off, off offset:288
	s_waitcnt lgkmcnt(0)
	v_fma_f64 v[4:5], v[124:125], v[126:127], v[4:5]
	ds_load_2addr_b64 v[120:123], v1 offset0:75 offset1:76
	ds_load_2addr_b64 v[124:127], v1 offset0:77 offset1:78
	s_waitcnt vmcnt(4)
	v_fma_f64 v[4:5], v[104:105], v[128:129], v[4:5]
	s_waitcnt lgkmcnt(1)
	s_delay_alu instid0(VALU_DEP_1) | instskip(SKIP_4) | instid1(VALU_DEP_1)
	v_fma_f64 v[4:5], v[106:107], v[120:121], v[4:5]
	scratch_load_b128 v[104:107], off, off offset:304
	s_waitcnt vmcnt(4)
	v_fma_f64 v[4:5], v[116:117], v[122:123], v[4:5]
	s_waitcnt lgkmcnt(0)
	v_fma_f64 v[4:5], v[118:119], v[124:125], v[4:5]
	scratch_load_b128 v[116:119], off, off offset:320
	s_waitcnt vmcnt(4)
	v_fma_f64 v[4:5], v[108:109], v[126:127], v[4:5]
	ds_load_2addr_b64 v[120:123], v1 offset0:79 offset1:80
	ds_load_2addr_b64 v[124:127], v1 offset0:81 offset1:82
	s_waitcnt lgkmcnt(1)
	v_fma_f64 v[4:5], v[110:111], v[120:121], v[4:5]
	scratch_load_b128 v[108:111], off, off offset:336
	s_waitcnt vmcnt(4)
	v_fma_f64 v[4:5], v[100:101], v[122:123], v[4:5]
	s_waitcnt lgkmcnt(0)
	s_delay_alu instid0(VALU_DEP_1)
	v_fma_f64 v[4:5], v[102:103], v[124:125], v[4:5]
	scratch_load_b128 v[100:103], off, off offset:352
	s_waitcnt vmcnt(4)
	v_fma_f64 v[4:5], v[112:113], v[126:127], v[4:5]
	ds_load_2addr_b64 v[120:123], v1 offset0:83 offset1:84
	ds_load_2addr_b64 v[124:127], v1 offset0:85 offset1:86
	s_waitcnt lgkmcnt(1)
	v_fma_f64 v[4:5], v[114:115], v[120:121], v[4:5]
	s_waitcnt vmcnt(3)
	s_delay_alu instid0(VALU_DEP_1) | instskip(SKIP_1) | instid1(VALU_DEP_1)
	v_fma_f64 v[4:5], v[104:105], v[122:123], v[4:5]
	s_waitcnt lgkmcnt(0)
	v_fma_f64 v[4:5], v[106:107], v[124:125], v[4:5]
	ds_load_2addr_b64 v[104:107], v1 offset0:87 offset1:88
	ds_load_2addr_b64 v[112:115], v1 offset0:89 offset1:90
	s_waitcnt vmcnt(2)
	v_fma_f64 v[4:5], v[116:117], v[126:127], v[4:5]
	s_waitcnt lgkmcnt(1)
	s_delay_alu instid0(VALU_DEP_1) | instskip(SKIP_1) | instid1(VALU_DEP_1)
	v_fma_f64 v[4:5], v[118:119], v[104:105], v[4:5]
	s_waitcnt vmcnt(1)
	v_fma_f64 v[4:5], v[108:109], v[106:107], v[4:5]
	s_waitcnt lgkmcnt(0)
	s_delay_alu instid0(VALU_DEP_1) | instskip(SKIP_1) | instid1(VALU_DEP_1)
	v_fma_f64 v[4:5], v[110:111], v[112:113], v[4:5]
	s_waitcnt vmcnt(0)
	v_fma_f64 v[4:5], v[100:101], v[114:115], v[4:5]
	ds_load_b64 v[100:101], v1 offset:728
	s_waitcnt lgkmcnt(0)
	v_fma_f64 v[4:5], v[102:103], v[100:101], v[4:5]
	s_delay_alu instid0(VALU_DEP_1)
	v_add_f64 v[4:5], v[98:99], -v[4:5]
	scratch_store_b64 off, v[4:5], off offset:96
	v_cmpx_lt_u32_e32 11, v0
	s_cbranch_execz .LBB109_263
; %bb.262:
	scratch_load_b64 v[4:5], off, off offset:88
	v_mov_b32_e32 v2, v1
	scratch_store_b64 off, v[1:2], off offset:88
	s_waitcnt vmcnt(0)
	ds_store_b64 v3, v[4:5]
.LBB109_263:
	s_or_b32 exec_lo, exec_lo, s0
	s_waitcnt lgkmcnt(0)
	s_waitcnt_vscnt null, 0x0
	s_barrier
	buffer_gl0_inv
	s_clause 0x4
	scratch_load_b128 v[98:101], off, off offset:88
	scratch_load_b128 v[102:105], off, off offset:104
	;; [unrolled: 1-line block ×5, first 2 shown]
	ds_load_b128 v[118:121], v1 offset:464
	ds_load_b128 v[122:125], v1 offset:480
	scratch_load_b128 v[126:129], off, off offset:168
	s_mov_b32 s0, exec_lo
	s_waitcnt vmcnt(5) lgkmcnt(1)
	v_fma_f64 v[4:5], v[100:101], v[118:119], 0
	s_waitcnt vmcnt(4)
	s_delay_alu instid0(VALU_DEP_1) | instskip(SKIP_4) | instid1(VALU_DEP_1)
	v_fma_f64 v[4:5], v[102:103], v[120:121], v[4:5]
	scratch_load_b128 v[100:103], off, off offset:184
	s_waitcnt lgkmcnt(0)
	v_fma_f64 v[4:5], v[104:105], v[122:123], v[4:5]
	s_waitcnt vmcnt(4)
	v_fma_f64 v[4:5], v[106:107], v[124:125], v[4:5]
	ds_load_b128 v[104:107], v1 offset:496
	ds_load_b128 v[118:121], v1 offset:512
	scratch_load_b128 v[122:125], off, off offset:200
	s_waitcnt lgkmcnt(1)
	v_fma_f64 v[4:5], v[108:109], v[104:105], v[4:5]
	s_waitcnt vmcnt(4)
	s_delay_alu instid0(VALU_DEP_1) | instskip(SKIP_4) | instid1(VALU_DEP_1)
	v_fma_f64 v[4:5], v[110:111], v[106:107], v[4:5]
	scratch_load_b128 v[104:107], off, off offset:216
	s_waitcnt lgkmcnt(0)
	v_fma_f64 v[4:5], v[112:113], v[118:119], v[4:5]
	s_waitcnt vmcnt(4)
	v_fma_f64 v[4:5], v[114:115], v[120:121], v[4:5]
	ds_load_b128 v[108:111], v1 offset:528
	ds_load_b128 v[112:115], v1 offset:544
	s_waitcnt lgkmcnt(1)
	v_fma_f64 v[4:5], v[116:117], v[108:109], v[4:5]
	scratch_load_b128 v[116:119], off, off offset:232
	s_waitcnt vmcnt(4)
	v_fma_f64 v[4:5], v[126:127], v[110:111], v[4:5]
	scratch_load_b128 v[108:111], off, off offset:248
	s_waitcnt lgkmcnt(0)
	v_fma_f64 v[4:5], v[128:129], v[112:113], v[4:5]
	s_waitcnt vmcnt(4)
	s_delay_alu instid0(VALU_DEP_1)
	v_fma_f64 v[4:5], v[100:101], v[114:115], v[4:5]
	ds_load_b128 v[112:115], v1 offset:560
	ds_load_b128 v[126:129], v1 offset:576
	s_waitcnt lgkmcnt(1)
	v_fma_f64 v[4:5], v[102:103], v[112:113], v[4:5]
	scratch_load_b128 v[100:103], off, off offset:264
	s_waitcnt vmcnt(4)
	v_fma_f64 v[4:5], v[122:123], v[114:115], v[4:5]
	scratch_load_b128 v[112:115], off, off offset:280
	s_waitcnt lgkmcnt(0)
	v_fma_f64 v[4:5], v[124:125], v[126:127], v[4:5]
	ds_load_b128 v[120:123], v1 offset:592
	ds_load_b128 v[124:127], v1 offset:608
	s_waitcnt vmcnt(4)
	v_fma_f64 v[4:5], v[104:105], v[128:129], v[4:5]
	s_waitcnt lgkmcnt(1)
	s_delay_alu instid0(VALU_DEP_1) | instskip(SKIP_4) | instid1(VALU_DEP_1)
	v_fma_f64 v[4:5], v[106:107], v[120:121], v[4:5]
	scratch_load_b128 v[104:107], off, off offset:296
	s_waitcnt vmcnt(4)
	v_fma_f64 v[4:5], v[116:117], v[122:123], v[4:5]
	s_waitcnt lgkmcnt(0)
	v_fma_f64 v[4:5], v[118:119], v[124:125], v[4:5]
	scratch_load_b128 v[116:119], off, off offset:312
	s_waitcnt vmcnt(4)
	v_fma_f64 v[4:5], v[108:109], v[126:127], v[4:5]
	ds_load_b128 v[120:123], v1 offset:624
	ds_load_b128 v[124:127], v1 offset:640
	s_waitcnt lgkmcnt(1)
	v_fma_f64 v[4:5], v[110:111], v[120:121], v[4:5]
	scratch_load_b128 v[108:111], off, off offset:328
	s_waitcnt vmcnt(4)
	v_fma_f64 v[4:5], v[100:101], v[122:123], v[4:5]
	s_waitcnt lgkmcnt(0)
	s_delay_alu instid0(VALU_DEP_1)
	v_fma_f64 v[4:5], v[102:103], v[124:125], v[4:5]
	scratch_load_b128 v[100:103], off, off offset:344
	s_waitcnt vmcnt(4)
	v_fma_f64 v[4:5], v[112:113], v[126:127], v[4:5]
	ds_load_b128 v[120:123], v1 offset:656
	ds_load_b128 v[124:127], v1 offset:672
	s_waitcnt lgkmcnt(1)
	v_fma_f64 v[4:5], v[114:115], v[120:121], v[4:5]
	scratch_load_b64 v[120:121], off, off offset:360
	s_waitcnt vmcnt(4)
	v_fma_f64 v[4:5], v[104:105], v[122:123], v[4:5]
	s_waitcnt lgkmcnt(0)
	s_delay_alu instid0(VALU_DEP_1)
	v_fma_f64 v[4:5], v[106:107], v[124:125], v[4:5]
	ds_load_b128 v[104:107], v1 offset:688
	ds_load_b128 v[112:115], v1 offset:704
	s_waitcnt vmcnt(3)
	v_fma_f64 v[4:5], v[116:117], v[126:127], v[4:5]
	s_waitcnt lgkmcnt(1)
	s_delay_alu instid0(VALU_DEP_1) | instskip(SKIP_1) | instid1(VALU_DEP_1)
	v_fma_f64 v[4:5], v[118:119], v[104:105], v[4:5]
	s_waitcnt vmcnt(2)
	v_fma_f64 v[4:5], v[108:109], v[106:107], v[4:5]
	ds_load_b128 v[104:107], v1 offset:720
	s_waitcnt lgkmcnt(1)
	v_fma_f64 v[4:5], v[110:111], v[112:113], v[4:5]
	s_waitcnt vmcnt(1)
	s_delay_alu instid0(VALU_DEP_1) | instskip(SKIP_1) | instid1(VALU_DEP_1)
	v_fma_f64 v[4:5], v[100:101], v[114:115], v[4:5]
	s_waitcnt lgkmcnt(0)
	v_fma_f64 v[1:2], v[102:103], v[104:105], v[4:5]
	s_waitcnt vmcnt(0)
	s_delay_alu instid0(VALU_DEP_1) | instskip(NEXT) | instid1(VALU_DEP_1)
	v_fma_f64 v[1:2], v[120:121], v[106:107], v[1:2]
	v_add_f64 v[1:2], v[98:99], -v[1:2]
	scratch_store_b64 off, v[1:2], off offset:88
	v_cmpx_lt_u32_e32 10, v0
	s_cbranch_execz .LBB109_265
; %bb.264:
	scratch_load_b64 v[1:2], off, off offset:80
	v_mov_b32_e32 v4, 0
	s_delay_alu instid0(VALU_DEP_1)
	v_mov_b32_e32 v5, v4
	scratch_store_b64 off, v[4:5], off offset:80
	s_waitcnt vmcnt(0)
	ds_store_b64 v3, v[1:2]
.LBB109_265:
	s_or_b32 exec_lo, exec_lo, s0
	s_waitcnt lgkmcnt(0)
	s_waitcnt_vscnt null, 0x0
	s_barrier
	buffer_gl0_inv
	s_clause 0x4
	scratch_load_b128 v[98:101], off, off offset:80
	scratch_load_b128 v[102:105], off, off offset:96
	;; [unrolled: 1-line block ×5, first 2 shown]
	v_mov_b32_e32 v1, 0
	ds_load_2addr_b64 v[118:121], v1 offset0:57 offset1:58
	ds_load_2addr_b64 v[122:125], v1 offset0:59 offset1:60
	scratch_load_b128 v[126:129], off, off offset:160
	s_mov_b32 s0, exec_lo
	s_waitcnt vmcnt(5) lgkmcnt(1)
	v_fma_f64 v[4:5], v[100:101], v[118:119], 0
	s_waitcnt vmcnt(4)
	s_delay_alu instid0(VALU_DEP_1) | instskip(SKIP_4) | instid1(VALU_DEP_1)
	v_fma_f64 v[4:5], v[102:103], v[120:121], v[4:5]
	scratch_load_b128 v[100:103], off, off offset:176
	s_waitcnt lgkmcnt(0)
	v_fma_f64 v[4:5], v[104:105], v[122:123], v[4:5]
	s_waitcnt vmcnt(4)
	v_fma_f64 v[4:5], v[106:107], v[124:125], v[4:5]
	ds_load_2addr_b64 v[104:107], v1 offset0:61 offset1:62
	ds_load_2addr_b64 v[118:121], v1 offset0:63 offset1:64
	scratch_load_b128 v[122:125], off, off offset:192
	s_waitcnt lgkmcnt(1)
	v_fma_f64 v[4:5], v[108:109], v[104:105], v[4:5]
	s_waitcnt vmcnt(4)
	s_delay_alu instid0(VALU_DEP_1) | instskip(SKIP_4) | instid1(VALU_DEP_1)
	v_fma_f64 v[4:5], v[110:111], v[106:107], v[4:5]
	scratch_load_b128 v[104:107], off, off offset:208
	s_waitcnt lgkmcnt(0)
	v_fma_f64 v[4:5], v[112:113], v[118:119], v[4:5]
	s_waitcnt vmcnt(4)
	v_fma_f64 v[4:5], v[114:115], v[120:121], v[4:5]
	ds_load_2addr_b64 v[108:111], v1 offset0:65 offset1:66
	ds_load_2addr_b64 v[112:115], v1 offset0:67 offset1:68
	s_waitcnt lgkmcnt(1)
	v_fma_f64 v[4:5], v[116:117], v[108:109], v[4:5]
	scratch_load_b128 v[116:119], off, off offset:224
	s_waitcnt vmcnt(4)
	v_fma_f64 v[4:5], v[126:127], v[110:111], v[4:5]
	scratch_load_b128 v[108:111], off, off offset:240
	s_waitcnt lgkmcnt(0)
	v_fma_f64 v[4:5], v[128:129], v[112:113], v[4:5]
	s_waitcnt vmcnt(4)
	s_delay_alu instid0(VALU_DEP_1)
	v_fma_f64 v[4:5], v[100:101], v[114:115], v[4:5]
	ds_load_2addr_b64 v[112:115], v1 offset0:69 offset1:70
	ds_load_2addr_b64 v[126:129], v1 offset0:71 offset1:72
	s_waitcnt lgkmcnt(1)
	v_fma_f64 v[4:5], v[102:103], v[112:113], v[4:5]
	scratch_load_b128 v[100:103], off, off offset:256
	s_waitcnt vmcnt(4)
	v_fma_f64 v[4:5], v[122:123], v[114:115], v[4:5]
	scratch_load_b128 v[112:115], off, off offset:272
	s_waitcnt lgkmcnt(0)
	v_fma_f64 v[4:5], v[124:125], v[126:127], v[4:5]
	ds_load_2addr_b64 v[120:123], v1 offset0:73 offset1:74
	ds_load_2addr_b64 v[124:127], v1 offset0:75 offset1:76
	s_waitcnt vmcnt(4)
	v_fma_f64 v[4:5], v[104:105], v[128:129], v[4:5]
	s_waitcnt lgkmcnt(1)
	s_delay_alu instid0(VALU_DEP_1) | instskip(SKIP_4) | instid1(VALU_DEP_1)
	v_fma_f64 v[4:5], v[106:107], v[120:121], v[4:5]
	scratch_load_b128 v[104:107], off, off offset:288
	s_waitcnt vmcnt(4)
	v_fma_f64 v[4:5], v[116:117], v[122:123], v[4:5]
	s_waitcnt lgkmcnt(0)
	v_fma_f64 v[4:5], v[118:119], v[124:125], v[4:5]
	scratch_load_b128 v[116:119], off, off offset:304
	s_waitcnt vmcnt(4)
	v_fma_f64 v[4:5], v[108:109], v[126:127], v[4:5]
	ds_load_2addr_b64 v[120:123], v1 offset0:77 offset1:78
	ds_load_2addr_b64 v[124:127], v1 offset0:79 offset1:80
	s_waitcnt lgkmcnt(1)
	v_fma_f64 v[4:5], v[110:111], v[120:121], v[4:5]
	scratch_load_b128 v[108:111], off, off offset:320
	s_waitcnt vmcnt(4)
	v_fma_f64 v[4:5], v[100:101], v[122:123], v[4:5]
	s_waitcnt lgkmcnt(0)
	s_delay_alu instid0(VALU_DEP_1)
	v_fma_f64 v[4:5], v[102:103], v[124:125], v[4:5]
	scratch_load_b128 v[100:103], off, off offset:336
	s_waitcnt vmcnt(4)
	v_fma_f64 v[4:5], v[112:113], v[126:127], v[4:5]
	ds_load_2addr_b64 v[120:123], v1 offset0:81 offset1:82
	ds_load_2addr_b64 v[124:127], v1 offset0:83 offset1:84
	s_waitcnt lgkmcnt(1)
	v_fma_f64 v[4:5], v[114:115], v[120:121], v[4:5]
	scratch_load_b128 v[112:115], off, off offset:352
	s_waitcnt vmcnt(4)
	v_fma_f64 v[4:5], v[104:105], v[122:123], v[4:5]
	s_waitcnt lgkmcnt(0)
	s_delay_alu instid0(VALU_DEP_1)
	v_fma_f64 v[4:5], v[106:107], v[124:125], v[4:5]
	ds_load_2addr_b64 v[104:107], v1 offset0:85 offset1:86
	ds_load_2addr_b64 v[120:123], v1 offset0:87 offset1:88
	s_waitcnt vmcnt(3)
	v_fma_f64 v[4:5], v[116:117], v[126:127], v[4:5]
	s_waitcnt lgkmcnt(1)
	s_delay_alu instid0(VALU_DEP_1) | instskip(SKIP_1) | instid1(VALU_DEP_1)
	v_fma_f64 v[4:5], v[118:119], v[104:105], v[4:5]
	s_waitcnt vmcnt(2)
	v_fma_f64 v[4:5], v[108:109], v[106:107], v[4:5]
	s_waitcnt lgkmcnt(0)
	s_delay_alu instid0(VALU_DEP_1) | instskip(SKIP_1) | instid1(VALU_DEP_1)
	v_fma_f64 v[4:5], v[110:111], v[120:121], v[4:5]
	s_waitcnt vmcnt(1)
	v_fma_f64 v[4:5], v[100:101], v[122:123], v[4:5]
	ds_load_2addr_b64 v[104:107], v1 offset0:89 offset1:90
	ds_load_b64 v[100:101], v1 offset:728
	s_waitcnt lgkmcnt(1)
	v_fma_f64 v[4:5], v[102:103], v[104:105], v[4:5]
	s_waitcnt vmcnt(0)
	s_delay_alu instid0(VALU_DEP_1) | instskip(SKIP_1) | instid1(VALU_DEP_1)
	v_fma_f64 v[4:5], v[112:113], v[106:107], v[4:5]
	s_waitcnt lgkmcnt(0)
	v_fma_f64 v[4:5], v[114:115], v[100:101], v[4:5]
	s_delay_alu instid0(VALU_DEP_1)
	v_add_f64 v[4:5], v[98:99], -v[4:5]
	scratch_store_b64 off, v[4:5], off offset:80
	v_cmpx_lt_u32_e32 9, v0
	s_cbranch_execz .LBB109_267
; %bb.266:
	scratch_load_b64 v[4:5], off, off offset:72
	v_mov_b32_e32 v2, v1
	scratch_store_b64 off, v[1:2], off offset:72
	s_waitcnt vmcnt(0)
	ds_store_b64 v3, v[4:5]
.LBB109_267:
	s_or_b32 exec_lo, exec_lo, s0
	s_waitcnt lgkmcnt(0)
	s_waitcnt_vscnt null, 0x0
	s_barrier
	buffer_gl0_inv
	s_clause 0x4
	scratch_load_b128 v[98:101], off, off offset:72
	scratch_load_b128 v[102:105], off, off offset:88
	;; [unrolled: 1-line block ×5, first 2 shown]
	ds_load_b128 v[118:121], v1 offset:448
	ds_load_b128 v[122:125], v1 offset:464
	scratch_load_b128 v[126:129], off, off offset:152
	s_mov_b32 s0, exec_lo
	s_waitcnt vmcnt(5) lgkmcnt(1)
	v_fma_f64 v[4:5], v[100:101], v[118:119], 0
	s_waitcnt vmcnt(4)
	s_delay_alu instid0(VALU_DEP_1) | instskip(SKIP_4) | instid1(VALU_DEP_1)
	v_fma_f64 v[4:5], v[102:103], v[120:121], v[4:5]
	scratch_load_b128 v[100:103], off, off offset:168
	s_waitcnt lgkmcnt(0)
	v_fma_f64 v[4:5], v[104:105], v[122:123], v[4:5]
	s_waitcnt vmcnt(4)
	v_fma_f64 v[4:5], v[106:107], v[124:125], v[4:5]
	ds_load_b128 v[104:107], v1 offset:480
	ds_load_b128 v[118:121], v1 offset:496
	scratch_load_b128 v[122:125], off, off offset:184
	s_waitcnt lgkmcnt(1)
	v_fma_f64 v[4:5], v[108:109], v[104:105], v[4:5]
	s_waitcnt vmcnt(4)
	s_delay_alu instid0(VALU_DEP_1) | instskip(SKIP_4) | instid1(VALU_DEP_1)
	v_fma_f64 v[4:5], v[110:111], v[106:107], v[4:5]
	scratch_load_b128 v[104:107], off, off offset:200
	s_waitcnt lgkmcnt(0)
	v_fma_f64 v[4:5], v[112:113], v[118:119], v[4:5]
	s_waitcnt vmcnt(4)
	v_fma_f64 v[4:5], v[114:115], v[120:121], v[4:5]
	ds_load_b128 v[108:111], v1 offset:512
	ds_load_b128 v[112:115], v1 offset:528
	s_waitcnt lgkmcnt(1)
	v_fma_f64 v[4:5], v[116:117], v[108:109], v[4:5]
	scratch_load_b128 v[116:119], off, off offset:216
	s_waitcnt vmcnt(4)
	v_fma_f64 v[4:5], v[126:127], v[110:111], v[4:5]
	scratch_load_b128 v[108:111], off, off offset:232
	s_waitcnt lgkmcnt(0)
	v_fma_f64 v[4:5], v[128:129], v[112:113], v[4:5]
	s_waitcnt vmcnt(4)
	s_delay_alu instid0(VALU_DEP_1)
	v_fma_f64 v[4:5], v[100:101], v[114:115], v[4:5]
	ds_load_b128 v[112:115], v1 offset:544
	ds_load_b128 v[126:129], v1 offset:560
	s_waitcnt lgkmcnt(1)
	v_fma_f64 v[4:5], v[102:103], v[112:113], v[4:5]
	scratch_load_b128 v[100:103], off, off offset:248
	s_waitcnt vmcnt(4)
	v_fma_f64 v[4:5], v[122:123], v[114:115], v[4:5]
	scratch_load_b128 v[112:115], off, off offset:264
	s_waitcnt lgkmcnt(0)
	v_fma_f64 v[4:5], v[124:125], v[126:127], v[4:5]
	ds_load_b128 v[120:123], v1 offset:576
	ds_load_b128 v[124:127], v1 offset:592
	s_waitcnt vmcnt(4)
	v_fma_f64 v[4:5], v[104:105], v[128:129], v[4:5]
	s_waitcnt lgkmcnt(1)
	s_delay_alu instid0(VALU_DEP_1) | instskip(SKIP_4) | instid1(VALU_DEP_1)
	v_fma_f64 v[4:5], v[106:107], v[120:121], v[4:5]
	scratch_load_b128 v[104:107], off, off offset:280
	s_waitcnt vmcnt(4)
	v_fma_f64 v[4:5], v[116:117], v[122:123], v[4:5]
	s_waitcnt lgkmcnt(0)
	v_fma_f64 v[4:5], v[118:119], v[124:125], v[4:5]
	scratch_load_b128 v[116:119], off, off offset:296
	s_waitcnt vmcnt(4)
	v_fma_f64 v[4:5], v[108:109], v[126:127], v[4:5]
	ds_load_b128 v[120:123], v1 offset:608
	ds_load_b128 v[124:127], v1 offset:624
	s_waitcnt lgkmcnt(1)
	v_fma_f64 v[4:5], v[110:111], v[120:121], v[4:5]
	scratch_load_b128 v[108:111], off, off offset:312
	s_waitcnt vmcnt(4)
	v_fma_f64 v[4:5], v[100:101], v[122:123], v[4:5]
	s_waitcnt lgkmcnt(0)
	s_delay_alu instid0(VALU_DEP_1)
	v_fma_f64 v[4:5], v[102:103], v[124:125], v[4:5]
	scratch_load_b128 v[100:103], off, off offset:328
	s_waitcnt vmcnt(4)
	v_fma_f64 v[4:5], v[112:113], v[126:127], v[4:5]
	ds_load_b128 v[120:123], v1 offset:640
	ds_load_b128 v[124:127], v1 offset:656
	s_waitcnt lgkmcnt(1)
	v_fma_f64 v[4:5], v[114:115], v[120:121], v[4:5]
	scratch_load_b128 v[112:115], off, off offset:344
	s_waitcnt vmcnt(4)
	v_fma_f64 v[4:5], v[104:105], v[122:123], v[4:5]
	s_waitcnt lgkmcnt(0)
	s_delay_alu instid0(VALU_DEP_1)
	v_fma_f64 v[4:5], v[106:107], v[124:125], v[4:5]
	scratch_load_b64 v[124:125], off, off offset:360
	ds_load_b128 v[104:107], v1 offset:672
	ds_load_b128 v[120:123], v1 offset:688
	s_waitcnt vmcnt(4)
	v_fma_f64 v[4:5], v[116:117], v[126:127], v[4:5]
	s_waitcnt lgkmcnt(1)
	s_delay_alu instid0(VALU_DEP_1) | instskip(SKIP_1) | instid1(VALU_DEP_1)
	v_fma_f64 v[4:5], v[118:119], v[104:105], v[4:5]
	s_waitcnt vmcnt(3)
	v_fma_f64 v[4:5], v[108:109], v[106:107], v[4:5]
	s_waitcnt lgkmcnt(0)
	s_delay_alu instid0(VALU_DEP_1)
	v_fma_f64 v[4:5], v[110:111], v[120:121], v[4:5]
	ds_load_b128 v[104:107], v1 offset:704
	ds_load_b128 v[108:111], v1 offset:720
	s_waitcnt vmcnt(2)
	v_fma_f64 v[4:5], v[100:101], v[122:123], v[4:5]
	s_waitcnt lgkmcnt(1)
	s_delay_alu instid0(VALU_DEP_1) | instskip(SKIP_1) | instid1(VALU_DEP_1)
	v_fma_f64 v[1:2], v[102:103], v[104:105], v[4:5]
	s_waitcnt vmcnt(1)
	v_fma_f64 v[1:2], v[112:113], v[106:107], v[1:2]
	s_waitcnt lgkmcnt(0)
	s_delay_alu instid0(VALU_DEP_1) | instskip(SKIP_1) | instid1(VALU_DEP_1)
	v_fma_f64 v[1:2], v[114:115], v[108:109], v[1:2]
	s_waitcnt vmcnt(0)
	v_fma_f64 v[1:2], v[124:125], v[110:111], v[1:2]
	s_delay_alu instid0(VALU_DEP_1)
	v_add_f64 v[1:2], v[98:99], -v[1:2]
	scratch_store_b64 off, v[1:2], off offset:72
	v_cmpx_lt_u32_e32 8, v0
	s_cbranch_execz .LBB109_269
; %bb.268:
	scratch_load_b64 v[1:2], off, off offset:64
	v_mov_b32_e32 v4, 0
	s_delay_alu instid0(VALU_DEP_1)
	v_mov_b32_e32 v5, v4
	scratch_store_b64 off, v[4:5], off offset:64
	s_waitcnt vmcnt(0)
	ds_store_b64 v3, v[1:2]
.LBB109_269:
	s_or_b32 exec_lo, exec_lo, s0
	s_waitcnt lgkmcnt(0)
	s_waitcnt_vscnt null, 0x0
	s_barrier
	buffer_gl0_inv
	s_clause 0x4
	scratch_load_b128 v[98:101], off, off offset:64
	scratch_load_b128 v[102:105], off, off offset:80
	;; [unrolled: 1-line block ×5, first 2 shown]
	v_mov_b32_e32 v1, 0
	ds_load_2addr_b64 v[118:121], v1 offset0:55 offset1:56
	ds_load_2addr_b64 v[122:125], v1 offset0:57 offset1:58
	scratch_load_b128 v[126:129], off, off offset:144
	s_mov_b32 s0, exec_lo
	s_waitcnt vmcnt(5) lgkmcnt(1)
	v_fma_f64 v[4:5], v[100:101], v[118:119], 0
	s_waitcnt vmcnt(4)
	s_delay_alu instid0(VALU_DEP_1) | instskip(SKIP_4) | instid1(VALU_DEP_1)
	v_fma_f64 v[4:5], v[102:103], v[120:121], v[4:5]
	scratch_load_b128 v[100:103], off, off offset:160
	s_waitcnt lgkmcnt(0)
	v_fma_f64 v[4:5], v[104:105], v[122:123], v[4:5]
	s_waitcnt vmcnt(4)
	v_fma_f64 v[4:5], v[106:107], v[124:125], v[4:5]
	ds_load_2addr_b64 v[104:107], v1 offset0:59 offset1:60
	ds_load_2addr_b64 v[118:121], v1 offset0:61 offset1:62
	scratch_load_b128 v[122:125], off, off offset:176
	s_waitcnt lgkmcnt(1)
	v_fma_f64 v[4:5], v[108:109], v[104:105], v[4:5]
	s_waitcnt vmcnt(4)
	s_delay_alu instid0(VALU_DEP_1) | instskip(SKIP_4) | instid1(VALU_DEP_1)
	v_fma_f64 v[4:5], v[110:111], v[106:107], v[4:5]
	scratch_load_b128 v[104:107], off, off offset:192
	s_waitcnt lgkmcnt(0)
	v_fma_f64 v[4:5], v[112:113], v[118:119], v[4:5]
	s_waitcnt vmcnt(4)
	v_fma_f64 v[4:5], v[114:115], v[120:121], v[4:5]
	ds_load_2addr_b64 v[108:111], v1 offset0:63 offset1:64
	ds_load_2addr_b64 v[112:115], v1 offset0:65 offset1:66
	s_waitcnt lgkmcnt(1)
	v_fma_f64 v[4:5], v[116:117], v[108:109], v[4:5]
	scratch_load_b128 v[116:119], off, off offset:208
	s_waitcnt vmcnt(4)
	v_fma_f64 v[4:5], v[126:127], v[110:111], v[4:5]
	scratch_load_b128 v[108:111], off, off offset:224
	s_waitcnt lgkmcnt(0)
	v_fma_f64 v[4:5], v[128:129], v[112:113], v[4:5]
	s_waitcnt vmcnt(4)
	s_delay_alu instid0(VALU_DEP_1)
	v_fma_f64 v[4:5], v[100:101], v[114:115], v[4:5]
	ds_load_2addr_b64 v[112:115], v1 offset0:67 offset1:68
	ds_load_2addr_b64 v[126:129], v1 offset0:69 offset1:70
	s_waitcnt lgkmcnt(1)
	v_fma_f64 v[4:5], v[102:103], v[112:113], v[4:5]
	scratch_load_b128 v[100:103], off, off offset:240
	s_waitcnt vmcnt(4)
	v_fma_f64 v[4:5], v[122:123], v[114:115], v[4:5]
	scratch_load_b128 v[112:115], off, off offset:256
	s_waitcnt lgkmcnt(0)
	v_fma_f64 v[4:5], v[124:125], v[126:127], v[4:5]
	ds_load_2addr_b64 v[120:123], v1 offset0:71 offset1:72
	ds_load_2addr_b64 v[124:127], v1 offset0:73 offset1:74
	s_waitcnt vmcnt(4)
	v_fma_f64 v[4:5], v[104:105], v[128:129], v[4:5]
	s_waitcnt lgkmcnt(1)
	s_delay_alu instid0(VALU_DEP_1) | instskip(SKIP_4) | instid1(VALU_DEP_1)
	v_fma_f64 v[4:5], v[106:107], v[120:121], v[4:5]
	scratch_load_b128 v[104:107], off, off offset:272
	s_waitcnt vmcnt(4)
	v_fma_f64 v[4:5], v[116:117], v[122:123], v[4:5]
	s_waitcnt lgkmcnt(0)
	v_fma_f64 v[4:5], v[118:119], v[124:125], v[4:5]
	scratch_load_b128 v[116:119], off, off offset:288
	s_waitcnt vmcnt(4)
	v_fma_f64 v[4:5], v[108:109], v[126:127], v[4:5]
	ds_load_2addr_b64 v[120:123], v1 offset0:75 offset1:76
	ds_load_2addr_b64 v[124:127], v1 offset0:77 offset1:78
	s_waitcnt lgkmcnt(1)
	v_fma_f64 v[4:5], v[110:111], v[120:121], v[4:5]
	scratch_load_b128 v[108:111], off, off offset:304
	s_waitcnt vmcnt(4)
	v_fma_f64 v[4:5], v[100:101], v[122:123], v[4:5]
	s_waitcnt lgkmcnt(0)
	s_delay_alu instid0(VALU_DEP_1)
	v_fma_f64 v[4:5], v[102:103], v[124:125], v[4:5]
	scratch_load_b128 v[100:103], off, off offset:320
	s_waitcnt vmcnt(4)
	v_fma_f64 v[4:5], v[112:113], v[126:127], v[4:5]
	ds_load_2addr_b64 v[120:123], v1 offset0:79 offset1:80
	ds_load_2addr_b64 v[124:127], v1 offset0:81 offset1:82
	s_waitcnt lgkmcnt(1)
	v_fma_f64 v[4:5], v[114:115], v[120:121], v[4:5]
	scratch_load_b128 v[112:115], off, off offset:336
	s_waitcnt vmcnt(4)
	v_fma_f64 v[4:5], v[104:105], v[122:123], v[4:5]
	s_waitcnt lgkmcnt(0)
	s_delay_alu instid0(VALU_DEP_1)
	v_fma_f64 v[4:5], v[106:107], v[124:125], v[4:5]
	scratch_load_b128 v[104:107], off, off offset:352
	s_waitcnt vmcnt(4)
	v_fma_f64 v[4:5], v[116:117], v[126:127], v[4:5]
	ds_load_2addr_b64 v[120:123], v1 offset0:83 offset1:84
	ds_load_2addr_b64 v[124:127], v1 offset0:85 offset1:86
	s_waitcnt lgkmcnt(1)
	v_fma_f64 v[4:5], v[118:119], v[120:121], v[4:5]
	s_waitcnt vmcnt(3)
	s_delay_alu instid0(VALU_DEP_1) | instskip(SKIP_1) | instid1(VALU_DEP_1)
	v_fma_f64 v[4:5], v[108:109], v[122:123], v[4:5]
	s_waitcnt lgkmcnt(0)
	v_fma_f64 v[4:5], v[110:111], v[124:125], v[4:5]
	ds_load_2addr_b64 v[108:111], v1 offset0:87 offset1:88
	ds_load_2addr_b64 v[116:119], v1 offset0:89 offset1:90
	s_waitcnt vmcnt(2)
	v_fma_f64 v[4:5], v[100:101], v[126:127], v[4:5]
	ds_load_b64 v[100:101], v1 offset:728
	s_waitcnt lgkmcnt(2)
	v_fma_f64 v[4:5], v[102:103], v[108:109], v[4:5]
	s_waitcnt vmcnt(1)
	s_delay_alu instid0(VALU_DEP_1) | instskip(SKIP_1) | instid1(VALU_DEP_1)
	v_fma_f64 v[4:5], v[112:113], v[110:111], v[4:5]
	s_waitcnt lgkmcnt(1)
	v_fma_f64 v[4:5], v[114:115], v[116:117], v[4:5]
	s_waitcnt vmcnt(0)
	s_delay_alu instid0(VALU_DEP_1) | instskip(SKIP_1) | instid1(VALU_DEP_1)
	v_fma_f64 v[4:5], v[104:105], v[118:119], v[4:5]
	s_waitcnt lgkmcnt(0)
	v_fma_f64 v[4:5], v[106:107], v[100:101], v[4:5]
	s_delay_alu instid0(VALU_DEP_1)
	v_add_f64 v[4:5], v[98:99], -v[4:5]
	scratch_store_b64 off, v[4:5], off offset:64
	v_cmpx_lt_u32_e32 7, v0
	s_cbranch_execz .LBB109_271
; %bb.270:
	scratch_load_b64 v[4:5], off, off offset:56
	v_mov_b32_e32 v2, v1
	scratch_store_b64 off, v[1:2], off offset:56
	s_waitcnt vmcnt(0)
	ds_store_b64 v3, v[4:5]
.LBB109_271:
	s_or_b32 exec_lo, exec_lo, s0
	s_waitcnt lgkmcnt(0)
	s_waitcnt_vscnt null, 0x0
	s_barrier
	buffer_gl0_inv
	s_clause 0x4
	scratch_load_b128 v[98:101], off, off offset:56
	scratch_load_b128 v[102:105], off, off offset:72
	;; [unrolled: 1-line block ×5, first 2 shown]
	ds_load_b128 v[118:121], v1 offset:432
	ds_load_b128 v[122:125], v1 offset:448
	scratch_load_b128 v[126:129], off, off offset:136
	s_mov_b32 s0, exec_lo
	s_waitcnt vmcnt(5) lgkmcnt(1)
	v_fma_f64 v[4:5], v[100:101], v[118:119], 0
	s_waitcnt vmcnt(4)
	s_delay_alu instid0(VALU_DEP_1) | instskip(SKIP_4) | instid1(VALU_DEP_1)
	v_fma_f64 v[4:5], v[102:103], v[120:121], v[4:5]
	scratch_load_b128 v[100:103], off, off offset:152
	s_waitcnt lgkmcnt(0)
	v_fma_f64 v[4:5], v[104:105], v[122:123], v[4:5]
	s_waitcnt vmcnt(4)
	v_fma_f64 v[4:5], v[106:107], v[124:125], v[4:5]
	ds_load_b128 v[104:107], v1 offset:464
	ds_load_b128 v[118:121], v1 offset:480
	scratch_load_b128 v[122:125], off, off offset:168
	s_waitcnt lgkmcnt(1)
	v_fma_f64 v[4:5], v[108:109], v[104:105], v[4:5]
	s_waitcnt vmcnt(4)
	s_delay_alu instid0(VALU_DEP_1) | instskip(SKIP_4) | instid1(VALU_DEP_1)
	v_fma_f64 v[4:5], v[110:111], v[106:107], v[4:5]
	scratch_load_b128 v[104:107], off, off offset:184
	s_waitcnt lgkmcnt(0)
	v_fma_f64 v[4:5], v[112:113], v[118:119], v[4:5]
	s_waitcnt vmcnt(4)
	v_fma_f64 v[4:5], v[114:115], v[120:121], v[4:5]
	ds_load_b128 v[108:111], v1 offset:496
	ds_load_b128 v[112:115], v1 offset:512
	s_waitcnt lgkmcnt(1)
	v_fma_f64 v[4:5], v[116:117], v[108:109], v[4:5]
	scratch_load_b128 v[116:119], off, off offset:200
	s_waitcnt vmcnt(4)
	v_fma_f64 v[4:5], v[126:127], v[110:111], v[4:5]
	scratch_load_b128 v[108:111], off, off offset:216
	s_waitcnt lgkmcnt(0)
	v_fma_f64 v[4:5], v[128:129], v[112:113], v[4:5]
	s_waitcnt vmcnt(4)
	s_delay_alu instid0(VALU_DEP_1)
	v_fma_f64 v[4:5], v[100:101], v[114:115], v[4:5]
	ds_load_b128 v[112:115], v1 offset:528
	ds_load_b128 v[126:129], v1 offset:544
	s_waitcnt lgkmcnt(1)
	v_fma_f64 v[4:5], v[102:103], v[112:113], v[4:5]
	scratch_load_b128 v[100:103], off, off offset:232
	s_waitcnt vmcnt(4)
	v_fma_f64 v[4:5], v[122:123], v[114:115], v[4:5]
	scratch_load_b128 v[112:115], off, off offset:248
	s_waitcnt lgkmcnt(0)
	v_fma_f64 v[4:5], v[124:125], v[126:127], v[4:5]
	ds_load_b128 v[120:123], v1 offset:560
	ds_load_b128 v[124:127], v1 offset:576
	s_waitcnt vmcnt(4)
	v_fma_f64 v[4:5], v[104:105], v[128:129], v[4:5]
	s_waitcnt lgkmcnt(1)
	s_delay_alu instid0(VALU_DEP_1) | instskip(SKIP_4) | instid1(VALU_DEP_1)
	v_fma_f64 v[4:5], v[106:107], v[120:121], v[4:5]
	scratch_load_b128 v[104:107], off, off offset:264
	s_waitcnt vmcnt(4)
	v_fma_f64 v[4:5], v[116:117], v[122:123], v[4:5]
	s_waitcnt lgkmcnt(0)
	v_fma_f64 v[4:5], v[118:119], v[124:125], v[4:5]
	scratch_load_b128 v[116:119], off, off offset:280
	s_waitcnt vmcnt(4)
	v_fma_f64 v[4:5], v[108:109], v[126:127], v[4:5]
	ds_load_b128 v[120:123], v1 offset:592
	ds_load_b128 v[124:127], v1 offset:608
	s_waitcnt lgkmcnt(1)
	v_fma_f64 v[4:5], v[110:111], v[120:121], v[4:5]
	scratch_load_b128 v[108:111], off, off offset:296
	s_waitcnt vmcnt(4)
	v_fma_f64 v[4:5], v[100:101], v[122:123], v[4:5]
	s_waitcnt lgkmcnt(0)
	s_delay_alu instid0(VALU_DEP_1)
	v_fma_f64 v[4:5], v[102:103], v[124:125], v[4:5]
	scratch_load_b128 v[100:103], off, off offset:312
	s_waitcnt vmcnt(4)
	v_fma_f64 v[4:5], v[112:113], v[126:127], v[4:5]
	ds_load_b128 v[120:123], v1 offset:624
	ds_load_b128 v[124:127], v1 offset:640
	s_waitcnt lgkmcnt(1)
	v_fma_f64 v[4:5], v[114:115], v[120:121], v[4:5]
	scratch_load_b128 v[112:115], off, off offset:328
	s_waitcnt vmcnt(4)
	v_fma_f64 v[4:5], v[104:105], v[122:123], v[4:5]
	s_waitcnt lgkmcnt(0)
	s_delay_alu instid0(VALU_DEP_1)
	v_fma_f64 v[4:5], v[106:107], v[124:125], v[4:5]
	scratch_load_b128 v[104:107], off, off offset:344
	s_waitcnt vmcnt(4)
	v_fma_f64 v[4:5], v[116:117], v[126:127], v[4:5]
	ds_load_b128 v[120:123], v1 offset:656
	ds_load_b128 v[124:127], v1 offset:672
	s_waitcnt lgkmcnt(1)
	v_fma_f64 v[4:5], v[118:119], v[120:121], v[4:5]
	scratch_load_b64 v[120:121], off, off offset:360
	s_waitcnt vmcnt(4)
	v_fma_f64 v[4:5], v[108:109], v[122:123], v[4:5]
	s_waitcnt lgkmcnt(0)
	s_delay_alu instid0(VALU_DEP_1)
	v_fma_f64 v[4:5], v[110:111], v[124:125], v[4:5]
	ds_load_b128 v[108:111], v1 offset:688
	ds_load_b128 v[116:119], v1 offset:704
	s_waitcnt vmcnt(3)
	v_fma_f64 v[4:5], v[100:101], v[126:127], v[4:5]
	s_waitcnt lgkmcnt(1)
	s_delay_alu instid0(VALU_DEP_1) | instskip(SKIP_4) | instid1(VALU_DEP_1)
	v_fma_f64 v[4:5], v[102:103], v[108:109], v[4:5]
	ds_load_b128 v[100:103], v1 offset:720
	s_waitcnt vmcnt(2)
	v_fma_f64 v[4:5], v[112:113], v[110:111], v[4:5]
	s_waitcnt lgkmcnt(1)
	v_fma_f64 v[4:5], v[114:115], v[116:117], v[4:5]
	s_waitcnt vmcnt(1)
	s_delay_alu instid0(VALU_DEP_1) | instskip(SKIP_1) | instid1(VALU_DEP_1)
	v_fma_f64 v[4:5], v[104:105], v[118:119], v[4:5]
	s_waitcnt lgkmcnt(0)
	v_fma_f64 v[1:2], v[106:107], v[100:101], v[4:5]
	s_waitcnt vmcnt(0)
	s_delay_alu instid0(VALU_DEP_1) | instskip(NEXT) | instid1(VALU_DEP_1)
	v_fma_f64 v[1:2], v[120:121], v[102:103], v[1:2]
	v_add_f64 v[1:2], v[98:99], -v[1:2]
	scratch_store_b64 off, v[1:2], off offset:56
	v_cmpx_lt_u32_e32 6, v0
	s_cbranch_execz .LBB109_273
; %bb.272:
	scratch_load_b64 v[1:2], off, off offset:48
	v_mov_b32_e32 v4, 0
	s_delay_alu instid0(VALU_DEP_1)
	v_mov_b32_e32 v5, v4
	scratch_store_b64 off, v[4:5], off offset:48
	s_waitcnt vmcnt(0)
	ds_store_b64 v3, v[1:2]
.LBB109_273:
	s_or_b32 exec_lo, exec_lo, s0
	s_waitcnt lgkmcnt(0)
	s_waitcnt_vscnt null, 0x0
	s_barrier
	buffer_gl0_inv
	s_clause 0x4
	scratch_load_b128 v[98:101], off, off offset:48
	scratch_load_b128 v[102:105], off, off offset:64
	scratch_load_b128 v[106:109], off, off offset:80
	scratch_load_b128 v[110:113], off, off offset:96
	scratch_load_b128 v[114:117], off, off offset:112
	v_mov_b32_e32 v1, 0
	ds_load_2addr_b64 v[118:121], v1 offset0:53 offset1:54
	ds_load_2addr_b64 v[122:125], v1 offset0:55 offset1:56
	scratch_load_b128 v[126:129], off, off offset:128
	s_mov_b32 s0, exec_lo
	s_waitcnt vmcnt(5) lgkmcnt(1)
	v_fma_f64 v[4:5], v[100:101], v[118:119], 0
	s_waitcnt vmcnt(4)
	s_delay_alu instid0(VALU_DEP_1) | instskip(SKIP_4) | instid1(VALU_DEP_1)
	v_fma_f64 v[4:5], v[102:103], v[120:121], v[4:5]
	scratch_load_b128 v[100:103], off, off offset:144
	s_waitcnt lgkmcnt(0)
	v_fma_f64 v[4:5], v[104:105], v[122:123], v[4:5]
	s_waitcnt vmcnt(4)
	v_fma_f64 v[4:5], v[106:107], v[124:125], v[4:5]
	ds_load_2addr_b64 v[104:107], v1 offset0:57 offset1:58
	ds_load_2addr_b64 v[118:121], v1 offset0:59 offset1:60
	scratch_load_b128 v[122:125], off, off offset:160
	s_waitcnt lgkmcnt(1)
	v_fma_f64 v[4:5], v[108:109], v[104:105], v[4:5]
	s_waitcnt vmcnt(4)
	s_delay_alu instid0(VALU_DEP_1) | instskip(SKIP_4) | instid1(VALU_DEP_1)
	v_fma_f64 v[4:5], v[110:111], v[106:107], v[4:5]
	scratch_load_b128 v[104:107], off, off offset:176
	s_waitcnt lgkmcnt(0)
	v_fma_f64 v[4:5], v[112:113], v[118:119], v[4:5]
	s_waitcnt vmcnt(4)
	v_fma_f64 v[4:5], v[114:115], v[120:121], v[4:5]
	ds_load_2addr_b64 v[108:111], v1 offset0:61 offset1:62
	ds_load_2addr_b64 v[112:115], v1 offset0:63 offset1:64
	s_waitcnt lgkmcnt(1)
	v_fma_f64 v[4:5], v[116:117], v[108:109], v[4:5]
	scratch_load_b128 v[116:119], off, off offset:192
	s_waitcnt vmcnt(4)
	v_fma_f64 v[4:5], v[126:127], v[110:111], v[4:5]
	scratch_load_b128 v[108:111], off, off offset:208
	s_waitcnt lgkmcnt(0)
	v_fma_f64 v[4:5], v[128:129], v[112:113], v[4:5]
	s_waitcnt vmcnt(4)
	s_delay_alu instid0(VALU_DEP_1)
	v_fma_f64 v[4:5], v[100:101], v[114:115], v[4:5]
	ds_load_2addr_b64 v[112:115], v1 offset0:65 offset1:66
	ds_load_2addr_b64 v[126:129], v1 offset0:67 offset1:68
	s_waitcnt lgkmcnt(1)
	v_fma_f64 v[4:5], v[102:103], v[112:113], v[4:5]
	scratch_load_b128 v[100:103], off, off offset:224
	s_waitcnt vmcnt(4)
	v_fma_f64 v[4:5], v[122:123], v[114:115], v[4:5]
	scratch_load_b128 v[112:115], off, off offset:240
	s_waitcnt lgkmcnt(0)
	v_fma_f64 v[4:5], v[124:125], v[126:127], v[4:5]
	ds_load_2addr_b64 v[120:123], v1 offset0:69 offset1:70
	ds_load_2addr_b64 v[124:127], v1 offset0:71 offset1:72
	s_waitcnt vmcnt(4)
	v_fma_f64 v[4:5], v[104:105], v[128:129], v[4:5]
	s_waitcnt lgkmcnt(1)
	s_delay_alu instid0(VALU_DEP_1) | instskip(SKIP_4) | instid1(VALU_DEP_1)
	v_fma_f64 v[4:5], v[106:107], v[120:121], v[4:5]
	scratch_load_b128 v[104:107], off, off offset:256
	s_waitcnt vmcnt(4)
	v_fma_f64 v[4:5], v[116:117], v[122:123], v[4:5]
	s_waitcnt lgkmcnt(0)
	v_fma_f64 v[4:5], v[118:119], v[124:125], v[4:5]
	scratch_load_b128 v[116:119], off, off offset:272
	s_waitcnt vmcnt(4)
	v_fma_f64 v[4:5], v[108:109], v[126:127], v[4:5]
	ds_load_2addr_b64 v[120:123], v1 offset0:73 offset1:74
	ds_load_2addr_b64 v[124:127], v1 offset0:75 offset1:76
	s_waitcnt lgkmcnt(1)
	v_fma_f64 v[4:5], v[110:111], v[120:121], v[4:5]
	scratch_load_b128 v[108:111], off, off offset:288
	s_waitcnt vmcnt(4)
	v_fma_f64 v[4:5], v[100:101], v[122:123], v[4:5]
	s_waitcnt lgkmcnt(0)
	s_delay_alu instid0(VALU_DEP_1)
	v_fma_f64 v[4:5], v[102:103], v[124:125], v[4:5]
	scratch_load_b128 v[100:103], off, off offset:304
	s_waitcnt vmcnt(4)
	v_fma_f64 v[4:5], v[112:113], v[126:127], v[4:5]
	ds_load_2addr_b64 v[120:123], v1 offset0:77 offset1:78
	ds_load_2addr_b64 v[124:127], v1 offset0:79 offset1:80
	s_waitcnt lgkmcnt(1)
	v_fma_f64 v[4:5], v[114:115], v[120:121], v[4:5]
	scratch_load_b128 v[112:115], off, off offset:320
	s_waitcnt vmcnt(4)
	v_fma_f64 v[4:5], v[104:105], v[122:123], v[4:5]
	s_waitcnt lgkmcnt(0)
	s_delay_alu instid0(VALU_DEP_1)
	;; [unrolled: 13-line block ×3, first 2 shown]
	v_fma_f64 v[4:5], v[110:111], v[124:125], v[4:5]
	ds_load_2addr_b64 v[108:111], v1 offset0:85 offset1:86
	ds_load_2addr_b64 v[120:123], v1 offset0:87 offset1:88
	s_waitcnt vmcnt(3)
	v_fma_f64 v[4:5], v[100:101], v[126:127], v[4:5]
	s_waitcnt lgkmcnt(1)
	s_delay_alu instid0(VALU_DEP_1) | instskip(SKIP_1) | instid1(VALU_DEP_1)
	v_fma_f64 v[4:5], v[102:103], v[108:109], v[4:5]
	s_waitcnt vmcnt(2)
	v_fma_f64 v[4:5], v[112:113], v[110:111], v[4:5]
	s_waitcnt lgkmcnt(0)
	s_delay_alu instid0(VALU_DEP_1) | instskip(SKIP_1) | instid1(VALU_DEP_1)
	v_fma_f64 v[4:5], v[114:115], v[120:121], v[4:5]
	s_waitcnt vmcnt(1)
	v_fma_f64 v[4:5], v[104:105], v[122:123], v[4:5]
	ds_load_2addr_b64 v[100:103], v1 offset0:89 offset1:90
	ds_load_b64 v[104:105], v1 offset:728
	s_waitcnt lgkmcnt(1)
	v_fma_f64 v[4:5], v[106:107], v[100:101], v[4:5]
	s_waitcnt vmcnt(0)
	s_delay_alu instid0(VALU_DEP_1) | instskip(SKIP_1) | instid1(VALU_DEP_1)
	v_fma_f64 v[4:5], v[116:117], v[102:103], v[4:5]
	s_waitcnt lgkmcnt(0)
	v_fma_f64 v[4:5], v[118:119], v[104:105], v[4:5]
	s_delay_alu instid0(VALU_DEP_1)
	v_add_f64 v[4:5], v[98:99], -v[4:5]
	scratch_store_b64 off, v[4:5], off offset:48
	v_cmpx_lt_u32_e32 5, v0
	s_cbranch_execz .LBB109_275
; %bb.274:
	scratch_load_b64 v[4:5], off, off offset:40
	v_mov_b32_e32 v2, v1
	scratch_store_b64 off, v[1:2], off offset:40
	s_waitcnt vmcnt(0)
	ds_store_b64 v3, v[4:5]
.LBB109_275:
	s_or_b32 exec_lo, exec_lo, s0
	s_waitcnt lgkmcnt(0)
	s_waitcnt_vscnt null, 0x0
	s_barrier
	buffer_gl0_inv
	s_clause 0x4
	scratch_load_b128 v[98:101], off, off offset:40
	scratch_load_b128 v[102:105], off, off offset:56
	;; [unrolled: 1-line block ×5, first 2 shown]
	ds_load_b128 v[118:121], v1 offset:416
	ds_load_b128 v[122:125], v1 offset:432
	scratch_load_b128 v[126:129], off, off offset:120
	s_mov_b32 s0, exec_lo
	s_waitcnt vmcnt(5) lgkmcnt(1)
	v_fma_f64 v[4:5], v[100:101], v[118:119], 0
	s_waitcnt vmcnt(4)
	s_delay_alu instid0(VALU_DEP_1) | instskip(SKIP_4) | instid1(VALU_DEP_1)
	v_fma_f64 v[4:5], v[102:103], v[120:121], v[4:5]
	scratch_load_b128 v[100:103], off, off offset:136
	s_waitcnt lgkmcnt(0)
	v_fma_f64 v[4:5], v[104:105], v[122:123], v[4:5]
	s_waitcnt vmcnt(4)
	v_fma_f64 v[4:5], v[106:107], v[124:125], v[4:5]
	ds_load_b128 v[104:107], v1 offset:448
	ds_load_b128 v[118:121], v1 offset:464
	scratch_load_b128 v[122:125], off, off offset:152
	s_waitcnt lgkmcnt(1)
	v_fma_f64 v[4:5], v[108:109], v[104:105], v[4:5]
	s_waitcnt vmcnt(4)
	s_delay_alu instid0(VALU_DEP_1) | instskip(SKIP_4) | instid1(VALU_DEP_1)
	v_fma_f64 v[4:5], v[110:111], v[106:107], v[4:5]
	scratch_load_b128 v[104:107], off, off offset:168
	s_waitcnt lgkmcnt(0)
	v_fma_f64 v[4:5], v[112:113], v[118:119], v[4:5]
	s_waitcnt vmcnt(4)
	v_fma_f64 v[4:5], v[114:115], v[120:121], v[4:5]
	ds_load_b128 v[108:111], v1 offset:480
	ds_load_b128 v[112:115], v1 offset:496
	s_waitcnt lgkmcnt(1)
	v_fma_f64 v[4:5], v[116:117], v[108:109], v[4:5]
	scratch_load_b128 v[116:119], off, off offset:184
	s_waitcnt vmcnt(4)
	v_fma_f64 v[4:5], v[126:127], v[110:111], v[4:5]
	scratch_load_b128 v[108:111], off, off offset:200
	s_waitcnt lgkmcnt(0)
	v_fma_f64 v[4:5], v[128:129], v[112:113], v[4:5]
	s_waitcnt vmcnt(4)
	s_delay_alu instid0(VALU_DEP_1)
	v_fma_f64 v[4:5], v[100:101], v[114:115], v[4:5]
	ds_load_b128 v[112:115], v1 offset:512
	ds_load_b128 v[126:129], v1 offset:528
	s_waitcnt lgkmcnt(1)
	v_fma_f64 v[4:5], v[102:103], v[112:113], v[4:5]
	scratch_load_b128 v[100:103], off, off offset:216
	s_waitcnt vmcnt(4)
	v_fma_f64 v[4:5], v[122:123], v[114:115], v[4:5]
	scratch_load_b128 v[112:115], off, off offset:232
	s_waitcnt lgkmcnt(0)
	v_fma_f64 v[4:5], v[124:125], v[126:127], v[4:5]
	ds_load_b128 v[120:123], v1 offset:544
	ds_load_b128 v[124:127], v1 offset:560
	s_waitcnt vmcnt(4)
	v_fma_f64 v[4:5], v[104:105], v[128:129], v[4:5]
	s_waitcnt lgkmcnt(1)
	s_delay_alu instid0(VALU_DEP_1) | instskip(SKIP_4) | instid1(VALU_DEP_1)
	v_fma_f64 v[4:5], v[106:107], v[120:121], v[4:5]
	scratch_load_b128 v[104:107], off, off offset:248
	s_waitcnt vmcnt(4)
	v_fma_f64 v[4:5], v[116:117], v[122:123], v[4:5]
	s_waitcnt lgkmcnt(0)
	v_fma_f64 v[4:5], v[118:119], v[124:125], v[4:5]
	scratch_load_b128 v[116:119], off, off offset:264
	s_waitcnt vmcnt(4)
	v_fma_f64 v[4:5], v[108:109], v[126:127], v[4:5]
	ds_load_b128 v[120:123], v1 offset:576
	ds_load_b128 v[124:127], v1 offset:592
	s_waitcnt lgkmcnt(1)
	v_fma_f64 v[4:5], v[110:111], v[120:121], v[4:5]
	scratch_load_b128 v[108:111], off, off offset:280
	s_waitcnt vmcnt(4)
	v_fma_f64 v[4:5], v[100:101], v[122:123], v[4:5]
	s_waitcnt lgkmcnt(0)
	s_delay_alu instid0(VALU_DEP_1)
	v_fma_f64 v[4:5], v[102:103], v[124:125], v[4:5]
	scratch_load_b128 v[100:103], off, off offset:296
	s_waitcnt vmcnt(4)
	v_fma_f64 v[4:5], v[112:113], v[126:127], v[4:5]
	ds_load_b128 v[120:123], v1 offset:608
	ds_load_b128 v[124:127], v1 offset:624
	s_waitcnt lgkmcnt(1)
	v_fma_f64 v[4:5], v[114:115], v[120:121], v[4:5]
	scratch_load_b128 v[112:115], off, off offset:312
	s_waitcnt vmcnt(4)
	v_fma_f64 v[4:5], v[104:105], v[122:123], v[4:5]
	s_waitcnt lgkmcnt(0)
	s_delay_alu instid0(VALU_DEP_1)
	;; [unrolled: 13-line block ×3, first 2 shown]
	v_fma_f64 v[4:5], v[110:111], v[124:125], v[4:5]
	scratch_load_b64 v[124:125], off, off offset:360
	ds_load_b128 v[108:111], v1 offset:672
	ds_load_b128 v[120:123], v1 offset:688
	s_waitcnt vmcnt(4)
	v_fma_f64 v[4:5], v[100:101], v[126:127], v[4:5]
	s_waitcnt lgkmcnt(1)
	s_delay_alu instid0(VALU_DEP_1) | instskip(SKIP_1) | instid1(VALU_DEP_1)
	v_fma_f64 v[4:5], v[102:103], v[108:109], v[4:5]
	s_waitcnt vmcnt(3)
	v_fma_f64 v[4:5], v[112:113], v[110:111], v[4:5]
	ds_load_b128 v[100:103], v1 offset:704
	ds_load_b128 v[108:111], v1 offset:720
	s_waitcnt lgkmcnt(2)
	v_fma_f64 v[4:5], v[114:115], v[120:121], v[4:5]
	s_waitcnt vmcnt(2)
	s_delay_alu instid0(VALU_DEP_1) | instskip(SKIP_1) | instid1(VALU_DEP_1)
	v_fma_f64 v[4:5], v[104:105], v[122:123], v[4:5]
	s_waitcnt lgkmcnt(1)
	v_fma_f64 v[1:2], v[106:107], v[100:101], v[4:5]
	s_waitcnt vmcnt(1)
	s_delay_alu instid0(VALU_DEP_1) | instskip(SKIP_1) | instid1(VALU_DEP_1)
	v_fma_f64 v[1:2], v[116:117], v[102:103], v[1:2]
	s_waitcnt lgkmcnt(0)
	v_fma_f64 v[1:2], v[118:119], v[108:109], v[1:2]
	s_waitcnt vmcnt(0)
	s_delay_alu instid0(VALU_DEP_1) | instskip(NEXT) | instid1(VALU_DEP_1)
	v_fma_f64 v[1:2], v[124:125], v[110:111], v[1:2]
	v_add_f64 v[1:2], v[98:99], -v[1:2]
	scratch_store_b64 off, v[1:2], off offset:40
	v_cmpx_lt_u32_e32 4, v0
	s_cbranch_execz .LBB109_277
; %bb.276:
	scratch_load_b64 v[1:2], off, off offset:32
	v_mov_b32_e32 v4, 0
	s_delay_alu instid0(VALU_DEP_1)
	v_mov_b32_e32 v5, v4
	scratch_store_b64 off, v[4:5], off offset:32
	s_waitcnt vmcnt(0)
	ds_store_b64 v3, v[1:2]
.LBB109_277:
	s_or_b32 exec_lo, exec_lo, s0
	s_waitcnt lgkmcnt(0)
	s_waitcnt_vscnt null, 0x0
	s_barrier
	buffer_gl0_inv
	s_clause 0x4
	scratch_load_b128 v[98:101], off, off offset:32
	scratch_load_b128 v[102:105], off, off offset:48
	;; [unrolled: 1-line block ×5, first 2 shown]
	v_mov_b32_e32 v1, 0
	ds_load_2addr_b64 v[118:121], v1 offset0:51 offset1:52
	ds_load_2addr_b64 v[122:125], v1 offset0:53 offset1:54
	scratch_load_b128 v[126:129], off, off offset:112
	s_mov_b32 s0, exec_lo
	s_waitcnt vmcnt(5) lgkmcnt(1)
	v_fma_f64 v[4:5], v[100:101], v[118:119], 0
	s_waitcnt vmcnt(4)
	s_delay_alu instid0(VALU_DEP_1) | instskip(SKIP_4) | instid1(VALU_DEP_1)
	v_fma_f64 v[4:5], v[102:103], v[120:121], v[4:5]
	scratch_load_b128 v[100:103], off, off offset:128
	s_waitcnt lgkmcnt(0)
	v_fma_f64 v[4:5], v[104:105], v[122:123], v[4:5]
	s_waitcnt vmcnt(4)
	v_fma_f64 v[4:5], v[106:107], v[124:125], v[4:5]
	ds_load_2addr_b64 v[104:107], v1 offset0:55 offset1:56
	ds_load_2addr_b64 v[118:121], v1 offset0:57 offset1:58
	scratch_load_b128 v[122:125], off, off offset:144
	s_waitcnt lgkmcnt(1)
	v_fma_f64 v[4:5], v[108:109], v[104:105], v[4:5]
	s_waitcnt vmcnt(4)
	s_delay_alu instid0(VALU_DEP_1) | instskip(SKIP_4) | instid1(VALU_DEP_1)
	v_fma_f64 v[4:5], v[110:111], v[106:107], v[4:5]
	scratch_load_b128 v[104:107], off, off offset:160
	s_waitcnt lgkmcnt(0)
	v_fma_f64 v[4:5], v[112:113], v[118:119], v[4:5]
	s_waitcnt vmcnt(4)
	v_fma_f64 v[4:5], v[114:115], v[120:121], v[4:5]
	ds_load_2addr_b64 v[108:111], v1 offset0:59 offset1:60
	ds_load_2addr_b64 v[112:115], v1 offset0:61 offset1:62
	s_waitcnt lgkmcnt(1)
	v_fma_f64 v[4:5], v[116:117], v[108:109], v[4:5]
	scratch_load_b128 v[116:119], off, off offset:176
	s_waitcnt vmcnt(4)
	v_fma_f64 v[4:5], v[126:127], v[110:111], v[4:5]
	scratch_load_b128 v[108:111], off, off offset:192
	s_waitcnt lgkmcnt(0)
	v_fma_f64 v[4:5], v[128:129], v[112:113], v[4:5]
	s_waitcnt vmcnt(4)
	s_delay_alu instid0(VALU_DEP_1)
	v_fma_f64 v[4:5], v[100:101], v[114:115], v[4:5]
	ds_load_2addr_b64 v[112:115], v1 offset0:63 offset1:64
	ds_load_2addr_b64 v[126:129], v1 offset0:65 offset1:66
	s_waitcnt lgkmcnt(1)
	v_fma_f64 v[4:5], v[102:103], v[112:113], v[4:5]
	scratch_load_b128 v[100:103], off, off offset:208
	s_waitcnt vmcnt(4)
	v_fma_f64 v[4:5], v[122:123], v[114:115], v[4:5]
	scratch_load_b128 v[112:115], off, off offset:224
	s_waitcnt lgkmcnt(0)
	v_fma_f64 v[4:5], v[124:125], v[126:127], v[4:5]
	ds_load_2addr_b64 v[120:123], v1 offset0:67 offset1:68
	ds_load_2addr_b64 v[124:127], v1 offset0:69 offset1:70
	s_waitcnt vmcnt(4)
	v_fma_f64 v[4:5], v[104:105], v[128:129], v[4:5]
	s_waitcnt lgkmcnt(1)
	s_delay_alu instid0(VALU_DEP_1) | instskip(SKIP_4) | instid1(VALU_DEP_1)
	v_fma_f64 v[4:5], v[106:107], v[120:121], v[4:5]
	scratch_load_b128 v[104:107], off, off offset:240
	s_waitcnt vmcnt(4)
	v_fma_f64 v[4:5], v[116:117], v[122:123], v[4:5]
	s_waitcnt lgkmcnt(0)
	v_fma_f64 v[4:5], v[118:119], v[124:125], v[4:5]
	scratch_load_b128 v[116:119], off, off offset:256
	s_waitcnt vmcnt(4)
	v_fma_f64 v[4:5], v[108:109], v[126:127], v[4:5]
	ds_load_2addr_b64 v[120:123], v1 offset0:71 offset1:72
	ds_load_2addr_b64 v[124:127], v1 offset0:73 offset1:74
	s_waitcnt lgkmcnt(1)
	v_fma_f64 v[4:5], v[110:111], v[120:121], v[4:5]
	scratch_load_b128 v[108:111], off, off offset:272
	s_waitcnt vmcnt(4)
	v_fma_f64 v[4:5], v[100:101], v[122:123], v[4:5]
	s_waitcnt lgkmcnt(0)
	s_delay_alu instid0(VALU_DEP_1)
	v_fma_f64 v[4:5], v[102:103], v[124:125], v[4:5]
	scratch_load_b128 v[100:103], off, off offset:288
	s_waitcnt vmcnt(4)
	v_fma_f64 v[4:5], v[112:113], v[126:127], v[4:5]
	ds_load_2addr_b64 v[120:123], v1 offset0:75 offset1:76
	ds_load_2addr_b64 v[124:127], v1 offset0:77 offset1:78
	s_waitcnt lgkmcnt(1)
	v_fma_f64 v[4:5], v[114:115], v[120:121], v[4:5]
	scratch_load_b128 v[112:115], off, off offset:304
	s_waitcnt vmcnt(4)
	v_fma_f64 v[4:5], v[104:105], v[122:123], v[4:5]
	s_waitcnt lgkmcnt(0)
	s_delay_alu instid0(VALU_DEP_1)
	v_fma_f64 v[4:5], v[106:107], v[124:125], v[4:5]
	scratch_load_b128 v[104:107], off, off offset:320
	s_waitcnt vmcnt(4)
	v_fma_f64 v[4:5], v[116:117], v[126:127], v[4:5]
	ds_load_2addr_b64 v[120:123], v1 offset0:79 offset1:80
	ds_load_2addr_b64 v[124:127], v1 offset0:81 offset1:82
	s_waitcnt lgkmcnt(1)
	v_fma_f64 v[4:5], v[118:119], v[120:121], v[4:5]
	scratch_load_b128 v[116:119], off, off offset:336
	s_waitcnt vmcnt(4)
	v_fma_f64 v[4:5], v[108:109], v[122:123], v[4:5]
	s_waitcnt lgkmcnt(0)
	s_delay_alu instid0(VALU_DEP_1)
	v_fma_f64 v[4:5], v[110:111], v[124:125], v[4:5]
	scratch_load_b128 v[108:111], off, off offset:352
	s_waitcnt vmcnt(4)
	v_fma_f64 v[4:5], v[100:101], v[126:127], v[4:5]
	ds_load_2addr_b64 v[120:123], v1 offset0:83 offset1:84
	ds_load_2addr_b64 v[124:127], v1 offset0:85 offset1:86
	s_waitcnt lgkmcnt(1)
	v_fma_f64 v[4:5], v[102:103], v[120:121], v[4:5]
	s_waitcnt vmcnt(3)
	s_delay_alu instid0(VALU_DEP_1) | instskip(SKIP_1) | instid1(VALU_DEP_1)
	v_fma_f64 v[4:5], v[112:113], v[122:123], v[4:5]
	s_waitcnt lgkmcnt(0)
	v_fma_f64 v[4:5], v[114:115], v[124:125], v[4:5]
	ds_load_2addr_b64 v[100:103], v1 offset0:87 offset1:88
	ds_load_2addr_b64 v[112:115], v1 offset0:89 offset1:90
	s_waitcnt vmcnt(2)
	v_fma_f64 v[4:5], v[104:105], v[126:127], v[4:5]
	s_waitcnt lgkmcnt(1)
	s_delay_alu instid0(VALU_DEP_1) | instskip(SKIP_4) | instid1(VALU_DEP_1)
	v_fma_f64 v[4:5], v[106:107], v[100:101], v[4:5]
	ds_load_b64 v[100:101], v1 offset:728
	s_waitcnt vmcnt(1)
	v_fma_f64 v[4:5], v[116:117], v[102:103], v[4:5]
	s_waitcnt lgkmcnt(1)
	v_fma_f64 v[4:5], v[118:119], v[112:113], v[4:5]
	s_waitcnt vmcnt(0)
	s_delay_alu instid0(VALU_DEP_1) | instskip(SKIP_1) | instid1(VALU_DEP_1)
	v_fma_f64 v[4:5], v[108:109], v[114:115], v[4:5]
	s_waitcnt lgkmcnt(0)
	v_fma_f64 v[4:5], v[110:111], v[100:101], v[4:5]
	s_delay_alu instid0(VALU_DEP_1)
	v_add_f64 v[4:5], v[98:99], -v[4:5]
	scratch_store_b64 off, v[4:5], off offset:32
	v_cmpx_lt_u32_e32 3, v0
	s_cbranch_execz .LBB109_279
; %bb.278:
	scratch_load_b64 v[4:5], off, off offset:24
	v_mov_b32_e32 v2, v1
	scratch_store_b64 off, v[1:2], off offset:24
	s_waitcnt vmcnt(0)
	ds_store_b64 v3, v[4:5]
.LBB109_279:
	s_or_b32 exec_lo, exec_lo, s0
	s_waitcnt lgkmcnt(0)
	s_waitcnt_vscnt null, 0x0
	s_barrier
	buffer_gl0_inv
	s_clause 0x4
	scratch_load_b128 v[98:101], off, off offset:24
	scratch_load_b128 v[102:105], off, off offset:40
	scratch_load_b128 v[106:109], off, off offset:56
	scratch_load_b128 v[110:113], off, off offset:72
	scratch_load_b128 v[114:117], off, off offset:88
	ds_load_b128 v[118:121], v1 offset:400
	ds_load_b128 v[122:125], v1 offset:416
	scratch_load_b128 v[126:129], off, off offset:104
	s_mov_b32 s0, exec_lo
	s_waitcnt vmcnt(5) lgkmcnt(1)
	v_fma_f64 v[4:5], v[100:101], v[118:119], 0
	s_waitcnt vmcnt(4)
	s_delay_alu instid0(VALU_DEP_1) | instskip(SKIP_4) | instid1(VALU_DEP_1)
	v_fma_f64 v[4:5], v[102:103], v[120:121], v[4:5]
	scratch_load_b128 v[100:103], off, off offset:120
	s_waitcnt lgkmcnt(0)
	v_fma_f64 v[4:5], v[104:105], v[122:123], v[4:5]
	s_waitcnt vmcnt(4)
	v_fma_f64 v[4:5], v[106:107], v[124:125], v[4:5]
	ds_load_b128 v[104:107], v1 offset:432
	ds_load_b128 v[118:121], v1 offset:448
	scratch_load_b128 v[122:125], off, off offset:136
	s_waitcnt lgkmcnt(1)
	v_fma_f64 v[4:5], v[108:109], v[104:105], v[4:5]
	s_waitcnt vmcnt(4)
	s_delay_alu instid0(VALU_DEP_1) | instskip(SKIP_4) | instid1(VALU_DEP_1)
	v_fma_f64 v[4:5], v[110:111], v[106:107], v[4:5]
	scratch_load_b128 v[104:107], off, off offset:152
	s_waitcnt lgkmcnt(0)
	v_fma_f64 v[4:5], v[112:113], v[118:119], v[4:5]
	s_waitcnt vmcnt(4)
	v_fma_f64 v[4:5], v[114:115], v[120:121], v[4:5]
	ds_load_b128 v[108:111], v1 offset:464
	ds_load_b128 v[112:115], v1 offset:480
	s_waitcnt lgkmcnt(1)
	v_fma_f64 v[4:5], v[116:117], v[108:109], v[4:5]
	scratch_load_b128 v[116:119], off, off offset:168
	s_waitcnt vmcnt(4)
	v_fma_f64 v[4:5], v[126:127], v[110:111], v[4:5]
	scratch_load_b128 v[108:111], off, off offset:184
	s_waitcnt lgkmcnt(0)
	v_fma_f64 v[4:5], v[128:129], v[112:113], v[4:5]
	s_waitcnt vmcnt(4)
	s_delay_alu instid0(VALU_DEP_1)
	v_fma_f64 v[4:5], v[100:101], v[114:115], v[4:5]
	ds_load_b128 v[112:115], v1 offset:496
	ds_load_b128 v[126:129], v1 offset:512
	s_waitcnt lgkmcnt(1)
	v_fma_f64 v[4:5], v[102:103], v[112:113], v[4:5]
	scratch_load_b128 v[100:103], off, off offset:200
	s_waitcnt vmcnt(4)
	v_fma_f64 v[4:5], v[122:123], v[114:115], v[4:5]
	scratch_load_b128 v[112:115], off, off offset:216
	s_waitcnt lgkmcnt(0)
	v_fma_f64 v[4:5], v[124:125], v[126:127], v[4:5]
	ds_load_b128 v[120:123], v1 offset:528
	ds_load_b128 v[124:127], v1 offset:544
	s_waitcnt vmcnt(4)
	v_fma_f64 v[4:5], v[104:105], v[128:129], v[4:5]
	s_waitcnt lgkmcnt(1)
	s_delay_alu instid0(VALU_DEP_1) | instskip(SKIP_4) | instid1(VALU_DEP_1)
	v_fma_f64 v[4:5], v[106:107], v[120:121], v[4:5]
	scratch_load_b128 v[104:107], off, off offset:232
	s_waitcnt vmcnt(4)
	v_fma_f64 v[4:5], v[116:117], v[122:123], v[4:5]
	s_waitcnt lgkmcnt(0)
	v_fma_f64 v[4:5], v[118:119], v[124:125], v[4:5]
	scratch_load_b128 v[116:119], off, off offset:248
	s_waitcnt vmcnt(4)
	v_fma_f64 v[4:5], v[108:109], v[126:127], v[4:5]
	ds_load_b128 v[120:123], v1 offset:560
	ds_load_b128 v[124:127], v1 offset:576
	s_waitcnt lgkmcnt(1)
	v_fma_f64 v[4:5], v[110:111], v[120:121], v[4:5]
	scratch_load_b128 v[108:111], off, off offset:264
	s_waitcnt vmcnt(4)
	v_fma_f64 v[4:5], v[100:101], v[122:123], v[4:5]
	s_waitcnt lgkmcnt(0)
	s_delay_alu instid0(VALU_DEP_1)
	v_fma_f64 v[4:5], v[102:103], v[124:125], v[4:5]
	scratch_load_b128 v[100:103], off, off offset:280
	s_waitcnt vmcnt(4)
	v_fma_f64 v[4:5], v[112:113], v[126:127], v[4:5]
	ds_load_b128 v[120:123], v1 offset:592
	ds_load_b128 v[124:127], v1 offset:608
	s_waitcnt lgkmcnt(1)
	v_fma_f64 v[4:5], v[114:115], v[120:121], v[4:5]
	scratch_load_b128 v[112:115], off, off offset:296
	s_waitcnt vmcnt(4)
	v_fma_f64 v[4:5], v[104:105], v[122:123], v[4:5]
	s_waitcnt lgkmcnt(0)
	s_delay_alu instid0(VALU_DEP_1)
	;; [unrolled: 13-line block ×3, first 2 shown]
	v_fma_f64 v[4:5], v[110:111], v[124:125], v[4:5]
	scratch_load_b128 v[108:111], off, off offset:344
	s_waitcnt vmcnt(4)
	v_fma_f64 v[4:5], v[100:101], v[126:127], v[4:5]
	ds_load_b128 v[120:123], v1 offset:656
	ds_load_b128 v[124:127], v1 offset:672
	s_waitcnt lgkmcnt(1)
	v_fma_f64 v[4:5], v[102:103], v[120:121], v[4:5]
	scratch_load_b64 v[120:121], off, off offset:360
	s_waitcnt vmcnt(4)
	v_fma_f64 v[4:5], v[112:113], v[122:123], v[4:5]
	s_waitcnt lgkmcnt(0)
	s_delay_alu instid0(VALU_DEP_1)
	v_fma_f64 v[4:5], v[114:115], v[124:125], v[4:5]
	ds_load_b128 v[100:103], v1 offset:688
	ds_load_b128 v[112:115], v1 offset:704
	s_waitcnt vmcnt(3)
	v_fma_f64 v[4:5], v[104:105], v[126:127], v[4:5]
	s_waitcnt lgkmcnt(1)
	s_delay_alu instid0(VALU_DEP_1) | instskip(SKIP_1) | instid1(VALU_DEP_1)
	v_fma_f64 v[4:5], v[106:107], v[100:101], v[4:5]
	s_waitcnt vmcnt(2)
	v_fma_f64 v[4:5], v[116:117], v[102:103], v[4:5]
	ds_load_b128 v[100:103], v1 offset:720
	s_waitcnt lgkmcnt(1)
	v_fma_f64 v[4:5], v[118:119], v[112:113], v[4:5]
	s_waitcnt vmcnt(1)
	s_delay_alu instid0(VALU_DEP_1) | instskip(SKIP_1) | instid1(VALU_DEP_1)
	v_fma_f64 v[4:5], v[108:109], v[114:115], v[4:5]
	s_waitcnt lgkmcnt(0)
	v_fma_f64 v[1:2], v[110:111], v[100:101], v[4:5]
	s_waitcnt vmcnt(0)
	s_delay_alu instid0(VALU_DEP_1) | instskip(NEXT) | instid1(VALU_DEP_1)
	v_fma_f64 v[1:2], v[120:121], v[102:103], v[1:2]
	v_add_f64 v[1:2], v[98:99], -v[1:2]
	scratch_store_b64 off, v[1:2], off offset:24
	v_cmpx_lt_u32_e32 2, v0
	s_cbranch_execz .LBB109_281
; %bb.280:
	scratch_load_b64 v[1:2], off, off offset:16
	v_mov_b32_e32 v4, 0
	s_delay_alu instid0(VALU_DEP_1)
	v_mov_b32_e32 v5, v4
	scratch_store_b64 off, v[4:5], off offset:16
	s_waitcnt vmcnt(0)
	ds_store_b64 v3, v[1:2]
.LBB109_281:
	s_or_b32 exec_lo, exec_lo, s0
	s_waitcnt lgkmcnt(0)
	s_waitcnt_vscnt null, 0x0
	s_barrier
	buffer_gl0_inv
	s_clause 0x4
	scratch_load_b128 v[98:101], off, off offset:16
	scratch_load_b128 v[102:105], off, off offset:32
	;; [unrolled: 1-line block ×5, first 2 shown]
	v_mov_b32_e32 v1, 0
	ds_load_2addr_b64 v[118:121], v1 offset0:49 offset1:50
	ds_load_2addr_b64 v[122:125], v1 offset0:51 offset1:52
	scratch_load_b128 v[126:129], off, off offset:96
	s_mov_b32 s0, exec_lo
	s_waitcnt vmcnt(5) lgkmcnt(1)
	v_fma_f64 v[4:5], v[100:101], v[118:119], 0
	s_waitcnt vmcnt(4)
	s_delay_alu instid0(VALU_DEP_1) | instskip(SKIP_4) | instid1(VALU_DEP_1)
	v_fma_f64 v[4:5], v[102:103], v[120:121], v[4:5]
	scratch_load_b128 v[100:103], off, off offset:112
	s_waitcnt lgkmcnt(0)
	v_fma_f64 v[4:5], v[104:105], v[122:123], v[4:5]
	s_waitcnt vmcnt(4)
	v_fma_f64 v[4:5], v[106:107], v[124:125], v[4:5]
	ds_load_2addr_b64 v[104:107], v1 offset0:53 offset1:54
	ds_load_2addr_b64 v[118:121], v1 offset0:55 offset1:56
	scratch_load_b128 v[122:125], off, off offset:128
	s_waitcnt lgkmcnt(1)
	v_fma_f64 v[4:5], v[108:109], v[104:105], v[4:5]
	s_waitcnt vmcnt(4)
	s_delay_alu instid0(VALU_DEP_1) | instskip(SKIP_4) | instid1(VALU_DEP_1)
	v_fma_f64 v[4:5], v[110:111], v[106:107], v[4:5]
	scratch_load_b128 v[104:107], off, off offset:144
	s_waitcnt lgkmcnt(0)
	v_fma_f64 v[4:5], v[112:113], v[118:119], v[4:5]
	s_waitcnt vmcnt(4)
	v_fma_f64 v[4:5], v[114:115], v[120:121], v[4:5]
	ds_load_2addr_b64 v[108:111], v1 offset0:57 offset1:58
	ds_load_2addr_b64 v[112:115], v1 offset0:59 offset1:60
	s_waitcnt lgkmcnt(1)
	v_fma_f64 v[4:5], v[116:117], v[108:109], v[4:5]
	scratch_load_b128 v[116:119], off, off offset:160
	s_waitcnt vmcnt(4)
	v_fma_f64 v[4:5], v[126:127], v[110:111], v[4:5]
	scratch_load_b128 v[108:111], off, off offset:176
	s_waitcnt lgkmcnt(0)
	v_fma_f64 v[4:5], v[128:129], v[112:113], v[4:5]
	s_waitcnt vmcnt(4)
	s_delay_alu instid0(VALU_DEP_1)
	v_fma_f64 v[4:5], v[100:101], v[114:115], v[4:5]
	ds_load_2addr_b64 v[112:115], v1 offset0:61 offset1:62
	ds_load_2addr_b64 v[126:129], v1 offset0:63 offset1:64
	s_waitcnt lgkmcnt(1)
	v_fma_f64 v[4:5], v[102:103], v[112:113], v[4:5]
	scratch_load_b128 v[100:103], off, off offset:192
	s_waitcnt vmcnt(4)
	v_fma_f64 v[4:5], v[122:123], v[114:115], v[4:5]
	scratch_load_b128 v[112:115], off, off offset:208
	s_waitcnt lgkmcnt(0)
	v_fma_f64 v[4:5], v[124:125], v[126:127], v[4:5]
	ds_load_2addr_b64 v[120:123], v1 offset0:65 offset1:66
	ds_load_2addr_b64 v[124:127], v1 offset0:67 offset1:68
	s_waitcnt vmcnt(4)
	v_fma_f64 v[4:5], v[104:105], v[128:129], v[4:5]
	s_waitcnt lgkmcnt(1)
	s_delay_alu instid0(VALU_DEP_1) | instskip(SKIP_4) | instid1(VALU_DEP_1)
	v_fma_f64 v[4:5], v[106:107], v[120:121], v[4:5]
	scratch_load_b128 v[104:107], off, off offset:224
	s_waitcnt vmcnt(4)
	v_fma_f64 v[4:5], v[116:117], v[122:123], v[4:5]
	s_waitcnt lgkmcnt(0)
	v_fma_f64 v[4:5], v[118:119], v[124:125], v[4:5]
	scratch_load_b128 v[116:119], off, off offset:240
	s_waitcnt vmcnt(4)
	v_fma_f64 v[4:5], v[108:109], v[126:127], v[4:5]
	ds_load_2addr_b64 v[120:123], v1 offset0:69 offset1:70
	ds_load_2addr_b64 v[124:127], v1 offset0:71 offset1:72
	s_waitcnt lgkmcnt(1)
	v_fma_f64 v[4:5], v[110:111], v[120:121], v[4:5]
	scratch_load_b128 v[108:111], off, off offset:256
	s_waitcnt vmcnt(4)
	v_fma_f64 v[4:5], v[100:101], v[122:123], v[4:5]
	s_waitcnt lgkmcnt(0)
	s_delay_alu instid0(VALU_DEP_1)
	v_fma_f64 v[4:5], v[102:103], v[124:125], v[4:5]
	scratch_load_b128 v[100:103], off, off offset:272
	s_waitcnt vmcnt(4)
	v_fma_f64 v[4:5], v[112:113], v[126:127], v[4:5]
	ds_load_2addr_b64 v[120:123], v1 offset0:73 offset1:74
	ds_load_2addr_b64 v[124:127], v1 offset0:75 offset1:76
	s_waitcnt lgkmcnt(1)
	v_fma_f64 v[4:5], v[114:115], v[120:121], v[4:5]
	scratch_load_b128 v[112:115], off, off offset:288
	s_waitcnt vmcnt(4)
	v_fma_f64 v[4:5], v[104:105], v[122:123], v[4:5]
	s_waitcnt lgkmcnt(0)
	s_delay_alu instid0(VALU_DEP_1)
	v_fma_f64 v[4:5], v[106:107], v[124:125], v[4:5]
	scratch_load_b128 v[104:107], off, off offset:304
	s_waitcnt vmcnt(4)
	v_fma_f64 v[4:5], v[116:117], v[126:127], v[4:5]
	ds_load_2addr_b64 v[120:123], v1 offset0:77 offset1:78
	ds_load_2addr_b64 v[124:127], v1 offset0:79 offset1:80
	s_waitcnt lgkmcnt(1)
	v_fma_f64 v[4:5], v[118:119], v[120:121], v[4:5]
	scratch_load_b128 v[116:119], off, off offset:320
	s_waitcnt vmcnt(4)
	v_fma_f64 v[4:5], v[108:109], v[122:123], v[4:5]
	s_waitcnt lgkmcnt(0)
	s_delay_alu instid0(VALU_DEP_1)
	v_fma_f64 v[4:5], v[110:111], v[124:125], v[4:5]
	scratch_load_b128 v[108:111], off, off offset:336
	s_waitcnt vmcnt(4)
	v_fma_f64 v[4:5], v[100:101], v[126:127], v[4:5]
	ds_load_2addr_b64 v[120:123], v1 offset0:81 offset1:82
	ds_load_2addr_b64 v[124:127], v1 offset0:83 offset1:84
	s_waitcnt lgkmcnt(1)
	v_fma_f64 v[4:5], v[102:103], v[120:121], v[4:5]
	scratch_load_b128 v[100:103], off, off offset:352
	s_waitcnt vmcnt(4)
	v_fma_f64 v[4:5], v[112:113], v[122:123], v[4:5]
	s_waitcnt lgkmcnt(0)
	s_delay_alu instid0(VALU_DEP_1)
	v_fma_f64 v[4:5], v[114:115], v[124:125], v[4:5]
	ds_load_2addr_b64 v[112:115], v1 offset0:85 offset1:86
	ds_load_2addr_b64 v[120:123], v1 offset0:87 offset1:88
	s_waitcnt vmcnt(3)
	v_fma_f64 v[4:5], v[104:105], v[126:127], v[4:5]
	s_waitcnt lgkmcnt(1)
	s_delay_alu instid0(VALU_DEP_1) | instskip(SKIP_1) | instid1(VALU_DEP_1)
	v_fma_f64 v[4:5], v[106:107], v[112:113], v[4:5]
	s_waitcnt vmcnt(2)
	v_fma_f64 v[4:5], v[116:117], v[114:115], v[4:5]
	s_waitcnt lgkmcnt(0)
	s_delay_alu instid0(VALU_DEP_1) | instskip(SKIP_1) | instid1(VALU_DEP_1)
	v_fma_f64 v[4:5], v[118:119], v[120:121], v[4:5]
	s_waitcnt vmcnt(1)
	v_fma_f64 v[4:5], v[108:109], v[122:123], v[4:5]
	ds_load_2addr_b64 v[104:107], v1 offset0:89 offset1:90
	ds_load_b64 v[108:109], v1 offset:728
	s_waitcnt lgkmcnt(1)
	v_fma_f64 v[4:5], v[110:111], v[104:105], v[4:5]
	s_waitcnt vmcnt(0)
	s_delay_alu instid0(VALU_DEP_1) | instskip(SKIP_1) | instid1(VALU_DEP_1)
	v_fma_f64 v[4:5], v[100:101], v[106:107], v[4:5]
	s_waitcnt lgkmcnt(0)
	v_fma_f64 v[4:5], v[102:103], v[108:109], v[4:5]
	s_delay_alu instid0(VALU_DEP_1)
	v_add_f64 v[4:5], v[98:99], -v[4:5]
	scratch_store_b64 off, v[4:5], off offset:16
	v_cmpx_lt_u32_e32 1, v0
	s_cbranch_execz .LBB109_283
; %bb.282:
	scratch_load_b64 v[4:5], off, off offset:8
	v_mov_b32_e32 v2, v1
	scratch_store_b64 off, v[1:2], off offset:8
	s_waitcnt vmcnt(0)
	ds_store_b64 v3, v[4:5]
.LBB109_283:
	s_or_b32 exec_lo, exec_lo, s0
	s_waitcnt lgkmcnt(0)
	s_waitcnt_vscnt null, 0x0
	s_barrier
	buffer_gl0_inv
	s_clause 0x4
	scratch_load_b128 v[98:101], off, off offset:8
	scratch_load_b128 v[102:105], off, off offset:24
	;; [unrolled: 1-line block ×5, first 2 shown]
	ds_load_b128 v[118:121], v1 offset:384
	ds_load_b128 v[122:125], v1 offset:400
	scratch_load_b128 v[126:129], off, off offset:88
	s_mov_b32 s0, exec_lo
	s_waitcnt vmcnt(5) lgkmcnt(1)
	v_fma_f64 v[4:5], v[100:101], v[118:119], 0
	s_waitcnt vmcnt(4)
	s_delay_alu instid0(VALU_DEP_1) | instskip(SKIP_4) | instid1(VALU_DEP_1)
	v_fma_f64 v[4:5], v[102:103], v[120:121], v[4:5]
	scratch_load_b128 v[100:103], off, off offset:104
	s_waitcnt lgkmcnt(0)
	v_fma_f64 v[4:5], v[104:105], v[122:123], v[4:5]
	s_waitcnt vmcnt(4)
	v_fma_f64 v[4:5], v[106:107], v[124:125], v[4:5]
	ds_load_b128 v[104:107], v1 offset:416
	ds_load_b128 v[118:121], v1 offset:432
	scratch_load_b128 v[122:125], off, off offset:120
	s_waitcnt lgkmcnt(1)
	v_fma_f64 v[4:5], v[108:109], v[104:105], v[4:5]
	s_waitcnt vmcnt(4)
	s_delay_alu instid0(VALU_DEP_1) | instskip(SKIP_4) | instid1(VALU_DEP_1)
	v_fma_f64 v[4:5], v[110:111], v[106:107], v[4:5]
	scratch_load_b128 v[104:107], off, off offset:136
	s_waitcnt lgkmcnt(0)
	v_fma_f64 v[4:5], v[112:113], v[118:119], v[4:5]
	s_waitcnt vmcnt(4)
	v_fma_f64 v[4:5], v[114:115], v[120:121], v[4:5]
	ds_load_b128 v[108:111], v1 offset:448
	ds_load_b128 v[112:115], v1 offset:464
	s_waitcnt lgkmcnt(1)
	v_fma_f64 v[4:5], v[116:117], v[108:109], v[4:5]
	scratch_load_b128 v[116:119], off, off offset:152
	s_waitcnt vmcnt(4)
	v_fma_f64 v[4:5], v[126:127], v[110:111], v[4:5]
	scratch_load_b128 v[108:111], off, off offset:168
	s_waitcnt lgkmcnt(0)
	v_fma_f64 v[4:5], v[128:129], v[112:113], v[4:5]
	s_waitcnt vmcnt(4)
	s_delay_alu instid0(VALU_DEP_1)
	v_fma_f64 v[4:5], v[100:101], v[114:115], v[4:5]
	ds_load_b128 v[112:115], v1 offset:480
	ds_load_b128 v[126:129], v1 offset:496
	s_waitcnt lgkmcnt(1)
	v_fma_f64 v[4:5], v[102:103], v[112:113], v[4:5]
	scratch_load_b128 v[100:103], off, off offset:184
	s_waitcnt vmcnt(4)
	v_fma_f64 v[4:5], v[122:123], v[114:115], v[4:5]
	scratch_load_b128 v[112:115], off, off offset:200
	s_waitcnt lgkmcnt(0)
	v_fma_f64 v[4:5], v[124:125], v[126:127], v[4:5]
	ds_load_b128 v[120:123], v1 offset:512
	ds_load_b128 v[124:127], v1 offset:528
	s_waitcnt vmcnt(4)
	v_fma_f64 v[4:5], v[104:105], v[128:129], v[4:5]
	s_waitcnt lgkmcnt(1)
	s_delay_alu instid0(VALU_DEP_1) | instskip(SKIP_4) | instid1(VALU_DEP_1)
	v_fma_f64 v[4:5], v[106:107], v[120:121], v[4:5]
	scratch_load_b128 v[104:107], off, off offset:216
	s_waitcnt vmcnt(4)
	v_fma_f64 v[4:5], v[116:117], v[122:123], v[4:5]
	s_waitcnt lgkmcnt(0)
	v_fma_f64 v[4:5], v[118:119], v[124:125], v[4:5]
	scratch_load_b128 v[116:119], off, off offset:232
	s_waitcnt vmcnt(4)
	v_fma_f64 v[4:5], v[108:109], v[126:127], v[4:5]
	ds_load_b128 v[120:123], v1 offset:544
	ds_load_b128 v[124:127], v1 offset:560
	s_waitcnt lgkmcnt(1)
	v_fma_f64 v[4:5], v[110:111], v[120:121], v[4:5]
	scratch_load_b128 v[108:111], off, off offset:248
	s_waitcnt vmcnt(4)
	v_fma_f64 v[4:5], v[100:101], v[122:123], v[4:5]
	s_waitcnt lgkmcnt(0)
	s_delay_alu instid0(VALU_DEP_1)
	v_fma_f64 v[4:5], v[102:103], v[124:125], v[4:5]
	scratch_load_b128 v[100:103], off, off offset:264
	s_waitcnt vmcnt(4)
	v_fma_f64 v[4:5], v[112:113], v[126:127], v[4:5]
	ds_load_b128 v[120:123], v1 offset:576
	ds_load_b128 v[124:127], v1 offset:592
	s_waitcnt lgkmcnt(1)
	v_fma_f64 v[4:5], v[114:115], v[120:121], v[4:5]
	scratch_load_b128 v[112:115], off, off offset:280
	s_waitcnt vmcnt(4)
	v_fma_f64 v[4:5], v[104:105], v[122:123], v[4:5]
	s_waitcnt lgkmcnt(0)
	s_delay_alu instid0(VALU_DEP_1)
	;; [unrolled: 13-line block ×4, first 2 shown]
	v_fma_f64 v[4:5], v[114:115], v[124:125], v[4:5]
	scratch_load_b64 v[124:125], off, off offset:360
	ds_load_b128 v[112:115], v1 offset:672
	ds_load_b128 v[120:123], v1 offset:688
	s_waitcnt vmcnt(4)
	v_fma_f64 v[4:5], v[104:105], v[126:127], v[4:5]
	s_waitcnt lgkmcnt(1)
	s_delay_alu instid0(VALU_DEP_1) | instskip(SKIP_1) | instid1(VALU_DEP_1)
	v_fma_f64 v[4:5], v[106:107], v[112:113], v[4:5]
	s_waitcnt vmcnt(3)
	v_fma_f64 v[4:5], v[116:117], v[114:115], v[4:5]
	ds_load_b128 v[104:107], v1 offset:704
	ds_load_b128 v[112:115], v1 offset:720
	s_waitcnt lgkmcnt(2)
	v_fma_f64 v[4:5], v[118:119], v[120:121], v[4:5]
	s_waitcnt vmcnt(2)
	s_delay_alu instid0(VALU_DEP_1) | instskip(SKIP_1) | instid1(VALU_DEP_1)
	v_fma_f64 v[4:5], v[108:109], v[122:123], v[4:5]
	s_waitcnt lgkmcnt(1)
	v_fma_f64 v[1:2], v[110:111], v[104:105], v[4:5]
	s_waitcnt vmcnt(1)
	s_delay_alu instid0(VALU_DEP_1) | instskip(SKIP_1) | instid1(VALU_DEP_1)
	v_fma_f64 v[1:2], v[100:101], v[106:107], v[1:2]
	s_waitcnt lgkmcnt(0)
	v_fma_f64 v[1:2], v[102:103], v[112:113], v[1:2]
	s_waitcnt vmcnt(0)
	s_delay_alu instid0(VALU_DEP_1) | instskip(NEXT) | instid1(VALU_DEP_1)
	v_fma_f64 v[1:2], v[124:125], v[114:115], v[1:2]
	v_add_f64 v[1:2], v[98:99], -v[1:2]
	scratch_store_b64 off, v[1:2], off offset:8
	v_cmpx_ne_u32_e32 0, v0
	s_cbranch_execz .LBB109_285
; %bb.284:
	scratch_load_b64 v[0:1], off, off
	v_mov_b32_e32 v4, 0
	s_delay_alu instid0(VALU_DEP_1)
	v_mov_b32_e32 v5, v4
	scratch_store_b64 off, v[4:5], off
	s_waitcnt vmcnt(0)
	ds_store_b64 v3, v[0:1]
.LBB109_285:
	s_or_b32 exec_lo, exec_lo, s0
	s_waitcnt lgkmcnt(0)
	s_waitcnt_vscnt null, 0x0
	s_barrier
	buffer_gl0_inv
	s_clause 0x4
	scratch_load_b128 v[0:3], off, off
	scratch_load_b128 v[98:101], off, off offset:16
	scratch_load_b128 v[102:105], off, off offset:32
	;; [unrolled: 1-line block ×4, first 2 shown]
	v_mov_b32_e32 v122, 0
	ds_load_2addr_b64 v[114:117], v122 offset0:47 offset1:48
	ds_load_2addr_b64 v[118:121], v122 offset0:49 offset1:50
	s_and_b32 vcc_lo, exec_lo, s12
	s_waitcnt vmcnt(4) lgkmcnt(1)
	v_fma_f64 v[114:115], v[2:3], v[114:115], 0
	scratch_load_b128 v[2:5], off, off offset:80
	s_waitcnt vmcnt(4)
	v_fma_f64 v[98:99], v[98:99], v[116:117], v[114:115]
	s_waitcnt lgkmcnt(0)
	s_delay_alu instid0(VALU_DEP_1)
	v_fma_f64 v[114:115], v[100:101], v[118:119], v[98:99]
	scratch_load_b128 v[98:101], off, off offset:96
	s_waitcnt vmcnt(4)
	v_fma_f64 v[102:103], v[102:103], v[120:121], v[114:115]
	ds_load_2addr_b64 v[114:117], v122 offset0:51 offset1:52
	ds_load_2addr_b64 v[118:121], v122 offset0:53 offset1:54
	s_waitcnt lgkmcnt(1)
	v_fma_f64 v[114:115], v[104:105], v[114:115], v[102:103]
	scratch_load_b128 v[102:105], off, off offset:112
	s_waitcnt vmcnt(4)
	v_fma_f64 v[106:107], v[106:107], v[116:117], v[114:115]
	s_waitcnt lgkmcnt(0)
	s_delay_alu instid0(VALU_DEP_1)
	v_fma_f64 v[114:115], v[108:109], v[118:119], v[106:107]
	scratch_load_b128 v[106:109], off, off offset:128
	s_waitcnt vmcnt(4)
	v_fma_f64 v[110:111], v[110:111], v[120:121], v[114:115]
	ds_load_2addr_b64 v[114:117], v122 offset0:55 offset1:56
	ds_load_2addr_b64 v[118:121], v122 offset0:57 offset1:58
	s_waitcnt lgkmcnt(1)
	;; [unrolled: 13-line block ×7, first 2 shown]
	v_fma_f64 v[114:115], v[112:113], v[114:115], v[110:111]
	scratch_load_b128 v[110:113], off, off offset:304
	s_waitcnt vmcnt(4)
	v_fma_f64 v[2:3], v[2:3], v[116:117], v[114:115]
	scratch_load_b128 v[114:117], off, off offset:320
	s_waitcnt lgkmcnt(0)
	v_fma_f64 v[2:3], v[4:5], v[118:119], v[2:3]
	s_waitcnt vmcnt(4)
	s_delay_alu instid0(VALU_DEP_1)
	v_fma_f64 v[98:99], v[98:99], v[120:121], v[2:3]
	ds_load_2addr_b64 v[2:5], v122 offset0:79 offset1:80
	ds_load_2addr_b64 v[118:121], v122 offset0:81 offset1:82
	s_waitcnt lgkmcnt(1)
	v_fma_f64 v[2:3], v[100:101], v[2:3], v[98:99]
	scratch_load_b128 v[98:101], off, off offset:336
	s_waitcnt vmcnt(4)
	v_fma_f64 v[2:3], v[102:103], v[4:5], v[2:3]
	s_waitcnt lgkmcnt(0)
	s_delay_alu instid0(VALU_DEP_1)
	v_fma_f64 v[102:103], v[104:105], v[118:119], v[2:3]
	scratch_load_b128 v[2:5], off, off offset:352
	s_waitcnt vmcnt(4)
	v_fma_f64 v[106:107], v[106:107], v[120:121], v[102:103]
	ds_load_2addr_b64 v[102:105], v122 offset0:83 offset1:84
	ds_load_2addr_b64 v[118:121], v122 offset0:85 offset1:86
	s_waitcnt lgkmcnt(1)
	v_fma_f64 v[102:103], v[108:109], v[102:103], v[106:107]
	s_waitcnt vmcnt(3)
	s_delay_alu instid0(VALU_DEP_1) | instskip(SKIP_1) | instid1(VALU_DEP_1)
	v_fma_f64 v[102:103], v[110:111], v[104:105], v[102:103]
	s_waitcnt lgkmcnt(0)
	v_fma_f64 v[102:103], v[112:113], v[118:119], v[102:103]
	s_waitcnt vmcnt(2)
	s_delay_alu instid0(VALU_DEP_1)
	v_fma_f64 v[110:111], v[114:115], v[120:121], v[102:103]
	ds_load_2addr_b64 v[102:105], v122 offset0:87 offset1:88
	ds_load_2addr_b64 v[106:109], v122 offset0:89 offset1:90
	s_waitcnt lgkmcnt(1)
	v_fma_f64 v[102:103], v[116:117], v[102:103], v[110:111]
	s_waitcnt vmcnt(1)
	s_delay_alu instid0(VALU_DEP_1) | instskip(SKIP_1) | instid1(VALU_DEP_1)
	v_fma_f64 v[98:99], v[98:99], v[104:105], v[102:103]
	s_waitcnt lgkmcnt(0)
	v_fma_f64 v[98:99], v[100:101], v[106:107], v[98:99]
	ds_load_b64 v[100:101], v122 offset:728
	s_waitcnt vmcnt(0)
	v_fma_f64 v[98:99], v[2:3], v[108:109], v[98:99]
	s_waitcnt lgkmcnt(0)
	s_delay_alu instid0(VALU_DEP_1) | instskip(NEXT) | instid1(VALU_DEP_1)
	v_fma_f64 v[4:5], v[4:5], v[100:101], v[98:99]
	v_add_f64 v[0:1], v[0:1], -v[4:5]
	scratch_store_b64 off, v[0:1], off
	s_cbranch_vccz .LBB109_377
; %bb.286:
	v_dual_mov_b32 v0, s2 :: v_dual_mov_b32 v1, s3
	s_mov_b32 s0, exec_lo
	flat_load_b32 v0, v[0:1] offset:176
	s_waitcnt vmcnt(0) lgkmcnt(0)
	v_cmpx_ne_u32_e32 45, v0
	s_cbranch_execz .LBB109_288
; %bb.287:
	v_lshl_add_u32 v4, v0, 3, 0
	scratch_load_b64 v[0:1], v4, off offset:-8
	s_waitcnt vmcnt(0)
	scratch_store_b64 off, v[0:1], off offset:352
	scratch_store_b64 v4, v[2:3], off offset:-8
.LBB109_288:
	s_or_b32 exec_lo, exec_lo, s0
	v_dual_mov_b32 v0, s2 :: v_dual_mov_b32 v1, s3
	s_mov_b32 s0, exec_lo
	flat_load_b32 v0, v[0:1] offset:172
	s_waitcnt vmcnt(0) lgkmcnt(0)
	v_cmpx_ne_u32_e32 44, v0
	s_cbranch_execz .LBB109_290
; %bb.289:
	v_lshl_add_u32 v4, v0, 3, 0
	scratch_load_b64 v[0:1], v4, off offset:-8
	scratch_load_b64 v[2:3], off, off offset:344
	s_waitcnt vmcnt(1)
	scratch_store_b64 off, v[0:1], off offset:344
	s_waitcnt vmcnt(0)
	scratch_store_b64 v4, v[2:3], off offset:-8
.LBB109_290:
	s_or_b32 exec_lo, exec_lo, s0
	v_dual_mov_b32 v0, s2 :: v_dual_mov_b32 v1, s3
	s_mov_b32 s0, exec_lo
	flat_load_b32 v0, v[0:1] offset:168
	s_waitcnt vmcnt(0) lgkmcnt(0)
	v_cmpx_ne_u32_e32 43, v0
	s_cbranch_execz .LBB109_292
; %bb.291:
	v_lshl_add_u32 v4, v0, 3, 0
	scratch_load_b64 v[0:1], v4, off offset:-8
	scratch_load_b64 v[2:3], off, off offset:336
	s_waitcnt vmcnt(1)
	scratch_store_b64 off, v[0:1], off offset:336
	s_waitcnt vmcnt(0)
	scratch_store_b64 v4, v[2:3], off offset:-8
.LBB109_292:
	;; [unrolled: 16-line block ×43, first 2 shown]
	s_or_b32 exec_lo, exec_lo, s0
	v_dual_mov_b32 v0, s2 :: v_dual_mov_b32 v1, s3
	s_mov_b32 s0, exec_lo
	flat_load_b32 v2, v[0:1]
	scratch_load_b64 v[0:1], off, off
	s_waitcnt vmcnt(1) lgkmcnt(0)
	v_cmpx_ne_u32_e32 1, v2
	s_cbranch_execz .LBB109_376
; %bb.375:
	v_lshl_add_u32 v4, v2, 3, 0
	scratch_load_b64 v[2:3], v4, off offset:-8
	s_waitcnt vmcnt(0)
	scratch_store_b64 off, v[2:3], off
	scratch_store_b64 v4, v[0:1], off offset:-8
	scratch_load_b64 v[0:1], off, off
.LBB109_376:
	s_or_b32 exec_lo, exec_lo, s0
.LBB109_377:
	s_clause 0xa
	scratch_load_b128 v[2:5], off, off offset:8
	scratch_load_b128 v[98:101], off, off offset:24
	scratch_load_b128 v[102:105], off, off offset:40
	scratch_load_b128 v[106:109], off, off offset:56
	scratch_load_b128 v[110:113], off, off offset:72
	scratch_load_b128 v[114:117], off, off offset:88
	scratch_load_b128 v[118:121], off, off offset:104
	scratch_load_b128 v[122:125], off, off offset:120
	scratch_load_b128 v[126:129], off, off offset:136
	scratch_load_b128 v[130:133], off, off offset:152
	scratch_load_b128 v[134:137], off, off offset:168
	s_waitcnt vmcnt(11)
	global_store_b64 v[24:25], v[0:1], off
	s_clause 0x1
	scratch_load_b128 v[138:141], off, off offset:184
	scratch_load_b128 v[142:145], off, off offset:216
	s_waitcnt vmcnt(12)
	s_clause 0x1
	global_store_b64 v[14:15], v[2:3], off
	global_store_b64 v[10:11], v[4:5], off
	s_waitcnt vmcnt(11)
	global_store_b64 v[6:7], v[98:99], off
	scratch_load_b128 v[4:7], off, off offset:232
	global_store_b64 v[34:35], v[100:101], off
	s_waitcnt vmcnt(11)
	s_clause 0x1
	global_store_b64 v[32:33], v[102:103], off
	global_store_b64 v[26:27], v[104:105], off
	s_waitcnt vmcnt(10)
	s_clause 0x1
	global_store_b64 v[28:29], v[106:107], off
	;; [unrolled: 4-line block ×3, first 2 shown]
	global_store_b64 v[16:17], v[112:113], off
	s_clause 0x8
	scratch_load_b128 v[0:3], off, off offset:200
	scratch_load_b128 v[98:101], off, off offset:248
	;; [unrolled: 1-line block ×8, first 2 shown]
	scratch_load_b64 v[10:11], off, off offset:360
	s_waitcnt vmcnt(17)
	s_clause 0x1
	global_store_b64 v[8:9], v[114:115], off
	global_store_b64 v[12:13], v[116:117], off
	s_waitcnt vmcnt(16)
	s_clause 0x1
	global_store_b64 v[22:23], v[118:119], off
	global_store_b64 v[30:31], v[120:121], off
	;; [unrolled: 4-line block ×8, first 2 shown]
	global_store_b64 v[62:63], v[142:143], off
	global_store_b64 v[64:65], v[144:145], off
	;; [unrolled: 1-line block ×4, first 2 shown]
	s_waitcnt vmcnt(7)
	s_clause 0x1
	global_store_b64 v[70:71], v[98:99], off
	global_store_b64 v[72:73], v[100:101], off
	s_waitcnt vmcnt(6)
	s_clause 0x1
	global_store_b64 v[74:75], v[32:33], off
	global_store_b64 v[76:77], v[34:35], off
	;; [unrolled: 4-line block ×7, first 2 shown]
	s_waitcnt vmcnt(0)
	global_store_b64 v[42:43], v[10:11], off
	s_endpgm
	.section	.rodata,"a",@progbits
	.p2align	6, 0x0
	.amdhsa_kernel _ZN9rocsolver6v33100L18getri_kernel_smallILi46EdPKPdEEvT1_iilPiilS6_bb
		.amdhsa_group_segment_fixed_size 744
		.amdhsa_private_segment_fixed_size 384
		.amdhsa_kernarg_size 60
		.amdhsa_user_sgpr_count 15
		.amdhsa_user_sgpr_dispatch_ptr 0
		.amdhsa_user_sgpr_queue_ptr 0
		.amdhsa_user_sgpr_kernarg_segment_ptr 1
		.amdhsa_user_sgpr_dispatch_id 0
		.amdhsa_user_sgpr_private_segment_size 0
		.amdhsa_wavefront_size32 1
		.amdhsa_uses_dynamic_stack 0
		.amdhsa_enable_private_segment 1
		.amdhsa_system_sgpr_workgroup_id_x 1
		.amdhsa_system_sgpr_workgroup_id_y 0
		.amdhsa_system_sgpr_workgroup_id_z 0
		.amdhsa_system_sgpr_workgroup_info 0
		.amdhsa_system_vgpr_workitem_id 0
		.amdhsa_next_free_vgpr 146
		.amdhsa_next_free_sgpr 17
		.amdhsa_reserve_vcc 1
		.amdhsa_float_round_mode_32 0
		.amdhsa_float_round_mode_16_64 0
		.amdhsa_float_denorm_mode_32 3
		.amdhsa_float_denorm_mode_16_64 3
		.amdhsa_dx10_clamp 1
		.amdhsa_ieee_mode 1
		.amdhsa_fp16_overflow 0
		.amdhsa_workgroup_processor_mode 1
		.amdhsa_memory_ordered 1
		.amdhsa_forward_progress 0
		.amdhsa_shared_vgpr_count 0
		.amdhsa_exception_fp_ieee_invalid_op 0
		.amdhsa_exception_fp_denorm_src 0
		.amdhsa_exception_fp_ieee_div_zero 0
		.amdhsa_exception_fp_ieee_overflow 0
		.amdhsa_exception_fp_ieee_underflow 0
		.amdhsa_exception_fp_ieee_inexact 0
		.amdhsa_exception_int_div_zero 0
	.end_amdhsa_kernel
	.section	.text._ZN9rocsolver6v33100L18getri_kernel_smallILi46EdPKPdEEvT1_iilPiilS6_bb,"axG",@progbits,_ZN9rocsolver6v33100L18getri_kernel_smallILi46EdPKPdEEvT1_iilPiilS6_bb,comdat
.Lfunc_end109:
	.size	_ZN9rocsolver6v33100L18getri_kernel_smallILi46EdPKPdEEvT1_iilPiilS6_bb, .Lfunc_end109-_ZN9rocsolver6v33100L18getri_kernel_smallILi46EdPKPdEEvT1_iilPiilS6_bb
                                        ; -- End function
	.section	.AMDGPU.csdata,"",@progbits
; Kernel info:
; codeLenInByte = 42464
; NumSgprs: 19
; NumVgprs: 146
; ScratchSize: 384
; MemoryBound: 0
; FloatMode: 240
; IeeeMode: 1
; LDSByteSize: 744 bytes/workgroup (compile time only)
; SGPRBlocks: 2
; VGPRBlocks: 18
; NumSGPRsForWavesPerEU: 19
; NumVGPRsForWavesPerEU: 146
; Occupancy: 9
; WaveLimiterHint : 1
; COMPUTE_PGM_RSRC2:SCRATCH_EN: 1
; COMPUTE_PGM_RSRC2:USER_SGPR: 15
; COMPUTE_PGM_RSRC2:TRAP_HANDLER: 0
; COMPUTE_PGM_RSRC2:TGID_X_EN: 1
; COMPUTE_PGM_RSRC2:TGID_Y_EN: 0
; COMPUTE_PGM_RSRC2:TGID_Z_EN: 0
; COMPUTE_PGM_RSRC2:TIDIG_COMP_CNT: 0
	.section	.text._ZN9rocsolver6v33100L18getri_kernel_smallILi47EdPKPdEEvT1_iilPiilS6_bb,"axG",@progbits,_ZN9rocsolver6v33100L18getri_kernel_smallILi47EdPKPdEEvT1_iilPiilS6_bb,comdat
	.globl	_ZN9rocsolver6v33100L18getri_kernel_smallILi47EdPKPdEEvT1_iilPiilS6_bb ; -- Begin function _ZN9rocsolver6v33100L18getri_kernel_smallILi47EdPKPdEEvT1_iilPiilS6_bb
	.p2align	8
	.type	_ZN9rocsolver6v33100L18getri_kernel_smallILi47EdPKPdEEvT1_iilPiilS6_bb,@function
_ZN9rocsolver6v33100L18getri_kernel_smallILi47EdPKPdEEvT1_iilPiilS6_bb: ; @_ZN9rocsolver6v33100L18getri_kernel_smallILi47EdPKPdEEvT1_iilPiilS6_bb
; %bb.0:
	s_mov_b32 s2, exec_lo
	v_cmpx_gt_u32_e32 47, v0
	s_cbranch_execz .LBB110_198
; %bb.1:
	s_clause 0x1
	s_load_b32 s13, s[0:1], 0x38
	s_load_b64 s[2:3], s[0:1], 0x0
	s_mov_b32 s8, s15
	s_load_b128 s[4:7], s[0:1], 0x28
	s_waitcnt lgkmcnt(0)
	s_bitcmp1_b32 s13, 8
	s_cselect_b32 s12, -1, 0
	s_ashr_i32 s9, s15, 31
	s_delay_alu instid0(SALU_CYCLE_1) | instskip(NEXT) | instid1(SALU_CYCLE_1)
	s_lshl_b64 s[10:11], s[8:9], 3
	s_add_u32 s2, s2, s10
	s_addc_u32 s3, s3, s11
	s_load_b64 s[10:11], s[2:3], 0x0
	s_bfe_u32 s2, s13, 0x10008
	s_delay_alu instid0(SALU_CYCLE_1)
	s_cmp_eq_u32 s2, 0
                                        ; implicit-def: $sgpr2_sgpr3
	s_cbranch_scc1 .LBB110_3
; %bb.2:
	s_clause 0x1
	s_load_b32 s2, s[0:1], 0x20
	s_load_b64 s[14:15], s[0:1], 0x18
	s_mul_i32 s3, s8, s5
	s_mul_hi_u32 s5, s8, s4
	s_mul_i32 s16, s9, s4
	s_add_i32 s3, s5, s3
	s_mul_i32 s4, s8, s4
	s_add_i32 s5, s3, s16
	s_delay_alu instid0(SALU_CYCLE_1)
	s_lshl_b64 s[4:5], s[4:5], 2
	s_waitcnt lgkmcnt(0)
	s_ashr_i32 s3, s2, 31
	s_add_u32 s4, s14, s4
	s_addc_u32 s5, s15, s5
	s_lshl_b64 s[2:3], s[2:3], 2
	s_delay_alu instid0(SALU_CYCLE_1)
	s_add_u32 s2, s4, s2
	s_addc_u32 s3, s5, s3
.LBB110_3:
	s_load_b64 s[0:1], s[0:1], 0x8
	v_lshlrev_b32_e32 v3, 3, v0
	s_waitcnt lgkmcnt(0)
	s_ashr_i32 s5, s0, 31
	s_mov_b32 s4, s0
	v_add3_u32 v1, s1, s1, v0
	s_lshl_b64 s[4:5], s[4:5], 3
	s_mov_b32 s14, s1
	s_add_u32 s4, s10, s4
	s_addc_u32 s5, s11, s5
	v_add_nc_u32_e32 v4, s1, v1
	v_add_co_u32 v30, s0, s4, v3
	s_ashr_i32 s15, s1, 31
	v_add_co_ci_u32_e64 v31, null, s5, 0, s0
	s_lshl_b64 s[10:11], s[14:15], 3
	v_ashrrev_i32_e32 v2, 31, v1
	v_add_co_u32 v10, vcc_lo, v30, s10
	v_add_nc_u32_e32 v6, s1, v4
	v_add_co_ci_u32_e32 v11, vcc_lo, s11, v31, vcc_lo
	v_ashrrev_i32_e32 v5, 31, v4
	v_lshlrev_b64 v[1:2], 3, v[1:2]
	s_delay_alu instid0(VALU_DEP_4)
	v_add_nc_u32_e32 v14, s1, v6
	s_clause 0x1
	global_load_b64 v[52:53], v3, s[4:5]
	global_load_b64 v[54:55], v[10:11], off
	v_lshlrev_b64 v[4:5], 3, v[4:5]
	v_ashrrev_i32_e32 v7, 31, v6
	v_add_co_u32 v18, vcc_lo, s4, v1
	v_ashrrev_i32_e32 v15, 31, v14
	v_add_co_ci_u32_e32 v19, vcc_lo, s5, v2, vcc_lo
	s_delay_alu instid0(VALU_DEP_4) | instskip(SKIP_3) | instid1(VALU_DEP_4)
	v_lshlrev_b64 v[1:2], 3, v[6:7]
	v_add_co_u32 v8, vcc_lo, s4, v4
	v_add_co_ci_u32_e32 v9, vcc_lo, s5, v5, vcc_lo
	v_lshlrev_b64 v[4:5], 3, v[14:15]
	v_add_co_u32 v12, vcc_lo, s4, v1
	v_add_co_ci_u32_e32 v13, vcc_lo, s5, v2, vcc_lo
	v_add_nc_u32_e32 v1, s1, v14
	s_delay_alu instid0(VALU_DEP_4)
	v_add_co_u32 v6, vcc_lo, s4, v4
	v_add_co_ci_u32_e32 v7, vcc_lo, s5, v5, vcc_lo
	s_clause 0x3
	global_load_b64 v[60:61], v[18:19], off
	global_load_b64 v[62:63], v[8:9], off
	;; [unrolled: 1-line block ×4, first 2 shown]
	v_add_nc_u32_e32 v4, s1, v1
	v_ashrrev_i32_e32 v2, 31, v1
	s_bitcmp0_b32 s13, 0
	s_delay_alu instid0(VALU_DEP_2) | instskip(SKIP_1) | instid1(VALU_DEP_3)
	v_add_nc_u32_e32 v14, s1, v4
	v_ashrrev_i32_e32 v5, 31, v4
	v_lshlrev_b64 v[1:2], 3, v[1:2]
	s_delay_alu instid0(VALU_DEP_3) | instskip(NEXT) | instid1(VALU_DEP_3)
	v_add_nc_u32_e32 v16, s1, v14
	v_lshlrev_b64 v[4:5], 3, v[4:5]
	v_ashrrev_i32_e32 v15, 31, v14
	s_delay_alu instid0(VALU_DEP_4) | instskip(NEXT) | instid1(VALU_DEP_4)
	v_add_co_u32 v34, vcc_lo, s4, v1
	v_add_nc_u32_e32 v20, s1, v16
	v_ashrrev_i32_e32 v17, 31, v16
	v_add_co_ci_u32_e32 v35, vcc_lo, s5, v2, vcc_lo
	v_lshlrev_b64 v[1:2], 3, v[14:15]
	s_delay_alu instid0(VALU_DEP_4) | instskip(SKIP_2) | instid1(VALU_DEP_3)
	v_add_nc_u32_e32 v22, s1, v20
	v_add_co_u32 v24, vcc_lo, s4, v4
	v_add_co_ci_u32_e32 v25, vcc_lo, s5, v5, vcc_lo
	v_add_nc_u32_e32 v28, s1, v22
	v_lshlrev_b64 v[4:5], 3, v[16:17]
	v_ashrrev_i32_e32 v21, 31, v20
	v_add_co_u32 v32, vcc_lo, s4, v1
	s_delay_alu instid0(VALU_DEP_4) | instskip(SKIP_3) | instid1(VALU_DEP_4)
	v_add_nc_u32_e32 v36, s1, v28
	v_ashrrev_i32_e32 v23, 31, v22
	v_add_co_ci_u32_e32 v33, vcc_lo, s5, v2, vcc_lo
	v_lshlrev_b64 v[1:2], 3, v[20:21]
	v_add_nc_u32_e32 v38, s1, v36
	v_add_co_u32 v16, vcc_lo, s4, v4
	v_add_co_ci_u32_e32 v17, vcc_lo, s5, v5, vcc_lo
	s_delay_alu instid0(VALU_DEP_3) | instskip(SKIP_3) | instid1(VALU_DEP_4)
	v_add_nc_u32_e32 v40, s1, v38
	v_lshlrev_b64 v[4:5], 3, v[22:23]
	v_ashrrev_i32_e32 v29, 31, v28
	v_add_co_u32 v26, vcc_lo, s4, v1
	v_add_nc_u32_e32 v42, s1, v40
	v_ashrrev_i32_e32 v37, 31, v36
	v_add_co_ci_u32_e32 v27, vcc_lo, s5, v2, vcc_lo
	v_lshlrev_b64 v[1:2], 3, v[28:29]
	s_delay_alu instid0(VALU_DEP_4) | instskip(SKIP_2) | instid1(VALU_DEP_3)
	v_add_nc_u32_e32 v44, s1, v42
	v_add_co_u32 v14, vcc_lo, s4, v4
	v_add_co_ci_u32_e32 v15, vcc_lo, s5, v5, vcc_lo
	v_add_nc_u32_e32 v46, s1, v44
	v_lshlrev_b64 v[4:5], 3, v[36:37]
	v_ashrrev_i32_e32 v39, 31, v38
	v_add_co_u32 v22, vcc_lo, s4, v1
	s_delay_alu instid0(VALU_DEP_4) | instskip(SKIP_3) | instid1(VALU_DEP_4)
	v_add_nc_u32_e32 v48, s1, v46
	v_ashrrev_i32_e32 v41, 31, v40
	v_add_co_ci_u32_e32 v23, vcc_lo, s5, v2, vcc_lo
	v_lshlrev_b64 v[1:2], 3, v[38:39]
	v_add_nc_u32_e32 v50, s1, v48
	v_add_co_u32 v20, vcc_lo, s4, v4
	v_add_co_ci_u32_e32 v21, vcc_lo, s5, v5, vcc_lo
	s_delay_alu instid0(VALU_DEP_3) | instskip(SKIP_3) | instid1(VALU_DEP_4)
	v_add_nc_u32_e32 v56, s1, v50
	v_lshlrev_b64 v[4:5], 3, v[40:41]
	v_ashrrev_i32_e32 v43, 31, v42
	v_add_co_u32 v28, vcc_lo, s4, v1
	v_add_nc_u32_e32 v58, s1, v56
	v_ashrrev_i32_e32 v45, 31, v44
	v_add_co_ci_u32_e32 v29, vcc_lo, s5, v2, vcc_lo
	v_lshlrev_b64 v[1:2], 3, v[42:43]
	s_delay_alu instid0(VALU_DEP_4)
	v_add_nc_u32_e32 v100, s1, v58
	s_clause 0x2
	global_load_b64 v[68:69], v[34:35], off
	global_load_b64 v[70:71], v[24:25], off
	;; [unrolled: 1-line block ×3, first 2 shown]
	v_add_co_u32 v36, vcc_lo, s4, v4
	global_load_b64 v[74:75], v[16:17], off
	v_add_nc_u32_e32 v102, s1, v100
	v_add_co_ci_u32_e32 v37, vcc_lo, s5, v5, vcc_lo
	v_lshlrev_b64 v[4:5], 3, v[44:45]
	v_add_co_u32 v38, vcc_lo, s4, v1
	s_delay_alu instid0(VALU_DEP_4) | instskip(SKIP_3) | instid1(VALU_DEP_4)
	v_add_nc_u32_e32 v104, s1, v102
	v_ashrrev_i32_e32 v47, 31, v46
	v_add_co_ci_u32_e32 v39, vcc_lo, s5, v2, vcc_lo
	v_ashrrev_i32_e32 v49, 31, v48
	v_add_nc_u32_e32 v108, s1, v104
	v_add_co_u32 v40, vcc_lo, s4, v4
	s_clause 0x2
	global_load_b64 v[76:77], v[26:27], off
	global_load_b64 v[78:79], v[14:15], off
	;; [unrolled: 1-line block ×3, first 2 shown]
	v_lshlrev_b64 v[1:2], 3, v[46:47]
	v_add_nc_u32_e32 v110, s1, v108
	global_load_b64 v[82:83], v[20:21], off
	v_lshlrev_b64 v[42:43], 3, v[48:49]
	v_ashrrev_i32_e32 v51, 31, v50
	v_add_co_ci_u32_e32 v41, vcc_lo, s5, v5, vcc_lo
	v_add_nc_u32_e32 v112, s1, v110
	v_add_co_u32 v44, vcc_lo, s4, v1
	v_add_co_ci_u32_e32 v45, vcc_lo, s5, v2, vcc_lo
	s_delay_alu instid0(VALU_DEP_3) | instskip(SKIP_3) | instid1(VALU_DEP_4)
	v_add_nc_u32_e32 v114, s1, v112
	v_lshlrev_b64 v[1:2], 3, v[50:51]
	v_ashrrev_i32_e32 v57, 31, v56
	v_add_co_u32 v46, vcc_lo, s4, v42
	v_add_nc_u32_e32 v116, s1, v114
	v_add_co_ci_u32_e32 v47, vcc_lo, s5, v43, vcc_lo
	s_clause 0x3
	global_load_b64 v[84:85], v[28:29], off
	global_load_b64 v[86:87], v[36:37], off
	;; [unrolled: 1-line block ×4, first 2 shown]
	v_add_nc_u32_e32 v118, s1, v116
	v_lshlrev_b64 v[50:51], 3, v[56:57]
	v_ashrrev_i32_e32 v59, 31, v58
	v_ashrrev_i32_e32 v101, 31, v100
	;; [unrolled: 1-line block ×3, first 2 shown]
	v_add_nc_u32_e32 v120, s1, v118
	v_ashrrev_i32_e32 v105, 31, v104
	v_ashrrev_i32_e32 v109, 31, v108
	;; [unrolled: 1-line block ×3, first 2 shown]
	v_lshlrev_b64 v[56:57], 3, v[102:103]
	v_add_nc_u32_e32 v122, s1, v120
	v_ashrrev_i32_e32 v113, 31, v112
	v_ashrrev_i32_e32 v115, 31, v114
	;; [unrolled: 1-line block ×4, first 2 shown]
	v_add_nc_u32_e32 v124, s1, v122
	v_ashrrev_i32_e32 v121, 31, v120
	v_ashrrev_i32_e32 v123, 31, v122
	s_delay_alu instid0(VALU_DEP_3) | instskip(SKIP_1) | instid1(VALU_DEP_2)
	v_add_nc_u32_e32 v126, s1, v124
	v_ashrrev_i32_e32 v125, 31, v124
	v_add_nc_u32_e32 v128, s1, v126
	v_ashrrev_i32_e32 v127, 31, v126
	s_delay_alu instid0(VALU_DEP_2) | instskip(SKIP_1) | instid1(VALU_DEP_2)
	v_add_nc_u32_e32 v130, s1, v128
	v_ashrrev_i32_e32 v129, 31, v128
	v_add_nc_u32_e32 v132, s1, v130
	v_ashrrev_i32_e32 v131, 31, v130
	s_delay_alu instid0(VALU_DEP_2) | instskip(SKIP_1) | instid1(VALU_DEP_2)
	;; [unrolled: 5-line block ×5, first 2 shown]
	v_add_nc_u32_e32 v4, s1, v144
	v_ashrrev_i32_e32 v145, 31, v144
	v_add_nc_u32_e32 v48, s1, v4
	v_ashrrev_i32_e32 v5, 31, v4
	s_mov_b32 s1, -1
	s_delay_alu instid0(VALU_DEP_2) | instskip(NEXT) | instid1(VALU_DEP_2)
	v_ashrrev_i32_e32 v49, 31, v48
	v_lshlrev_b64 v[4:5], 3, v[4:5]
	s_delay_alu instid0(VALU_DEP_2) | instskip(SKIP_2) | instid1(VALU_DEP_3)
	v_lshlrev_b64 v[42:43], 3, v[48:49]
	v_add_co_u32 v48, vcc_lo, s4, v1
	v_add_co_ci_u32_e32 v49, vcc_lo, s5, v2, vcc_lo
	v_add_co_u32 v42, vcc_lo, s4, v42
	s_delay_alu instid0(VALU_DEP_4)
	v_add_co_ci_u32_e32 v43, vcc_lo, s5, v43, vcc_lo
	v_add_co_u32 v50, vcc_lo, s4, v50
	v_add_co_ci_u32_e32 v51, vcc_lo, s5, v51, vcc_lo
	global_load_b64 v[1:2], v[42:43], off
	s_waitcnt vmcnt(17)
	scratch_store_b128 off, v[52:55], off
	v_lshlrev_b64 v[52:53], 3, v[58:59]
	v_lshlrev_b64 v[54:55], 3, v[100:101]
	s_clause 0x3
	global_load_b64 v[92:93], v[44:45], off
	global_load_b64 v[94:95], v[46:47], off
	;; [unrolled: 1-line block ×4, first 2 shown]
	v_lshlrev_b64 v[58:59], 3, v[104:105]
	s_waitcnt vmcnt(19)
	scratch_store_b128 off, v[60:63], off offset:16
	s_waitcnt vmcnt(17)
	scratch_store_b128 off, v[64:67], off offset:32
	v_add_co_u32 v52, vcc_lo, s4, v52
	v_add_co_ci_u32_e32 v53, vcc_lo, s5, v53, vcc_lo
	v_add_co_u32 v54, vcc_lo, s4, v54
	v_add_co_ci_u32_e32 v55, vcc_lo, s5, v55, vcc_lo
	;; [unrolled: 2-line block ×4, first 2 shown]
	s_clause 0x3
	global_load_b64 v[100:101], v[52:53], off
	global_load_b64 v[102:103], v[54:55], off
	;; [unrolled: 1-line block ×4, first 2 shown]
	v_lshlrev_b64 v[60:61], 3, v[108:109]
	v_lshlrev_b64 v[62:63], 3, v[110:111]
	;; [unrolled: 1-line block ×5, first 2 shown]
	s_waitcnt vmcnt(19)
	scratch_store_b128 off, v[68:71], off offset:48
	s_waitcnt vmcnt(17)
	scratch_store_b128 off, v[72:75], off offset:64
	v_add_co_u32 v60, vcc_lo, s4, v60
	v_add_co_ci_u32_e32 v61, vcc_lo, s5, v61, vcc_lo
	v_add_co_u32 v62, vcc_lo, s4, v62
	v_add_co_ci_u32_e32 v63, vcc_lo, s5, v63, vcc_lo
	v_add_co_u32 v64, vcc_lo, s4, v64
	v_add_co_ci_u32_e32 v65, vcc_lo, s5, v65, vcc_lo
	v_add_co_u32 v66, vcc_lo, s4, v66
	v_lshlrev_b64 v[70:71], 3, v[118:119]
	v_add_co_ci_u32_e32 v67, vcc_lo, s5, v67, vcc_lo
	v_add_co_u32 v68, vcc_lo, s4, v114
	v_lshlrev_b64 v[72:73], 3, v[120:121]
	v_add_co_ci_u32_e32 v69, vcc_lo, s5, v115, vcc_lo
	;; [unrolled: 3-line block ×4, first 2 shown]
	s_clause 0x2
	global_load_b64 v[108:109], v[60:61], off
	global_load_b64 v[110:111], v[62:63], off
	;; [unrolled: 1-line block ×3, first 2 shown]
	s_waitcnt vmcnt(18)
	scratch_store_b128 off, v[76:79], off offset:80
	s_waitcnt vmcnt(16)
	scratch_store_b128 off, v[80:83], off offset:96
	v_add_co_u32 v74, vcc_lo, s4, v74
	v_lshlrev_b64 v[78:79], 3, v[126:127]
	v_add_co_ci_u32_e32 v75, vcc_lo, s5, v75, vcc_lo
	v_add_co_u32 v76, vcc_lo, s4, v122
	v_lshlrev_b64 v[80:81], 3, v[128:129]
	v_add_co_ci_u32_e32 v77, vcc_lo, s5, v123, vcc_lo
	;; [unrolled: 3-line block ×4, first 2 shown]
	s_clause 0x3
	global_load_b64 v[114:115], v[66:67], off
	global_load_b64 v[116:117], v[68:69], off
	;; [unrolled: 1-line block ×4, first 2 shown]
	s_waitcnt vmcnt(18)
	scratch_store_b128 off, v[84:87], off offset:112
	s_waitcnt vmcnt(16)
	scratch_store_b128 off, v[88:91], off offset:128
	v_add_co_u32 v82, vcc_lo, s4, v82
	v_lshlrev_b64 v[86:87], 3, v[134:135]
	v_add_co_ci_u32_e32 v83, vcc_lo, s5, v83, vcc_lo
	v_add_co_u32 v84, vcc_lo, s4, v130
	v_lshlrev_b64 v[88:89], 3, v[136:137]
	v_add_co_ci_u32_e32 v85, vcc_lo, s5, v131, vcc_lo
	;; [unrolled: 3-line block ×4, first 2 shown]
	s_clause 0x3
	global_load_b64 v[122:123], v[74:75], off
	global_load_b64 v[124:125], v[76:77], off
	;; [unrolled: 1-line block ×4, first 2 shown]
	v_add_co_u32 v90, vcc_lo, s4, v90
	v_add_co_ci_u32_e32 v91, vcc_lo, s5, v91, vcc_lo
	s_waitcnt vmcnt(17)
	scratch_store_b128 off, v[92:95], off offset:144
	s_waitcnt vmcnt(15)
	scratch_store_b128 off, v[96:99], off offset:160
	v_lshlrev_b64 v[94:95], 3, v[142:143]
	v_add_co_u32 v92, vcc_lo, s4, v138
	v_lshlrev_b64 v[98:99], 3, v[144:145]
	v_add_co_ci_u32_e32 v93, vcc_lo, s5, v139, vcc_lo
	s_delay_alu instid0(VALU_DEP_4) | instskip(SKIP_1) | instid1(VALU_DEP_4)
	v_add_co_u32 v96, vcc_lo, s4, v94
	v_add_co_ci_u32_e32 v97, vcc_lo, s5, v95, vcc_lo
	v_add_co_u32 v98, vcc_lo, s4, v98
	v_add_co_ci_u32_e32 v99, vcc_lo, s5, v99, vcc_lo
	v_add_co_u32 v94, vcc_lo, s4, v4
	s_clause 0x3
	global_load_b64 v[130:131], v[82:83], off
	global_load_b64 v[132:133], v[84:85], off
	;; [unrolled: 1-line block ×4, first 2 shown]
	v_add_co_ci_u32_e32 v95, vcc_lo, s5, v5, vcc_lo
	s_waitcnt vmcnt(17)
	scratch_store_b128 off, v[100:103], off offset:176
	s_waitcnt vmcnt(15)
	scratch_store_b128 off, v[104:107], off offset:192
	s_clause 0x4
	global_load_b64 v[138:139], v[90:91], off
	global_load_b64 v[100:101], v[92:93], off
	;; [unrolled: 1-line block ×5, first 2 shown]
	s_waitcnt vmcnt(18)
	scratch_store_b128 off, v[108:111], off offset:208
	s_waitcnt vmcnt(16)
	scratch_store_b128 off, v[112:115], off offset:224
	;; [unrolled: 2-line block ×9, first 2 shown]
	s_waitcnt vmcnt(0)
	s_clause 0x1
	scratch_store_b128 off, v[104:107], off offset:352
	scratch_store_b64 off, v[1:2], off offset:368
	s_cbranch_scc1 .LBB110_196
; %bb.4:
	v_cmp_eq_u32_e64 s0, 0, v0
	s_delay_alu instid0(VALU_DEP_1)
	s_and_saveexec_b32 s1, s0
	s_cbranch_execz .LBB110_6
; %bb.5:
	v_mov_b32_e32 v1, 0
	ds_store_b32 v1, v1 offset:376
.LBB110_6:
	s_or_b32 exec_lo, exec_lo, s1
	s_waitcnt lgkmcnt(0)
	s_waitcnt_vscnt null, 0x0
	s_barrier
	buffer_gl0_inv
	scratch_load_b64 v[1:2], v3, off
	s_mov_b32 s4, exec_lo
	s_waitcnt vmcnt(0)
	v_cmpx_eq_f64_e32 0, v[1:2]
	s_cbranch_execz .LBB110_10
; %bb.7:
	v_mov_b32_e32 v1, 0
	s_mov_b32 s5, 0
	ds_load_b32 v2, v1 offset:376
	s_waitcnt lgkmcnt(0)
	v_readfirstlane_b32 s1, v2
	v_add_nc_u32_e32 v2, 1, v0
	s_delay_alu instid0(VALU_DEP_2) | instskip(NEXT) | instid1(VALU_DEP_1)
	s_cmp_eq_u32 s1, 0
	v_cmp_gt_i32_e32 vcc_lo, s1, v2
	s_cselect_b32 s10, -1, 0
	s_delay_alu instid0(SALU_CYCLE_1) | instskip(NEXT) | instid1(SALU_CYCLE_1)
	s_or_b32 s10, s10, vcc_lo
	s_and_b32 exec_lo, exec_lo, s10
	s_cbranch_execz .LBB110_10
; %bb.8:
	v_mov_b32_e32 v4, s1
.LBB110_9:                              ; =>This Inner Loop Header: Depth=1
	ds_cmpstore_rtn_b32 v4, v1, v2, v4 offset:376
	s_waitcnt lgkmcnt(0)
	v_cmp_ne_u32_e32 vcc_lo, 0, v4
	v_cmp_le_i32_e64 s1, v4, v2
	s_delay_alu instid0(VALU_DEP_1) | instskip(NEXT) | instid1(SALU_CYCLE_1)
	s_and_b32 s1, vcc_lo, s1
	s_and_b32 s1, exec_lo, s1
	s_delay_alu instid0(SALU_CYCLE_1) | instskip(NEXT) | instid1(SALU_CYCLE_1)
	s_or_b32 s5, s1, s5
	s_and_not1_b32 exec_lo, exec_lo, s5
	s_cbranch_execnz .LBB110_9
.LBB110_10:
	s_or_b32 exec_lo, exec_lo, s4
	v_mov_b32_e32 v1, 0
	s_barrier
	buffer_gl0_inv
	ds_load_b32 v2, v1 offset:376
	s_and_saveexec_b32 s1, s0
	s_cbranch_execz .LBB110_12
; %bb.11:
	s_lshl_b64 s[4:5], s[8:9], 2
	s_delay_alu instid0(SALU_CYCLE_1)
	s_add_u32 s4, s6, s4
	s_addc_u32 s5, s7, s5
	s_waitcnt lgkmcnt(0)
	global_store_b32 v1, v2, s[4:5]
.LBB110_12:
	s_or_b32 exec_lo, exec_lo, s1
	s_waitcnt lgkmcnt(0)
	v_cmp_ne_u32_e32 vcc_lo, 0, v2
	s_mov_b32 s1, 0
	s_cbranch_vccnz .LBB110_196
; %bb.13:
	v_add_nc_u32_e32 v4, 0, v3
	v_add_nc_u32_e32 v5, 0x180, v3
	scratch_load_b64 v[1:2], v4, off
	s_waitcnt vmcnt(0)
	v_div_scale_f64 v[100:101], null, v[1:2], v[1:2], 1.0
	v_div_scale_f64 v[106:107], vcc_lo, 1.0, v[1:2], 1.0
	s_delay_alu instid0(VALU_DEP_2) | instskip(SKIP_2) | instid1(VALU_DEP_1)
	v_rcp_f64_e32 v[102:103], v[100:101]
	s_waitcnt_depctr 0xfff
	v_fma_f64 v[104:105], -v[100:101], v[102:103], 1.0
	v_fma_f64 v[102:103], v[102:103], v[104:105], v[102:103]
	s_delay_alu instid0(VALU_DEP_1) | instskip(NEXT) | instid1(VALU_DEP_1)
	v_fma_f64 v[104:105], -v[100:101], v[102:103], 1.0
	v_fma_f64 v[102:103], v[102:103], v[104:105], v[102:103]
	s_delay_alu instid0(VALU_DEP_1) | instskip(NEXT) | instid1(VALU_DEP_1)
	v_mul_f64 v[104:105], v[106:107], v[102:103]
	v_fma_f64 v[100:101], -v[100:101], v[104:105], v[106:107]
	s_delay_alu instid0(VALU_DEP_1) | instskip(NEXT) | instid1(VALU_DEP_1)
	v_div_fmas_f64 v[100:101], v[100:101], v[102:103], v[104:105]
	v_div_fixup_f64 v[1:2], v[100:101], v[1:2], 1.0
	scratch_store_b64 v4, v[1:2], off
	scratch_load_b64 v[100:101], off, off offset:8
	v_xor_b32_e32 v2, 0x80000000, v2
	s_waitcnt vmcnt(0)
	ds_store_2addr_b64 v3, v[1:2], v[100:101] offset1:48
	s_waitcnt lgkmcnt(0)
	s_waitcnt_vscnt null, 0x0
	s_barrier
	buffer_gl0_inv
	s_and_saveexec_b32 s1, s0
	s_cbranch_execz .LBB110_15
; %bb.14:
	scratch_load_b64 v[1:2], v4, off
	ds_load_b64 v[100:101], v5
	s_waitcnt vmcnt(0) lgkmcnt(0)
	v_fma_f64 v[1:2], v[1:2], v[100:101], 0
	v_mov_b32_e32 v100, 0
	ds_load_b64 v[100:101], v100 offset:8
	s_waitcnt lgkmcnt(0)
	v_mul_f64 v[1:2], v[1:2], v[100:101]
	scratch_store_b64 off, v[1:2], off offset:8
.LBB110_15:
	s_or_b32 exec_lo, exec_lo, s1
	s_waitcnt_vscnt null, 0x0
	s_barrier
	buffer_gl0_inv
	scratch_load_b64 v[1:2], off, off offset:16
	s_mov_b32 s1, exec_lo
	s_waitcnt vmcnt(0)
	ds_store_b64 v5, v[1:2]
	s_waitcnt lgkmcnt(0)
	s_barrier
	buffer_gl0_inv
	v_cmpx_gt_u32_e32 2, v0
	s_cbranch_execz .LBB110_19
; %bb.16:
	scratch_load_b64 v[1:2], v4, off
	ds_load_b64 v[100:101], v5
	s_waitcnt vmcnt(0) lgkmcnt(0)
	v_fma_f64 v[1:2], v[1:2], v[100:101], 0
	s_and_saveexec_b32 s4, s0
	s_cbranch_execz .LBB110_18
; %bb.17:
	scratch_load_b64 v[100:101], off, off offset:8
	v_mov_b32_e32 v102, 0
	ds_load_b64 v[102:103], v102 offset:392
	s_waitcnt vmcnt(0) lgkmcnt(0)
	v_fma_f64 v[1:2], v[100:101], v[102:103], v[1:2]
.LBB110_18:
	s_or_b32 exec_lo, exec_lo, s4
	v_mov_b32_e32 v100, 0
	ds_load_b64 v[100:101], v100 offset:16
	s_waitcnt lgkmcnt(0)
	v_mul_f64 v[1:2], v[1:2], v[100:101]
	scratch_store_b64 off, v[1:2], off offset:16
.LBB110_19:
	s_or_b32 exec_lo, exec_lo, s1
	s_waitcnt_vscnt null, 0x0
	s_barrier
	buffer_gl0_inv
	scratch_load_b64 v[1:2], off, off offset:24
	v_add_nc_u32_e32 v100, -1, v0
	s_mov_b32 s0, exec_lo
	s_waitcnt vmcnt(0)
	ds_store_b64 v5, v[1:2]
	s_waitcnt lgkmcnt(0)
	s_barrier
	buffer_gl0_inv
	v_cmpx_gt_u32_e32 3, v0
	s_cbranch_execz .LBB110_23
; %bb.20:
	v_dual_mov_b32 v1, 0 :: v_dual_add_nc_u32 v102, 0x180, v3
	v_dual_mov_b32 v2, 0 :: v_dual_add_nc_u32 v101, -1, v0
	v_add_nc_u32_e32 v103, 0, v3
	s_mov_b32 s1, 0
.LBB110_21:                             ; =>This Inner Loop Header: Depth=1
	scratch_load_b64 v[104:105], v103, off
	ds_load_b64 v[106:107], v102
	v_add_nc_u32_e32 v101, 1, v101
	v_add_nc_u32_e32 v102, 8, v102
	v_add_nc_u32_e32 v103, 8, v103
	s_delay_alu instid0(VALU_DEP_3)
	v_cmp_lt_u32_e32 vcc_lo, 1, v101
	s_or_b32 s1, vcc_lo, s1
	s_waitcnt vmcnt(0) lgkmcnt(0)
	v_fma_f64 v[1:2], v[104:105], v[106:107], v[1:2]
	s_and_not1_b32 exec_lo, exec_lo, s1
	s_cbranch_execnz .LBB110_21
; %bb.22:
	s_or_b32 exec_lo, exec_lo, s1
	v_mov_b32_e32 v101, 0
	ds_load_b64 v[101:102], v101 offset:24
	s_waitcnt lgkmcnt(0)
	v_mul_f64 v[1:2], v[1:2], v[101:102]
	scratch_store_b64 off, v[1:2], off offset:24
.LBB110_23:
	s_or_b32 exec_lo, exec_lo, s0
	s_waitcnt_vscnt null, 0x0
	s_barrier
	buffer_gl0_inv
	scratch_load_b64 v[1:2], off, off offset:32
	s_mov_b32 s0, exec_lo
	s_waitcnt vmcnt(0)
	ds_store_b64 v5, v[1:2]
	s_waitcnt lgkmcnt(0)
	s_barrier
	buffer_gl0_inv
	v_cmpx_gt_u32_e32 4, v0
	s_cbranch_execz .LBB110_27
; %bb.24:
	v_dual_mov_b32 v1, 0 :: v_dual_add_nc_u32 v102, 0x180, v3
	v_dual_mov_b32 v2, 0 :: v_dual_add_nc_u32 v101, -1, v0
	v_add_nc_u32_e32 v103, 0, v3
	s_mov_b32 s1, 0
.LBB110_25:                             ; =>This Inner Loop Header: Depth=1
	scratch_load_b64 v[104:105], v103, off
	ds_load_b64 v[106:107], v102
	v_add_nc_u32_e32 v101, 1, v101
	v_add_nc_u32_e32 v102, 8, v102
	v_add_nc_u32_e32 v103, 8, v103
	s_delay_alu instid0(VALU_DEP_3)
	v_cmp_lt_u32_e32 vcc_lo, 2, v101
	s_or_b32 s1, vcc_lo, s1
	s_waitcnt vmcnt(0) lgkmcnt(0)
	v_fma_f64 v[1:2], v[104:105], v[106:107], v[1:2]
	s_and_not1_b32 exec_lo, exec_lo, s1
	s_cbranch_execnz .LBB110_25
; %bb.26:
	s_or_b32 exec_lo, exec_lo, s1
	v_mov_b32_e32 v101, 0
	ds_load_b64 v[101:102], v101 offset:32
	s_waitcnt lgkmcnt(0)
	v_mul_f64 v[1:2], v[1:2], v[101:102]
	scratch_store_b64 off, v[1:2], off offset:32
.LBB110_27:
	s_or_b32 exec_lo, exec_lo, s0
	s_waitcnt_vscnt null, 0x0
	s_barrier
	buffer_gl0_inv
	scratch_load_b64 v[1:2], off, off offset:40
	s_mov_b32 s0, exec_lo
	s_waitcnt vmcnt(0)
	ds_store_b64 v5, v[1:2]
	s_waitcnt lgkmcnt(0)
	s_barrier
	buffer_gl0_inv
	v_cmpx_gt_u32_e32 5, v0
	s_cbranch_execz .LBB110_31
; %bb.28:
	v_dual_mov_b32 v1, 0 :: v_dual_add_nc_u32 v102, 0x180, v3
	v_dual_mov_b32 v2, 0 :: v_dual_add_nc_u32 v101, -1, v0
	v_add_nc_u32_e32 v103, 0, v3
	s_mov_b32 s1, 0
.LBB110_29:                             ; =>This Inner Loop Header: Depth=1
	scratch_load_b64 v[104:105], v103, off
	ds_load_b64 v[106:107], v102
	v_add_nc_u32_e32 v101, 1, v101
	v_add_nc_u32_e32 v102, 8, v102
	v_add_nc_u32_e32 v103, 8, v103
	s_delay_alu instid0(VALU_DEP_3)
	v_cmp_lt_u32_e32 vcc_lo, 3, v101
	s_or_b32 s1, vcc_lo, s1
	s_waitcnt vmcnt(0) lgkmcnt(0)
	v_fma_f64 v[1:2], v[104:105], v[106:107], v[1:2]
	s_and_not1_b32 exec_lo, exec_lo, s1
	s_cbranch_execnz .LBB110_29
; %bb.30:
	s_or_b32 exec_lo, exec_lo, s1
	v_mov_b32_e32 v101, 0
	ds_load_b64 v[101:102], v101 offset:40
	s_waitcnt lgkmcnt(0)
	v_mul_f64 v[1:2], v[1:2], v[101:102]
	scratch_store_b64 off, v[1:2], off offset:40
.LBB110_31:
	s_or_b32 exec_lo, exec_lo, s0
	s_waitcnt_vscnt null, 0x0
	s_barrier
	buffer_gl0_inv
	scratch_load_b64 v[1:2], off, off offset:48
	s_mov_b32 s0, exec_lo
	s_waitcnt vmcnt(0)
	ds_store_b64 v5, v[1:2]
	s_waitcnt lgkmcnt(0)
	s_barrier
	buffer_gl0_inv
	v_cmpx_gt_u32_e32 6, v0
	s_cbranch_execz .LBB110_35
; %bb.32:
	v_dual_mov_b32 v1, 0 :: v_dual_add_nc_u32 v102, 0x180, v3
	v_dual_mov_b32 v2, 0 :: v_dual_add_nc_u32 v101, -1, v0
	v_add_nc_u32_e32 v103, 0, v3
	s_mov_b32 s1, 0
.LBB110_33:                             ; =>This Inner Loop Header: Depth=1
	scratch_load_b64 v[104:105], v103, off
	ds_load_b64 v[106:107], v102
	v_add_nc_u32_e32 v101, 1, v101
	v_add_nc_u32_e32 v102, 8, v102
	v_add_nc_u32_e32 v103, 8, v103
	s_delay_alu instid0(VALU_DEP_3)
	v_cmp_lt_u32_e32 vcc_lo, 4, v101
	s_or_b32 s1, vcc_lo, s1
	s_waitcnt vmcnt(0) lgkmcnt(0)
	v_fma_f64 v[1:2], v[104:105], v[106:107], v[1:2]
	s_and_not1_b32 exec_lo, exec_lo, s1
	s_cbranch_execnz .LBB110_33
; %bb.34:
	s_or_b32 exec_lo, exec_lo, s1
	v_mov_b32_e32 v101, 0
	ds_load_b64 v[101:102], v101 offset:48
	s_waitcnt lgkmcnt(0)
	v_mul_f64 v[1:2], v[1:2], v[101:102]
	scratch_store_b64 off, v[1:2], off offset:48
.LBB110_35:
	s_or_b32 exec_lo, exec_lo, s0
	s_waitcnt_vscnt null, 0x0
	s_barrier
	buffer_gl0_inv
	scratch_load_b64 v[1:2], off, off offset:56
	s_mov_b32 s0, exec_lo
	s_waitcnt vmcnt(0)
	ds_store_b64 v5, v[1:2]
	s_waitcnt lgkmcnt(0)
	s_barrier
	buffer_gl0_inv
	v_cmpx_gt_u32_e32 7, v0
	s_cbranch_execz .LBB110_39
; %bb.36:
	v_dual_mov_b32 v1, 0 :: v_dual_add_nc_u32 v102, 0x180, v3
	v_dual_mov_b32 v2, 0 :: v_dual_add_nc_u32 v101, -1, v0
	v_add_nc_u32_e32 v103, 0, v3
	s_mov_b32 s1, 0
.LBB110_37:                             ; =>This Inner Loop Header: Depth=1
	scratch_load_b64 v[104:105], v103, off
	ds_load_b64 v[106:107], v102
	v_add_nc_u32_e32 v101, 1, v101
	v_add_nc_u32_e32 v102, 8, v102
	v_add_nc_u32_e32 v103, 8, v103
	s_delay_alu instid0(VALU_DEP_3)
	v_cmp_lt_u32_e32 vcc_lo, 5, v101
	s_or_b32 s1, vcc_lo, s1
	s_waitcnt vmcnt(0) lgkmcnt(0)
	v_fma_f64 v[1:2], v[104:105], v[106:107], v[1:2]
	s_and_not1_b32 exec_lo, exec_lo, s1
	s_cbranch_execnz .LBB110_37
; %bb.38:
	s_or_b32 exec_lo, exec_lo, s1
	v_mov_b32_e32 v101, 0
	ds_load_b64 v[101:102], v101 offset:56
	s_waitcnt lgkmcnt(0)
	v_mul_f64 v[1:2], v[1:2], v[101:102]
	scratch_store_b64 off, v[1:2], off offset:56
.LBB110_39:
	s_or_b32 exec_lo, exec_lo, s0
	s_waitcnt_vscnt null, 0x0
	s_barrier
	buffer_gl0_inv
	scratch_load_b64 v[1:2], off, off offset:64
	s_mov_b32 s0, exec_lo
	s_waitcnt vmcnt(0)
	ds_store_b64 v5, v[1:2]
	s_waitcnt lgkmcnt(0)
	s_barrier
	buffer_gl0_inv
	v_cmpx_gt_u32_e32 8, v0
	s_cbranch_execz .LBB110_43
; %bb.40:
	v_dual_mov_b32 v1, 0 :: v_dual_add_nc_u32 v102, 0x180, v3
	v_dual_mov_b32 v2, 0 :: v_dual_add_nc_u32 v101, -1, v0
	v_add_nc_u32_e32 v103, 0, v3
	s_mov_b32 s1, 0
.LBB110_41:                             ; =>This Inner Loop Header: Depth=1
	scratch_load_b64 v[104:105], v103, off
	ds_load_b64 v[106:107], v102
	v_add_nc_u32_e32 v101, 1, v101
	v_add_nc_u32_e32 v102, 8, v102
	v_add_nc_u32_e32 v103, 8, v103
	s_delay_alu instid0(VALU_DEP_3)
	v_cmp_lt_u32_e32 vcc_lo, 6, v101
	s_or_b32 s1, vcc_lo, s1
	s_waitcnt vmcnt(0) lgkmcnt(0)
	v_fma_f64 v[1:2], v[104:105], v[106:107], v[1:2]
	s_and_not1_b32 exec_lo, exec_lo, s1
	s_cbranch_execnz .LBB110_41
; %bb.42:
	s_or_b32 exec_lo, exec_lo, s1
	v_mov_b32_e32 v101, 0
	ds_load_b64 v[101:102], v101 offset:64
	s_waitcnt lgkmcnt(0)
	v_mul_f64 v[1:2], v[1:2], v[101:102]
	scratch_store_b64 off, v[1:2], off offset:64
.LBB110_43:
	s_or_b32 exec_lo, exec_lo, s0
	s_waitcnt_vscnt null, 0x0
	s_barrier
	buffer_gl0_inv
	scratch_load_b64 v[1:2], off, off offset:72
	s_mov_b32 s0, exec_lo
	s_waitcnt vmcnt(0)
	ds_store_b64 v5, v[1:2]
	s_waitcnt lgkmcnt(0)
	s_barrier
	buffer_gl0_inv
	v_cmpx_gt_u32_e32 9, v0
	s_cbranch_execz .LBB110_47
; %bb.44:
	v_dual_mov_b32 v1, 0 :: v_dual_add_nc_u32 v102, 0x180, v3
	v_dual_mov_b32 v2, 0 :: v_dual_add_nc_u32 v101, -1, v0
	v_add_nc_u32_e32 v103, 0, v3
	s_mov_b32 s1, 0
.LBB110_45:                             ; =>This Inner Loop Header: Depth=1
	scratch_load_b64 v[104:105], v103, off
	ds_load_b64 v[106:107], v102
	v_add_nc_u32_e32 v101, 1, v101
	v_add_nc_u32_e32 v102, 8, v102
	v_add_nc_u32_e32 v103, 8, v103
	s_delay_alu instid0(VALU_DEP_3)
	v_cmp_lt_u32_e32 vcc_lo, 7, v101
	s_or_b32 s1, vcc_lo, s1
	s_waitcnt vmcnt(0) lgkmcnt(0)
	v_fma_f64 v[1:2], v[104:105], v[106:107], v[1:2]
	s_and_not1_b32 exec_lo, exec_lo, s1
	s_cbranch_execnz .LBB110_45
; %bb.46:
	s_or_b32 exec_lo, exec_lo, s1
	v_mov_b32_e32 v101, 0
	ds_load_b64 v[101:102], v101 offset:72
	s_waitcnt lgkmcnt(0)
	v_mul_f64 v[1:2], v[1:2], v[101:102]
	scratch_store_b64 off, v[1:2], off offset:72
.LBB110_47:
	s_or_b32 exec_lo, exec_lo, s0
	s_waitcnt_vscnt null, 0x0
	s_barrier
	buffer_gl0_inv
	scratch_load_b64 v[1:2], off, off offset:80
	s_mov_b32 s0, exec_lo
	s_waitcnt vmcnt(0)
	ds_store_b64 v5, v[1:2]
	s_waitcnt lgkmcnt(0)
	s_barrier
	buffer_gl0_inv
	v_cmpx_gt_u32_e32 10, v0
	s_cbranch_execz .LBB110_51
; %bb.48:
	v_dual_mov_b32 v1, 0 :: v_dual_add_nc_u32 v102, 0x180, v3
	v_dual_mov_b32 v2, 0 :: v_dual_add_nc_u32 v101, -1, v0
	v_add_nc_u32_e32 v103, 0, v3
	s_mov_b32 s1, 0
.LBB110_49:                             ; =>This Inner Loop Header: Depth=1
	scratch_load_b64 v[104:105], v103, off
	ds_load_b64 v[106:107], v102
	v_add_nc_u32_e32 v101, 1, v101
	v_add_nc_u32_e32 v102, 8, v102
	v_add_nc_u32_e32 v103, 8, v103
	s_delay_alu instid0(VALU_DEP_3)
	v_cmp_lt_u32_e32 vcc_lo, 8, v101
	s_or_b32 s1, vcc_lo, s1
	s_waitcnt vmcnt(0) lgkmcnt(0)
	v_fma_f64 v[1:2], v[104:105], v[106:107], v[1:2]
	s_and_not1_b32 exec_lo, exec_lo, s1
	s_cbranch_execnz .LBB110_49
; %bb.50:
	s_or_b32 exec_lo, exec_lo, s1
	v_mov_b32_e32 v101, 0
	ds_load_b64 v[101:102], v101 offset:80
	s_waitcnt lgkmcnt(0)
	v_mul_f64 v[1:2], v[1:2], v[101:102]
	scratch_store_b64 off, v[1:2], off offset:80
.LBB110_51:
	s_or_b32 exec_lo, exec_lo, s0
	s_waitcnt_vscnt null, 0x0
	s_barrier
	buffer_gl0_inv
	scratch_load_b64 v[1:2], off, off offset:88
	s_mov_b32 s0, exec_lo
	s_waitcnt vmcnt(0)
	ds_store_b64 v5, v[1:2]
	s_waitcnt lgkmcnt(0)
	s_barrier
	buffer_gl0_inv
	v_cmpx_gt_u32_e32 11, v0
	s_cbranch_execz .LBB110_55
; %bb.52:
	v_dual_mov_b32 v1, 0 :: v_dual_add_nc_u32 v102, 0x180, v3
	v_dual_mov_b32 v2, 0 :: v_dual_add_nc_u32 v101, -1, v0
	v_add_nc_u32_e32 v103, 0, v3
	s_mov_b32 s1, 0
.LBB110_53:                             ; =>This Inner Loop Header: Depth=1
	scratch_load_b64 v[104:105], v103, off
	ds_load_b64 v[106:107], v102
	v_add_nc_u32_e32 v101, 1, v101
	v_add_nc_u32_e32 v102, 8, v102
	v_add_nc_u32_e32 v103, 8, v103
	s_delay_alu instid0(VALU_DEP_3)
	v_cmp_lt_u32_e32 vcc_lo, 9, v101
	s_or_b32 s1, vcc_lo, s1
	s_waitcnt vmcnt(0) lgkmcnt(0)
	v_fma_f64 v[1:2], v[104:105], v[106:107], v[1:2]
	s_and_not1_b32 exec_lo, exec_lo, s1
	s_cbranch_execnz .LBB110_53
; %bb.54:
	s_or_b32 exec_lo, exec_lo, s1
	v_mov_b32_e32 v101, 0
	ds_load_b64 v[101:102], v101 offset:88
	s_waitcnt lgkmcnt(0)
	v_mul_f64 v[1:2], v[1:2], v[101:102]
	scratch_store_b64 off, v[1:2], off offset:88
.LBB110_55:
	s_or_b32 exec_lo, exec_lo, s0
	s_waitcnt_vscnt null, 0x0
	s_barrier
	buffer_gl0_inv
	scratch_load_b64 v[1:2], off, off offset:96
	s_mov_b32 s0, exec_lo
	s_waitcnt vmcnt(0)
	ds_store_b64 v5, v[1:2]
	s_waitcnt lgkmcnt(0)
	s_barrier
	buffer_gl0_inv
	v_cmpx_gt_u32_e32 12, v0
	s_cbranch_execz .LBB110_59
; %bb.56:
	v_dual_mov_b32 v1, 0 :: v_dual_add_nc_u32 v102, 0x180, v3
	v_dual_mov_b32 v2, 0 :: v_dual_add_nc_u32 v101, -1, v0
	v_add_nc_u32_e32 v103, 0, v3
	s_mov_b32 s1, 0
.LBB110_57:                             ; =>This Inner Loop Header: Depth=1
	scratch_load_b64 v[104:105], v103, off
	ds_load_b64 v[106:107], v102
	v_add_nc_u32_e32 v101, 1, v101
	v_add_nc_u32_e32 v102, 8, v102
	v_add_nc_u32_e32 v103, 8, v103
	s_delay_alu instid0(VALU_DEP_3)
	v_cmp_lt_u32_e32 vcc_lo, 10, v101
	s_or_b32 s1, vcc_lo, s1
	s_waitcnt vmcnt(0) lgkmcnt(0)
	v_fma_f64 v[1:2], v[104:105], v[106:107], v[1:2]
	s_and_not1_b32 exec_lo, exec_lo, s1
	s_cbranch_execnz .LBB110_57
; %bb.58:
	s_or_b32 exec_lo, exec_lo, s1
	v_mov_b32_e32 v101, 0
	ds_load_b64 v[101:102], v101 offset:96
	s_waitcnt lgkmcnt(0)
	v_mul_f64 v[1:2], v[1:2], v[101:102]
	scratch_store_b64 off, v[1:2], off offset:96
.LBB110_59:
	s_or_b32 exec_lo, exec_lo, s0
	s_waitcnt_vscnt null, 0x0
	s_barrier
	buffer_gl0_inv
	scratch_load_b64 v[1:2], off, off offset:104
	s_mov_b32 s0, exec_lo
	s_waitcnt vmcnt(0)
	ds_store_b64 v5, v[1:2]
	s_waitcnt lgkmcnt(0)
	s_barrier
	buffer_gl0_inv
	v_cmpx_gt_u32_e32 13, v0
	s_cbranch_execz .LBB110_63
; %bb.60:
	v_dual_mov_b32 v1, 0 :: v_dual_add_nc_u32 v102, 0x180, v3
	v_dual_mov_b32 v2, 0 :: v_dual_add_nc_u32 v101, -1, v0
	v_add_nc_u32_e32 v103, 0, v3
	s_mov_b32 s1, 0
.LBB110_61:                             ; =>This Inner Loop Header: Depth=1
	scratch_load_b64 v[104:105], v103, off
	ds_load_b64 v[106:107], v102
	v_add_nc_u32_e32 v101, 1, v101
	v_add_nc_u32_e32 v102, 8, v102
	v_add_nc_u32_e32 v103, 8, v103
	s_delay_alu instid0(VALU_DEP_3)
	v_cmp_lt_u32_e32 vcc_lo, 11, v101
	s_or_b32 s1, vcc_lo, s1
	s_waitcnt vmcnt(0) lgkmcnt(0)
	v_fma_f64 v[1:2], v[104:105], v[106:107], v[1:2]
	s_and_not1_b32 exec_lo, exec_lo, s1
	s_cbranch_execnz .LBB110_61
; %bb.62:
	s_or_b32 exec_lo, exec_lo, s1
	v_mov_b32_e32 v101, 0
	ds_load_b64 v[101:102], v101 offset:104
	s_waitcnt lgkmcnt(0)
	v_mul_f64 v[1:2], v[1:2], v[101:102]
	scratch_store_b64 off, v[1:2], off offset:104
.LBB110_63:
	s_or_b32 exec_lo, exec_lo, s0
	s_waitcnt_vscnt null, 0x0
	s_barrier
	buffer_gl0_inv
	scratch_load_b64 v[1:2], off, off offset:112
	s_mov_b32 s0, exec_lo
	s_waitcnt vmcnt(0)
	ds_store_b64 v5, v[1:2]
	s_waitcnt lgkmcnt(0)
	s_barrier
	buffer_gl0_inv
	v_cmpx_gt_u32_e32 14, v0
	s_cbranch_execz .LBB110_67
; %bb.64:
	v_dual_mov_b32 v1, 0 :: v_dual_add_nc_u32 v102, 0x180, v3
	v_dual_mov_b32 v2, 0 :: v_dual_add_nc_u32 v101, -1, v0
	v_add_nc_u32_e32 v103, 0, v3
	s_mov_b32 s1, 0
.LBB110_65:                             ; =>This Inner Loop Header: Depth=1
	scratch_load_b64 v[104:105], v103, off
	ds_load_b64 v[106:107], v102
	v_add_nc_u32_e32 v101, 1, v101
	v_add_nc_u32_e32 v102, 8, v102
	v_add_nc_u32_e32 v103, 8, v103
	s_delay_alu instid0(VALU_DEP_3)
	v_cmp_lt_u32_e32 vcc_lo, 12, v101
	s_or_b32 s1, vcc_lo, s1
	s_waitcnt vmcnt(0) lgkmcnt(0)
	v_fma_f64 v[1:2], v[104:105], v[106:107], v[1:2]
	s_and_not1_b32 exec_lo, exec_lo, s1
	s_cbranch_execnz .LBB110_65
; %bb.66:
	s_or_b32 exec_lo, exec_lo, s1
	v_mov_b32_e32 v101, 0
	ds_load_b64 v[101:102], v101 offset:112
	s_waitcnt lgkmcnt(0)
	v_mul_f64 v[1:2], v[1:2], v[101:102]
	scratch_store_b64 off, v[1:2], off offset:112
.LBB110_67:
	s_or_b32 exec_lo, exec_lo, s0
	s_waitcnt_vscnt null, 0x0
	s_barrier
	buffer_gl0_inv
	scratch_load_b64 v[1:2], off, off offset:120
	s_mov_b32 s0, exec_lo
	s_waitcnt vmcnt(0)
	ds_store_b64 v5, v[1:2]
	s_waitcnt lgkmcnt(0)
	s_barrier
	buffer_gl0_inv
	v_cmpx_gt_u32_e32 15, v0
	s_cbranch_execz .LBB110_71
; %bb.68:
	v_dual_mov_b32 v1, 0 :: v_dual_add_nc_u32 v102, 0x180, v3
	v_dual_mov_b32 v2, 0 :: v_dual_add_nc_u32 v101, -1, v0
	v_add_nc_u32_e32 v103, 0, v3
	s_mov_b32 s1, 0
.LBB110_69:                             ; =>This Inner Loop Header: Depth=1
	scratch_load_b64 v[104:105], v103, off
	ds_load_b64 v[106:107], v102
	v_add_nc_u32_e32 v101, 1, v101
	v_add_nc_u32_e32 v102, 8, v102
	v_add_nc_u32_e32 v103, 8, v103
	s_delay_alu instid0(VALU_DEP_3)
	v_cmp_lt_u32_e32 vcc_lo, 13, v101
	s_or_b32 s1, vcc_lo, s1
	s_waitcnt vmcnt(0) lgkmcnt(0)
	v_fma_f64 v[1:2], v[104:105], v[106:107], v[1:2]
	s_and_not1_b32 exec_lo, exec_lo, s1
	s_cbranch_execnz .LBB110_69
; %bb.70:
	s_or_b32 exec_lo, exec_lo, s1
	v_mov_b32_e32 v101, 0
	ds_load_b64 v[101:102], v101 offset:120
	s_waitcnt lgkmcnt(0)
	v_mul_f64 v[1:2], v[1:2], v[101:102]
	scratch_store_b64 off, v[1:2], off offset:120
.LBB110_71:
	s_or_b32 exec_lo, exec_lo, s0
	s_waitcnt_vscnt null, 0x0
	s_barrier
	buffer_gl0_inv
	scratch_load_b64 v[1:2], off, off offset:128
	s_mov_b32 s0, exec_lo
	s_waitcnt vmcnt(0)
	ds_store_b64 v5, v[1:2]
	s_waitcnt lgkmcnt(0)
	s_barrier
	buffer_gl0_inv
	v_cmpx_gt_u32_e32 16, v0
	s_cbranch_execz .LBB110_75
; %bb.72:
	v_dual_mov_b32 v1, 0 :: v_dual_add_nc_u32 v102, 0x180, v3
	v_dual_mov_b32 v2, 0 :: v_dual_add_nc_u32 v101, -1, v0
	v_add_nc_u32_e32 v103, 0, v3
	s_mov_b32 s1, 0
.LBB110_73:                             ; =>This Inner Loop Header: Depth=1
	scratch_load_b64 v[104:105], v103, off
	ds_load_b64 v[106:107], v102
	v_add_nc_u32_e32 v101, 1, v101
	v_add_nc_u32_e32 v102, 8, v102
	v_add_nc_u32_e32 v103, 8, v103
	s_delay_alu instid0(VALU_DEP_3)
	v_cmp_lt_u32_e32 vcc_lo, 14, v101
	s_or_b32 s1, vcc_lo, s1
	s_waitcnt vmcnt(0) lgkmcnt(0)
	v_fma_f64 v[1:2], v[104:105], v[106:107], v[1:2]
	s_and_not1_b32 exec_lo, exec_lo, s1
	s_cbranch_execnz .LBB110_73
; %bb.74:
	s_or_b32 exec_lo, exec_lo, s1
	v_mov_b32_e32 v101, 0
	ds_load_b64 v[101:102], v101 offset:128
	s_waitcnt lgkmcnt(0)
	v_mul_f64 v[1:2], v[1:2], v[101:102]
	scratch_store_b64 off, v[1:2], off offset:128
.LBB110_75:
	s_or_b32 exec_lo, exec_lo, s0
	s_waitcnt_vscnt null, 0x0
	s_barrier
	buffer_gl0_inv
	scratch_load_b64 v[1:2], off, off offset:136
	s_mov_b32 s0, exec_lo
	s_waitcnt vmcnt(0)
	ds_store_b64 v5, v[1:2]
	s_waitcnt lgkmcnt(0)
	s_barrier
	buffer_gl0_inv
	v_cmpx_gt_u32_e32 17, v0
	s_cbranch_execz .LBB110_79
; %bb.76:
	v_dual_mov_b32 v1, 0 :: v_dual_add_nc_u32 v102, 0x180, v3
	v_dual_mov_b32 v2, 0 :: v_dual_add_nc_u32 v101, -1, v0
	v_add_nc_u32_e32 v103, 0, v3
	s_mov_b32 s1, 0
.LBB110_77:                             ; =>This Inner Loop Header: Depth=1
	scratch_load_b64 v[104:105], v103, off
	ds_load_b64 v[106:107], v102
	v_add_nc_u32_e32 v101, 1, v101
	v_add_nc_u32_e32 v102, 8, v102
	v_add_nc_u32_e32 v103, 8, v103
	s_delay_alu instid0(VALU_DEP_3)
	v_cmp_lt_u32_e32 vcc_lo, 15, v101
	s_or_b32 s1, vcc_lo, s1
	s_waitcnt vmcnt(0) lgkmcnt(0)
	v_fma_f64 v[1:2], v[104:105], v[106:107], v[1:2]
	s_and_not1_b32 exec_lo, exec_lo, s1
	s_cbranch_execnz .LBB110_77
; %bb.78:
	s_or_b32 exec_lo, exec_lo, s1
	v_mov_b32_e32 v101, 0
	ds_load_b64 v[101:102], v101 offset:136
	s_waitcnt lgkmcnt(0)
	v_mul_f64 v[1:2], v[1:2], v[101:102]
	scratch_store_b64 off, v[1:2], off offset:136
.LBB110_79:
	s_or_b32 exec_lo, exec_lo, s0
	s_waitcnt_vscnt null, 0x0
	s_barrier
	buffer_gl0_inv
	scratch_load_b64 v[1:2], off, off offset:144
	s_mov_b32 s0, exec_lo
	s_waitcnt vmcnt(0)
	ds_store_b64 v5, v[1:2]
	s_waitcnt lgkmcnt(0)
	s_barrier
	buffer_gl0_inv
	v_cmpx_gt_u32_e32 18, v0
	s_cbranch_execz .LBB110_83
; %bb.80:
	v_dual_mov_b32 v1, 0 :: v_dual_add_nc_u32 v102, 0x180, v3
	v_dual_mov_b32 v2, 0 :: v_dual_add_nc_u32 v101, -1, v0
	v_add_nc_u32_e32 v103, 0, v3
	s_mov_b32 s1, 0
.LBB110_81:                             ; =>This Inner Loop Header: Depth=1
	scratch_load_b64 v[104:105], v103, off
	ds_load_b64 v[106:107], v102
	v_add_nc_u32_e32 v101, 1, v101
	v_add_nc_u32_e32 v102, 8, v102
	v_add_nc_u32_e32 v103, 8, v103
	s_delay_alu instid0(VALU_DEP_3)
	v_cmp_lt_u32_e32 vcc_lo, 16, v101
	s_or_b32 s1, vcc_lo, s1
	s_waitcnt vmcnt(0) lgkmcnt(0)
	v_fma_f64 v[1:2], v[104:105], v[106:107], v[1:2]
	s_and_not1_b32 exec_lo, exec_lo, s1
	s_cbranch_execnz .LBB110_81
; %bb.82:
	s_or_b32 exec_lo, exec_lo, s1
	v_mov_b32_e32 v101, 0
	ds_load_b64 v[101:102], v101 offset:144
	s_waitcnt lgkmcnt(0)
	v_mul_f64 v[1:2], v[1:2], v[101:102]
	scratch_store_b64 off, v[1:2], off offset:144
.LBB110_83:
	s_or_b32 exec_lo, exec_lo, s0
	s_waitcnt_vscnt null, 0x0
	s_barrier
	buffer_gl0_inv
	scratch_load_b64 v[1:2], off, off offset:152
	s_mov_b32 s0, exec_lo
	s_waitcnt vmcnt(0)
	ds_store_b64 v5, v[1:2]
	s_waitcnt lgkmcnt(0)
	s_barrier
	buffer_gl0_inv
	v_cmpx_gt_u32_e32 19, v0
	s_cbranch_execz .LBB110_87
; %bb.84:
	v_dual_mov_b32 v1, 0 :: v_dual_add_nc_u32 v102, 0x180, v3
	v_dual_mov_b32 v2, 0 :: v_dual_add_nc_u32 v101, -1, v0
	v_add_nc_u32_e32 v103, 0, v3
	s_mov_b32 s1, 0
.LBB110_85:                             ; =>This Inner Loop Header: Depth=1
	scratch_load_b64 v[104:105], v103, off
	ds_load_b64 v[106:107], v102
	v_add_nc_u32_e32 v101, 1, v101
	v_add_nc_u32_e32 v102, 8, v102
	v_add_nc_u32_e32 v103, 8, v103
	s_delay_alu instid0(VALU_DEP_3)
	v_cmp_lt_u32_e32 vcc_lo, 17, v101
	s_or_b32 s1, vcc_lo, s1
	s_waitcnt vmcnt(0) lgkmcnt(0)
	v_fma_f64 v[1:2], v[104:105], v[106:107], v[1:2]
	s_and_not1_b32 exec_lo, exec_lo, s1
	s_cbranch_execnz .LBB110_85
; %bb.86:
	s_or_b32 exec_lo, exec_lo, s1
	v_mov_b32_e32 v101, 0
	ds_load_b64 v[101:102], v101 offset:152
	s_waitcnt lgkmcnt(0)
	v_mul_f64 v[1:2], v[1:2], v[101:102]
	scratch_store_b64 off, v[1:2], off offset:152
.LBB110_87:
	s_or_b32 exec_lo, exec_lo, s0
	s_waitcnt_vscnt null, 0x0
	s_barrier
	buffer_gl0_inv
	scratch_load_b64 v[1:2], off, off offset:160
	s_mov_b32 s0, exec_lo
	s_waitcnt vmcnt(0)
	ds_store_b64 v5, v[1:2]
	s_waitcnt lgkmcnt(0)
	s_barrier
	buffer_gl0_inv
	v_cmpx_gt_u32_e32 20, v0
	s_cbranch_execz .LBB110_91
; %bb.88:
	v_dual_mov_b32 v1, 0 :: v_dual_add_nc_u32 v102, 0x180, v3
	v_dual_mov_b32 v2, 0 :: v_dual_add_nc_u32 v101, -1, v0
	v_add_nc_u32_e32 v103, 0, v3
	s_mov_b32 s1, 0
.LBB110_89:                             ; =>This Inner Loop Header: Depth=1
	scratch_load_b64 v[104:105], v103, off
	ds_load_b64 v[106:107], v102
	v_add_nc_u32_e32 v101, 1, v101
	v_add_nc_u32_e32 v102, 8, v102
	v_add_nc_u32_e32 v103, 8, v103
	s_delay_alu instid0(VALU_DEP_3)
	v_cmp_lt_u32_e32 vcc_lo, 18, v101
	s_or_b32 s1, vcc_lo, s1
	s_waitcnt vmcnt(0) lgkmcnt(0)
	v_fma_f64 v[1:2], v[104:105], v[106:107], v[1:2]
	s_and_not1_b32 exec_lo, exec_lo, s1
	s_cbranch_execnz .LBB110_89
; %bb.90:
	s_or_b32 exec_lo, exec_lo, s1
	v_mov_b32_e32 v101, 0
	ds_load_b64 v[101:102], v101 offset:160
	s_waitcnt lgkmcnt(0)
	v_mul_f64 v[1:2], v[1:2], v[101:102]
	scratch_store_b64 off, v[1:2], off offset:160
.LBB110_91:
	s_or_b32 exec_lo, exec_lo, s0
	s_waitcnt_vscnt null, 0x0
	s_barrier
	buffer_gl0_inv
	scratch_load_b64 v[1:2], off, off offset:168
	s_mov_b32 s0, exec_lo
	s_waitcnt vmcnt(0)
	ds_store_b64 v5, v[1:2]
	s_waitcnt lgkmcnt(0)
	s_barrier
	buffer_gl0_inv
	v_cmpx_gt_u32_e32 21, v0
	s_cbranch_execz .LBB110_95
; %bb.92:
	v_dual_mov_b32 v1, 0 :: v_dual_add_nc_u32 v102, 0x180, v3
	v_dual_mov_b32 v2, 0 :: v_dual_add_nc_u32 v101, -1, v0
	v_add_nc_u32_e32 v103, 0, v3
	s_mov_b32 s1, 0
.LBB110_93:                             ; =>This Inner Loop Header: Depth=1
	scratch_load_b64 v[104:105], v103, off
	ds_load_b64 v[106:107], v102
	v_add_nc_u32_e32 v101, 1, v101
	v_add_nc_u32_e32 v102, 8, v102
	v_add_nc_u32_e32 v103, 8, v103
	s_delay_alu instid0(VALU_DEP_3)
	v_cmp_lt_u32_e32 vcc_lo, 19, v101
	s_or_b32 s1, vcc_lo, s1
	s_waitcnt vmcnt(0) lgkmcnt(0)
	v_fma_f64 v[1:2], v[104:105], v[106:107], v[1:2]
	s_and_not1_b32 exec_lo, exec_lo, s1
	s_cbranch_execnz .LBB110_93
; %bb.94:
	s_or_b32 exec_lo, exec_lo, s1
	v_mov_b32_e32 v101, 0
	ds_load_b64 v[101:102], v101 offset:168
	s_waitcnt lgkmcnt(0)
	v_mul_f64 v[1:2], v[1:2], v[101:102]
	scratch_store_b64 off, v[1:2], off offset:168
.LBB110_95:
	s_or_b32 exec_lo, exec_lo, s0
	s_waitcnt_vscnt null, 0x0
	s_barrier
	buffer_gl0_inv
	scratch_load_b64 v[1:2], off, off offset:176
	s_mov_b32 s0, exec_lo
	s_waitcnt vmcnt(0)
	ds_store_b64 v5, v[1:2]
	s_waitcnt lgkmcnt(0)
	s_barrier
	buffer_gl0_inv
	v_cmpx_gt_u32_e32 22, v0
	s_cbranch_execz .LBB110_99
; %bb.96:
	v_dual_mov_b32 v1, 0 :: v_dual_add_nc_u32 v102, 0x180, v3
	v_dual_mov_b32 v2, 0 :: v_dual_add_nc_u32 v101, -1, v0
	v_add_nc_u32_e32 v103, 0, v3
	s_mov_b32 s1, 0
.LBB110_97:                             ; =>This Inner Loop Header: Depth=1
	scratch_load_b64 v[104:105], v103, off
	ds_load_b64 v[106:107], v102
	v_add_nc_u32_e32 v101, 1, v101
	v_add_nc_u32_e32 v102, 8, v102
	v_add_nc_u32_e32 v103, 8, v103
	s_delay_alu instid0(VALU_DEP_3)
	v_cmp_lt_u32_e32 vcc_lo, 20, v101
	s_or_b32 s1, vcc_lo, s1
	s_waitcnt vmcnt(0) lgkmcnt(0)
	v_fma_f64 v[1:2], v[104:105], v[106:107], v[1:2]
	s_and_not1_b32 exec_lo, exec_lo, s1
	s_cbranch_execnz .LBB110_97
; %bb.98:
	s_or_b32 exec_lo, exec_lo, s1
	v_mov_b32_e32 v101, 0
	ds_load_b64 v[101:102], v101 offset:176
	s_waitcnt lgkmcnt(0)
	v_mul_f64 v[1:2], v[1:2], v[101:102]
	scratch_store_b64 off, v[1:2], off offset:176
.LBB110_99:
	s_or_b32 exec_lo, exec_lo, s0
	s_waitcnt_vscnt null, 0x0
	s_barrier
	buffer_gl0_inv
	scratch_load_b64 v[1:2], off, off offset:184
	s_mov_b32 s0, exec_lo
	s_waitcnt vmcnt(0)
	ds_store_b64 v5, v[1:2]
	s_waitcnt lgkmcnt(0)
	s_barrier
	buffer_gl0_inv
	v_cmpx_gt_u32_e32 23, v0
	s_cbranch_execz .LBB110_103
; %bb.100:
	v_dual_mov_b32 v1, 0 :: v_dual_add_nc_u32 v102, 0x180, v3
	v_dual_mov_b32 v2, 0 :: v_dual_add_nc_u32 v101, -1, v0
	v_add_nc_u32_e32 v103, 0, v3
	s_mov_b32 s1, 0
.LBB110_101:                            ; =>This Inner Loop Header: Depth=1
	scratch_load_b64 v[104:105], v103, off
	ds_load_b64 v[106:107], v102
	v_add_nc_u32_e32 v101, 1, v101
	v_add_nc_u32_e32 v102, 8, v102
	v_add_nc_u32_e32 v103, 8, v103
	s_delay_alu instid0(VALU_DEP_3)
	v_cmp_lt_u32_e32 vcc_lo, 21, v101
	s_or_b32 s1, vcc_lo, s1
	s_waitcnt vmcnt(0) lgkmcnt(0)
	v_fma_f64 v[1:2], v[104:105], v[106:107], v[1:2]
	s_and_not1_b32 exec_lo, exec_lo, s1
	s_cbranch_execnz .LBB110_101
; %bb.102:
	s_or_b32 exec_lo, exec_lo, s1
	v_mov_b32_e32 v101, 0
	ds_load_b64 v[101:102], v101 offset:184
	s_waitcnt lgkmcnt(0)
	v_mul_f64 v[1:2], v[1:2], v[101:102]
	scratch_store_b64 off, v[1:2], off offset:184
.LBB110_103:
	s_or_b32 exec_lo, exec_lo, s0
	s_waitcnt_vscnt null, 0x0
	s_barrier
	buffer_gl0_inv
	scratch_load_b64 v[1:2], off, off offset:192
	s_mov_b32 s0, exec_lo
	s_waitcnt vmcnt(0)
	ds_store_b64 v5, v[1:2]
	s_waitcnt lgkmcnt(0)
	s_barrier
	buffer_gl0_inv
	v_cmpx_gt_u32_e32 24, v0
	s_cbranch_execz .LBB110_107
; %bb.104:
	v_dual_mov_b32 v1, 0 :: v_dual_add_nc_u32 v102, 0x180, v3
	v_dual_mov_b32 v2, 0 :: v_dual_add_nc_u32 v101, -1, v0
	v_add_nc_u32_e32 v103, 0, v3
	s_mov_b32 s1, 0
.LBB110_105:                            ; =>This Inner Loop Header: Depth=1
	scratch_load_b64 v[104:105], v103, off
	ds_load_b64 v[106:107], v102
	v_add_nc_u32_e32 v101, 1, v101
	v_add_nc_u32_e32 v102, 8, v102
	v_add_nc_u32_e32 v103, 8, v103
	s_delay_alu instid0(VALU_DEP_3)
	v_cmp_lt_u32_e32 vcc_lo, 22, v101
	s_or_b32 s1, vcc_lo, s1
	s_waitcnt vmcnt(0) lgkmcnt(0)
	v_fma_f64 v[1:2], v[104:105], v[106:107], v[1:2]
	s_and_not1_b32 exec_lo, exec_lo, s1
	s_cbranch_execnz .LBB110_105
; %bb.106:
	s_or_b32 exec_lo, exec_lo, s1
	v_mov_b32_e32 v101, 0
	ds_load_b64 v[101:102], v101 offset:192
	s_waitcnt lgkmcnt(0)
	v_mul_f64 v[1:2], v[1:2], v[101:102]
	scratch_store_b64 off, v[1:2], off offset:192
.LBB110_107:
	s_or_b32 exec_lo, exec_lo, s0
	s_waitcnt_vscnt null, 0x0
	s_barrier
	buffer_gl0_inv
	scratch_load_b64 v[1:2], off, off offset:200
	;; [unrolled: 39-line block ×23, first 2 shown]
	s_mov_b32 s0, exec_lo
	s_waitcnt vmcnt(0)
	ds_store_b64 v5, v[1:2]
	s_waitcnt lgkmcnt(0)
	s_barrier
	buffer_gl0_inv
	v_cmpx_ne_u32_e32 46, v0
	s_cbranch_execz .LBB110_195
; %bb.192:
	v_mov_b32_e32 v1, 0
	v_mov_b32_e32 v2, 0
	s_mov_b32 s1, 0
.LBB110_193:                            ; =>This Inner Loop Header: Depth=1
	scratch_load_b64 v[101:102], v4, off
	ds_load_b64 v[103:104], v5
	v_add_nc_u32_e32 v100, 1, v100
	v_add_nc_u32_e32 v5, 8, v5
	;; [unrolled: 1-line block ×3, first 2 shown]
	s_delay_alu instid0(VALU_DEP_3)
	v_cmp_lt_u32_e32 vcc_lo, 44, v100
	s_or_b32 s1, vcc_lo, s1
	s_waitcnt vmcnt(0) lgkmcnt(0)
	v_fma_f64 v[1:2], v[101:102], v[103:104], v[1:2]
	s_and_not1_b32 exec_lo, exec_lo, s1
	s_cbranch_execnz .LBB110_193
; %bb.194:
	s_or_b32 exec_lo, exec_lo, s1
	v_mov_b32_e32 v3, 0
	ds_load_b64 v[3:4], v3 offset:368
	s_waitcnt lgkmcnt(0)
	v_mul_f64 v[1:2], v[1:2], v[3:4]
	scratch_store_b64 off, v[1:2], off offset:368
.LBB110_195:
	s_or_b32 exec_lo, exec_lo, s0
	s_mov_b32 s1, -1
	s_waitcnt_vscnt null, 0x0
	s_barrier
	buffer_gl0_inv
.LBB110_196:
	s_and_b32 vcc_lo, exec_lo, s1
	s_cbranch_vccz .LBB110_198
; %bb.197:
	s_lshl_b64 s[0:1], s[8:9], 2
	v_mov_b32_e32 v1, 0
	s_add_u32 s0, s6, s0
	s_addc_u32 s1, s7, s1
	global_load_b32 v1, v1, s[0:1]
	s_waitcnt vmcnt(0)
	v_cmp_ne_u32_e32 vcc_lo, 0, v1
	s_cbranch_vccz .LBB110_199
.LBB110_198:
	s_endpgm
.LBB110_199:
	v_lshl_add_u32 v5, v0, 3, 0x180
	s_mov_b32 s0, exec_lo
	v_cmpx_eq_u32_e32 46, v0
	s_cbranch_execz .LBB110_201
; %bb.200:
	scratch_load_b64 v[1:2], off, off offset:360
	v_mov_b32_e32 v3, 0
	s_delay_alu instid0(VALU_DEP_1)
	v_mov_b32_e32 v4, v3
	scratch_store_b64 off, v[3:4], off offset:360
	s_waitcnt vmcnt(0)
	ds_store_b64 v5, v[1:2]
.LBB110_201:
	s_or_b32 exec_lo, exec_lo, s0
	s_waitcnt lgkmcnt(0)
	s_waitcnt_vscnt null, 0x0
	s_barrier
	buffer_gl0_inv
	scratch_load_b128 v[100:103], off, off offset:360
	v_mov_b32_e32 v1, 0
	s_mov_b32 s0, exec_lo
	ds_load_b64 v[2:3], v1 offset:752
	s_waitcnt vmcnt(0) lgkmcnt(0)
	v_fma_f64 v[2:3], v[102:103], v[2:3], 0
	s_delay_alu instid0(VALU_DEP_1)
	v_add_f64 v[2:3], v[100:101], -v[2:3]
	scratch_store_b64 off, v[2:3], off offset:360
	v_cmpx_lt_u32_e32 44, v0
	s_cbranch_execz .LBB110_203
; %bb.202:
	scratch_load_b64 v[3:4], off, off offset:352
	v_mov_b32_e32 v2, v1
	scratch_store_b64 off, v[1:2], off offset:352
	s_waitcnt vmcnt(0)
	ds_store_b64 v5, v[3:4]
.LBB110_203:
	s_or_b32 exec_lo, exec_lo, s0
	s_waitcnt lgkmcnt(0)
	s_waitcnt_vscnt null, 0x0
	s_barrier
	buffer_gl0_inv
	s_clause 0x1
	scratch_load_b128 v[100:103], off, off offset:352
	scratch_load_b64 v[104:105], off, off offset:368
	ds_load_2addr_b64 v[1:4], v1 offset0:93 offset1:94
	s_mov_b32 s0, exec_lo
	s_waitcnt vmcnt(1) lgkmcnt(0)
	v_fma_f64 v[1:2], v[102:103], v[1:2], 0
	s_waitcnt vmcnt(0)
	s_delay_alu instid0(VALU_DEP_1) | instskip(NEXT) | instid1(VALU_DEP_1)
	v_fma_f64 v[1:2], v[104:105], v[3:4], v[1:2]
	v_add_f64 v[1:2], v[100:101], -v[1:2]
	scratch_store_b64 off, v[1:2], off offset:352
	v_cmpx_lt_u32_e32 43, v0
	s_cbranch_execz .LBB110_205
; %bb.204:
	scratch_load_b64 v[1:2], off, off offset:344
	v_mov_b32_e32 v3, 0
	s_delay_alu instid0(VALU_DEP_1)
	v_mov_b32_e32 v4, v3
	scratch_store_b64 off, v[3:4], off offset:344
	s_waitcnt vmcnt(0)
	ds_store_b64 v5, v[1:2]
.LBB110_205:
	s_or_b32 exec_lo, exec_lo, s0
	s_waitcnt lgkmcnt(0)
	s_waitcnt_vscnt null, 0x0
	s_barrier
	buffer_gl0_inv
	s_clause 0x1
	scratch_load_b128 v[100:103], off, off offset:344
	scratch_load_b128 v[104:107], off, off offset:360
	v_mov_b32_e32 v1, 0
	ds_load_b128 v[108:111], v1 offset:736
	ds_load_b64 v[2:3], v1 offset:752
	s_mov_b32 s0, exec_lo
	s_waitcnt vmcnt(1) lgkmcnt(1)
	v_fma_f64 v[102:103], v[102:103], v[108:109], 0
	s_waitcnt vmcnt(0)
	s_delay_alu instid0(VALU_DEP_1) | instskip(SKIP_1) | instid1(VALU_DEP_1)
	v_fma_f64 v[102:103], v[104:105], v[110:111], v[102:103]
	s_waitcnt lgkmcnt(0)
	v_fma_f64 v[2:3], v[106:107], v[2:3], v[102:103]
	s_delay_alu instid0(VALU_DEP_1)
	v_add_f64 v[2:3], v[100:101], -v[2:3]
	scratch_store_b64 off, v[2:3], off offset:344
	v_cmpx_lt_u32_e32 42, v0
	s_cbranch_execz .LBB110_207
; %bb.206:
	scratch_load_b64 v[3:4], off, off offset:336
	v_mov_b32_e32 v2, v1
	scratch_store_b64 off, v[1:2], off offset:336
	s_waitcnt vmcnt(0)
	ds_store_b64 v5, v[3:4]
.LBB110_207:
	s_or_b32 exec_lo, exec_lo, s0
	s_waitcnt lgkmcnt(0)
	s_waitcnt_vscnt null, 0x0
	s_barrier
	buffer_gl0_inv
	s_clause 0x2
	scratch_load_b128 v[100:103], off, off offset:336
	scratch_load_b128 v[104:107], off, off offset:352
	scratch_load_b64 v[112:113], off, off offset:368
	ds_load_2addr_b64 v[108:111], v1 offset0:91 offset1:92
	ds_load_2addr_b64 v[1:4], v1 offset0:93 offset1:94
	s_mov_b32 s0, exec_lo
	s_waitcnt vmcnt(2) lgkmcnt(1)
	v_fma_f64 v[102:103], v[102:103], v[108:109], 0
	s_waitcnt vmcnt(1)
	s_delay_alu instid0(VALU_DEP_1) | instskip(SKIP_1) | instid1(VALU_DEP_1)
	v_fma_f64 v[102:103], v[104:105], v[110:111], v[102:103]
	s_waitcnt lgkmcnt(0)
	v_fma_f64 v[1:2], v[106:107], v[1:2], v[102:103]
	s_waitcnt vmcnt(0)
	s_delay_alu instid0(VALU_DEP_1) | instskip(NEXT) | instid1(VALU_DEP_1)
	v_fma_f64 v[1:2], v[112:113], v[3:4], v[1:2]
	v_add_f64 v[1:2], v[100:101], -v[1:2]
	scratch_store_b64 off, v[1:2], off offset:336
	v_cmpx_lt_u32_e32 41, v0
	s_cbranch_execz .LBB110_209
; %bb.208:
	scratch_load_b64 v[1:2], off, off offset:328
	v_mov_b32_e32 v3, 0
	s_delay_alu instid0(VALU_DEP_1)
	v_mov_b32_e32 v4, v3
	scratch_store_b64 off, v[3:4], off offset:328
	s_waitcnt vmcnt(0)
	ds_store_b64 v5, v[1:2]
.LBB110_209:
	s_or_b32 exec_lo, exec_lo, s0
	s_waitcnt lgkmcnt(0)
	s_waitcnt_vscnt null, 0x0
	s_barrier
	buffer_gl0_inv
	s_clause 0x2
	scratch_load_b128 v[100:103], off, off offset:328
	scratch_load_b128 v[104:107], off, off offset:344
	;; [unrolled: 1-line block ×3, first 2 shown]
	v_mov_b32_e32 v1, 0
	ds_load_b128 v[112:115], v1 offset:720
	ds_load_b128 v[116:119], v1 offset:736
	s_mov_b32 s0, exec_lo
	s_waitcnt vmcnt(2) lgkmcnt(1)
	v_fma_f64 v[2:3], v[102:103], v[112:113], 0
	ds_load_b64 v[102:103], v1 offset:752
	s_waitcnt vmcnt(1)
	v_fma_f64 v[2:3], v[104:105], v[114:115], v[2:3]
	s_waitcnt lgkmcnt(1)
	s_delay_alu instid0(VALU_DEP_1) | instskip(SKIP_1) | instid1(VALU_DEP_1)
	v_fma_f64 v[2:3], v[106:107], v[116:117], v[2:3]
	s_waitcnt vmcnt(0)
	v_fma_f64 v[2:3], v[108:109], v[118:119], v[2:3]
	s_waitcnt lgkmcnt(0)
	s_delay_alu instid0(VALU_DEP_1) | instskip(NEXT) | instid1(VALU_DEP_1)
	v_fma_f64 v[2:3], v[110:111], v[102:103], v[2:3]
	v_add_f64 v[2:3], v[100:101], -v[2:3]
	scratch_store_b64 off, v[2:3], off offset:328
	v_cmpx_lt_u32_e32 40, v0
	s_cbranch_execz .LBB110_211
; %bb.210:
	scratch_load_b64 v[3:4], off, off offset:320
	v_mov_b32_e32 v2, v1
	scratch_store_b64 off, v[1:2], off offset:320
	s_waitcnt vmcnt(0)
	ds_store_b64 v5, v[3:4]
.LBB110_211:
	s_or_b32 exec_lo, exec_lo, s0
	s_waitcnt lgkmcnt(0)
	s_waitcnt_vscnt null, 0x0
	s_barrier
	buffer_gl0_inv
	s_clause 0x3
	scratch_load_b128 v[100:103], off, off offset:320
	scratch_load_b128 v[104:107], off, off offset:336
	;; [unrolled: 1-line block ×3, first 2 shown]
	scratch_load_b64 v[116:117], off, off offset:368
	ds_load_2addr_b64 v[112:115], v1 offset0:89 offset1:90
	s_mov_b32 s0, exec_lo
	s_waitcnt vmcnt(3) lgkmcnt(0)
	v_fma_f64 v[2:3], v[102:103], v[112:113], 0
	s_waitcnt vmcnt(2)
	s_delay_alu instid0(VALU_DEP_1) | instskip(SKIP_4) | instid1(VALU_DEP_1)
	v_fma_f64 v[2:3], v[104:105], v[114:115], v[2:3]
	ds_load_2addr_b64 v[102:105], v1 offset0:91 offset1:92
	s_waitcnt lgkmcnt(0)
	v_fma_f64 v[2:3], v[106:107], v[102:103], v[2:3]
	s_waitcnt vmcnt(1)
	v_fma_f64 v[102:103], v[108:109], v[104:105], v[2:3]
	ds_load_2addr_b64 v[1:4], v1 offset0:93 offset1:94
	s_waitcnt lgkmcnt(0)
	v_fma_f64 v[1:2], v[110:111], v[1:2], v[102:103]
	s_waitcnt vmcnt(0)
	s_delay_alu instid0(VALU_DEP_1) | instskip(NEXT) | instid1(VALU_DEP_1)
	v_fma_f64 v[1:2], v[116:117], v[3:4], v[1:2]
	v_add_f64 v[1:2], v[100:101], -v[1:2]
	scratch_store_b64 off, v[1:2], off offset:320
	v_cmpx_lt_u32_e32 39, v0
	s_cbranch_execz .LBB110_213
; %bb.212:
	scratch_load_b64 v[1:2], off, off offset:312
	v_mov_b32_e32 v3, 0
	s_delay_alu instid0(VALU_DEP_1)
	v_mov_b32_e32 v4, v3
	scratch_store_b64 off, v[3:4], off offset:312
	s_waitcnt vmcnt(0)
	ds_store_b64 v5, v[1:2]
.LBB110_213:
	s_or_b32 exec_lo, exec_lo, s0
	s_waitcnt lgkmcnt(0)
	s_waitcnt_vscnt null, 0x0
	s_barrier
	buffer_gl0_inv
	s_clause 0x3
	scratch_load_b128 v[100:103], off, off offset:312
	scratch_load_b128 v[104:107], off, off offset:328
	;; [unrolled: 1-line block ×4, first 2 shown]
	v_mov_b32_e32 v1, 0
	s_mov_b32 s0, exec_lo
	ds_load_b128 v[116:119], v1 offset:704
	s_waitcnt vmcnt(3) lgkmcnt(0)
	v_fma_f64 v[2:3], v[102:103], v[116:117], 0
	s_waitcnt vmcnt(2)
	s_delay_alu instid0(VALU_DEP_1) | instskip(SKIP_4) | instid1(VALU_DEP_1)
	v_fma_f64 v[2:3], v[104:105], v[118:119], v[2:3]
	ds_load_b128 v[102:105], v1 offset:720
	s_waitcnt lgkmcnt(0)
	v_fma_f64 v[2:3], v[106:107], v[102:103], v[2:3]
	s_waitcnt vmcnt(1)
	v_fma_f64 v[2:3], v[108:109], v[104:105], v[2:3]
	ds_load_b128 v[102:105], v1 offset:736
	s_waitcnt lgkmcnt(0)
	v_fma_f64 v[2:3], v[110:111], v[102:103], v[2:3]
	ds_load_b64 v[102:103], v1 offset:752
	s_waitcnt vmcnt(0)
	v_fma_f64 v[2:3], v[112:113], v[104:105], v[2:3]
	s_waitcnt lgkmcnt(0)
	s_delay_alu instid0(VALU_DEP_1) | instskip(NEXT) | instid1(VALU_DEP_1)
	v_fma_f64 v[2:3], v[114:115], v[102:103], v[2:3]
	v_add_f64 v[2:3], v[100:101], -v[2:3]
	scratch_store_b64 off, v[2:3], off offset:312
	v_cmpx_lt_u32_e32 38, v0
	s_cbranch_execz .LBB110_215
; %bb.214:
	scratch_load_b64 v[3:4], off, off offset:304
	v_mov_b32_e32 v2, v1
	scratch_store_b64 off, v[1:2], off offset:304
	s_waitcnt vmcnt(0)
	ds_store_b64 v5, v[3:4]
.LBB110_215:
	s_or_b32 exec_lo, exec_lo, s0
	s_waitcnt lgkmcnt(0)
	s_waitcnt_vscnt null, 0x0
	s_barrier
	buffer_gl0_inv
	s_clause 0x4
	scratch_load_b128 v[100:103], off, off offset:304
	scratch_load_b128 v[104:107], off, off offset:320
	;; [unrolled: 1-line block ×4, first 2 shown]
	scratch_load_b64 v[120:121], off, off offset:368
	ds_load_2addr_b64 v[116:119], v1 offset0:87 offset1:88
	s_mov_b32 s0, exec_lo
	s_waitcnt vmcnt(4) lgkmcnt(0)
	v_fma_f64 v[2:3], v[102:103], v[116:117], 0
	s_waitcnt vmcnt(3)
	s_delay_alu instid0(VALU_DEP_1) | instskip(SKIP_4) | instid1(VALU_DEP_1)
	v_fma_f64 v[2:3], v[104:105], v[118:119], v[2:3]
	ds_load_2addr_b64 v[102:105], v1 offset0:89 offset1:90
	s_waitcnt lgkmcnt(0)
	v_fma_f64 v[2:3], v[106:107], v[102:103], v[2:3]
	s_waitcnt vmcnt(2)
	v_fma_f64 v[2:3], v[108:109], v[104:105], v[2:3]
	ds_load_2addr_b64 v[102:105], v1 offset0:91 offset1:92
	s_waitcnt lgkmcnt(0)
	v_fma_f64 v[2:3], v[110:111], v[102:103], v[2:3]
	s_waitcnt vmcnt(1)
	s_delay_alu instid0(VALU_DEP_1) | instskip(SKIP_4) | instid1(VALU_DEP_1)
	v_fma_f64 v[102:103], v[112:113], v[104:105], v[2:3]
	ds_load_2addr_b64 v[1:4], v1 offset0:93 offset1:94
	s_waitcnt lgkmcnt(0)
	v_fma_f64 v[1:2], v[114:115], v[1:2], v[102:103]
	s_waitcnt vmcnt(0)
	v_fma_f64 v[1:2], v[120:121], v[3:4], v[1:2]
	s_delay_alu instid0(VALU_DEP_1)
	v_add_f64 v[1:2], v[100:101], -v[1:2]
	scratch_store_b64 off, v[1:2], off offset:304
	v_cmpx_lt_u32_e32 37, v0
	s_cbranch_execz .LBB110_217
; %bb.216:
	scratch_load_b64 v[1:2], off, off offset:296
	v_mov_b32_e32 v3, 0
	s_delay_alu instid0(VALU_DEP_1)
	v_mov_b32_e32 v4, v3
	scratch_store_b64 off, v[3:4], off offset:296
	s_waitcnt vmcnt(0)
	ds_store_b64 v5, v[1:2]
.LBB110_217:
	s_or_b32 exec_lo, exec_lo, s0
	s_waitcnt lgkmcnt(0)
	s_waitcnt_vscnt null, 0x0
	s_barrier
	buffer_gl0_inv
	s_clause 0x4
	scratch_load_b128 v[100:103], off, off offset:296
	scratch_load_b128 v[104:107], off, off offset:312
	;; [unrolled: 1-line block ×5, first 2 shown]
	v_mov_b32_e32 v1, 0
	ds_load_b128 v[120:123], v1 offset:688
	ds_load_b128 v[124:127], v1 offset:704
	s_mov_b32 s0, exec_lo
	s_waitcnt vmcnt(4) lgkmcnt(1)
	v_fma_f64 v[2:3], v[102:103], v[120:121], 0
	s_waitcnt vmcnt(3)
	s_delay_alu instid0(VALU_DEP_1) | instskip(SKIP_1) | instid1(VALU_DEP_1)
	v_fma_f64 v[2:3], v[104:105], v[122:123], v[2:3]
	s_waitcnt lgkmcnt(0)
	v_fma_f64 v[2:3], v[106:107], v[124:125], v[2:3]
	s_waitcnt vmcnt(2)
	s_delay_alu instid0(VALU_DEP_1)
	v_fma_f64 v[2:3], v[108:109], v[126:127], v[2:3]
	ds_load_b128 v[102:105], v1 offset:720
	ds_load_b128 v[106:109], v1 offset:736
	s_waitcnt lgkmcnt(1)
	v_fma_f64 v[2:3], v[110:111], v[102:103], v[2:3]
	ds_load_b64 v[102:103], v1 offset:752
	s_waitcnt vmcnt(1)
	v_fma_f64 v[2:3], v[112:113], v[104:105], v[2:3]
	s_waitcnt lgkmcnt(1)
	s_delay_alu instid0(VALU_DEP_1) | instskip(SKIP_1) | instid1(VALU_DEP_1)
	v_fma_f64 v[2:3], v[114:115], v[106:107], v[2:3]
	s_waitcnt vmcnt(0)
	v_fma_f64 v[2:3], v[116:117], v[108:109], v[2:3]
	s_waitcnt lgkmcnt(0)
	s_delay_alu instid0(VALU_DEP_1) | instskip(NEXT) | instid1(VALU_DEP_1)
	v_fma_f64 v[2:3], v[118:119], v[102:103], v[2:3]
	v_add_f64 v[2:3], v[100:101], -v[2:3]
	scratch_store_b64 off, v[2:3], off offset:296
	v_cmpx_lt_u32_e32 36, v0
	s_cbranch_execz .LBB110_219
; %bb.218:
	scratch_load_b64 v[3:4], off, off offset:288
	v_mov_b32_e32 v2, v1
	scratch_store_b64 off, v[1:2], off offset:288
	s_waitcnt vmcnt(0)
	ds_store_b64 v5, v[3:4]
.LBB110_219:
	s_or_b32 exec_lo, exec_lo, s0
	s_waitcnt lgkmcnt(0)
	s_waitcnt_vscnt null, 0x0
	s_barrier
	buffer_gl0_inv
	s_clause 0x4
	scratch_load_b128 v[100:103], off, off offset:288
	scratch_load_b128 v[104:107], off, off offset:304
	scratch_load_b128 v[108:111], off, off offset:320
	scratch_load_b128 v[112:115], off, off offset:336
	scratch_load_b128 v[116:119], off, off offset:352
	ds_load_2addr_b64 v[120:123], v1 offset0:85 offset1:86
	ds_load_2addr_b64 v[124:127], v1 offset0:87 offset1:88
	s_mov_b32 s0, exec_lo
	s_waitcnt vmcnt(4) lgkmcnt(1)
	v_fma_f64 v[2:3], v[102:103], v[120:121], 0
	scratch_load_b64 v[120:121], off, off offset:368
	s_waitcnt vmcnt(4)
	v_fma_f64 v[2:3], v[104:105], v[122:123], v[2:3]
	s_waitcnt lgkmcnt(0)
	s_delay_alu instid0(VALU_DEP_1) | instskip(SKIP_1) | instid1(VALU_DEP_1)
	v_fma_f64 v[2:3], v[106:107], v[124:125], v[2:3]
	s_waitcnt vmcnt(3)
	v_fma_f64 v[2:3], v[108:109], v[126:127], v[2:3]
	ds_load_2addr_b64 v[102:105], v1 offset0:89 offset1:90
	ds_load_2addr_b64 v[106:109], v1 offset0:91 offset1:92
	s_waitcnt lgkmcnt(1)
	v_fma_f64 v[2:3], v[110:111], v[102:103], v[2:3]
	s_waitcnt vmcnt(2)
	s_delay_alu instid0(VALU_DEP_1) | instskip(SKIP_1) | instid1(VALU_DEP_1)
	v_fma_f64 v[2:3], v[112:113], v[104:105], v[2:3]
	s_waitcnt lgkmcnt(0)
	v_fma_f64 v[2:3], v[114:115], v[106:107], v[2:3]
	s_waitcnt vmcnt(1)
	s_delay_alu instid0(VALU_DEP_1) | instskip(SKIP_4) | instid1(VALU_DEP_1)
	v_fma_f64 v[102:103], v[116:117], v[108:109], v[2:3]
	ds_load_2addr_b64 v[1:4], v1 offset0:93 offset1:94
	s_waitcnt lgkmcnt(0)
	v_fma_f64 v[1:2], v[118:119], v[1:2], v[102:103]
	s_waitcnt vmcnt(0)
	v_fma_f64 v[1:2], v[120:121], v[3:4], v[1:2]
	s_delay_alu instid0(VALU_DEP_1)
	v_add_f64 v[1:2], v[100:101], -v[1:2]
	scratch_store_b64 off, v[1:2], off offset:288
	v_cmpx_lt_u32_e32 35, v0
	s_cbranch_execz .LBB110_221
; %bb.220:
	scratch_load_b64 v[1:2], off, off offset:280
	v_mov_b32_e32 v3, 0
	s_delay_alu instid0(VALU_DEP_1)
	v_mov_b32_e32 v4, v3
	scratch_store_b64 off, v[3:4], off offset:280
	s_waitcnt vmcnt(0)
	ds_store_b64 v5, v[1:2]
.LBB110_221:
	s_or_b32 exec_lo, exec_lo, s0
	s_waitcnt lgkmcnt(0)
	s_waitcnt_vscnt null, 0x0
	s_barrier
	buffer_gl0_inv
	s_clause 0x4
	scratch_load_b128 v[100:103], off, off offset:280
	scratch_load_b128 v[104:107], off, off offset:296
	;; [unrolled: 1-line block ×5, first 2 shown]
	v_mov_b32_e32 v1, 0
	ds_load_b128 v[120:123], v1 offset:672
	ds_load_b128 v[124:127], v1 offset:688
	scratch_load_b128 v[128:131], off, off offset:360
	s_mov_b32 s0, exec_lo
	s_waitcnt vmcnt(5) lgkmcnt(1)
	v_fma_f64 v[2:3], v[102:103], v[120:121], 0
	s_waitcnt vmcnt(4)
	s_delay_alu instid0(VALU_DEP_1) | instskip(SKIP_1) | instid1(VALU_DEP_1)
	v_fma_f64 v[2:3], v[104:105], v[122:123], v[2:3]
	s_waitcnt lgkmcnt(0)
	v_fma_f64 v[2:3], v[106:107], v[124:125], v[2:3]
	s_waitcnt vmcnt(3)
	s_delay_alu instid0(VALU_DEP_1)
	v_fma_f64 v[2:3], v[108:109], v[126:127], v[2:3]
	ds_load_b128 v[102:105], v1 offset:704
	ds_load_b128 v[106:109], v1 offset:720
	s_waitcnt lgkmcnt(1)
	v_fma_f64 v[2:3], v[110:111], v[102:103], v[2:3]
	s_waitcnt vmcnt(2)
	s_delay_alu instid0(VALU_DEP_1) | instskip(SKIP_1) | instid1(VALU_DEP_1)
	v_fma_f64 v[2:3], v[112:113], v[104:105], v[2:3]
	s_waitcnt lgkmcnt(0)
	v_fma_f64 v[2:3], v[114:115], v[106:107], v[2:3]
	ds_load_b128 v[102:105], v1 offset:736
	ds_load_b64 v[106:107], v1 offset:752
	s_waitcnt vmcnt(1)
	v_fma_f64 v[2:3], v[116:117], v[108:109], v[2:3]
	s_waitcnt lgkmcnt(1)
	s_delay_alu instid0(VALU_DEP_1) | instskip(SKIP_1) | instid1(VALU_DEP_1)
	v_fma_f64 v[2:3], v[118:119], v[102:103], v[2:3]
	s_waitcnt vmcnt(0)
	v_fma_f64 v[2:3], v[128:129], v[104:105], v[2:3]
	s_waitcnt lgkmcnt(0)
	s_delay_alu instid0(VALU_DEP_1) | instskip(NEXT) | instid1(VALU_DEP_1)
	v_fma_f64 v[2:3], v[130:131], v[106:107], v[2:3]
	v_add_f64 v[2:3], v[100:101], -v[2:3]
	scratch_store_b64 off, v[2:3], off offset:280
	v_cmpx_lt_u32_e32 34, v0
	s_cbranch_execz .LBB110_223
; %bb.222:
	scratch_load_b64 v[3:4], off, off offset:272
	v_mov_b32_e32 v2, v1
	scratch_store_b64 off, v[1:2], off offset:272
	s_waitcnt vmcnt(0)
	ds_store_b64 v5, v[3:4]
.LBB110_223:
	s_or_b32 exec_lo, exec_lo, s0
	s_waitcnt lgkmcnt(0)
	s_waitcnt_vscnt null, 0x0
	s_barrier
	buffer_gl0_inv
	s_clause 0x4
	scratch_load_b128 v[100:103], off, off offset:272
	scratch_load_b128 v[104:107], off, off offset:288
	;; [unrolled: 1-line block ×5, first 2 shown]
	ds_load_2addr_b64 v[120:123], v1 offset0:83 offset1:84
	ds_load_2addr_b64 v[124:127], v1 offset0:85 offset1:86
	scratch_load_b128 v[128:131], off, off offset:352
	s_mov_b32 s0, exec_lo
	s_waitcnt vmcnt(5) lgkmcnt(1)
	v_fma_f64 v[2:3], v[102:103], v[120:121], 0
	scratch_load_b64 v[120:121], off, off offset:368
	s_waitcnt vmcnt(5)
	v_fma_f64 v[2:3], v[104:105], v[122:123], v[2:3]
	s_waitcnt lgkmcnt(0)
	s_delay_alu instid0(VALU_DEP_1) | instskip(SKIP_1) | instid1(VALU_DEP_1)
	v_fma_f64 v[2:3], v[106:107], v[124:125], v[2:3]
	s_waitcnt vmcnt(4)
	v_fma_f64 v[2:3], v[108:109], v[126:127], v[2:3]
	ds_load_2addr_b64 v[102:105], v1 offset0:87 offset1:88
	ds_load_2addr_b64 v[106:109], v1 offset0:89 offset1:90
	s_waitcnt lgkmcnt(1)
	v_fma_f64 v[2:3], v[110:111], v[102:103], v[2:3]
	s_waitcnt vmcnt(3)
	s_delay_alu instid0(VALU_DEP_1) | instskip(SKIP_1) | instid1(VALU_DEP_1)
	v_fma_f64 v[2:3], v[112:113], v[104:105], v[2:3]
	s_waitcnt lgkmcnt(0)
	v_fma_f64 v[2:3], v[114:115], v[106:107], v[2:3]
	s_waitcnt vmcnt(2)
	s_delay_alu instid0(VALU_DEP_1)
	v_fma_f64 v[106:107], v[116:117], v[108:109], v[2:3]
	ds_load_2addr_b64 v[102:105], v1 offset0:91 offset1:92
	ds_load_2addr_b64 v[1:4], v1 offset0:93 offset1:94
	s_waitcnt lgkmcnt(1)
	v_fma_f64 v[102:103], v[118:119], v[102:103], v[106:107]
	s_waitcnt vmcnt(1)
	s_delay_alu instid0(VALU_DEP_1) | instskip(SKIP_1) | instid1(VALU_DEP_1)
	v_fma_f64 v[102:103], v[128:129], v[104:105], v[102:103]
	s_waitcnt lgkmcnt(0)
	v_fma_f64 v[1:2], v[130:131], v[1:2], v[102:103]
	s_waitcnt vmcnt(0)
	s_delay_alu instid0(VALU_DEP_1) | instskip(NEXT) | instid1(VALU_DEP_1)
	v_fma_f64 v[1:2], v[120:121], v[3:4], v[1:2]
	v_add_f64 v[1:2], v[100:101], -v[1:2]
	scratch_store_b64 off, v[1:2], off offset:272
	v_cmpx_lt_u32_e32 33, v0
	s_cbranch_execz .LBB110_225
; %bb.224:
	scratch_load_b64 v[1:2], off, off offset:264
	v_mov_b32_e32 v3, 0
	s_delay_alu instid0(VALU_DEP_1)
	v_mov_b32_e32 v4, v3
	scratch_store_b64 off, v[3:4], off offset:264
	s_waitcnt vmcnt(0)
	ds_store_b64 v5, v[1:2]
.LBB110_225:
	s_or_b32 exec_lo, exec_lo, s0
	s_waitcnt lgkmcnt(0)
	s_waitcnt_vscnt null, 0x0
	s_barrier
	buffer_gl0_inv
	s_clause 0x4
	scratch_load_b128 v[100:103], off, off offset:264
	scratch_load_b128 v[104:107], off, off offset:280
	;; [unrolled: 1-line block ×5, first 2 shown]
	v_mov_b32_e32 v1, 0
	ds_load_b128 v[120:123], v1 offset:656
	ds_load_b128 v[124:127], v1 offset:672
	scratch_load_b128 v[128:131], off, off offset:344
	s_mov_b32 s0, exec_lo
	s_waitcnt vmcnt(5) lgkmcnt(1)
	v_fma_f64 v[2:3], v[102:103], v[120:121], 0
	s_waitcnt vmcnt(4)
	s_delay_alu instid0(VALU_DEP_1) | instskip(SKIP_4) | instid1(VALU_DEP_1)
	v_fma_f64 v[2:3], v[104:105], v[122:123], v[2:3]
	scratch_load_b128 v[102:105], off, off offset:360
	s_waitcnt lgkmcnt(0)
	v_fma_f64 v[2:3], v[106:107], v[124:125], v[2:3]
	s_waitcnt vmcnt(4)
	v_fma_f64 v[2:3], v[108:109], v[126:127], v[2:3]
	ds_load_b128 v[106:109], v1 offset:688
	ds_load_b128 v[120:123], v1 offset:704
	s_waitcnt lgkmcnt(1)
	v_fma_f64 v[2:3], v[110:111], v[106:107], v[2:3]
	s_waitcnt vmcnt(3)
	s_delay_alu instid0(VALU_DEP_1)
	v_fma_f64 v[2:3], v[112:113], v[108:109], v[2:3]
	ds_load_b128 v[106:109], v1 offset:720
	ds_load_b128 v[110:113], v1 offset:736
	s_waitcnt lgkmcnt(2)
	v_fma_f64 v[2:3], v[114:115], v[120:121], v[2:3]
	s_waitcnt vmcnt(2)
	s_delay_alu instid0(VALU_DEP_1) | instskip(SKIP_1) | instid1(VALU_DEP_1)
	v_fma_f64 v[2:3], v[116:117], v[122:123], v[2:3]
	s_waitcnt lgkmcnt(1)
	v_fma_f64 v[2:3], v[118:119], v[106:107], v[2:3]
	s_waitcnt vmcnt(1)
	s_delay_alu instid0(VALU_DEP_1) | instskip(SKIP_1) | instid1(VALU_DEP_1)
	v_fma_f64 v[2:3], v[128:129], v[108:109], v[2:3]
	s_waitcnt lgkmcnt(0)
	v_fma_f64 v[2:3], v[130:131], v[110:111], v[2:3]
	s_waitcnt vmcnt(0)
	s_delay_alu instid0(VALU_DEP_1) | instskip(SKIP_3) | instid1(VALU_DEP_1)
	v_fma_f64 v[2:3], v[102:103], v[112:113], v[2:3]
	ds_load_b64 v[102:103], v1 offset:752
	s_waitcnt lgkmcnt(0)
	v_fma_f64 v[2:3], v[104:105], v[102:103], v[2:3]
	v_add_f64 v[2:3], v[100:101], -v[2:3]
	scratch_store_b64 off, v[2:3], off offset:264
	v_cmpx_lt_u32_e32 32, v0
	s_cbranch_execz .LBB110_227
; %bb.226:
	scratch_load_b64 v[3:4], off, off offset:256
	v_mov_b32_e32 v2, v1
	scratch_store_b64 off, v[1:2], off offset:256
	s_waitcnt vmcnt(0)
	ds_store_b64 v5, v[3:4]
.LBB110_227:
	s_or_b32 exec_lo, exec_lo, s0
	s_waitcnt lgkmcnt(0)
	s_waitcnt_vscnt null, 0x0
	s_barrier
	buffer_gl0_inv
	s_clause 0x4
	scratch_load_b128 v[100:103], off, off offset:256
	scratch_load_b128 v[104:107], off, off offset:272
	;; [unrolled: 1-line block ×5, first 2 shown]
	ds_load_2addr_b64 v[120:123], v1 offset0:81 offset1:82
	ds_load_2addr_b64 v[124:127], v1 offset0:83 offset1:84
	scratch_load_b128 v[128:131], off, off offset:336
	s_mov_b32 s0, exec_lo
	s_waitcnt vmcnt(5) lgkmcnt(1)
	v_fma_f64 v[2:3], v[102:103], v[120:121], 0
	s_waitcnt vmcnt(4)
	s_delay_alu instid0(VALU_DEP_1) | instskip(SKIP_4) | instid1(VALU_DEP_1)
	v_fma_f64 v[2:3], v[104:105], v[122:123], v[2:3]
	scratch_load_b128 v[102:105], off, off offset:352
	s_waitcnt lgkmcnt(0)
	v_fma_f64 v[2:3], v[106:107], v[124:125], v[2:3]
	s_waitcnt vmcnt(4)
	v_fma_f64 v[2:3], v[108:109], v[126:127], v[2:3]
	ds_load_2addr_b64 v[106:109], v1 offset0:85 offset1:86
	ds_load_2addr_b64 v[120:123], v1 offset0:87 offset1:88
	scratch_load_b64 v[124:125], off, off offset:368
	s_waitcnt lgkmcnt(1)
	v_fma_f64 v[2:3], v[110:111], v[106:107], v[2:3]
	s_waitcnt vmcnt(4)
	s_delay_alu instid0(VALU_DEP_1)
	v_fma_f64 v[2:3], v[112:113], v[108:109], v[2:3]
	ds_load_2addr_b64 v[106:109], v1 offset0:89 offset1:90
	ds_load_2addr_b64 v[110:113], v1 offset0:91 offset1:92
	s_waitcnt lgkmcnt(2)
	v_fma_f64 v[2:3], v[114:115], v[120:121], v[2:3]
	s_waitcnt vmcnt(3)
	s_delay_alu instid0(VALU_DEP_1) | instskip(SKIP_1) | instid1(VALU_DEP_1)
	v_fma_f64 v[2:3], v[116:117], v[122:123], v[2:3]
	s_waitcnt lgkmcnt(1)
	v_fma_f64 v[2:3], v[118:119], v[106:107], v[2:3]
	s_waitcnt vmcnt(2)
	s_delay_alu instid0(VALU_DEP_1) | instskip(SKIP_1) | instid1(VALU_DEP_1)
	v_fma_f64 v[2:3], v[128:129], v[108:109], v[2:3]
	s_waitcnt lgkmcnt(0)
	v_fma_f64 v[2:3], v[130:131], v[110:111], v[2:3]
	s_waitcnt vmcnt(1)
	s_delay_alu instid0(VALU_DEP_1) | instskip(SKIP_4) | instid1(VALU_DEP_1)
	v_fma_f64 v[102:103], v[102:103], v[112:113], v[2:3]
	ds_load_2addr_b64 v[1:4], v1 offset0:93 offset1:94
	s_waitcnt lgkmcnt(0)
	v_fma_f64 v[1:2], v[104:105], v[1:2], v[102:103]
	s_waitcnt vmcnt(0)
	v_fma_f64 v[1:2], v[124:125], v[3:4], v[1:2]
	s_delay_alu instid0(VALU_DEP_1)
	v_add_f64 v[1:2], v[100:101], -v[1:2]
	scratch_store_b64 off, v[1:2], off offset:256
	v_cmpx_lt_u32_e32 31, v0
	s_cbranch_execz .LBB110_229
; %bb.228:
	scratch_load_b64 v[1:2], off, off offset:248
	v_mov_b32_e32 v3, 0
	s_delay_alu instid0(VALU_DEP_1)
	v_mov_b32_e32 v4, v3
	scratch_store_b64 off, v[3:4], off offset:248
	s_waitcnt vmcnt(0)
	ds_store_b64 v5, v[1:2]
.LBB110_229:
	s_or_b32 exec_lo, exec_lo, s0
	s_waitcnt lgkmcnt(0)
	s_waitcnt_vscnt null, 0x0
	s_barrier
	buffer_gl0_inv
	s_clause 0x4
	scratch_load_b128 v[100:103], off, off offset:248
	scratch_load_b128 v[104:107], off, off offset:264
	;; [unrolled: 1-line block ×5, first 2 shown]
	v_mov_b32_e32 v1, 0
	ds_load_b128 v[120:123], v1 offset:640
	ds_load_b128 v[124:127], v1 offset:656
	scratch_load_b128 v[128:131], off, off offset:328
	s_mov_b32 s0, exec_lo
	s_waitcnt vmcnt(5) lgkmcnt(1)
	v_fma_f64 v[2:3], v[102:103], v[120:121], 0
	s_waitcnt vmcnt(4)
	s_delay_alu instid0(VALU_DEP_1) | instskip(SKIP_4) | instid1(VALU_DEP_1)
	v_fma_f64 v[2:3], v[104:105], v[122:123], v[2:3]
	scratch_load_b128 v[102:105], off, off offset:344
	s_waitcnt lgkmcnt(0)
	v_fma_f64 v[2:3], v[106:107], v[124:125], v[2:3]
	s_waitcnt vmcnt(4)
	v_fma_f64 v[2:3], v[108:109], v[126:127], v[2:3]
	ds_load_b128 v[106:109], v1 offset:672
	ds_load_b128 v[120:123], v1 offset:688
	scratch_load_b128 v[124:127], off, off offset:360
	s_waitcnt lgkmcnt(1)
	v_fma_f64 v[2:3], v[110:111], v[106:107], v[2:3]
	s_waitcnt vmcnt(4)
	s_delay_alu instid0(VALU_DEP_1)
	v_fma_f64 v[2:3], v[112:113], v[108:109], v[2:3]
	ds_load_b128 v[106:109], v1 offset:704
	ds_load_b128 v[110:113], v1 offset:720
	s_waitcnt lgkmcnt(2)
	v_fma_f64 v[2:3], v[114:115], v[120:121], v[2:3]
	s_waitcnt vmcnt(3)
	s_delay_alu instid0(VALU_DEP_1) | instskip(SKIP_1) | instid1(VALU_DEP_1)
	v_fma_f64 v[2:3], v[116:117], v[122:123], v[2:3]
	s_waitcnt lgkmcnt(1)
	v_fma_f64 v[2:3], v[118:119], v[106:107], v[2:3]
	s_waitcnt vmcnt(2)
	s_delay_alu instid0(VALU_DEP_1) | instskip(SKIP_1) | instid1(VALU_DEP_1)
	v_fma_f64 v[2:3], v[128:129], v[108:109], v[2:3]
	s_waitcnt lgkmcnt(0)
	v_fma_f64 v[2:3], v[130:131], v[110:111], v[2:3]
	s_waitcnt vmcnt(1)
	s_delay_alu instid0(VALU_DEP_1)
	v_fma_f64 v[2:3], v[102:103], v[112:113], v[2:3]
	ds_load_b128 v[106:109], v1 offset:736
	ds_load_b64 v[102:103], v1 offset:752
	s_waitcnt lgkmcnt(1)
	v_fma_f64 v[2:3], v[104:105], v[106:107], v[2:3]
	s_waitcnt vmcnt(0)
	s_delay_alu instid0(VALU_DEP_1) | instskip(SKIP_1) | instid1(VALU_DEP_1)
	v_fma_f64 v[2:3], v[124:125], v[108:109], v[2:3]
	s_waitcnt lgkmcnt(0)
	v_fma_f64 v[2:3], v[126:127], v[102:103], v[2:3]
	s_delay_alu instid0(VALU_DEP_1)
	v_add_f64 v[2:3], v[100:101], -v[2:3]
	scratch_store_b64 off, v[2:3], off offset:248
	v_cmpx_lt_u32_e32 30, v0
	s_cbranch_execz .LBB110_231
; %bb.230:
	scratch_load_b64 v[3:4], off, off offset:240
	v_mov_b32_e32 v2, v1
	scratch_store_b64 off, v[1:2], off offset:240
	s_waitcnt vmcnt(0)
	ds_store_b64 v5, v[3:4]
.LBB110_231:
	s_or_b32 exec_lo, exec_lo, s0
	s_waitcnt lgkmcnt(0)
	s_waitcnt_vscnt null, 0x0
	s_barrier
	buffer_gl0_inv
	s_clause 0x4
	scratch_load_b128 v[100:103], off, off offset:240
	scratch_load_b128 v[104:107], off, off offset:256
	;; [unrolled: 1-line block ×5, first 2 shown]
	ds_load_2addr_b64 v[120:123], v1 offset0:79 offset1:80
	ds_load_2addr_b64 v[124:127], v1 offset0:81 offset1:82
	scratch_load_b128 v[128:131], off, off offset:320
	s_mov_b32 s0, exec_lo
	s_waitcnt vmcnt(5) lgkmcnt(1)
	v_fma_f64 v[2:3], v[102:103], v[120:121], 0
	s_waitcnt vmcnt(4)
	s_delay_alu instid0(VALU_DEP_1) | instskip(SKIP_4) | instid1(VALU_DEP_1)
	v_fma_f64 v[2:3], v[104:105], v[122:123], v[2:3]
	scratch_load_b128 v[102:105], off, off offset:336
	s_waitcnt lgkmcnt(0)
	v_fma_f64 v[2:3], v[106:107], v[124:125], v[2:3]
	s_waitcnt vmcnt(4)
	v_fma_f64 v[2:3], v[108:109], v[126:127], v[2:3]
	ds_load_2addr_b64 v[106:109], v1 offset0:83 offset1:84
	ds_load_2addr_b64 v[120:123], v1 offset0:85 offset1:86
	scratch_load_b128 v[124:127], off, off offset:352
	s_waitcnt lgkmcnt(1)
	v_fma_f64 v[2:3], v[110:111], v[106:107], v[2:3]
	s_waitcnt vmcnt(4)
	s_delay_alu instid0(VALU_DEP_1) | instskip(SKIP_1) | instid1(VALU_DEP_1)
	v_fma_f64 v[2:3], v[112:113], v[108:109], v[2:3]
	s_waitcnt lgkmcnt(0)
	v_fma_f64 v[2:3], v[114:115], v[120:121], v[2:3]
	scratch_load_b64 v[114:115], off, off offset:368
	ds_load_2addr_b64 v[106:109], v1 offset0:87 offset1:88
	ds_load_2addr_b64 v[110:113], v1 offset0:89 offset1:90
	s_waitcnt vmcnt(4)
	v_fma_f64 v[2:3], v[116:117], v[122:123], v[2:3]
	s_waitcnt lgkmcnt(1)
	s_delay_alu instid0(VALU_DEP_1) | instskip(SKIP_1) | instid1(VALU_DEP_1)
	v_fma_f64 v[2:3], v[118:119], v[106:107], v[2:3]
	s_waitcnt vmcnt(3)
	v_fma_f64 v[2:3], v[128:129], v[108:109], v[2:3]
	s_waitcnt lgkmcnt(0)
	s_delay_alu instid0(VALU_DEP_1) | instskip(SKIP_1) | instid1(VALU_DEP_1)
	v_fma_f64 v[2:3], v[130:131], v[110:111], v[2:3]
	s_waitcnt vmcnt(2)
	v_fma_f64 v[102:103], v[102:103], v[112:113], v[2:3]
	ds_load_2addr_b64 v[106:109], v1 offset0:91 offset1:92
	ds_load_2addr_b64 v[1:4], v1 offset0:93 offset1:94
	s_waitcnt lgkmcnt(1)
	v_fma_f64 v[102:103], v[104:105], v[106:107], v[102:103]
	s_waitcnt vmcnt(1)
	s_delay_alu instid0(VALU_DEP_1) | instskip(SKIP_1) | instid1(VALU_DEP_1)
	v_fma_f64 v[102:103], v[124:125], v[108:109], v[102:103]
	s_waitcnt lgkmcnt(0)
	v_fma_f64 v[1:2], v[126:127], v[1:2], v[102:103]
	s_waitcnt vmcnt(0)
	s_delay_alu instid0(VALU_DEP_1) | instskip(NEXT) | instid1(VALU_DEP_1)
	v_fma_f64 v[1:2], v[114:115], v[3:4], v[1:2]
	v_add_f64 v[1:2], v[100:101], -v[1:2]
	scratch_store_b64 off, v[1:2], off offset:240
	v_cmpx_lt_u32_e32 29, v0
	s_cbranch_execz .LBB110_233
; %bb.232:
	scratch_load_b64 v[1:2], off, off offset:232
	v_mov_b32_e32 v3, 0
	s_delay_alu instid0(VALU_DEP_1)
	v_mov_b32_e32 v4, v3
	scratch_store_b64 off, v[3:4], off offset:232
	s_waitcnt vmcnt(0)
	ds_store_b64 v5, v[1:2]
.LBB110_233:
	s_or_b32 exec_lo, exec_lo, s0
	s_waitcnt lgkmcnt(0)
	s_waitcnt_vscnt null, 0x0
	s_barrier
	buffer_gl0_inv
	s_clause 0x4
	scratch_load_b128 v[100:103], off, off offset:232
	scratch_load_b128 v[104:107], off, off offset:248
	;; [unrolled: 1-line block ×5, first 2 shown]
	v_mov_b32_e32 v1, 0
	ds_load_b128 v[120:123], v1 offset:624
	ds_load_b128 v[124:127], v1 offset:640
	scratch_load_b128 v[128:131], off, off offset:312
	s_mov_b32 s0, exec_lo
	s_waitcnt vmcnt(5) lgkmcnt(1)
	v_fma_f64 v[2:3], v[102:103], v[120:121], 0
	s_waitcnt vmcnt(4)
	s_delay_alu instid0(VALU_DEP_1) | instskip(SKIP_4) | instid1(VALU_DEP_1)
	v_fma_f64 v[2:3], v[104:105], v[122:123], v[2:3]
	scratch_load_b128 v[102:105], off, off offset:328
	s_waitcnt lgkmcnt(0)
	v_fma_f64 v[2:3], v[106:107], v[124:125], v[2:3]
	s_waitcnt vmcnt(4)
	v_fma_f64 v[2:3], v[108:109], v[126:127], v[2:3]
	ds_load_b128 v[106:109], v1 offset:656
	ds_load_b128 v[120:123], v1 offset:672
	scratch_load_b128 v[124:127], off, off offset:344
	s_waitcnt lgkmcnt(1)
	v_fma_f64 v[2:3], v[110:111], v[106:107], v[2:3]
	s_waitcnt vmcnt(4)
	s_delay_alu instid0(VALU_DEP_1) | instskip(SKIP_4) | instid1(VALU_DEP_1)
	v_fma_f64 v[2:3], v[112:113], v[108:109], v[2:3]
	scratch_load_b128 v[106:109], off, off offset:360
	s_waitcnt lgkmcnt(0)
	v_fma_f64 v[2:3], v[114:115], v[120:121], v[2:3]
	s_waitcnt vmcnt(4)
	v_fma_f64 v[2:3], v[116:117], v[122:123], v[2:3]
	ds_load_b128 v[110:113], v1 offset:688
	ds_load_b128 v[114:117], v1 offset:704
	s_waitcnt lgkmcnt(1)
	v_fma_f64 v[2:3], v[118:119], v[110:111], v[2:3]
	s_waitcnt vmcnt(3)
	s_delay_alu instid0(VALU_DEP_1) | instskip(SKIP_1) | instid1(VALU_DEP_1)
	v_fma_f64 v[2:3], v[128:129], v[112:113], v[2:3]
	s_waitcnt lgkmcnt(0)
	v_fma_f64 v[2:3], v[130:131], v[114:115], v[2:3]
	s_waitcnt vmcnt(2)
	s_delay_alu instid0(VALU_DEP_1)
	v_fma_f64 v[2:3], v[102:103], v[116:117], v[2:3]
	ds_load_b128 v[110:113], v1 offset:720
	ds_load_b128 v[114:117], v1 offset:736
	ds_load_b64 v[102:103], v1 offset:752
	s_waitcnt lgkmcnt(2)
	v_fma_f64 v[2:3], v[104:105], v[110:111], v[2:3]
	s_waitcnt vmcnt(1)
	s_delay_alu instid0(VALU_DEP_1) | instskip(SKIP_1) | instid1(VALU_DEP_1)
	v_fma_f64 v[2:3], v[124:125], v[112:113], v[2:3]
	s_waitcnt lgkmcnt(1)
	v_fma_f64 v[2:3], v[126:127], v[114:115], v[2:3]
	s_waitcnt vmcnt(0)
	s_delay_alu instid0(VALU_DEP_1) | instskip(SKIP_1) | instid1(VALU_DEP_1)
	v_fma_f64 v[2:3], v[106:107], v[116:117], v[2:3]
	s_waitcnt lgkmcnt(0)
	v_fma_f64 v[2:3], v[108:109], v[102:103], v[2:3]
	s_delay_alu instid0(VALU_DEP_1)
	v_add_f64 v[2:3], v[100:101], -v[2:3]
	scratch_store_b64 off, v[2:3], off offset:232
	v_cmpx_lt_u32_e32 28, v0
	s_cbranch_execz .LBB110_235
; %bb.234:
	scratch_load_b64 v[3:4], off, off offset:224
	v_mov_b32_e32 v2, v1
	scratch_store_b64 off, v[1:2], off offset:224
	s_waitcnt vmcnt(0)
	ds_store_b64 v5, v[3:4]
.LBB110_235:
	s_or_b32 exec_lo, exec_lo, s0
	s_waitcnt lgkmcnt(0)
	s_waitcnt_vscnt null, 0x0
	s_barrier
	buffer_gl0_inv
	s_clause 0x4
	scratch_load_b128 v[100:103], off, off offset:224
	scratch_load_b128 v[104:107], off, off offset:240
	;; [unrolled: 1-line block ×5, first 2 shown]
	ds_load_2addr_b64 v[120:123], v1 offset0:77 offset1:78
	ds_load_2addr_b64 v[124:127], v1 offset0:79 offset1:80
	scratch_load_b128 v[128:131], off, off offset:304
	s_mov_b32 s0, exec_lo
	s_waitcnt vmcnt(5) lgkmcnt(1)
	v_fma_f64 v[2:3], v[102:103], v[120:121], 0
	s_waitcnt vmcnt(4)
	s_delay_alu instid0(VALU_DEP_1) | instskip(SKIP_4) | instid1(VALU_DEP_1)
	v_fma_f64 v[2:3], v[104:105], v[122:123], v[2:3]
	scratch_load_b128 v[102:105], off, off offset:320
	s_waitcnt lgkmcnt(0)
	v_fma_f64 v[2:3], v[106:107], v[124:125], v[2:3]
	s_waitcnt vmcnt(4)
	v_fma_f64 v[2:3], v[108:109], v[126:127], v[2:3]
	ds_load_2addr_b64 v[106:109], v1 offset0:81 offset1:82
	ds_load_2addr_b64 v[120:123], v1 offset0:83 offset1:84
	scratch_load_b128 v[124:127], off, off offset:336
	s_waitcnt lgkmcnt(1)
	v_fma_f64 v[2:3], v[110:111], v[106:107], v[2:3]
	s_waitcnt vmcnt(4)
	s_delay_alu instid0(VALU_DEP_1) | instskip(SKIP_4) | instid1(VALU_DEP_1)
	v_fma_f64 v[2:3], v[112:113], v[108:109], v[2:3]
	scratch_load_b128 v[106:109], off, off offset:352
	s_waitcnt lgkmcnt(0)
	v_fma_f64 v[2:3], v[114:115], v[120:121], v[2:3]
	s_waitcnt vmcnt(4)
	v_fma_f64 v[2:3], v[116:117], v[122:123], v[2:3]
	ds_load_2addr_b64 v[110:113], v1 offset0:85 offset1:86
	ds_load_2addr_b64 v[114:117], v1 offset0:87 offset1:88
	s_waitcnt lgkmcnt(1)
	v_fma_f64 v[2:3], v[118:119], v[110:111], v[2:3]
	scratch_load_b64 v[118:119], off, off offset:368
	s_waitcnt vmcnt(4)
	v_fma_f64 v[2:3], v[128:129], v[112:113], v[2:3]
	s_waitcnt lgkmcnt(0)
	s_delay_alu instid0(VALU_DEP_1) | instskip(SKIP_1) | instid1(VALU_DEP_1)
	v_fma_f64 v[2:3], v[130:131], v[114:115], v[2:3]
	s_waitcnt vmcnt(3)
	v_fma_f64 v[2:3], v[102:103], v[116:117], v[2:3]
	ds_load_2addr_b64 v[110:113], v1 offset0:89 offset1:90
	ds_load_2addr_b64 v[114:117], v1 offset0:91 offset1:92
	s_waitcnt lgkmcnt(1)
	v_fma_f64 v[2:3], v[104:105], v[110:111], v[2:3]
	s_waitcnt vmcnt(2)
	s_delay_alu instid0(VALU_DEP_1) | instskip(SKIP_1) | instid1(VALU_DEP_1)
	v_fma_f64 v[2:3], v[124:125], v[112:113], v[2:3]
	s_waitcnt lgkmcnt(0)
	v_fma_f64 v[2:3], v[126:127], v[114:115], v[2:3]
	s_waitcnt vmcnt(1)
	s_delay_alu instid0(VALU_DEP_1) | instskip(SKIP_4) | instid1(VALU_DEP_1)
	v_fma_f64 v[102:103], v[106:107], v[116:117], v[2:3]
	ds_load_2addr_b64 v[1:4], v1 offset0:93 offset1:94
	s_waitcnt lgkmcnt(0)
	v_fma_f64 v[1:2], v[108:109], v[1:2], v[102:103]
	s_waitcnt vmcnt(0)
	v_fma_f64 v[1:2], v[118:119], v[3:4], v[1:2]
	s_delay_alu instid0(VALU_DEP_1)
	v_add_f64 v[1:2], v[100:101], -v[1:2]
	scratch_store_b64 off, v[1:2], off offset:224
	v_cmpx_lt_u32_e32 27, v0
	s_cbranch_execz .LBB110_237
; %bb.236:
	scratch_load_b64 v[1:2], off, off offset:216
	v_mov_b32_e32 v3, 0
	s_delay_alu instid0(VALU_DEP_1)
	v_mov_b32_e32 v4, v3
	scratch_store_b64 off, v[3:4], off offset:216
	s_waitcnt vmcnt(0)
	ds_store_b64 v5, v[1:2]
.LBB110_237:
	s_or_b32 exec_lo, exec_lo, s0
	s_waitcnt lgkmcnt(0)
	s_waitcnt_vscnt null, 0x0
	s_barrier
	buffer_gl0_inv
	s_clause 0x4
	scratch_load_b128 v[100:103], off, off offset:216
	scratch_load_b128 v[104:107], off, off offset:232
	;; [unrolled: 1-line block ×5, first 2 shown]
	v_mov_b32_e32 v1, 0
	ds_load_b128 v[120:123], v1 offset:608
	ds_load_b128 v[124:127], v1 offset:624
	scratch_load_b128 v[128:131], off, off offset:296
	s_mov_b32 s0, exec_lo
	s_waitcnt vmcnt(5) lgkmcnt(1)
	v_fma_f64 v[2:3], v[102:103], v[120:121], 0
	s_waitcnt vmcnt(4)
	s_delay_alu instid0(VALU_DEP_1) | instskip(SKIP_4) | instid1(VALU_DEP_1)
	v_fma_f64 v[2:3], v[104:105], v[122:123], v[2:3]
	scratch_load_b128 v[102:105], off, off offset:312
	s_waitcnt lgkmcnt(0)
	v_fma_f64 v[2:3], v[106:107], v[124:125], v[2:3]
	s_waitcnt vmcnt(4)
	v_fma_f64 v[2:3], v[108:109], v[126:127], v[2:3]
	ds_load_b128 v[106:109], v1 offset:640
	ds_load_b128 v[120:123], v1 offset:656
	scratch_load_b128 v[124:127], off, off offset:328
	s_waitcnt lgkmcnt(1)
	v_fma_f64 v[2:3], v[110:111], v[106:107], v[2:3]
	s_waitcnt vmcnt(4)
	s_delay_alu instid0(VALU_DEP_1) | instskip(SKIP_4) | instid1(VALU_DEP_1)
	v_fma_f64 v[2:3], v[112:113], v[108:109], v[2:3]
	scratch_load_b128 v[106:109], off, off offset:344
	s_waitcnt lgkmcnt(0)
	v_fma_f64 v[2:3], v[114:115], v[120:121], v[2:3]
	s_waitcnt vmcnt(4)
	v_fma_f64 v[2:3], v[116:117], v[122:123], v[2:3]
	ds_load_b128 v[110:113], v1 offset:672
	ds_load_b128 v[114:117], v1 offset:688
	s_waitcnt lgkmcnt(1)
	v_fma_f64 v[2:3], v[118:119], v[110:111], v[2:3]
	scratch_load_b128 v[118:121], off, off offset:360
	s_waitcnt vmcnt(4)
	v_fma_f64 v[2:3], v[128:129], v[112:113], v[2:3]
	s_waitcnt lgkmcnt(0)
	s_delay_alu instid0(VALU_DEP_1) | instskip(SKIP_1) | instid1(VALU_DEP_1)
	v_fma_f64 v[2:3], v[130:131], v[114:115], v[2:3]
	s_waitcnt vmcnt(3)
	v_fma_f64 v[2:3], v[102:103], v[116:117], v[2:3]
	ds_load_b128 v[110:113], v1 offset:704
	ds_load_b128 v[114:117], v1 offset:720
	s_waitcnt lgkmcnt(1)
	v_fma_f64 v[2:3], v[104:105], v[110:111], v[2:3]
	s_waitcnt vmcnt(2)
	s_delay_alu instid0(VALU_DEP_1) | instskip(SKIP_1) | instid1(VALU_DEP_1)
	v_fma_f64 v[2:3], v[124:125], v[112:113], v[2:3]
	s_waitcnt lgkmcnt(0)
	v_fma_f64 v[2:3], v[126:127], v[114:115], v[2:3]
	s_waitcnt vmcnt(1)
	s_delay_alu instid0(VALU_DEP_1)
	v_fma_f64 v[2:3], v[106:107], v[116:117], v[2:3]
	ds_load_b128 v[102:105], v1 offset:736
	ds_load_b64 v[106:107], v1 offset:752
	s_waitcnt lgkmcnt(1)
	v_fma_f64 v[2:3], v[108:109], v[102:103], v[2:3]
	s_waitcnt vmcnt(0)
	s_delay_alu instid0(VALU_DEP_1) | instskip(SKIP_1) | instid1(VALU_DEP_1)
	v_fma_f64 v[2:3], v[118:119], v[104:105], v[2:3]
	s_waitcnt lgkmcnt(0)
	v_fma_f64 v[2:3], v[120:121], v[106:107], v[2:3]
	s_delay_alu instid0(VALU_DEP_1)
	v_add_f64 v[2:3], v[100:101], -v[2:3]
	scratch_store_b64 off, v[2:3], off offset:216
	v_cmpx_lt_u32_e32 26, v0
	s_cbranch_execz .LBB110_239
; %bb.238:
	scratch_load_b64 v[3:4], off, off offset:208
	v_mov_b32_e32 v2, v1
	scratch_store_b64 off, v[1:2], off offset:208
	s_waitcnt vmcnt(0)
	ds_store_b64 v5, v[3:4]
.LBB110_239:
	s_or_b32 exec_lo, exec_lo, s0
	s_waitcnt lgkmcnt(0)
	s_waitcnt_vscnt null, 0x0
	s_barrier
	buffer_gl0_inv
	s_clause 0x4
	scratch_load_b128 v[100:103], off, off offset:208
	scratch_load_b128 v[104:107], off, off offset:224
	;; [unrolled: 1-line block ×5, first 2 shown]
	ds_load_2addr_b64 v[120:123], v1 offset0:75 offset1:76
	ds_load_2addr_b64 v[124:127], v1 offset0:77 offset1:78
	scratch_load_b128 v[128:131], off, off offset:288
	s_mov_b32 s0, exec_lo
	s_waitcnt vmcnt(5) lgkmcnt(1)
	v_fma_f64 v[2:3], v[102:103], v[120:121], 0
	s_waitcnt vmcnt(4)
	s_delay_alu instid0(VALU_DEP_1) | instskip(SKIP_4) | instid1(VALU_DEP_1)
	v_fma_f64 v[2:3], v[104:105], v[122:123], v[2:3]
	scratch_load_b128 v[102:105], off, off offset:304
	s_waitcnt lgkmcnt(0)
	v_fma_f64 v[2:3], v[106:107], v[124:125], v[2:3]
	s_waitcnt vmcnt(4)
	v_fma_f64 v[2:3], v[108:109], v[126:127], v[2:3]
	ds_load_2addr_b64 v[106:109], v1 offset0:79 offset1:80
	ds_load_2addr_b64 v[120:123], v1 offset0:81 offset1:82
	scratch_load_b128 v[124:127], off, off offset:320
	s_waitcnt lgkmcnt(1)
	v_fma_f64 v[2:3], v[110:111], v[106:107], v[2:3]
	s_waitcnt vmcnt(4)
	s_delay_alu instid0(VALU_DEP_1) | instskip(SKIP_4) | instid1(VALU_DEP_1)
	v_fma_f64 v[2:3], v[112:113], v[108:109], v[2:3]
	scratch_load_b128 v[106:109], off, off offset:336
	s_waitcnt lgkmcnt(0)
	v_fma_f64 v[2:3], v[114:115], v[120:121], v[2:3]
	s_waitcnt vmcnt(4)
	v_fma_f64 v[2:3], v[116:117], v[122:123], v[2:3]
	ds_load_2addr_b64 v[110:113], v1 offset0:83 offset1:84
	ds_load_2addr_b64 v[114:117], v1 offset0:85 offset1:86
	scratch_load_b64 v[122:123], off, off offset:368
	s_waitcnt lgkmcnt(1)
	v_fma_f64 v[2:3], v[118:119], v[110:111], v[2:3]
	scratch_load_b128 v[118:121], off, off offset:352
	s_waitcnt vmcnt(5)
	v_fma_f64 v[2:3], v[128:129], v[112:113], v[2:3]
	s_waitcnt lgkmcnt(0)
	s_delay_alu instid0(VALU_DEP_1) | instskip(SKIP_1) | instid1(VALU_DEP_1)
	v_fma_f64 v[2:3], v[130:131], v[114:115], v[2:3]
	s_waitcnt vmcnt(4)
	v_fma_f64 v[2:3], v[102:103], v[116:117], v[2:3]
	ds_load_2addr_b64 v[110:113], v1 offset0:87 offset1:88
	ds_load_2addr_b64 v[114:117], v1 offset0:89 offset1:90
	s_waitcnt lgkmcnt(1)
	v_fma_f64 v[2:3], v[104:105], v[110:111], v[2:3]
	s_waitcnt vmcnt(3)
	s_delay_alu instid0(VALU_DEP_1) | instskip(SKIP_1) | instid1(VALU_DEP_1)
	v_fma_f64 v[2:3], v[124:125], v[112:113], v[2:3]
	s_waitcnt lgkmcnt(0)
	v_fma_f64 v[2:3], v[126:127], v[114:115], v[2:3]
	s_waitcnt vmcnt(2)
	s_delay_alu instid0(VALU_DEP_1)
	v_fma_f64 v[106:107], v[106:107], v[116:117], v[2:3]
	ds_load_2addr_b64 v[102:105], v1 offset0:91 offset1:92
	ds_load_2addr_b64 v[1:4], v1 offset0:93 offset1:94
	s_waitcnt lgkmcnt(1)
	v_fma_f64 v[102:103], v[108:109], v[102:103], v[106:107]
	s_waitcnt vmcnt(0)
	s_delay_alu instid0(VALU_DEP_1) | instskip(SKIP_1) | instid1(VALU_DEP_1)
	v_fma_f64 v[102:103], v[118:119], v[104:105], v[102:103]
	s_waitcnt lgkmcnt(0)
	v_fma_f64 v[1:2], v[120:121], v[1:2], v[102:103]
	s_delay_alu instid0(VALU_DEP_1) | instskip(NEXT) | instid1(VALU_DEP_1)
	v_fma_f64 v[1:2], v[122:123], v[3:4], v[1:2]
	v_add_f64 v[1:2], v[100:101], -v[1:2]
	scratch_store_b64 off, v[1:2], off offset:208
	v_cmpx_lt_u32_e32 25, v0
	s_cbranch_execz .LBB110_241
; %bb.240:
	scratch_load_b64 v[1:2], off, off offset:200
	v_mov_b32_e32 v3, 0
	s_delay_alu instid0(VALU_DEP_1)
	v_mov_b32_e32 v4, v3
	scratch_store_b64 off, v[3:4], off offset:200
	s_waitcnt vmcnt(0)
	ds_store_b64 v5, v[1:2]
.LBB110_241:
	s_or_b32 exec_lo, exec_lo, s0
	s_waitcnt lgkmcnt(0)
	s_waitcnt_vscnt null, 0x0
	s_barrier
	buffer_gl0_inv
	s_clause 0x4
	scratch_load_b128 v[100:103], off, off offset:200
	scratch_load_b128 v[104:107], off, off offset:216
	;; [unrolled: 1-line block ×5, first 2 shown]
	v_mov_b32_e32 v1, 0
	ds_load_b128 v[120:123], v1 offset:592
	ds_load_b128 v[124:127], v1 offset:608
	scratch_load_b128 v[128:131], off, off offset:280
	s_mov_b32 s0, exec_lo
	s_waitcnt vmcnt(5) lgkmcnt(1)
	v_fma_f64 v[2:3], v[102:103], v[120:121], 0
	s_waitcnt vmcnt(4)
	s_delay_alu instid0(VALU_DEP_1) | instskip(SKIP_4) | instid1(VALU_DEP_1)
	v_fma_f64 v[2:3], v[104:105], v[122:123], v[2:3]
	scratch_load_b128 v[102:105], off, off offset:296
	s_waitcnt lgkmcnt(0)
	v_fma_f64 v[2:3], v[106:107], v[124:125], v[2:3]
	s_waitcnt vmcnt(4)
	v_fma_f64 v[2:3], v[108:109], v[126:127], v[2:3]
	ds_load_b128 v[106:109], v1 offset:624
	ds_load_b128 v[120:123], v1 offset:640
	scratch_load_b128 v[124:127], off, off offset:312
	s_waitcnt lgkmcnt(1)
	v_fma_f64 v[2:3], v[110:111], v[106:107], v[2:3]
	s_waitcnt vmcnt(4)
	s_delay_alu instid0(VALU_DEP_1) | instskip(SKIP_4) | instid1(VALU_DEP_1)
	v_fma_f64 v[2:3], v[112:113], v[108:109], v[2:3]
	scratch_load_b128 v[106:109], off, off offset:328
	s_waitcnt lgkmcnt(0)
	v_fma_f64 v[2:3], v[114:115], v[120:121], v[2:3]
	s_waitcnt vmcnt(4)
	v_fma_f64 v[2:3], v[116:117], v[122:123], v[2:3]
	ds_load_b128 v[110:113], v1 offset:656
	ds_load_b128 v[114:117], v1 offset:672
	s_waitcnt lgkmcnt(1)
	v_fma_f64 v[2:3], v[118:119], v[110:111], v[2:3]
	scratch_load_b128 v[118:121], off, off offset:344
	s_waitcnt vmcnt(4)
	v_fma_f64 v[2:3], v[128:129], v[112:113], v[2:3]
	scratch_load_b128 v[110:113], off, off offset:360
	s_waitcnt lgkmcnt(0)
	v_fma_f64 v[2:3], v[130:131], v[114:115], v[2:3]
	s_waitcnt vmcnt(4)
	s_delay_alu instid0(VALU_DEP_1)
	v_fma_f64 v[2:3], v[102:103], v[116:117], v[2:3]
	ds_load_b128 v[114:117], v1 offset:688
	ds_load_b128 v[128:131], v1 offset:704
	s_waitcnt lgkmcnt(1)
	v_fma_f64 v[2:3], v[104:105], v[114:115], v[2:3]
	s_waitcnt vmcnt(3)
	s_delay_alu instid0(VALU_DEP_1)
	v_fma_f64 v[2:3], v[124:125], v[116:117], v[2:3]
	ds_load_b128 v[102:105], v1 offset:720
	ds_load_b128 v[114:117], v1 offset:736
	s_waitcnt lgkmcnt(2)
	v_fma_f64 v[2:3], v[126:127], v[128:129], v[2:3]
	s_waitcnt vmcnt(2)
	s_delay_alu instid0(VALU_DEP_1) | instskip(SKIP_1) | instid1(VALU_DEP_1)
	v_fma_f64 v[2:3], v[106:107], v[130:131], v[2:3]
	s_waitcnt lgkmcnt(1)
	v_fma_f64 v[2:3], v[108:109], v[102:103], v[2:3]
	ds_load_b64 v[102:103], v1 offset:752
	s_waitcnt vmcnt(1)
	v_fma_f64 v[2:3], v[118:119], v[104:105], v[2:3]
	s_waitcnt lgkmcnt(1)
	s_delay_alu instid0(VALU_DEP_1) | instskip(SKIP_1) | instid1(VALU_DEP_1)
	v_fma_f64 v[2:3], v[120:121], v[114:115], v[2:3]
	s_waitcnt vmcnt(0)
	v_fma_f64 v[2:3], v[110:111], v[116:117], v[2:3]
	s_waitcnt lgkmcnt(0)
	s_delay_alu instid0(VALU_DEP_1) | instskip(NEXT) | instid1(VALU_DEP_1)
	v_fma_f64 v[2:3], v[112:113], v[102:103], v[2:3]
	v_add_f64 v[2:3], v[100:101], -v[2:3]
	scratch_store_b64 off, v[2:3], off offset:200
	v_cmpx_lt_u32_e32 24, v0
	s_cbranch_execz .LBB110_243
; %bb.242:
	scratch_load_b64 v[3:4], off, off offset:192
	v_mov_b32_e32 v2, v1
	scratch_store_b64 off, v[1:2], off offset:192
	s_waitcnt vmcnt(0)
	ds_store_b64 v5, v[3:4]
.LBB110_243:
	s_or_b32 exec_lo, exec_lo, s0
	s_waitcnt lgkmcnt(0)
	s_waitcnt_vscnt null, 0x0
	s_barrier
	buffer_gl0_inv
	s_clause 0x4
	scratch_load_b128 v[100:103], off, off offset:192
	scratch_load_b128 v[104:107], off, off offset:208
	;; [unrolled: 1-line block ×5, first 2 shown]
	ds_load_2addr_b64 v[120:123], v1 offset0:73 offset1:74
	ds_load_2addr_b64 v[124:127], v1 offset0:75 offset1:76
	scratch_load_b128 v[128:131], off, off offset:272
	s_mov_b32 s0, exec_lo
	s_waitcnt vmcnt(5) lgkmcnt(1)
	v_fma_f64 v[2:3], v[102:103], v[120:121], 0
	s_waitcnt vmcnt(4)
	s_delay_alu instid0(VALU_DEP_1) | instskip(SKIP_4) | instid1(VALU_DEP_1)
	v_fma_f64 v[2:3], v[104:105], v[122:123], v[2:3]
	scratch_load_b128 v[102:105], off, off offset:288
	s_waitcnt lgkmcnt(0)
	v_fma_f64 v[2:3], v[106:107], v[124:125], v[2:3]
	s_waitcnt vmcnt(4)
	v_fma_f64 v[2:3], v[108:109], v[126:127], v[2:3]
	ds_load_2addr_b64 v[106:109], v1 offset0:77 offset1:78
	ds_load_2addr_b64 v[120:123], v1 offset0:79 offset1:80
	scratch_load_b128 v[124:127], off, off offset:304
	s_waitcnt lgkmcnt(1)
	v_fma_f64 v[2:3], v[110:111], v[106:107], v[2:3]
	s_waitcnt vmcnt(4)
	s_delay_alu instid0(VALU_DEP_1) | instskip(SKIP_4) | instid1(VALU_DEP_1)
	v_fma_f64 v[2:3], v[112:113], v[108:109], v[2:3]
	scratch_load_b128 v[106:109], off, off offset:320
	s_waitcnt lgkmcnt(0)
	v_fma_f64 v[2:3], v[114:115], v[120:121], v[2:3]
	s_waitcnt vmcnt(4)
	v_fma_f64 v[2:3], v[116:117], v[122:123], v[2:3]
	ds_load_2addr_b64 v[110:113], v1 offset0:81 offset1:82
	ds_load_2addr_b64 v[114:117], v1 offset0:83 offset1:84
	s_waitcnt lgkmcnt(1)
	v_fma_f64 v[2:3], v[118:119], v[110:111], v[2:3]
	scratch_load_b128 v[118:121], off, off offset:336
	s_waitcnt vmcnt(4)
	v_fma_f64 v[2:3], v[128:129], v[112:113], v[2:3]
	scratch_load_b128 v[110:113], off, off offset:352
	s_waitcnt lgkmcnt(0)
	v_fma_f64 v[2:3], v[130:131], v[114:115], v[2:3]
	s_waitcnt vmcnt(4)
	s_delay_alu instid0(VALU_DEP_1)
	v_fma_f64 v[2:3], v[102:103], v[116:117], v[2:3]
	ds_load_2addr_b64 v[114:117], v1 offset0:85 offset1:86
	ds_load_2addr_b64 v[128:131], v1 offset0:87 offset1:88
	scratch_load_b64 v[122:123], off, off offset:368
	s_waitcnt lgkmcnt(1)
	v_fma_f64 v[2:3], v[104:105], v[114:115], v[2:3]
	s_waitcnt vmcnt(4)
	s_delay_alu instid0(VALU_DEP_1)
	v_fma_f64 v[2:3], v[124:125], v[116:117], v[2:3]
	ds_load_2addr_b64 v[102:105], v1 offset0:89 offset1:90
	ds_load_2addr_b64 v[114:117], v1 offset0:91 offset1:92
	s_waitcnt lgkmcnt(2)
	v_fma_f64 v[2:3], v[126:127], v[128:129], v[2:3]
	s_waitcnt vmcnt(3)
	s_delay_alu instid0(VALU_DEP_1) | instskip(SKIP_1) | instid1(VALU_DEP_1)
	v_fma_f64 v[2:3], v[106:107], v[130:131], v[2:3]
	s_waitcnt lgkmcnt(1)
	v_fma_f64 v[2:3], v[108:109], v[102:103], v[2:3]
	s_waitcnt vmcnt(2)
	s_delay_alu instid0(VALU_DEP_1) | instskip(SKIP_1) | instid1(VALU_DEP_1)
	v_fma_f64 v[2:3], v[118:119], v[104:105], v[2:3]
	s_waitcnt lgkmcnt(0)
	v_fma_f64 v[2:3], v[120:121], v[114:115], v[2:3]
	s_waitcnt vmcnt(1)
	s_delay_alu instid0(VALU_DEP_1) | instskip(SKIP_4) | instid1(VALU_DEP_1)
	v_fma_f64 v[102:103], v[110:111], v[116:117], v[2:3]
	ds_load_2addr_b64 v[1:4], v1 offset0:93 offset1:94
	s_waitcnt lgkmcnt(0)
	v_fma_f64 v[1:2], v[112:113], v[1:2], v[102:103]
	s_waitcnt vmcnt(0)
	v_fma_f64 v[1:2], v[122:123], v[3:4], v[1:2]
	s_delay_alu instid0(VALU_DEP_1)
	v_add_f64 v[1:2], v[100:101], -v[1:2]
	scratch_store_b64 off, v[1:2], off offset:192
	v_cmpx_lt_u32_e32 23, v0
	s_cbranch_execz .LBB110_245
; %bb.244:
	scratch_load_b64 v[1:2], off, off offset:184
	v_mov_b32_e32 v3, 0
	s_delay_alu instid0(VALU_DEP_1)
	v_mov_b32_e32 v4, v3
	scratch_store_b64 off, v[3:4], off offset:184
	s_waitcnt vmcnt(0)
	ds_store_b64 v5, v[1:2]
.LBB110_245:
	s_or_b32 exec_lo, exec_lo, s0
	s_waitcnt lgkmcnt(0)
	s_waitcnt_vscnt null, 0x0
	s_barrier
	buffer_gl0_inv
	s_clause 0x4
	scratch_load_b128 v[100:103], off, off offset:184
	scratch_load_b128 v[104:107], off, off offset:200
	;; [unrolled: 1-line block ×5, first 2 shown]
	v_mov_b32_e32 v1, 0
	ds_load_b128 v[120:123], v1 offset:576
	ds_load_b128 v[124:127], v1 offset:592
	scratch_load_b128 v[128:131], off, off offset:264
	s_mov_b32 s0, exec_lo
	s_waitcnt vmcnt(5) lgkmcnt(1)
	v_fma_f64 v[2:3], v[102:103], v[120:121], 0
	s_waitcnt vmcnt(4)
	s_delay_alu instid0(VALU_DEP_1) | instskip(SKIP_4) | instid1(VALU_DEP_1)
	v_fma_f64 v[2:3], v[104:105], v[122:123], v[2:3]
	scratch_load_b128 v[102:105], off, off offset:280
	s_waitcnt lgkmcnt(0)
	v_fma_f64 v[2:3], v[106:107], v[124:125], v[2:3]
	s_waitcnt vmcnt(4)
	v_fma_f64 v[2:3], v[108:109], v[126:127], v[2:3]
	ds_load_b128 v[106:109], v1 offset:608
	ds_load_b128 v[120:123], v1 offset:624
	scratch_load_b128 v[124:127], off, off offset:296
	s_waitcnt lgkmcnt(1)
	v_fma_f64 v[2:3], v[110:111], v[106:107], v[2:3]
	s_waitcnt vmcnt(4)
	s_delay_alu instid0(VALU_DEP_1) | instskip(SKIP_4) | instid1(VALU_DEP_1)
	v_fma_f64 v[2:3], v[112:113], v[108:109], v[2:3]
	scratch_load_b128 v[106:109], off, off offset:312
	s_waitcnt lgkmcnt(0)
	v_fma_f64 v[2:3], v[114:115], v[120:121], v[2:3]
	s_waitcnt vmcnt(4)
	v_fma_f64 v[2:3], v[116:117], v[122:123], v[2:3]
	ds_load_b128 v[110:113], v1 offset:640
	ds_load_b128 v[114:117], v1 offset:656
	s_waitcnt lgkmcnt(1)
	v_fma_f64 v[2:3], v[118:119], v[110:111], v[2:3]
	scratch_load_b128 v[118:121], off, off offset:328
	s_waitcnt vmcnt(4)
	v_fma_f64 v[2:3], v[128:129], v[112:113], v[2:3]
	scratch_load_b128 v[110:113], off, off offset:344
	s_waitcnt lgkmcnt(0)
	v_fma_f64 v[2:3], v[130:131], v[114:115], v[2:3]
	s_waitcnt vmcnt(4)
	s_delay_alu instid0(VALU_DEP_1)
	v_fma_f64 v[2:3], v[102:103], v[116:117], v[2:3]
	ds_load_b128 v[114:117], v1 offset:672
	ds_load_b128 v[128:131], v1 offset:688
	s_waitcnt lgkmcnt(1)
	v_fma_f64 v[2:3], v[104:105], v[114:115], v[2:3]
	scratch_load_b128 v[102:105], off, off offset:360
	s_waitcnt vmcnt(4)
	v_fma_f64 v[2:3], v[124:125], v[116:117], v[2:3]
	ds_load_b128 v[114:117], v1 offset:704
	ds_load_b128 v[122:125], v1 offset:720
	s_waitcnt lgkmcnt(2)
	v_fma_f64 v[2:3], v[126:127], v[128:129], v[2:3]
	s_waitcnt vmcnt(3)
	s_delay_alu instid0(VALU_DEP_1) | instskip(SKIP_1) | instid1(VALU_DEP_1)
	v_fma_f64 v[2:3], v[106:107], v[130:131], v[2:3]
	s_waitcnt lgkmcnt(1)
	v_fma_f64 v[2:3], v[108:109], v[114:115], v[2:3]
	s_waitcnt vmcnt(2)
	s_delay_alu instid0(VALU_DEP_1) | instskip(SKIP_1) | instid1(VALU_DEP_1)
	v_fma_f64 v[2:3], v[118:119], v[116:117], v[2:3]
	s_waitcnt lgkmcnt(0)
	v_fma_f64 v[2:3], v[120:121], v[122:123], v[2:3]
	s_waitcnt vmcnt(1)
	s_delay_alu instid0(VALU_DEP_1)
	v_fma_f64 v[2:3], v[110:111], v[124:125], v[2:3]
	ds_load_b128 v[106:109], v1 offset:736
	ds_load_b64 v[110:111], v1 offset:752
	s_waitcnt lgkmcnt(1)
	v_fma_f64 v[2:3], v[112:113], v[106:107], v[2:3]
	s_waitcnt vmcnt(0)
	s_delay_alu instid0(VALU_DEP_1) | instskip(SKIP_1) | instid1(VALU_DEP_1)
	v_fma_f64 v[2:3], v[102:103], v[108:109], v[2:3]
	s_waitcnt lgkmcnt(0)
	v_fma_f64 v[2:3], v[104:105], v[110:111], v[2:3]
	s_delay_alu instid0(VALU_DEP_1)
	v_add_f64 v[2:3], v[100:101], -v[2:3]
	scratch_store_b64 off, v[2:3], off offset:184
	v_cmpx_lt_u32_e32 22, v0
	s_cbranch_execz .LBB110_247
; %bb.246:
	scratch_load_b64 v[3:4], off, off offset:176
	v_mov_b32_e32 v2, v1
	scratch_store_b64 off, v[1:2], off offset:176
	s_waitcnt vmcnt(0)
	ds_store_b64 v5, v[3:4]
.LBB110_247:
	s_or_b32 exec_lo, exec_lo, s0
	s_waitcnt lgkmcnt(0)
	s_waitcnt_vscnt null, 0x0
	s_barrier
	buffer_gl0_inv
	s_clause 0x4
	scratch_load_b128 v[100:103], off, off offset:176
	scratch_load_b128 v[104:107], off, off offset:192
	;; [unrolled: 1-line block ×5, first 2 shown]
	ds_load_2addr_b64 v[120:123], v1 offset0:71 offset1:72
	ds_load_2addr_b64 v[124:127], v1 offset0:73 offset1:74
	scratch_load_b128 v[128:131], off, off offset:256
	s_mov_b32 s0, exec_lo
	s_waitcnt vmcnt(5) lgkmcnt(1)
	v_fma_f64 v[2:3], v[102:103], v[120:121], 0
	s_waitcnt vmcnt(4)
	s_delay_alu instid0(VALU_DEP_1) | instskip(SKIP_4) | instid1(VALU_DEP_1)
	v_fma_f64 v[2:3], v[104:105], v[122:123], v[2:3]
	scratch_load_b128 v[102:105], off, off offset:272
	s_waitcnt lgkmcnt(0)
	v_fma_f64 v[2:3], v[106:107], v[124:125], v[2:3]
	s_waitcnt vmcnt(4)
	v_fma_f64 v[2:3], v[108:109], v[126:127], v[2:3]
	ds_load_2addr_b64 v[106:109], v1 offset0:75 offset1:76
	ds_load_2addr_b64 v[120:123], v1 offset0:77 offset1:78
	scratch_load_b128 v[124:127], off, off offset:288
	s_waitcnt lgkmcnt(1)
	v_fma_f64 v[2:3], v[110:111], v[106:107], v[2:3]
	s_waitcnt vmcnt(4)
	s_delay_alu instid0(VALU_DEP_1) | instskip(SKIP_4) | instid1(VALU_DEP_1)
	v_fma_f64 v[2:3], v[112:113], v[108:109], v[2:3]
	scratch_load_b128 v[106:109], off, off offset:304
	s_waitcnt lgkmcnt(0)
	v_fma_f64 v[2:3], v[114:115], v[120:121], v[2:3]
	s_waitcnt vmcnt(4)
	v_fma_f64 v[2:3], v[116:117], v[122:123], v[2:3]
	ds_load_2addr_b64 v[110:113], v1 offset0:79 offset1:80
	ds_load_2addr_b64 v[114:117], v1 offset0:81 offset1:82
	s_waitcnt lgkmcnt(1)
	v_fma_f64 v[2:3], v[118:119], v[110:111], v[2:3]
	scratch_load_b128 v[118:121], off, off offset:320
	s_waitcnt vmcnt(4)
	v_fma_f64 v[2:3], v[128:129], v[112:113], v[2:3]
	scratch_load_b128 v[110:113], off, off offset:336
	s_waitcnt lgkmcnt(0)
	v_fma_f64 v[2:3], v[130:131], v[114:115], v[2:3]
	s_waitcnt vmcnt(4)
	s_delay_alu instid0(VALU_DEP_1)
	v_fma_f64 v[2:3], v[102:103], v[116:117], v[2:3]
	ds_load_2addr_b64 v[114:117], v1 offset0:83 offset1:84
	ds_load_2addr_b64 v[128:131], v1 offset0:85 offset1:86
	s_waitcnt lgkmcnt(1)
	v_fma_f64 v[2:3], v[104:105], v[114:115], v[2:3]
	scratch_load_b128 v[102:105], off, off offset:352
	s_waitcnt vmcnt(4)
	v_fma_f64 v[2:3], v[124:125], v[116:117], v[2:3]
	s_waitcnt lgkmcnt(0)
	s_delay_alu instid0(VALU_DEP_1)
	v_fma_f64 v[2:3], v[126:127], v[128:129], v[2:3]
	scratch_load_b64 v[126:127], off, off offset:368
	ds_load_2addr_b64 v[114:117], v1 offset0:87 offset1:88
	ds_load_2addr_b64 v[122:125], v1 offset0:89 offset1:90
	s_waitcnt vmcnt(4)
	v_fma_f64 v[2:3], v[106:107], v[130:131], v[2:3]
	s_waitcnt lgkmcnt(1)
	s_delay_alu instid0(VALU_DEP_1) | instskip(SKIP_1) | instid1(VALU_DEP_1)
	v_fma_f64 v[2:3], v[108:109], v[114:115], v[2:3]
	s_waitcnt vmcnt(3)
	v_fma_f64 v[2:3], v[118:119], v[116:117], v[2:3]
	s_waitcnt lgkmcnt(0)
	s_delay_alu instid0(VALU_DEP_1) | instskip(SKIP_1) | instid1(VALU_DEP_1)
	v_fma_f64 v[2:3], v[120:121], v[122:123], v[2:3]
	s_waitcnt vmcnt(2)
	v_fma_f64 v[110:111], v[110:111], v[124:125], v[2:3]
	ds_load_2addr_b64 v[106:109], v1 offset0:91 offset1:92
	ds_load_2addr_b64 v[1:4], v1 offset0:93 offset1:94
	s_waitcnt lgkmcnt(1)
	v_fma_f64 v[106:107], v[112:113], v[106:107], v[110:111]
	s_waitcnt vmcnt(1)
	s_delay_alu instid0(VALU_DEP_1) | instskip(SKIP_1) | instid1(VALU_DEP_1)
	v_fma_f64 v[102:103], v[102:103], v[108:109], v[106:107]
	s_waitcnt lgkmcnt(0)
	v_fma_f64 v[1:2], v[104:105], v[1:2], v[102:103]
	s_waitcnt vmcnt(0)
	s_delay_alu instid0(VALU_DEP_1) | instskip(NEXT) | instid1(VALU_DEP_1)
	v_fma_f64 v[1:2], v[126:127], v[3:4], v[1:2]
	v_add_f64 v[1:2], v[100:101], -v[1:2]
	scratch_store_b64 off, v[1:2], off offset:176
	v_cmpx_lt_u32_e32 21, v0
	s_cbranch_execz .LBB110_249
; %bb.248:
	scratch_load_b64 v[1:2], off, off offset:168
	v_mov_b32_e32 v3, 0
	s_delay_alu instid0(VALU_DEP_1)
	v_mov_b32_e32 v4, v3
	scratch_store_b64 off, v[3:4], off offset:168
	s_waitcnt vmcnt(0)
	ds_store_b64 v5, v[1:2]
.LBB110_249:
	s_or_b32 exec_lo, exec_lo, s0
	s_waitcnt lgkmcnt(0)
	s_waitcnt_vscnt null, 0x0
	s_barrier
	buffer_gl0_inv
	s_clause 0x4
	scratch_load_b128 v[100:103], off, off offset:168
	scratch_load_b128 v[104:107], off, off offset:184
	;; [unrolled: 1-line block ×5, first 2 shown]
	v_mov_b32_e32 v1, 0
	ds_load_b128 v[120:123], v1 offset:560
	ds_load_b128 v[124:127], v1 offset:576
	scratch_load_b128 v[128:131], off, off offset:248
	s_mov_b32 s0, exec_lo
	s_waitcnt vmcnt(5) lgkmcnt(1)
	v_fma_f64 v[2:3], v[102:103], v[120:121], 0
	s_waitcnt vmcnt(4)
	s_delay_alu instid0(VALU_DEP_1) | instskip(SKIP_4) | instid1(VALU_DEP_1)
	v_fma_f64 v[2:3], v[104:105], v[122:123], v[2:3]
	scratch_load_b128 v[102:105], off, off offset:264
	s_waitcnt lgkmcnt(0)
	v_fma_f64 v[2:3], v[106:107], v[124:125], v[2:3]
	s_waitcnt vmcnt(4)
	v_fma_f64 v[2:3], v[108:109], v[126:127], v[2:3]
	ds_load_b128 v[106:109], v1 offset:592
	ds_load_b128 v[120:123], v1 offset:608
	scratch_load_b128 v[124:127], off, off offset:280
	s_waitcnt lgkmcnt(1)
	v_fma_f64 v[2:3], v[110:111], v[106:107], v[2:3]
	s_waitcnt vmcnt(4)
	s_delay_alu instid0(VALU_DEP_1) | instskip(SKIP_4) | instid1(VALU_DEP_1)
	v_fma_f64 v[2:3], v[112:113], v[108:109], v[2:3]
	scratch_load_b128 v[106:109], off, off offset:296
	s_waitcnt lgkmcnt(0)
	v_fma_f64 v[2:3], v[114:115], v[120:121], v[2:3]
	s_waitcnt vmcnt(4)
	v_fma_f64 v[2:3], v[116:117], v[122:123], v[2:3]
	ds_load_b128 v[110:113], v1 offset:624
	ds_load_b128 v[114:117], v1 offset:640
	s_waitcnt lgkmcnt(1)
	v_fma_f64 v[2:3], v[118:119], v[110:111], v[2:3]
	scratch_load_b128 v[118:121], off, off offset:312
	s_waitcnt vmcnt(4)
	v_fma_f64 v[2:3], v[128:129], v[112:113], v[2:3]
	scratch_load_b128 v[110:113], off, off offset:328
	s_waitcnt lgkmcnt(0)
	v_fma_f64 v[2:3], v[130:131], v[114:115], v[2:3]
	s_waitcnt vmcnt(4)
	s_delay_alu instid0(VALU_DEP_1)
	v_fma_f64 v[2:3], v[102:103], v[116:117], v[2:3]
	ds_load_b128 v[114:117], v1 offset:656
	ds_load_b128 v[128:131], v1 offset:672
	s_waitcnt lgkmcnt(1)
	v_fma_f64 v[2:3], v[104:105], v[114:115], v[2:3]
	scratch_load_b128 v[102:105], off, off offset:344
	s_waitcnt vmcnt(4)
	v_fma_f64 v[2:3], v[124:125], v[116:117], v[2:3]
	scratch_load_b128 v[114:117], off, off offset:360
	s_waitcnt lgkmcnt(0)
	v_fma_f64 v[2:3], v[126:127], v[128:129], v[2:3]
	ds_load_b128 v[122:125], v1 offset:688
	ds_load_b128 v[126:129], v1 offset:704
	s_waitcnt vmcnt(4)
	v_fma_f64 v[2:3], v[106:107], v[130:131], v[2:3]
	s_waitcnt lgkmcnt(1)
	s_delay_alu instid0(VALU_DEP_1) | instskip(SKIP_1) | instid1(VALU_DEP_1)
	v_fma_f64 v[2:3], v[108:109], v[122:123], v[2:3]
	s_waitcnt vmcnt(3)
	v_fma_f64 v[2:3], v[118:119], v[124:125], v[2:3]
	s_waitcnt lgkmcnt(0)
	s_delay_alu instid0(VALU_DEP_1)
	v_fma_f64 v[2:3], v[120:121], v[126:127], v[2:3]
	ds_load_b128 v[106:109], v1 offset:720
	ds_load_b128 v[118:121], v1 offset:736
	s_waitcnt vmcnt(2)
	v_fma_f64 v[2:3], v[110:111], v[128:129], v[2:3]
	s_waitcnt lgkmcnt(1)
	s_delay_alu instid0(VALU_DEP_1) | instskip(SKIP_1) | instid1(VALU_DEP_1)
	v_fma_f64 v[2:3], v[112:113], v[106:107], v[2:3]
	s_waitcnt vmcnt(1)
	v_fma_f64 v[2:3], v[102:103], v[108:109], v[2:3]
	ds_load_b64 v[102:103], v1 offset:752
	s_waitcnt lgkmcnt(1)
	v_fma_f64 v[2:3], v[104:105], v[118:119], v[2:3]
	s_waitcnt vmcnt(0)
	s_delay_alu instid0(VALU_DEP_1) | instskip(SKIP_1) | instid1(VALU_DEP_1)
	v_fma_f64 v[2:3], v[114:115], v[120:121], v[2:3]
	s_waitcnt lgkmcnt(0)
	v_fma_f64 v[2:3], v[116:117], v[102:103], v[2:3]
	s_delay_alu instid0(VALU_DEP_1)
	v_add_f64 v[2:3], v[100:101], -v[2:3]
	scratch_store_b64 off, v[2:3], off offset:168
	v_cmpx_lt_u32_e32 20, v0
	s_cbranch_execz .LBB110_251
; %bb.250:
	scratch_load_b64 v[3:4], off, off offset:160
	v_mov_b32_e32 v2, v1
	scratch_store_b64 off, v[1:2], off offset:160
	s_waitcnt vmcnt(0)
	ds_store_b64 v5, v[3:4]
.LBB110_251:
	s_or_b32 exec_lo, exec_lo, s0
	s_waitcnt lgkmcnt(0)
	s_waitcnt_vscnt null, 0x0
	s_barrier
	buffer_gl0_inv
	s_clause 0x4
	scratch_load_b128 v[100:103], off, off offset:160
	scratch_load_b128 v[104:107], off, off offset:176
	;; [unrolled: 1-line block ×5, first 2 shown]
	ds_load_2addr_b64 v[120:123], v1 offset0:69 offset1:70
	ds_load_2addr_b64 v[124:127], v1 offset0:71 offset1:72
	scratch_load_b128 v[128:131], off, off offset:240
	s_mov_b32 s0, exec_lo
	s_waitcnt vmcnt(5) lgkmcnt(1)
	v_fma_f64 v[2:3], v[102:103], v[120:121], 0
	s_waitcnt vmcnt(4)
	s_delay_alu instid0(VALU_DEP_1) | instskip(SKIP_4) | instid1(VALU_DEP_1)
	v_fma_f64 v[2:3], v[104:105], v[122:123], v[2:3]
	scratch_load_b128 v[102:105], off, off offset:256
	s_waitcnt lgkmcnt(0)
	v_fma_f64 v[2:3], v[106:107], v[124:125], v[2:3]
	s_waitcnt vmcnt(4)
	v_fma_f64 v[2:3], v[108:109], v[126:127], v[2:3]
	ds_load_2addr_b64 v[106:109], v1 offset0:73 offset1:74
	ds_load_2addr_b64 v[120:123], v1 offset0:75 offset1:76
	scratch_load_b128 v[124:127], off, off offset:272
	s_waitcnt lgkmcnt(1)
	v_fma_f64 v[2:3], v[110:111], v[106:107], v[2:3]
	s_waitcnt vmcnt(4)
	s_delay_alu instid0(VALU_DEP_1) | instskip(SKIP_4) | instid1(VALU_DEP_1)
	v_fma_f64 v[2:3], v[112:113], v[108:109], v[2:3]
	scratch_load_b128 v[106:109], off, off offset:288
	s_waitcnt lgkmcnt(0)
	v_fma_f64 v[2:3], v[114:115], v[120:121], v[2:3]
	s_waitcnt vmcnt(4)
	v_fma_f64 v[2:3], v[116:117], v[122:123], v[2:3]
	ds_load_2addr_b64 v[110:113], v1 offset0:77 offset1:78
	ds_load_2addr_b64 v[114:117], v1 offset0:79 offset1:80
	s_waitcnt lgkmcnt(1)
	v_fma_f64 v[2:3], v[118:119], v[110:111], v[2:3]
	scratch_load_b128 v[118:121], off, off offset:304
	s_waitcnt vmcnt(4)
	v_fma_f64 v[2:3], v[128:129], v[112:113], v[2:3]
	scratch_load_b128 v[110:113], off, off offset:320
	s_waitcnt lgkmcnt(0)
	v_fma_f64 v[2:3], v[130:131], v[114:115], v[2:3]
	s_waitcnt vmcnt(4)
	s_delay_alu instid0(VALU_DEP_1)
	v_fma_f64 v[2:3], v[102:103], v[116:117], v[2:3]
	ds_load_2addr_b64 v[114:117], v1 offset0:81 offset1:82
	ds_load_2addr_b64 v[128:131], v1 offset0:83 offset1:84
	s_waitcnt lgkmcnt(1)
	v_fma_f64 v[2:3], v[104:105], v[114:115], v[2:3]
	scratch_load_b128 v[102:105], off, off offset:336
	s_waitcnt vmcnt(4)
	v_fma_f64 v[2:3], v[124:125], v[116:117], v[2:3]
	scratch_load_b128 v[114:117], off, off offset:352
	s_waitcnt lgkmcnt(0)
	v_fma_f64 v[2:3], v[126:127], v[128:129], v[2:3]
	ds_load_2addr_b64 v[122:125], v1 offset0:85 offset1:86
	ds_load_2addr_b64 v[126:129], v1 offset0:87 offset1:88
	s_waitcnt vmcnt(4)
	v_fma_f64 v[2:3], v[106:107], v[130:131], v[2:3]
	s_waitcnt lgkmcnt(1)
	s_delay_alu instid0(VALU_DEP_1) | instskip(SKIP_4) | instid1(VALU_DEP_1)
	v_fma_f64 v[2:3], v[108:109], v[122:123], v[2:3]
	scratch_load_b64 v[122:123], off, off offset:368
	s_waitcnt vmcnt(4)
	v_fma_f64 v[2:3], v[118:119], v[124:125], v[2:3]
	s_waitcnt lgkmcnt(0)
	v_fma_f64 v[2:3], v[120:121], v[126:127], v[2:3]
	ds_load_2addr_b64 v[106:109], v1 offset0:89 offset1:90
	ds_load_2addr_b64 v[118:121], v1 offset0:91 offset1:92
	s_waitcnt vmcnt(3)
	v_fma_f64 v[2:3], v[110:111], v[128:129], v[2:3]
	s_waitcnt lgkmcnt(1)
	s_delay_alu instid0(VALU_DEP_1) | instskip(SKIP_1) | instid1(VALU_DEP_1)
	v_fma_f64 v[2:3], v[112:113], v[106:107], v[2:3]
	s_waitcnt vmcnt(2)
	v_fma_f64 v[2:3], v[102:103], v[108:109], v[2:3]
	s_waitcnt lgkmcnt(0)
	s_delay_alu instid0(VALU_DEP_1) | instskip(SKIP_1) | instid1(VALU_DEP_1)
	v_fma_f64 v[2:3], v[104:105], v[118:119], v[2:3]
	s_waitcnt vmcnt(1)
	v_fma_f64 v[102:103], v[114:115], v[120:121], v[2:3]
	ds_load_2addr_b64 v[1:4], v1 offset0:93 offset1:94
	s_waitcnt lgkmcnt(0)
	v_fma_f64 v[1:2], v[116:117], v[1:2], v[102:103]
	s_waitcnt vmcnt(0)
	s_delay_alu instid0(VALU_DEP_1) | instskip(NEXT) | instid1(VALU_DEP_1)
	v_fma_f64 v[1:2], v[122:123], v[3:4], v[1:2]
	v_add_f64 v[1:2], v[100:101], -v[1:2]
	scratch_store_b64 off, v[1:2], off offset:160
	v_cmpx_lt_u32_e32 19, v0
	s_cbranch_execz .LBB110_253
; %bb.252:
	scratch_load_b64 v[1:2], off, off offset:152
	v_mov_b32_e32 v3, 0
	s_delay_alu instid0(VALU_DEP_1)
	v_mov_b32_e32 v4, v3
	scratch_store_b64 off, v[3:4], off offset:152
	s_waitcnt vmcnt(0)
	ds_store_b64 v5, v[1:2]
.LBB110_253:
	s_or_b32 exec_lo, exec_lo, s0
	s_waitcnt lgkmcnt(0)
	s_waitcnt_vscnt null, 0x0
	s_barrier
	buffer_gl0_inv
	s_clause 0x4
	scratch_load_b128 v[100:103], off, off offset:152
	scratch_load_b128 v[104:107], off, off offset:168
	;; [unrolled: 1-line block ×5, first 2 shown]
	v_mov_b32_e32 v1, 0
	ds_load_b128 v[120:123], v1 offset:544
	ds_load_b128 v[124:127], v1 offset:560
	scratch_load_b128 v[128:131], off, off offset:232
	s_mov_b32 s0, exec_lo
	s_waitcnt vmcnt(5) lgkmcnt(1)
	v_fma_f64 v[2:3], v[102:103], v[120:121], 0
	s_waitcnt vmcnt(4)
	s_delay_alu instid0(VALU_DEP_1) | instskip(SKIP_4) | instid1(VALU_DEP_1)
	v_fma_f64 v[2:3], v[104:105], v[122:123], v[2:3]
	scratch_load_b128 v[102:105], off, off offset:248
	s_waitcnt lgkmcnt(0)
	v_fma_f64 v[2:3], v[106:107], v[124:125], v[2:3]
	s_waitcnt vmcnt(4)
	v_fma_f64 v[2:3], v[108:109], v[126:127], v[2:3]
	ds_load_b128 v[106:109], v1 offset:576
	ds_load_b128 v[120:123], v1 offset:592
	scratch_load_b128 v[124:127], off, off offset:264
	s_waitcnt lgkmcnt(1)
	v_fma_f64 v[2:3], v[110:111], v[106:107], v[2:3]
	s_waitcnt vmcnt(4)
	s_delay_alu instid0(VALU_DEP_1) | instskip(SKIP_4) | instid1(VALU_DEP_1)
	v_fma_f64 v[2:3], v[112:113], v[108:109], v[2:3]
	scratch_load_b128 v[106:109], off, off offset:280
	s_waitcnt lgkmcnt(0)
	v_fma_f64 v[2:3], v[114:115], v[120:121], v[2:3]
	s_waitcnt vmcnt(4)
	v_fma_f64 v[2:3], v[116:117], v[122:123], v[2:3]
	ds_load_b128 v[110:113], v1 offset:608
	ds_load_b128 v[114:117], v1 offset:624
	s_waitcnt lgkmcnt(1)
	v_fma_f64 v[2:3], v[118:119], v[110:111], v[2:3]
	scratch_load_b128 v[118:121], off, off offset:296
	s_waitcnt vmcnt(4)
	v_fma_f64 v[2:3], v[128:129], v[112:113], v[2:3]
	scratch_load_b128 v[110:113], off, off offset:312
	s_waitcnt lgkmcnt(0)
	v_fma_f64 v[2:3], v[130:131], v[114:115], v[2:3]
	s_waitcnt vmcnt(4)
	s_delay_alu instid0(VALU_DEP_1)
	v_fma_f64 v[2:3], v[102:103], v[116:117], v[2:3]
	ds_load_b128 v[114:117], v1 offset:640
	ds_load_b128 v[128:131], v1 offset:656
	s_waitcnt lgkmcnt(1)
	v_fma_f64 v[2:3], v[104:105], v[114:115], v[2:3]
	scratch_load_b128 v[102:105], off, off offset:328
	s_waitcnt vmcnt(4)
	v_fma_f64 v[2:3], v[124:125], v[116:117], v[2:3]
	scratch_load_b128 v[114:117], off, off offset:344
	s_waitcnt lgkmcnt(0)
	v_fma_f64 v[2:3], v[126:127], v[128:129], v[2:3]
	ds_load_b128 v[122:125], v1 offset:672
	ds_load_b128 v[126:129], v1 offset:688
	s_waitcnt vmcnt(4)
	v_fma_f64 v[2:3], v[106:107], v[130:131], v[2:3]
	s_waitcnt lgkmcnt(1)
	s_delay_alu instid0(VALU_DEP_1) | instskip(SKIP_4) | instid1(VALU_DEP_1)
	v_fma_f64 v[2:3], v[108:109], v[122:123], v[2:3]
	scratch_load_b128 v[106:109], off, off offset:360
	s_waitcnt vmcnt(4)
	v_fma_f64 v[2:3], v[118:119], v[124:125], v[2:3]
	s_waitcnt lgkmcnt(0)
	v_fma_f64 v[2:3], v[120:121], v[126:127], v[2:3]
	ds_load_b128 v[118:121], v1 offset:704
	ds_load_b128 v[122:125], v1 offset:720
	s_waitcnt vmcnt(3)
	v_fma_f64 v[2:3], v[110:111], v[128:129], v[2:3]
	s_waitcnt lgkmcnt(1)
	s_delay_alu instid0(VALU_DEP_1) | instskip(SKIP_1) | instid1(VALU_DEP_1)
	v_fma_f64 v[2:3], v[112:113], v[118:119], v[2:3]
	s_waitcnt vmcnt(2)
	v_fma_f64 v[2:3], v[102:103], v[120:121], v[2:3]
	s_waitcnt lgkmcnt(0)
	s_delay_alu instid0(VALU_DEP_1)
	v_fma_f64 v[2:3], v[104:105], v[122:123], v[2:3]
	ds_load_b128 v[102:105], v1 offset:736
	ds_load_b64 v[110:111], v1 offset:752
	s_waitcnt vmcnt(1)
	v_fma_f64 v[2:3], v[114:115], v[124:125], v[2:3]
	s_waitcnt lgkmcnt(1)
	s_delay_alu instid0(VALU_DEP_1) | instskip(SKIP_1) | instid1(VALU_DEP_1)
	v_fma_f64 v[2:3], v[116:117], v[102:103], v[2:3]
	s_waitcnt vmcnt(0)
	v_fma_f64 v[2:3], v[106:107], v[104:105], v[2:3]
	s_waitcnt lgkmcnt(0)
	s_delay_alu instid0(VALU_DEP_1) | instskip(NEXT) | instid1(VALU_DEP_1)
	v_fma_f64 v[2:3], v[108:109], v[110:111], v[2:3]
	v_add_f64 v[2:3], v[100:101], -v[2:3]
	scratch_store_b64 off, v[2:3], off offset:152
	v_cmpx_lt_u32_e32 18, v0
	s_cbranch_execz .LBB110_255
; %bb.254:
	scratch_load_b64 v[3:4], off, off offset:144
	v_mov_b32_e32 v2, v1
	scratch_store_b64 off, v[1:2], off offset:144
	s_waitcnt vmcnt(0)
	ds_store_b64 v5, v[3:4]
.LBB110_255:
	s_or_b32 exec_lo, exec_lo, s0
	s_waitcnt lgkmcnt(0)
	s_waitcnt_vscnt null, 0x0
	s_barrier
	buffer_gl0_inv
	s_clause 0x4
	scratch_load_b128 v[100:103], off, off offset:144
	scratch_load_b128 v[104:107], off, off offset:160
	;; [unrolled: 1-line block ×5, first 2 shown]
	ds_load_2addr_b64 v[120:123], v1 offset0:67 offset1:68
	ds_load_2addr_b64 v[124:127], v1 offset0:69 offset1:70
	scratch_load_b128 v[128:131], off, off offset:224
	s_mov_b32 s0, exec_lo
	s_waitcnt vmcnt(5) lgkmcnt(1)
	v_fma_f64 v[2:3], v[102:103], v[120:121], 0
	s_waitcnt vmcnt(4)
	s_delay_alu instid0(VALU_DEP_1) | instskip(SKIP_4) | instid1(VALU_DEP_1)
	v_fma_f64 v[2:3], v[104:105], v[122:123], v[2:3]
	scratch_load_b128 v[102:105], off, off offset:240
	s_waitcnt lgkmcnt(0)
	v_fma_f64 v[2:3], v[106:107], v[124:125], v[2:3]
	s_waitcnt vmcnt(4)
	v_fma_f64 v[2:3], v[108:109], v[126:127], v[2:3]
	ds_load_2addr_b64 v[106:109], v1 offset0:71 offset1:72
	ds_load_2addr_b64 v[120:123], v1 offset0:73 offset1:74
	scratch_load_b128 v[124:127], off, off offset:256
	s_waitcnt lgkmcnt(1)
	v_fma_f64 v[2:3], v[110:111], v[106:107], v[2:3]
	s_waitcnt vmcnt(4)
	s_delay_alu instid0(VALU_DEP_1) | instskip(SKIP_4) | instid1(VALU_DEP_1)
	v_fma_f64 v[2:3], v[112:113], v[108:109], v[2:3]
	scratch_load_b128 v[106:109], off, off offset:272
	s_waitcnt lgkmcnt(0)
	v_fma_f64 v[2:3], v[114:115], v[120:121], v[2:3]
	s_waitcnt vmcnt(4)
	v_fma_f64 v[2:3], v[116:117], v[122:123], v[2:3]
	ds_load_2addr_b64 v[110:113], v1 offset0:75 offset1:76
	ds_load_2addr_b64 v[114:117], v1 offset0:77 offset1:78
	s_waitcnt lgkmcnt(1)
	v_fma_f64 v[2:3], v[118:119], v[110:111], v[2:3]
	scratch_load_b128 v[118:121], off, off offset:288
	s_waitcnt vmcnt(4)
	v_fma_f64 v[2:3], v[128:129], v[112:113], v[2:3]
	scratch_load_b128 v[110:113], off, off offset:304
	s_waitcnt lgkmcnt(0)
	v_fma_f64 v[2:3], v[130:131], v[114:115], v[2:3]
	s_waitcnt vmcnt(4)
	s_delay_alu instid0(VALU_DEP_1)
	v_fma_f64 v[2:3], v[102:103], v[116:117], v[2:3]
	ds_load_2addr_b64 v[114:117], v1 offset0:79 offset1:80
	ds_load_2addr_b64 v[128:131], v1 offset0:81 offset1:82
	s_waitcnt lgkmcnt(1)
	v_fma_f64 v[2:3], v[104:105], v[114:115], v[2:3]
	scratch_load_b128 v[102:105], off, off offset:320
	s_waitcnt vmcnt(4)
	v_fma_f64 v[2:3], v[124:125], v[116:117], v[2:3]
	scratch_load_b128 v[114:117], off, off offset:336
	s_waitcnt lgkmcnt(0)
	v_fma_f64 v[2:3], v[126:127], v[128:129], v[2:3]
	ds_load_2addr_b64 v[122:125], v1 offset0:83 offset1:84
	ds_load_2addr_b64 v[126:129], v1 offset0:85 offset1:86
	s_waitcnt vmcnt(4)
	v_fma_f64 v[2:3], v[106:107], v[130:131], v[2:3]
	s_waitcnt lgkmcnt(1)
	s_delay_alu instid0(VALU_DEP_1) | instskip(SKIP_4) | instid1(VALU_DEP_1)
	v_fma_f64 v[2:3], v[108:109], v[122:123], v[2:3]
	scratch_load_b128 v[106:109], off, off offset:352
	s_waitcnt vmcnt(4)
	v_fma_f64 v[2:3], v[118:119], v[124:125], v[2:3]
	s_waitcnt lgkmcnt(0)
	v_fma_f64 v[2:3], v[120:121], v[126:127], v[2:3]
	scratch_load_b64 v[126:127], off, off offset:368
	ds_load_2addr_b64 v[118:121], v1 offset0:87 offset1:88
	ds_load_2addr_b64 v[122:125], v1 offset0:89 offset1:90
	s_waitcnt vmcnt(4)
	v_fma_f64 v[2:3], v[110:111], v[128:129], v[2:3]
	s_waitcnt lgkmcnt(1)
	s_delay_alu instid0(VALU_DEP_1) | instskip(SKIP_1) | instid1(VALU_DEP_1)
	v_fma_f64 v[2:3], v[112:113], v[118:119], v[2:3]
	s_waitcnt vmcnt(3)
	v_fma_f64 v[2:3], v[102:103], v[120:121], v[2:3]
	s_waitcnt lgkmcnt(0)
	s_delay_alu instid0(VALU_DEP_1) | instskip(SKIP_1) | instid1(VALU_DEP_1)
	v_fma_f64 v[2:3], v[104:105], v[122:123], v[2:3]
	s_waitcnt vmcnt(2)
	v_fma_f64 v[110:111], v[114:115], v[124:125], v[2:3]
	ds_load_2addr_b64 v[102:105], v1 offset0:91 offset1:92
	ds_load_2addr_b64 v[1:4], v1 offset0:93 offset1:94
	s_waitcnt lgkmcnt(1)
	v_fma_f64 v[102:103], v[116:117], v[102:103], v[110:111]
	s_waitcnt vmcnt(1)
	s_delay_alu instid0(VALU_DEP_1) | instskip(SKIP_1) | instid1(VALU_DEP_1)
	v_fma_f64 v[102:103], v[106:107], v[104:105], v[102:103]
	s_waitcnt lgkmcnt(0)
	v_fma_f64 v[1:2], v[108:109], v[1:2], v[102:103]
	s_waitcnt vmcnt(0)
	s_delay_alu instid0(VALU_DEP_1) | instskip(NEXT) | instid1(VALU_DEP_1)
	v_fma_f64 v[1:2], v[126:127], v[3:4], v[1:2]
	v_add_f64 v[1:2], v[100:101], -v[1:2]
	scratch_store_b64 off, v[1:2], off offset:144
	v_cmpx_lt_u32_e32 17, v0
	s_cbranch_execz .LBB110_257
; %bb.256:
	scratch_load_b64 v[1:2], off, off offset:136
	v_mov_b32_e32 v3, 0
	s_delay_alu instid0(VALU_DEP_1)
	v_mov_b32_e32 v4, v3
	scratch_store_b64 off, v[3:4], off offset:136
	s_waitcnt vmcnt(0)
	ds_store_b64 v5, v[1:2]
.LBB110_257:
	s_or_b32 exec_lo, exec_lo, s0
	s_waitcnt lgkmcnt(0)
	s_waitcnt_vscnt null, 0x0
	s_barrier
	buffer_gl0_inv
	s_clause 0x4
	scratch_load_b128 v[100:103], off, off offset:136
	scratch_load_b128 v[104:107], off, off offset:152
	;; [unrolled: 1-line block ×5, first 2 shown]
	v_mov_b32_e32 v1, 0
	ds_load_b128 v[120:123], v1 offset:528
	ds_load_b128 v[124:127], v1 offset:544
	scratch_load_b128 v[128:131], off, off offset:216
	s_mov_b32 s0, exec_lo
	s_waitcnt vmcnt(5) lgkmcnt(1)
	v_fma_f64 v[2:3], v[102:103], v[120:121], 0
	s_waitcnt vmcnt(4)
	s_delay_alu instid0(VALU_DEP_1) | instskip(SKIP_4) | instid1(VALU_DEP_1)
	v_fma_f64 v[2:3], v[104:105], v[122:123], v[2:3]
	scratch_load_b128 v[102:105], off, off offset:232
	s_waitcnt lgkmcnt(0)
	v_fma_f64 v[2:3], v[106:107], v[124:125], v[2:3]
	s_waitcnt vmcnt(4)
	v_fma_f64 v[2:3], v[108:109], v[126:127], v[2:3]
	ds_load_b128 v[106:109], v1 offset:560
	ds_load_b128 v[120:123], v1 offset:576
	scratch_load_b128 v[124:127], off, off offset:248
	s_waitcnt lgkmcnt(1)
	v_fma_f64 v[2:3], v[110:111], v[106:107], v[2:3]
	s_waitcnt vmcnt(4)
	s_delay_alu instid0(VALU_DEP_1) | instskip(SKIP_4) | instid1(VALU_DEP_1)
	v_fma_f64 v[2:3], v[112:113], v[108:109], v[2:3]
	scratch_load_b128 v[106:109], off, off offset:264
	s_waitcnt lgkmcnt(0)
	v_fma_f64 v[2:3], v[114:115], v[120:121], v[2:3]
	s_waitcnt vmcnt(4)
	v_fma_f64 v[2:3], v[116:117], v[122:123], v[2:3]
	ds_load_b128 v[110:113], v1 offset:592
	ds_load_b128 v[114:117], v1 offset:608
	s_waitcnt lgkmcnt(1)
	v_fma_f64 v[2:3], v[118:119], v[110:111], v[2:3]
	scratch_load_b128 v[118:121], off, off offset:280
	s_waitcnt vmcnt(4)
	v_fma_f64 v[2:3], v[128:129], v[112:113], v[2:3]
	scratch_load_b128 v[110:113], off, off offset:296
	s_waitcnt lgkmcnt(0)
	v_fma_f64 v[2:3], v[130:131], v[114:115], v[2:3]
	s_waitcnt vmcnt(4)
	s_delay_alu instid0(VALU_DEP_1)
	v_fma_f64 v[2:3], v[102:103], v[116:117], v[2:3]
	ds_load_b128 v[114:117], v1 offset:624
	ds_load_b128 v[128:131], v1 offset:640
	s_waitcnt lgkmcnt(1)
	v_fma_f64 v[2:3], v[104:105], v[114:115], v[2:3]
	scratch_load_b128 v[102:105], off, off offset:312
	s_waitcnt vmcnt(4)
	v_fma_f64 v[2:3], v[124:125], v[116:117], v[2:3]
	scratch_load_b128 v[114:117], off, off offset:328
	s_waitcnt lgkmcnt(0)
	v_fma_f64 v[2:3], v[126:127], v[128:129], v[2:3]
	ds_load_b128 v[122:125], v1 offset:656
	ds_load_b128 v[126:129], v1 offset:672
	s_waitcnt vmcnt(4)
	v_fma_f64 v[2:3], v[106:107], v[130:131], v[2:3]
	s_waitcnt lgkmcnt(1)
	s_delay_alu instid0(VALU_DEP_1) | instskip(SKIP_4) | instid1(VALU_DEP_1)
	v_fma_f64 v[2:3], v[108:109], v[122:123], v[2:3]
	scratch_load_b128 v[106:109], off, off offset:344
	s_waitcnt vmcnt(4)
	v_fma_f64 v[2:3], v[118:119], v[124:125], v[2:3]
	s_waitcnt lgkmcnt(0)
	v_fma_f64 v[2:3], v[120:121], v[126:127], v[2:3]
	scratch_load_b128 v[118:121], off, off offset:360
	s_waitcnt vmcnt(4)
	v_fma_f64 v[2:3], v[110:111], v[128:129], v[2:3]
	ds_load_b128 v[122:125], v1 offset:688
	ds_load_b128 v[126:129], v1 offset:704
	s_waitcnt lgkmcnt(1)
	v_fma_f64 v[2:3], v[112:113], v[122:123], v[2:3]
	s_waitcnt vmcnt(3)
	s_delay_alu instid0(VALU_DEP_1) | instskip(SKIP_1) | instid1(VALU_DEP_1)
	v_fma_f64 v[2:3], v[102:103], v[124:125], v[2:3]
	s_waitcnt lgkmcnt(0)
	v_fma_f64 v[2:3], v[104:105], v[126:127], v[2:3]
	ds_load_b128 v[102:105], v1 offset:720
	ds_load_b128 v[110:113], v1 offset:736
	s_waitcnt vmcnt(2)
	v_fma_f64 v[2:3], v[114:115], v[128:129], v[2:3]
	s_waitcnt lgkmcnt(1)
	s_delay_alu instid0(VALU_DEP_1) | instskip(SKIP_4) | instid1(VALU_DEP_1)
	v_fma_f64 v[2:3], v[116:117], v[102:103], v[2:3]
	ds_load_b64 v[102:103], v1 offset:752
	s_waitcnt vmcnt(1)
	v_fma_f64 v[2:3], v[106:107], v[104:105], v[2:3]
	s_waitcnt lgkmcnt(1)
	v_fma_f64 v[2:3], v[108:109], v[110:111], v[2:3]
	s_waitcnt vmcnt(0)
	s_delay_alu instid0(VALU_DEP_1) | instskip(SKIP_1) | instid1(VALU_DEP_1)
	v_fma_f64 v[2:3], v[118:119], v[112:113], v[2:3]
	s_waitcnt lgkmcnt(0)
	v_fma_f64 v[2:3], v[120:121], v[102:103], v[2:3]
	s_delay_alu instid0(VALU_DEP_1)
	v_add_f64 v[2:3], v[100:101], -v[2:3]
	scratch_store_b64 off, v[2:3], off offset:136
	v_cmpx_lt_u32_e32 16, v0
	s_cbranch_execz .LBB110_259
; %bb.258:
	scratch_load_b64 v[3:4], off, off offset:128
	v_mov_b32_e32 v2, v1
	scratch_store_b64 off, v[1:2], off offset:128
	s_waitcnt vmcnt(0)
	ds_store_b64 v5, v[3:4]
.LBB110_259:
	s_or_b32 exec_lo, exec_lo, s0
	s_waitcnt lgkmcnt(0)
	s_waitcnt_vscnt null, 0x0
	s_barrier
	buffer_gl0_inv
	s_clause 0x4
	scratch_load_b128 v[100:103], off, off offset:128
	scratch_load_b128 v[104:107], off, off offset:144
	;; [unrolled: 1-line block ×5, first 2 shown]
	ds_load_2addr_b64 v[120:123], v1 offset0:65 offset1:66
	ds_load_2addr_b64 v[124:127], v1 offset0:67 offset1:68
	scratch_load_b128 v[128:131], off, off offset:208
	s_mov_b32 s0, exec_lo
	s_waitcnt vmcnt(5) lgkmcnt(1)
	v_fma_f64 v[2:3], v[102:103], v[120:121], 0
	s_waitcnt vmcnt(4)
	s_delay_alu instid0(VALU_DEP_1) | instskip(SKIP_4) | instid1(VALU_DEP_1)
	v_fma_f64 v[2:3], v[104:105], v[122:123], v[2:3]
	scratch_load_b128 v[102:105], off, off offset:224
	s_waitcnt lgkmcnt(0)
	v_fma_f64 v[2:3], v[106:107], v[124:125], v[2:3]
	s_waitcnt vmcnt(4)
	v_fma_f64 v[2:3], v[108:109], v[126:127], v[2:3]
	ds_load_2addr_b64 v[106:109], v1 offset0:69 offset1:70
	ds_load_2addr_b64 v[120:123], v1 offset0:71 offset1:72
	scratch_load_b128 v[124:127], off, off offset:240
	s_waitcnt lgkmcnt(1)
	v_fma_f64 v[2:3], v[110:111], v[106:107], v[2:3]
	s_waitcnt vmcnt(4)
	s_delay_alu instid0(VALU_DEP_1) | instskip(SKIP_4) | instid1(VALU_DEP_1)
	v_fma_f64 v[2:3], v[112:113], v[108:109], v[2:3]
	scratch_load_b128 v[106:109], off, off offset:256
	s_waitcnt lgkmcnt(0)
	v_fma_f64 v[2:3], v[114:115], v[120:121], v[2:3]
	s_waitcnt vmcnt(4)
	v_fma_f64 v[2:3], v[116:117], v[122:123], v[2:3]
	ds_load_2addr_b64 v[110:113], v1 offset0:73 offset1:74
	ds_load_2addr_b64 v[114:117], v1 offset0:75 offset1:76
	s_waitcnt lgkmcnt(1)
	v_fma_f64 v[2:3], v[118:119], v[110:111], v[2:3]
	scratch_load_b128 v[118:121], off, off offset:272
	s_waitcnt vmcnt(4)
	v_fma_f64 v[2:3], v[128:129], v[112:113], v[2:3]
	scratch_load_b128 v[110:113], off, off offset:288
	s_waitcnt lgkmcnt(0)
	v_fma_f64 v[2:3], v[130:131], v[114:115], v[2:3]
	s_waitcnt vmcnt(4)
	s_delay_alu instid0(VALU_DEP_1)
	v_fma_f64 v[2:3], v[102:103], v[116:117], v[2:3]
	ds_load_2addr_b64 v[114:117], v1 offset0:77 offset1:78
	ds_load_2addr_b64 v[128:131], v1 offset0:79 offset1:80
	s_waitcnt lgkmcnt(1)
	v_fma_f64 v[2:3], v[104:105], v[114:115], v[2:3]
	scratch_load_b128 v[102:105], off, off offset:304
	s_waitcnt vmcnt(4)
	v_fma_f64 v[2:3], v[124:125], v[116:117], v[2:3]
	scratch_load_b128 v[114:117], off, off offset:320
	s_waitcnt lgkmcnt(0)
	v_fma_f64 v[2:3], v[126:127], v[128:129], v[2:3]
	ds_load_2addr_b64 v[122:125], v1 offset0:81 offset1:82
	ds_load_2addr_b64 v[126:129], v1 offset0:83 offset1:84
	s_waitcnt vmcnt(4)
	v_fma_f64 v[2:3], v[106:107], v[130:131], v[2:3]
	s_waitcnt lgkmcnt(1)
	s_delay_alu instid0(VALU_DEP_1) | instskip(SKIP_4) | instid1(VALU_DEP_1)
	v_fma_f64 v[2:3], v[108:109], v[122:123], v[2:3]
	scratch_load_b128 v[106:109], off, off offset:336
	s_waitcnt vmcnt(4)
	v_fma_f64 v[2:3], v[118:119], v[124:125], v[2:3]
	s_waitcnt lgkmcnt(0)
	v_fma_f64 v[2:3], v[120:121], v[126:127], v[2:3]
	scratch_load_b128 v[118:121], off, off offset:352
	s_waitcnt vmcnt(4)
	v_fma_f64 v[2:3], v[110:111], v[128:129], v[2:3]
	ds_load_2addr_b64 v[122:125], v1 offset0:85 offset1:86
	ds_load_2addr_b64 v[126:129], v1 offset0:87 offset1:88
	s_waitcnt lgkmcnt(1)
	v_fma_f64 v[2:3], v[112:113], v[122:123], v[2:3]
	scratch_load_b64 v[122:123], off, off offset:368
	s_waitcnt vmcnt(4)
	v_fma_f64 v[2:3], v[102:103], v[124:125], v[2:3]
	s_waitcnt lgkmcnt(0)
	s_delay_alu instid0(VALU_DEP_1)
	v_fma_f64 v[2:3], v[104:105], v[126:127], v[2:3]
	ds_load_2addr_b64 v[102:105], v1 offset0:89 offset1:90
	ds_load_2addr_b64 v[110:113], v1 offset0:91 offset1:92
	s_waitcnt vmcnt(3)
	v_fma_f64 v[2:3], v[114:115], v[128:129], v[2:3]
	s_waitcnt lgkmcnt(1)
	s_delay_alu instid0(VALU_DEP_1) | instskip(SKIP_1) | instid1(VALU_DEP_1)
	v_fma_f64 v[2:3], v[116:117], v[102:103], v[2:3]
	s_waitcnt vmcnt(2)
	v_fma_f64 v[2:3], v[106:107], v[104:105], v[2:3]
	s_waitcnt lgkmcnt(0)
	s_delay_alu instid0(VALU_DEP_1) | instskip(SKIP_1) | instid1(VALU_DEP_1)
	v_fma_f64 v[2:3], v[108:109], v[110:111], v[2:3]
	s_waitcnt vmcnt(1)
	v_fma_f64 v[102:103], v[118:119], v[112:113], v[2:3]
	ds_load_2addr_b64 v[1:4], v1 offset0:93 offset1:94
	s_waitcnt lgkmcnt(0)
	v_fma_f64 v[1:2], v[120:121], v[1:2], v[102:103]
	s_waitcnt vmcnt(0)
	s_delay_alu instid0(VALU_DEP_1) | instskip(NEXT) | instid1(VALU_DEP_1)
	v_fma_f64 v[1:2], v[122:123], v[3:4], v[1:2]
	v_add_f64 v[1:2], v[100:101], -v[1:2]
	scratch_store_b64 off, v[1:2], off offset:128
	v_cmpx_lt_u32_e32 15, v0
	s_cbranch_execz .LBB110_261
; %bb.260:
	scratch_load_b64 v[1:2], off, off offset:120
	v_mov_b32_e32 v3, 0
	s_delay_alu instid0(VALU_DEP_1)
	v_mov_b32_e32 v4, v3
	scratch_store_b64 off, v[3:4], off offset:120
	s_waitcnt vmcnt(0)
	ds_store_b64 v5, v[1:2]
.LBB110_261:
	s_or_b32 exec_lo, exec_lo, s0
	s_waitcnt lgkmcnt(0)
	s_waitcnt_vscnt null, 0x0
	s_barrier
	buffer_gl0_inv
	s_clause 0x4
	scratch_load_b128 v[100:103], off, off offset:120
	scratch_load_b128 v[104:107], off, off offset:136
	;; [unrolled: 1-line block ×5, first 2 shown]
	v_mov_b32_e32 v1, 0
	ds_load_b128 v[120:123], v1 offset:512
	ds_load_b128 v[124:127], v1 offset:528
	scratch_load_b128 v[128:131], off, off offset:200
	s_mov_b32 s0, exec_lo
	s_waitcnt vmcnt(5) lgkmcnt(1)
	v_fma_f64 v[2:3], v[102:103], v[120:121], 0
	s_waitcnt vmcnt(4)
	s_delay_alu instid0(VALU_DEP_1) | instskip(SKIP_4) | instid1(VALU_DEP_1)
	v_fma_f64 v[2:3], v[104:105], v[122:123], v[2:3]
	scratch_load_b128 v[102:105], off, off offset:216
	s_waitcnt lgkmcnt(0)
	v_fma_f64 v[2:3], v[106:107], v[124:125], v[2:3]
	s_waitcnt vmcnt(4)
	v_fma_f64 v[2:3], v[108:109], v[126:127], v[2:3]
	ds_load_b128 v[106:109], v1 offset:544
	ds_load_b128 v[120:123], v1 offset:560
	scratch_load_b128 v[124:127], off, off offset:232
	s_waitcnt lgkmcnt(1)
	v_fma_f64 v[2:3], v[110:111], v[106:107], v[2:3]
	s_waitcnt vmcnt(4)
	s_delay_alu instid0(VALU_DEP_1) | instskip(SKIP_4) | instid1(VALU_DEP_1)
	v_fma_f64 v[2:3], v[112:113], v[108:109], v[2:3]
	scratch_load_b128 v[106:109], off, off offset:248
	s_waitcnt lgkmcnt(0)
	v_fma_f64 v[2:3], v[114:115], v[120:121], v[2:3]
	s_waitcnt vmcnt(4)
	v_fma_f64 v[2:3], v[116:117], v[122:123], v[2:3]
	ds_load_b128 v[110:113], v1 offset:576
	ds_load_b128 v[114:117], v1 offset:592
	s_waitcnt lgkmcnt(1)
	v_fma_f64 v[2:3], v[118:119], v[110:111], v[2:3]
	scratch_load_b128 v[118:121], off, off offset:264
	s_waitcnt vmcnt(4)
	v_fma_f64 v[2:3], v[128:129], v[112:113], v[2:3]
	scratch_load_b128 v[110:113], off, off offset:280
	s_waitcnt lgkmcnt(0)
	v_fma_f64 v[2:3], v[130:131], v[114:115], v[2:3]
	s_waitcnt vmcnt(4)
	s_delay_alu instid0(VALU_DEP_1)
	v_fma_f64 v[2:3], v[102:103], v[116:117], v[2:3]
	ds_load_b128 v[114:117], v1 offset:608
	ds_load_b128 v[128:131], v1 offset:624
	s_waitcnt lgkmcnt(1)
	v_fma_f64 v[2:3], v[104:105], v[114:115], v[2:3]
	scratch_load_b128 v[102:105], off, off offset:296
	s_waitcnt vmcnt(4)
	v_fma_f64 v[2:3], v[124:125], v[116:117], v[2:3]
	scratch_load_b128 v[114:117], off, off offset:312
	s_waitcnt lgkmcnt(0)
	v_fma_f64 v[2:3], v[126:127], v[128:129], v[2:3]
	ds_load_b128 v[122:125], v1 offset:640
	ds_load_b128 v[126:129], v1 offset:656
	s_waitcnt vmcnt(4)
	v_fma_f64 v[2:3], v[106:107], v[130:131], v[2:3]
	s_waitcnt lgkmcnt(1)
	s_delay_alu instid0(VALU_DEP_1) | instskip(SKIP_4) | instid1(VALU_DEP_1)
	v_fma_f64 v[2:3], v[108:109], v[122:123], v[2:3]
	scratch_load_b128 v[106:109], off, off offset:328
	s_waitcnt vmcnt(4)
	v_fma_f64 v[2:3], v[118:119], v[124:125], v[2:3]
	s_waitcnt lgkmcnt(0)
	v_fma_f64 v[2:3], v[120:121], v[126:127], v[2:3]
	scratch_load_b128 v[118:121], off, off offset:344
	s_waitcnt vmcnt(4)
	v_fma_f64 v[2:3], v[110:111], v[128:129], v[2:3]
	ds_load_b128 v[122:125], v1 offset:672
	ds_load_b128 v[126:129], v1 offset:688
	s_waitcnt lgkmcnt(1)
	v_fma_f64 v[2:3], v[112:113], v[122:123], v[2:3]
	scratch_load_b128 v[110:113], off, off offset:360
	s_waitcnt vmcnt(4)
	v_fma_f64 v[2:3], v[102:103], v[124:125], v[2:3]
	s_waitcnt lgkmcnt(0)
	s_delay_alu instid0(VALU_DEP_1)
	v_fma_f64 v[2:3], v[104:105], v[126:127], v[2:3]
	ds_load_b128 v[102:105], v1 offset:704
	ds_load_b128 v[122:125], v1 offset:720
	s_waitcnt vmcnt(3)
	v_fma_f64 v[2:3], v[114:115], v[128:129], v[2:3]
	s_waitcnt lgkmcnt(1)
	s_delay_alu instid0(VALU_DEP_1) | instskip(SKIP_1) | instid1(VALU_DEP_1)
	v_fma_f64 v[2:3], v[116:117], v[102:103], v[2:3]
	s_waitcnt vmcnt(2)
	v_fma_f64 v[2:3], v[106:107], v[104:105], v[2:3]
	ds_load_b128 v[102:105], v1 offset:736
	ds_load_b64 v[106:107], v1 offset:752
	s_waitcnt lgkmcnt(2)
	v_fma_f64 v[2:3], v[108:109], v[122:123], v[2:3]
	s_waitcnt vmcnt(1)
	s_delay_alu instid0(VALU_DEP_1) | instskip(SKIP_1) | instid1(VALU_DEP_1)
	v_fma_f64 v[2:3], v[118:119], v[124:125], v[2:3]
	s_waitcnt lgkmcnt(1)
	v_fma_f64 v[2:3], v[120:121], v[102:103], v[2:3]
	s_waitcnt vmcnt(0)
	s_delay_alu instid0(VALU_DEP_1) | instskip(SKIP_1) | instid1(VALU_DEP_1)
	v_fma_f64 v[2:3], v[110:111], v[104:105], v[2:3]
	s_waitcnt lgkmcnt(0)
	v_fma_f64 v[2:3], v[112:113], v[106:107], v[2:3]
	s_delay_alu instid0(VALU_DEP_1)
	v_add_f64 v[2:3], v[100:101], -v[2:3]
	scratch_store_b64 off, v[2:3], off offset:120
	v_cmpx_lt_u32_e32 14, v0
	s_cbranch_execz .LBB110_263
; %bb.262:
	scratch_load_b64 v[3:4], off, off offset:112
	v_mov_b32_e32 v2, v1
	scratch_store_b64 off, v[1:2], off offset:112
	s_waitcnt vmcnt(0)
	ds_store_b64 v5, v[3:4]
.LBB110_263:
	s_or_b32 exec_lo, exec_lo, s0
	s_waitcnt lgkmcnt(0)
	s_waitcnt_vscnt null, 0x0
	s_barrier
	buffer_gl0_inv
	s_clause 0x4
	scratch_load_b128 v[100:103], off, off offset:112
	scratch_load_b128 v[104:107], off, off offset:128
	;; [unrolled: 1-line block ×5, first 2 shown]
	ds_load_2addr_b64 v[120:123], v1 offset0:63 offset1:64
	ds_load_2addr_b64 v[124:127], v1 offset0:65 offset1:66
	scratch_load_b128 v[128:131], off, off offset:192
	s_mov_b32 s0, exec_lo
	s_waitcnt vmcnt(5) lgkmcnt(1)
	v_fma_f64 v[2:3], v[102:103], v[120:121], 0
	s_waitcnt vmcnt(4)
	s_delay_alu instid0(VALU_DEP_1) | instskip(SKIP_4) | instid1(VALU_DEP_1)
	v_fma_f64 v[2:3], v[104:105], v[122:123], v[2:3]
	scratch_load_b128 v[102:105], off, off offset:208
	s_waitcnt lgkmcnt(0)
	v_fma_f64 v[2:3], v[106:107], v[124:125], v[2:3]
	s_waitcnt vmcnt(4)
	v_fma_f64 v[2:3], v[108:109], v[126:127], v[2:3]
	ds_load_2addr_b64 v[106:109], v1 offset0:67 offset1:68
	ds_load_2addr_b64 v[120:123], v1 offset0:69 offset1:70
	scratch_load_b128 v[124:127], off, off offset:224
	s_waitcnt lgkmcnt(1)
	v_fma_f64 v[2:3], v[110:111], v[106:107], v[2:3]
	s_waitcnt vmcnt(4)
	s_delay_alu instid0(VALU_DEP_1) | instskip(SKIP_4) | instid1(VALU_DEP_1)
	v_fma_f64 v[2:3], v[112:113], v[108:109], v[2:3]
	scratch_load_b128 v[106:109], off, off offset:240
	s_waitcnt lgkmcnt(0)
	v_fma_f64 v[2:3], v[114:115], v[120:121], v[2:3]
	s_waitcnt vmcnt(4)
	v_fma_f64 v[2:3], v[116:117], v[122:123], v[2:3]
	ds_load_2addr_b64 v[110:113], v1 offset0:71 offset1:72
	ds_load_2addr_b64 v[114:117], v1 offset0:73 offset1:74
	s_waitcnt lgkmcnt(1)
	v_fma_f64 v[2:3], v[118:119], v[110:111], v[2:3]
	scratch_load_b128 v[118:121], off, off offset:256
	s_waitcnt vmcnt(4)
	v_fma_f64 v[2:3], v[128:129], v[112:113], v[2:3]
	scratch_load_b128 v[110:113], off, off offset:272
	s_waitcnt lgkmcnt(0)
	v_fma_f64 v[2:3], v[130:131], v[114:115], v[2:3]
	s_waitcnt vmcnt(4)
	s_delay_alu instid0(VALU_DEP_1)
	v_fma_f64 v[2:3], v[102:103], v[116:117], v[2:3]
	ds_load_2addr_b64 v[114:117], v1 offset0:75 offset1:76
	ds_load_2addr_b64 v[128:131], v1 offset0:77 offset1:78
	s_waitcnt lgkmcnt(1)
	v_fma_f64 v[2:3], v[104:105], v[114:115], v[2:3]
	scratch_load_b128 v[102:105], off, off offset:288
	s_waitcnt vmcnt(4)
	v_fma_f64 v[2:3], v[124:125], v[116:117], v[2:3]
	scratch_load_b128 v[114:117], off, off offset:304
	s_waitcnt lgkmcnt(0)
	v_fma_f64 v[2:3], v[126:127], v[128:129], v[2:3]
	ds_load_2addr_b64 v[122:125], v1 offset0:79 offset1:80
	ds_load_2addr_b64 v[126:129], v1 offset0:81 offset1:82
	s_waitcnt vmcnt(4)
	v_fma_f64 v[2:3], v[106:107], v[130:131], v[2:3]
	s_waitcnt lgkmcnt(1)
	s_delay_alu instid0(VALU_DEP_1) | instskip(SKIP_4) | instid1(VALU_DEP_1)
	v_fma_f64 v[2:3], v[108:109], v[122:123], v[2:3]
	scratch_load_b128 v[106:109], off, off offset:320
	s_waitcnt vmcnt(4)
	v_fma_f64 v[2:3], v[118:119], v[124:125], v[2:3]
	s_waitcnt lgkmcnt(0)
	v_fma_f64 v[2:3], v[120:121], v[126:127], v[2:3]
	scratch_load_b128 v[118:121], off, off offset:336
	s_waitcnt vmcnt(4)
	v_fma_f64 v[2:3], v[110:111], v[128:129], v[2:3]
	ds_load_2addr_b64 v[122:125], v1 offset0:83 offset1:84
	ds_load_2addr_b64 v[126:129], v1 offset0:85 offset1:86
	s_waitcnt lgkmcnt(1)
	v_fma_f64 v[2:3], v[112:113], v[122:123], v[2:3]
	scratch_load_b128 v[110:113], off, off offset:352
	s_waitcnt vmcnt(4)
	v_fma_f64 v[2:3], v[102:103], v[124:125], v[2:3]
	s_waitcnt lgkmcnt(0)
	s_delay_alu instid0(VALU_DEP_1)
	v_fma_f64 v[2:3], v[104:105], v[126:127], v[2:3]
	scratch_load_b64 v[126:127], off, off offset:368
	ds_load_2addr_b64 v[102:105], v1 offset0:87 offset1:88
	ds_load_2addr_b64 v[122:125], v1 offset0:89 offset1:90
	s_waitcnt vmcnt(4)
	v_fma_f64 v[2:3], v[114:115], v[128:129], v[2:3]
	s_waitcnt lgkmcnt(1)
	s_delay_alu instid0(VALU_DEP_1) | instskip(SKIP_1) | instid1(VALU_DEP_1)
	v_fma_f64 v[2:3], v[116:117], v[102:103], v[2:3]
	s_waitcnt vmcnt(3)
	v_fma_f64 v[2:3], v[106:107], v[104:105], v[2:3]
	s_waitcnt lgkmcnt(0)
	s_delay_alu instid0(VALU_DEP_1) | instskip(SKIP_1) | instid1(VALU_DEP_1)
	v_fma_f64 v[2:3], v[108:109], v[122:123], v[2:3]
	s_waitcnt vmcnt(2)
	v_fma_f64 v[106:107], v[118:119], v[124:125], v[2:3]
	ds_load_2addr_b64 v[102:105], v1 offset0:91 offset1:92
	ds_load_2addr_b64 v[1:4], v1 offset0:93 offset1:94
	s_waitcnt lgkmcnt(1)
	v_fma_f64 v[102:103], v[120:121], v[102:103], v[106:107]
	s_waitcnt vmcnt(1)
	s_delay_alu instid0(VALU_DEP_1) | instskip(SKIP_1) | instid1(VALU_DEP_1)
	v_fma_f64 v[102:103], v[110:111], v[104:105], v[102:103]
	s_waitcnt lgkmcnt(0)
	v_fma_f64 v[1:2], v[112:113], v[1:2], v[102:103]
	s_waitcnt vmcnt(0)
	s_delay_alu instid0(VALU_DEP_1) | instskip(NEXT) | instid1(VALU_DEP_1)
	v_fma_f64 v[1:2], v[126:127], v[3:4], v[1:2]
	v_add_f64 v[1:2], v[100:101], -v[1:2]
	scratch_store_b64 off, v[1:2], off offset:112
	v_cmpx_lt_u32_e32 13, v0
	s_cbranch_execz .LBB110_265
; %bb.264:
	scratch_load_b64 v[1:2], off, off offset:104
	v_mov_b32_e32 v3, 0
	s_delay_alu instid0(VALU_DEP_1)
	v_mov_b32_e32 v4, v3
	scratch_store_b64 off, v[3:4], off offset:104
	s_waitcnt vmcnt(0)
	ds_store_b64 v5, v[1:2]
.LBB110_265:
	s_or_b32 exec_lo, exec_lo, s0
	s_waitcnt lgkmcnt(0)
	s_waitcnt_vscnt null, 0x0
	s_barrier
	buffer_gl0_inv
	s_clause 0x4
	scratch_load_b128 v[100:103], off, off offset:104
	scratch_load_b128 v[104:107], off, off offset:120
	;; [unrolled: 1-line block ×5, first 2 shown]
	v_mov_b32_e32 v1, 0
	ds_load_b128 v[120:123], v1 offset:496
	ds_load_b128 v[124:127], v1 offset:512
	scratch_load_b128 v[128:131], off, off offset:184
	s_mov_b32 s0, exec_lo
	s_waitcnt vmcnt(5) lgkmcnt(1)
	v_fma_f64 v[2:3], v[102:103], v[120:121], 0
	s_waitcnt vmcnt(4)
	s_delay_alu instid0(VALU_DEP_1) | instskip(SKIP_4) | instid1(VALU_DEP_1)
	v_fma_f64 v[2:3], v[104:105], v[122:123], v[2:3]
	scratch_load_b128 v[102:105], off, off offset:200
	s_waitcnt lgkmcnt(0)
	v_fma_f64 v[2:3], v[106:107], v[124:125], v[2:3]
	s_waitcnt vmcnt(4)
	v_fma_f64 v[2:3], v[108:109], v[126:127], v[2:3]
	ds_load_b128 v[106:109], v1 offset:528
	ds_load_b128 v[120:123], v1 offset:544
	scratch_load_b128 v[124:127], off, off offset:216
	s_waitcnt lgkmcnt(1)
	v_fma_f64 v[2:3], v[110:111], v[106:107], v[2:3]
	s_waitcnt vmcnt(4)
	s_delay_alu instid0(VALU_DEP_1) | instskip(SKIP_4) | instid1(VALU_DEP_1)
	v_fma_f64 v[2:3], v[112:113], v[108:109], v[2:3]
	scratch_load_b128 v[106:109], off, off offset:232
	s_waitcnt lgkmcnt(0)
	v_fma_f64 v[2:3], v[114:115], v[120:121], v[2:3]
	s_waitcnt vmcnt(4)
	v_fma_f64 v[2:3], v[116:117], v[122:123], v[2:3]
	ds_load_b128 v[110:113], v1 offset:560
	ds_load_b128 v[114:117], v1 offset:576
	s_waitcnt lgkmcnt(1)
	v_fma_f64 v[2:3], v[118:119], v[110:111], v[2:3]
	scratch_load_b128 v[118:121], off, off offset:248
	s_waitcnt vmcnt(4)
	v_fma_f64 v[2:3], v[128:129], v[112:113], v[2:3]
	scratch_load_b128 v[110:113], off, off offset:264
	s_waitcnt lgkmcnt(0)
	v_fma_f64 v[2:3], v[130:131], v[114:115], v[2:3]
	s_waitcnt vmcnt(4)
	s_delay_alu instid0(VALU_DEP_1)
	v_fma_f64 v[2:3], v[102:103], v[116:117], v[2:3]
	ds_load_b128 v[114:117], v1 offset:592
	ds_load_b128 v[128:131], v1 offset:608
	s_waitcnt lgkmcnt(1)
	v_fma_f64 v[2:3], v[104:105], v[114:115], v[2:3]
	scratch_load_b128 v[102:105], off, off offset:280
	s_waitcnt vmcnt(4)
	v_fma_f64 v[2:3], v[124:125], v[116:117], v[2:3]
	scratch_load_b128 v[114:117], off, off offset:296
	s_waitcnt lgkmcnt(0)
	v_fma_f64 v[2:3], v[126:127], v[128:129], v[2:3]
	ds_load_b128 v[122:125], v1 offset:624
	ds_load_b128 v[126:129], v1 offset:640
	s_waitcnt vmcnt(4)
	v_fma_f64 v[2:3], v[106:107], v[130:131], v[2:3]
	s_waitcnt lgkmcnt(1)
	s_delay_alu instid0(VALU_DEP_1) | instskip(SKIP_4) | instid1(VALU_DEP_1)
	v_fma_f64 v[2:3], v[108:109], v[122:123], v[2:3]
	scratch_load_b128 v[106:109], off, off offset:312
	s_waitcnt vmcnt(4)
	v_fma_f64 v[2:3], v[118:119], v[124:125], v[2:3]
	s_waitcnt lgkmcnt(0)
	v_fma_f64 v[2:3], v[120:121], v[126:127], v[2:3]
	scratch_load_b128 v[118:121], off, off offset:328
	s_waitcnt vmcnt(4)
	v_fma_f64 v[2:3], v[110:111], v[128:129], v[2:3]
	ds_load_b128 v[122:125], v1 offset:656
	ds_load_b128 v[126:129], v1 offset:672
	s_waitcnt lgkmcnt(1)
	v_fma_f64 v[2:3], v[112:113], v[122:123], v[2:3]
	scratch_load_b128 v[110:113], off, off offset:344
	s_waitcnt vmcnt(4)
	v_fma_f64 v[2:3], v[102:103], v[124:125], v[2:3]
	s_waitcnt lgkmcnt(0)
	s_delay_alu instid0(VALU_DEP_1)
	v_fma_f64 v[2:3], v[104:105], v[126:127], v[2:3]
	scratch_load_b128 v[102:105], off, off offset:360
	s_waitcnt vmcnt(4)
	v_fma_f64 v[2:3], v[114:115], v[128:129], v[2:3]
	ds_load_b128 v[122:125], v1 offset:688
	ds_load_b128 v[126:129], v1 offset:704
	s_waitcnt lgkmcnt(1)
	v_fma_f64 v[2:3], v[116:117], v[122:123], v[2:3]
	s_waitcnt vmcnt(3)
	s_delay_alu instid0(VALU_DEP_1) | instskip(SKIP_1) | instid1(VALU_DEP_1)
	v_fma_f64 v[2:3], v[106:107], v[124:125], v[2:3]
	s_waitcnt lgkmcnt(0)
	v_fma_f64 v[2:3], v[108:109], v[126:127], v[2:3]
	ds_load_b128 v[106:109], v1 offset:720
	ds_load_b128 v[114:117], v1 offset:736
	s_waitcnt vmcnt(2)
	v_fma_f64 v[2:3], v[118:119], v[128:129], v[2:3]
	s_waitcnt lgkmcnt(1)
	s_delay_alu instid0(VALU_DEP_1) | instskip(SKIP_1) | instid1(VALU_DEP_1)
	v_fma_f64 v[2:3], v[120:121], v[106:107], v[2:3]
	s_waitcnt vmcnt(1)
	v_fma_f64 v[2:3], v[110:111], v[108:109], v[2:3]
	s_waitcnt lgkmcnt(0)
	s_delay_alu instid0(VALU_DEP_1) | instskip(SKIP_1) | instid1(VALU_DEP_1)
	v_fma_f64 v[2:3], v[112:113], v[114:115], v[2:3]
	s_waitcnt vmcnt(0)
	v_fma_f64 v[2:3], v[102:103], v[116:117], v[2:3]
	ds_load_b64 v[102:103], v1 offset:752
	s_waitcnt lgkmcnt(0)
	v_fma_f64 v[2:3], v[104:105], v[102:103], v[2:3]
	s_delay_alu instid0(VALU_DEP_1)
	v_add_f64 v[2:3], v[100:101], -v[2:3]
	scratch_store_b64 off, v[2:3], off offset:104
	v_cmpx_lt_u32_e32 12, v0
	s_cbranch_execz .LBB110_267
; %bb.266:
	scratch_load_b64 v[3:4], off, off offset:96
	v_mov_b32_e32 v2, v1
	scratch_store_b64 off, v[1:2], off offset:96
	s_waitcnt vmcnt(0)
	ds_store_b64 v5, v[3:4]
.LBB110_267:
	s_or_b32 exec_lo, exec_lo, s0
	s_waitcnt lgkmcnt(0)
	s_waitcnt_vscnt null, 0x0
	s_barrier
	buffer_gl0_inv
	s_clause 0x4
	scratch_load_b128 v[100:103], off, off offset:96
	scratch_load_b128 v[104:107], off, off offset:112
	;; [unrolled: 1-line block ×5, first 2 shown]
	ds_load_2addr_b64 v[120:123], v1 offset0:61 offset1:62
	ds_load_2addr_b64 v[124:127], v1 offset0:63 offset1:64
	scratch_load_b128 v[128:131], off, off offset:176
	s_mov_b32 s0, exec_lo
	s_waitcnt vmcnt(5) lgkmcnt(1)
	v_fma_f64 v[2:3], v[102:103], v[120:121], 0
	s_waitcnt vmcnt(4)
	s_delay_alu instid0(VALU_DEP_1) | instskip(SKIP_4) | instid1(VALU_DEP_1)
	v_fma_f64 v[2:3], v[104:105], v[122:123], v[2:3]
	scratch_load_b128 v[102:105], off, off offset:192
	s_waitcnt lgkmcnt(0)
	v_fma_f64 v[2:3], v[106:107], v[124:125], v[2:3]
	s_waitcnt vmcnt(4)
	v_fma_f64 v[2:3], v[108:109], v[126:127], v[2:3]
	ds_load_2addr_b64 v[106:109], v1 offset0:65 offset1:66
	ds_load_2addr_b64 v[120:123], v1 offset0:67 offset1:68
	scratch_load_b128 v[124:127], off, off offset:208
	s_waitcnt lgkmcnt(1)
	v_fma_f64 v[2:3], v[110:111], v[106:107], v[2:3]
	s_waitcnt vmcnt(4)
	s_delay_alu instid0(VALU_DEP_1) | instskip(SKIP_4) | instid1(VALU_DEP_1)
	v_fma_f64 v[2:3], v[112:113], v[108:109], v[2:3]
	scratch_load_b128 v[106:109], off, off offset:224
	s_waitcnt lgkmcnt(0)
	v_fma_f64 v[2:3], v[114:115], v[120:121], v[2:3]
	s_waitcnt vmcnt(4)
	v_fma_f64 v[2:3], v[116:117], v[122:123], v[2:3]
	ds_load_2addr_b64 v[110:113], v1 offset0:69 offset1:70
	ds_load_2addr_b64 v[114:117], v1 offset0:71 offset1:72
	s_waitcnt lgkmcnt(1)
	v_fma_f64 v[2:3], v[118:119], v[110:111], v[2:3]
	scratch_load_b128 v[118:121], off, off offset:240
	s_waitcnt vmcnt(4)
	v_fma_f64 v[2:3], v[128:129], v[112:113], v[2:3]
	scratch_load_b128 v[110:113], off, off offset:256
	s_waitcnt lgkmcnt(0)
	v_fma_f64 v[2:3], v[130:131], v[114:115], v[2:3]
	s_waitcnt vmcnt(4)
	s_delay_alu instid0(VALU_DEP_1)
	v_fma_f64 v[2:3], v[102:103], v[116:117], v[2:3]
	ds_load_2addr_b64 v[114:117], v1 offset0:73 offset1:74
	ds_load_2addr_b64 v[128:131], v1 offset0:75 offset1:76
	s_waitcnt lgkmcnt(1)
	v_fma_f64 v[2:3], v[104:105], v[114:115], v[2:3]
	scratch_load_b128 v[102:105], off, off offset:272
	s_waitcnt vmcnt(4)
	v_fma_f64 v[2:3], v[124:125], v[116:117], v[2:3]
	scratch_load_b128 v[114:117], off, off offset:288
	s_waitcnt lgkmcnt(0)
	v_fma_f64 v[2:3], v[126:127], v[128:129], v[2:3]
	ds_load_2addr_b64 v[122:125], v1 offset0:77 offset1:78
	ds_load_2addr_b64 v[126:129], v1 offset0:79 offset1:80
	s_waitcnt vmcnt(4)
	v_fma_f64 v[2:3], v[106:107], v[130:131], v[2:3]
	s_waitcnt lgkmcnt(1)
	s_delay_alu instid0(VALU_DEP_1) | instskip(SKIP_4) | instid1(VALU_DEP_1)
	v_fma_f64 v[2:3], v[108:109], v[122:123], v[2:3]
	scratch_load_b128 v[106:109], off, off offset:304
	s_waitcnt vmcnt(4)
	v_fma_f64 v[2:3], v[118:119], v[124:125], v[2:3]
	s_waitcnt lgkmcnt(0)
	v_fma_f64 v[2:3], v[120:121], v[126:127], v[2:3]
	scratch_load_b128 v[118:121], off, off offset:320
	s_waitcnt vmcnt(4)
	v_fma_f64 v[2:3], v[110:111], v[128:129], v[2:3]
	ds_load_2addr_b64 v[122:125], v1 offset0:81 offset1:82
	ds_load_2addr_b64 v[126:129], v1 offset0:83 offset1:84
	s_waitcnt lgkmcnt(1)
	v_fma_f64 v[2:3], v[112:113], v[122:123], v[2:3]
	scratch_load_b128 v[110:113], off, off offset:336
	s_waitcnt vmcnt(4)
	v_fma_f64 v[2:3], v[102:103], v[124:125], v[2:3]
	s_waitcnt lgkmcnt(0)
	s_delay_alu instid0(VALU_DEP_1)
	v_fma_f64 v[2:3], v[104:105], v[126:127], v[2:3]
	scratch_load_b128 v[102:105], off, off offset:352
	s_waitcnt vmcnt(4)
	v_fma_f64 v[2:3], v[114:115], v[128:129], v[2:3]
	ds_load_2addr_b64 v[122:125], v1 offset0:85 offset1:86
	ds_load_2addr_b64 v[126:129], v1 offset0:87 offset1:88
	s_waitcnt lgkmcnt(1)
	v_fma_f64 v[2:3], v[116:117], v[122:123], v[2:3]
	scratch_load_b64 v[122:123], off, off offset:368
	s_waitcnt vmcnt(4)
	v_fma_f64 v[2:3], v[106:107], v[124:125], v[2:3]
	s_waitcnt lgkmcnt(0)
	s_delay_alu instid0(VALU_DEP_1)
	v_fma_f64 v[2:3], v[108:109], v[126:127], v[2:3]
	ds_load_2addr_b64 v[106:109], v1 offset0:89 offset1:90
	ds_load_2addr_b64 v[114:117], v1 offset0:91 offset1:92
	s_waitcnt vmcnt(3)
	v_fma_f64 v[2:3], v[118:119], v[128:129], v[2:3]
	s_waitcnt lgkmcnt(1)
	s_delay_alu instid0(VALU_DEP_1) | instskip(SKIP_1) | instid1(VALU_DEP_1)
	v_fma_f64 v[2:3], v[120:121], v[106:107], v[2:3]
	s_waitcnt vmcnt(2)
	v_fma_f64 v[2:3], v[110:111], v[108:109], v[2:3]
	s_waitcnt lgkmcnt(0)
	s_delay_alu instid0(VALU_DEP_1) | instskip(SKIP_1) | instid1(VALU_DEP_1)
	v_fma_f64 v[2:3], v[112:113], v[114:115], v[2:3]
	s_waitcnt vmcnt(1)
	v_fma_f64 v[102:103], v[102:103], v[116:117], v[2:3]
	ds_load_2addr_b64 v[1:4], v1 offset0:93 offset1:94
	s_waitcnt lgkmcnt(0)
	v_fma_f64 v[1:2], v[104:105], v[1:2], v[102:103]
	s_waitcnt vmcnt(0)
	s_delay_alu instid0(VALU_DEP_1) | instskip(NEXT) | instid1(VALU_DEP_1)
	v_fma_f64 v[1:2], v[122:123], v[3:4], v[1:2]
	v_add_f64 v[1:2], v[100:101], -v[1:2]
	scratch_store_b64 off, v[1:2], off offset:96
	v_cmpx_lt_u32_e32 11, v0
	s_cbranch_execz .LBB110_269
; %bb.268:
	scratch_load_b64 v[1:2], off, off offset:88
	v_mov_b32_e32 v3, 0
	s_delay_alu instid0(VALU_DEP_1)
	v_mov_b32_e32 v4, v3
	scratch_store_b64 off, v[3:4], off offset:88
	s_waitcnt vmcnt(0)
	ds_store_b64 v5, v[1:2]
.LBB110_269:
	s_or_b32 exec_lo, exec_lo, s0
	s_waitcnt lgkmcnt(0)
	s_waitcnt_vscnt null, 0x0
	s_barrier
	buffer_gl0_inv
	s_clause 0x4
	scratch_load_b128 v[100:103], off, off offset:88
	scratch_load_b128 v[104:107], off, off offset:104
	;; [unrolled: 1-line block ×5, first 2 shown]
	v_mov_b32_e32 v1, 0
	ds_load_b128 v[120:123], v1 offset:480
	ds_load_b128 v[124:127], v1 offset:496
	scratch_load_b128 v[128:131], off, off offset:168
	s_mov_b32 s0, exec_lo
	s_waitcnt vmcnt(5) lgkmcnt(1)
	v_fma_f64 v[2:3], v[102:103], v[120:121], 0
	s_waitcnt vmcnt(4)
	s_delay_alu instid0(VALU_DEP_1) | instskip(SKIP_4) | instid1(VALU_DEP_1)
	v_fma_f64 v[2:3], v[104:105], v[122:123], v[2:3]
	scratch_load_b128 v[102:105], off, off offset:184
	s_waitcnt lgkmcnt(0)
	v_fma_f64 v[2:3], v[106:107], v[124:125], v[2:3]
	s_waitcnt vmcnt(4)
	v_fma_f64 v[2:3], v[108:109], v[126:127], v[2:3]
	ds_load_b128 v[106:109], v1 offset:512
	ds_load_b128 v[120:123], v1 offset:528
	scratch_load_b128 v[124:127], off, off offset:200
	s_waitcnt lgkmcnt(1)
	v_fma_f64 v[2:3], v[110:111], v[106:107], v[2:3]
	s_waitcnt vmcnt(4)
	s_delay_alu instid0(VALU_DEP_1) | instskip(SKIP_4) | instid1(VALU_DEP_1)
	v_fma_f64 v[2:3], v[112:113], v[108:109], v[2:3]
	scratch_load_b128 v[106:109], off, off offset:216
	s_waitcnt lgkmcnt(0)
	v_fma_f64 v[2:3], v[114:115], v[120:121], v[2:3]
	s_waitcnt vmcnt(4)
	v_fma_f64 v[2:3], v[116:117], v[122:123], v[2:3]
	ds_load_b128 v[110:113], v1 offset:544
	ds_load_b128 v[114:117], v1 offset:560
	s_waitcnt lgkmcnt(1)
	v_fma_f64 v[2:3], v[118:119], v[110:111], v[2:3]
	scratch_load_b128 v[118:121], off, off offset:232
	s_waitcnt vmcnt(4)
	v_fma_f64 v[2:3], v[128:129], v[112:113], v[2:3]
	scratch_load_b128 v[110:113], off, off offset:248
	s_waitcnt lgkmcnt(0)
	v_fma_f64 v[2:3], v[130:131], v[114:115], v[2:3]
	s_waitcnt vmcnt(4)
	s_delay_alu instid0(VALU_DEP_1)
	v_fma_f64 v[2:3], v[102:103], v[116:117], v[2:3]
	ds_load_b128 v[114:117], v1 offset:576
	ds_load_b128 v[128:131], v1 offset:592
	s_waitcnt lgkmcnt(1)
	v_fma_f64 v[2:3], v[104:105], v[114:115], v[2:3]
	scratch_load_b128 v[102:105], off, off offset:264
	s_waitcnt vmcnt(4)
	v_fma_f64 v[2:3], v[124:125], v[116:117], v[2:3]
	scratch_load_b128 v[114:117], off, off offset:280
	s_waitcnt lgkmcnt(0)
	v_fma_f64 v[2:3], v[126:127], v[128:129], v[2:3]
	ds_load_b128 v[122:125], v1 offset:608
	ds_load_b128 v[126:129], v1 offset:624
	s_waitcnt vmcnt(4)
	v_fma_f64 v[2:3], v[106:107], v[130:131], v[2:3]
	s_waitcnt lgkmcnt(1)
	s_delay_alu instid0(VALU_DEP_1) | instskip(SKIP_4) | instid1(VALU_DEP_1)
	v_fma_f64 v[2:3], v[108:109], v[122:123], v[2:3]
	scratch_load_b128 v[106:109], off, off offset:296
	s_waitcnt vmcnt(4)
	v_fma_f64 v[2:3], v[118:119], v[124:125], v[2:3]
	s_waitcnt lgkmcnt(0)
	v_fma_f64 v[2:3], v[120:121], v[126:127], v[2:3]
	scratch_load_b128 v[118:121], off, off offset:312
	s_waitcnt vmcnt(4)
	v_fma_f64 v[2:3], v[110:111], v[128:129], v[2:3]
	ds_load_b128 v[122:125], v1 offset:640
	ds_load_b128 v[126:129], v1 offset:656
	s_waitcnt lgkmcnt(1)
	v_fma_f64 v[2:3], v[112:113], v[122:123], v[2:3]
	scratch_load_b128 v[110:113], off, off offset:328
	s_waitcnt vmcnt(4)
	v_fma_f64 v[2:3], v[102:103], v[124:125], v[2:3]
	s_waitcnt lgkmcnt(0)
	s_delay_alu instid0(VALU_DEP_1)
	v_fma_f64 v[2:3], v[104:105], v[126:127], v[2:3]
	scratch_load_b128 v[102:105], off, off offset:344
	s_waitcnt vmcnt(4)
	v_fma_f64 v[2:3], v[114:115], v[128:129], v[2:3]
	ds_load_b128 v[122:125], v1 offset:672
	ds_load_b128 v[126:129], v1 offset:688
	s_waitcnt lgkmcnt(1)
	v_fma_f64 v[2:3], v[116:117], v[122:123], v[2:3]
	scratch_load_b128 v[114:117], off, off offset:360
	s_waitcnt vmcnt(4)
	v_fma_f64 v[2:3], v[106:107], v[124:125], v[2:3]
	s_waitcnt lgkmcnt(0)
	s_delay_alu instid0(VALU_DEP_1)
	v_fma_f64 v[2:3], v[108:109], v[126:127], v[2:3]
	ds_load_b128 v[106:109], v1 offset:704
	ds_load_b128 v[122:125], v1 offset:720
	s_waitcnt vmcnt(3)
	v_fma_f64 v[2:3], v[118:119], v[128:129], v[2:3]
	s_waitcnt lgkmcnt(1)
	s_delay_alu instid0(VALU_DEP_1) | instskip(SKIP_1) | instid1(VALU_DEP_1)
	v_fma_f64 v[2:3], v[120:121], v[106:107], v[2:3]
	s_waitcnt vmcnt(2)
	v_fma_f64 v[2:3], v[110:111], v[108:109], v[2:3]
	s_waitcnt lgkmcnt(0)
	s_delay_alu instid0(VALU_DEP_1) | instskip(SKIP_1) | instid1(VALU_DEP_1)
	v_fma_f64 v[2:3], v[112:113], v[122:123], v[2:3]
	s_waitcnt vmcnt(1)
	v_fma_f64 v[2:3], v[102:103], v[124:125], v[2:3]
	ds_load_b128 v[106:109], v1 offset:736
	ds_load_b64 v[102:103], v1 offset:752
	s_waitcnt lgkmcnt(1)
	v_fma_f64 v[2:3], v[104:105], v[106:107], v[2:3]
	s_waitcnt vmcnt(0)
	s_delay_alu instid0(VALU_DEP_1) | instskip(SKIP_1) | instid1(VALU_DEP_1)
	v_fma_f64 v[2:3], v[114:115], v[108:109], v[2:3]
	s_waitcnt lgkmcnt(0)
	v_fma_f64 v[2:3], v[116:117], v[102:103], v[2:3]
	s_delay_alu instid0(VALU_DEP_1)
	v_add_f64 v[2:3], v[100:101], -v[2:3]
	scratch_store_b64 off, v[2:3], off offset:88
	v_cmpx_lt_u32_e32 10, v0
	s_cbranch_execz .LBB110_271
; %bb.270:
	scratch_load_b64 v[3:4], off, off offset:80
	v_mov_b32_e32 v2, v1
	scratch_store_b64 off, v[1:2], off offset:80
	s_waitcnt vmcnt(0)
	ds_store_b64 v5, v[3:4]
.LBB110_271:
	s_or_b32 exec_lo, exec_lo, s0
	s_waitcnt lgkmcnt(0)
	s_waitcnt_vscnt null, 0x0
	s_barrier
	buffer_gl0_inv
	s_clause 0x4
	scratch_load_b128 v[100:103], off, off offset:80
	scratch_load_b128 v[104:107], off, off offset:96
	;; [unrolled: 1-line block ×5, first 2 shown]
	ds_load_2addr_b64 v[120:123], v1 offset0:59 offset1:60
	ds_load_2addr_b64 v[124:127], v1 offset0:61 offset1:62
	scratch_load_b128 v[128:131], off, off offset:160
	s_mov_b32 s0, exec_lo
	s_waitcnt vmcnt(5) lgkmcnt(1)
	v_fma_f64 v[2:3], v[102:103], v[120:121], 0
	s_waitcnt vmcnt(4)
	s_delay_alu instid0(VALU_DEP_1) | instskip(SKIP_4) | instid1(VALU_DEP_1)
	v_fma_f64 v[2:3], v[104:105], v[122:123], v[2:3]
	scratch_load_b128 v[102:105], off, off offset:176
	s_waitcnt lgkmcnt(0)
	v_fma_f64 v[2:3], v[106:107], v[124:125], v[2:3]
	s_waitcnt vmcnt(4)
	v_fma_f64 v[2:3], v[108:109], v[126:127], v[2:3]
	ds_load_2addr_b64 v[106:109], v1 offset0:63 offset1:64
	ds_load_2addr_b64 v[120:123], v1 offset0:65 offset1:66
	scratch_load_b128 v[124:127], off, off offset:192
	s_waitcnt lgkmcnt(1)
	v_fma_f64 v[2:3], v[110:111], v[106:107], v[2:3]
	s_waitcnt vmcnt(4)
	s_delay_alu instid0(VALU_DEP_1) | instskip(SKIP_4) | instid1(VALU_DEP_1)
	v_fma_f64 v[2:3], v[112:113], v[108:109], v[2:3]
	scratch_load_b128 v[106:109], off, off offset:208
	s_waitcnt lgkmcnt(0)
	v_fma_f64 v[2:3], v[114:115], v[120:121], v[2:3]
	s_waitcnt vmcnt(4)
	v_fma_f64 v[2:3], v[116:117], v[122:123], v[2:3]
	ds_load_2addr_b64 v[110:113], v1 offset0:67 offset1:68
	ds_load_2addr_b64 v[114:117], v1 offset0:69 offset1:70
	s_waitcnt lgkmcnt(1)
	v_fma_f64 v[2:3], v[118:119], v[110:111], v[2:3]
	scratch_load_b128 v[118:121], off, off offset:224
	s_waitcnt vmcnt(4)
	v_fma_f64 v[2:3], v[128:129], v[112:113], v[2:3]
	scratch_load_b128 v[110:113], off, off offset:240
	s_waitcnt lgkmcnt(0)
	v_fma_f64 v[2:3], v[130:131], v[114:115], v[2:3]
	s_waitcnt vmcnt(4)
	s_delay_alu instid0(VALU_DEP_1)
	v_fma_f64 v[2:3], v[102:103], v[116:117], v[2:3]
	ds_load_2addr_b64 v[114:117], v1 offset0:71 offset1:72
	ds_load_2addr_b64 v[128:131], v1 offset0:73 offset1:74
	s_waitcnt lgkmcnt(1)
	v_fma_f64 v[2:3], v[104:105], v[114:115], v[2:3]
	scratch_load_b128 v[102:105], off, off offset:256
	s_waitcnt vmcnt(4)
	v_fma_f64 v[2:3], v[124:125], v[116:117], v[2:3]
	scratch_load_b128 v[114:117], off, off offset:272
	s_waitcnt lgkmcnt(0)
	v_fma_f64 v[2:3], v[126:127], v[128:129], v[2:3]
	ds_load_2addr_b64 v[122:125], v1 offset0:75 offset1:76
	ds_load_2addr_b64 v[126:129], v1 offset0:77 offset1:78
	s_waitcnt vmcnt(4)
	v_fma_f64 v[2:3], v[106:107], v[130:131], v[2:3]
	s_waitcnt lgkmcnt(1)
	s_delay_alu instid0(VALU_DEP_1) | instskip(SKIP_4) | instid1(VALU_DEP_1)
	v_fma_f64 v[2:3], v[108:109], v[122:123], v[2:3]
	scratch_load_b128 v[106:109], off, off offset:288
	s_waitcnt vmcnt(4)
	v_fma_f64 v[2:3], v[118:119], v[124:125], v[2:3]
	s_waitcnt lgkmcnt(0)
	v_fma_f64 v[2:3], v[120:121], v[126:127], v[2:3]
	scratch_load_b128 v[118:121], off, off offset:304
	s_waitcnt vmcnt(4)
	v_fma_f64 v[2:3], v[110:111], v[128:129], v[2:3]
	ds_load_2addr_b64 v[122:125], v1 offset0:79 offset1:80
	ds_load_2addr_b64 v[126:129], v1 offset0:81 offset1:82
	s_waitcnt lgkmcnt(1)
	v_fma_f64 v[2:3], v[112:113], v[122:123], v[2:3]
	scratch_load_b128 v[110:113], off, off offset:320
	s_waitcnt vmcnt(4)
	v_fma_f64 v[2:3], v[102:103], v[124:125], v[2:3]
	s_waitcnt lgkmcnt(0)
	s_delay_alu instid0(VALU_DEP_1)
	v_fma_f64 v[2:3], v[104:105], v[126:127], v[2:3]
	scratch_load_b128 v[102:105], off, off offset:336
	s_waitcnt vmcnt(4)
	v_fma_f64 v[2:3], v[114:115], v[128:129], v[2:3]
	ds_load_2addr_b64 v[122:125], v1 offset0:83 offset1:84
	ds_load_2addr_b64 v[126:129], v1 offset0:85 offset1:86
	s_waitcnt lgkmcnt(1)
	v_fma_f64 v[2:3], v[116:117], v[122:123], v[2:3]
	scratch_load_b128 v[114:117], off, off offset:352
	s_waitcnt vmcnt(4)
	v_fma_f64 v[2:3], v[106:107], v[124:125], v[2:3]
	s_waitcnt lgkmcnt(0)
	s_delay_alu instid0(VALU_DEP_1)
	v_fma_f64 v[2:3], v[108:109], v[126:127], v[2:3]
	scratch_load_b64 v[126:127], off, off offset:368
	ds_load_2addr_b64 v[106:109], v1 offset0:87 offset1:88
	ds_load_2addr_b64 v[122:125], v1 offset0:89 offset1:90
	s_waitcnt vmcnt(4)
	v_fma_f64 v[2:3], v[118:119], v[128:129], v[2:3]
	s_waitcnt lgkmcnt(1)
	s_delay_alu instid0(VALU_DEP_1) | instskip(SKIP_1) | instid1(VALU_DEP_1)
	v_fma_f64 v[2:3], v[120:121], v[106:107], v[2:3]
	s_waitcnt vmcnt(3)
	v_fma_f64 v[2:3], v[110:111], v[108:109], v[2:3]
	s_waitcnt lgkmcnt(0)
	s_delay_alu instid0(VALU_DEP_1) | instskip(SKIP_1) | instid1(VALU_DEP_1)
	v_fma_f64 v[2:3], v[112:113], v[122:123], v[2:3]
	s_waitcnt vmcnt(2)
	v_fma_f64 v[102:103], v[102:103], v[124:125], v[2:3]
	ds_load_2addr_b64 v[106:109], v1 offset0:91 offset1:92
	ds_load_2addr_b64 v[1:4], v1 offset0:93 offset1:94
	s_waitcnt lgkmcnt(1)
	v_fma_f64 v[102:103], v[104:105], v[106:107], v[102:103]
	s_waitcnt vmcnt(1)
	s_delay_alu instid0(VALU_DEP_1) | instskip(SKIP_1) | instid1(VALU_DEP_1)
	v_fma_f64 v[102:103], v[114:115], v[108:109], v[102:103]
	s_waitcnt lgkmcnt(0)
	v_fma_f64 v[1:2], v[116:117], v[1:2], v[102:103]
	s_waitcnt vmcnt(0)
	s_delay_alu instid0(VALU_DEP_1) | instskip(NEXT) | instid1(VALU_DEP_1)
	v_fma_f64 v[1:2], v[126:127], v[3:4], v[1:2]
	v_add_f64 v[1:2], v[100:101], -v[1:2]
	scratch_store_b64 off, v[1:2], off offset:80
	v_cmpx_lt_u32_e32 9, v0
	s_cbranch_execz .LBB110_273
; %bb.272:
	scratch_load_b64 v[1:2], off, off offset:72
	v_mov_b32_e32 v3, 0
	s_delay_alu instid0(VALU_DEP_1)
	v_mov_b32_e32 v4, v3
	scratch_store_b64 off, v[3:4], off offset:72
	s_waitcnt vmcnt(0)
	ds_store_b64 v5, v[1:2]
.LBB110_273:
	s_or_b32 exec_lo, exec_lo, s0
	s_waitcnt lgkmcnt(0)
	s_waitcnt_vscnt null, 0x0
	s_barrier
	buffer_gl0_inv
	s_clause 0x4
	scratch_load_b128 v[100:103], off, off offset:72
	scratch_load_b128 v[104:107], off, off offset:88
	;; [unrolled: 1-line block ×5, first 2 shown]
	v_mov_b32_e32 v1, 0
	ds_load_b128 v[120:123], v1 offset:464
	ds_load_b128 v[124:127], v1 offset:480
	scratch_load_b128 v[128:131], off, off offset:152
	s_mov_b32 s0, exec_lo
	s_waitcnt vmcnt(5) lgkmcnt(1)
	v_fma_f64 v[2:3], v[102:103], v[120:121], 0
	s_waitcnt vmcnt(4)
	s_delay_alu instid0(VALU_DEP_1) | instskip(SKIP_4) | instid1(VALU_DEP_1)
	v_fma_f64 v[2:3], v[104:105], v[122:123], v[2:3]
	scratch_load_b128 v[102:105], off, off offset:168
	s_waitcnt lgkmcnt(0)
	v_fma_f64 v[2:3], v[106:107], v[124:125], v[2:3]
	s_waitcnt vmcnt(4)
	v_fma_f64 v[2:3], v[108:109], v[126:127], v[2:3]
	ds_load_b128 v[106:109], v1 offset:496
	ds_load_b128 v[120:123], v1 offset:512
	scratch_load_b128 v[124:127], off, off offset:184
	s_waitcnt lgkmcnt(1)
	v_fma_f64 v[2:3], v[110:111], v[106:107], v[2:3]
	s_waitcnt vmcnt(4)
	s_delay_alu instid0(VALU_DEP_1) | instskip(SKIP_4) | instid1(VALU_DEP_1)
	v_fma_f64 v[2:3], v[112:113], v[108:109], v[2:3]
	scratch_load_b128 v[106:109], off, off offset:200
	s_waitcnt lgkmcnt(0)
	v_fma_f64 v[2:3], v[114:115], v[120:121], v[2:3]
	s_waitcnt vmcnt(4)
	v_fma_f64 v[2:3], v[116:117], v[122:123], v[2:3]
	ds_load_b128 v[110:113], v1 offset:528
	ds_load_b128 v[114:117], v1 offset:544
	s_waitcnt lgkmcnt(1)
	v_fma_f64 v[2:3], v[118:119], v[110:111], v[2:3]
	scratch_load_b128 v[118:121], off, off offset:216
	s_waitcnt vmcnt(4)
	v_fma_f64 v[2:3], v[128:129], v[112:113], v[2:3]
	scratch_load_b128 v[110:113], off, off offset:232
	s_waitcnt lgkmcnt(0)
	v_fma_f64 v[2:3], v[130:131], v[114:115], v[2:3]
	s_waitcnt vmcnt(4)
	s_delay_alu instid0(VALU_DEP_1)
	v_fma_f64 v[2:3], v[102:103], v[116:117], v[2:3]
	ds_load_b128 v[114:117], v1 offset:560
	ds_load_b128 v[128:131], v1 offset:576
	s_waitcnt lgkmcnt(1)
	v_fma_f64 v[2:3], v[104:105], v[114:115], v[2:3]
	scratch_load_b128 v[102:105], off, off offset:248
	s_waitcnt vmcnt(4)
	v_fma_f64 v[2:3], v[124:125], v[116:117], v[2:3]
	scratch_load_b128 v[114:117], off, off offset:264
	s_waitcnt lgkmcnt(0)
	v_fma_f64 v[2:3], v[126:127], v[128:129], v[2:3]
	ds_load_b128 v[122:125], v1 offset:592
	ds_load_b128 v[126:129], v1 offset:608
	s_waitcnt vmcnt(4)
	v_fma_f64 v[2:3], v[106:107], v[130:131], v[2:3]
	s_waitcnt lgkmcnt(1)
	s_delay_alu instid0(VALU_DEP_1) | instskip(SKIP_4) | instid1(VALU_DEP_1)
	v_fma_f64 v[2:3], v[108:109], v[122:123], v[2:3]
	scratch_load_b128 v[106:109], off, off offset:280
	s_waitcnt vmcnt(4)
	v_fma_f64 v[2:3], v[118:119], v[124:125], v[2:3]
	s_waitcnt lgkmcnt(0)
	v_fma_f64 v[2:3], v[120:121], v[126:127], v[2:3]
	scratch_load_b128 v[118:121], off, off offset:296
	s_waitcnt vmcnt(4)
	v_fma_f64 v[2:3], v[110:111], v[128:129], v[2:3]
	ds_load_b128 v[122:125], v1 offset:624
	ds_load_b128 v[126:129], v1 offset:640
	s_waitcnt lgkmcnt(1)
	v_fma_f64 v[2:3], v[112:113], v[122:123], v[2:3]
	scratch_load_b128 v[110:113], off, off offset:312
	s_waitcnt vmcnt(4)
	v_fma_f64 v[2:3], v[102:103], v[124:125], v[2:3]
	s_waitcnt lgkmcnt(0)
	s_delay_alu instid0(VALU_DEP_1)
	v_fma_f64 v[2:3], v[104:105], v[126:127], v[2:3]
	scratch_load_b128 v[102:105], off, off offset:328
	s_waitcnt vmcnt(4)
	v_fma_f64 v[2:3], v[114:115], v[128:129], v[2:3]
	ds_load_b128 v[122:125], v1 offset:656
	ds_load_b128 v[126:129], v1 offset:672
	s_waitcnt lgkmcnt(1)
	v_fma_f64 v[2:3], v[116:117], v[122:123], v[2:3]
	scratch_load_b128 v[114:117], off, off offset:344
	s_waitcnt vmcnt(4)
	v_fma_f64 v[2:3], v[106:107], v[124:125], v[2:3]
	s_waitcnt lgkmcnt(0)
	s_delay_alu instid0(VALU_DEP_1)
	v_fma_f64 v[2:3], v[108:109], v[126:127], v[2:3]
	scratch_load_b128 v[106:109], off, off offset:360
	s_waitcnt vmcnt(4)
	v_fma_f64 v[2:3], v[118:119], v[128:129], v[2:3]
	ds_load_b128 v[122:125], v1 offset:688
	ds_load_b128 v[126:129], v1 offset:704
	s_waitcnt lgkmcnt(1)
	v_fma_f64 v[2:3], v[120:121], v[122:123], v[2:3]
	s_waitcnt vmcnt(3)
	s_delay_alu instid0(VALU_DEP_1) | instskip(SKIP_1) | instid1(VALU_DEP_1)
	v_fma_f64 v[2:3], v[110:111], v[124:125], v[2:3]
	s_waitcnt lgkmcnt(0)
	v_fma_f64 v[2:3], v[112:113], v[126:127], v[2:3]
	ds_load_b128 v[110:113], v1 offset:720
	ds_load_b128 v[118:121], v1 offset:736
	s_waitcnt vmcnt(2)
	v_fma_f64 v[2:3], v[102:103], v[128:129], v[2:3]
	ds_load_b64 v[102:103], v1 offset:752
	s_waitcnt lgkmcnt(2)
	v_fma_f64 v[2:3], v[104:105], v[110:111], v[2:3]
	s_waitcnt vmcnt(1)
	s_delay_alu instid0(VALU_DEP_1) | instskip(SKIP_1) | instid1(VALU_DEP_1)
	v_fma_f64 v[2:3], v[114:115], v[112:113], v[2:3]
	s_waitcnt lgkmcnt(1)
	v_fma_f64 v[2:3], v[116:117], v[118:119], v[2:3]
	s_waitcnt vmcnt(0)
	s_delay_alu instid0(VALU_DEP_1) | instskip(SKIP_1) | instid1(VALU_DEP_1)
	v_fma_f64 v[2:3], v[106:107], v[120:121], v[2:3]
	s_waitcnt lgkmcnt(0)
	v_fma_f64 v[2:3], v[108:109], v[102:103], v[2:3]
	s_delay_alu instid0(VALU_DEP_1)
	v_add_f64 v[2:3], v[100:101], -v[2:3]
	scratch_store_b64 off, v[2:3], off offset:72
	v_cmpx_lt_u32_e32 8, v0
	s_cbranch_execz .LBB110_275
; %bb.274:
	scratch_load_b64 v[3:4], off, off offset:64
	v_mov_b32_e32 v2, v1
	scratch_store_b64 off, v[1:2], off offset:64
	s_waitcnt vmcnt(0)
	ds_store_b64 v5, v[3:4]
.LBB110_275:
	s_or_b32 exec_lo, exec_lo, s0
	s_waitcnt lgkmcnt(0)
	s_waitcnt_vscnt null, 0x0
	s_barrier
	buffer_gl0_inv
	s_clause 0x4
	scratch_load_b128 v[100:103], off, off offset:64
	scratch_load_b128 v[104:107], off, off offset:80
	;; [unrolled: 1-line block ×5, first 2 shown]
	ds_load_2addr_b64 v[120:123], v1 offset0:57 offset1:58
	ds_load_2addr_b64 v[124:127], v1 offset0:59 offset1:60
	scratch_load_b128 v[128:131], off, off offset:144
	s_mov_b32 s0, exec_lo
	s_waitcnt vmcnt(5) lgkmcnt(1)
	v_fma_f64 v[2:3], v[102:103], v[120:121], 0
	s_waitcnt vmcnt(4)
	s_delay_alu instid0(VALU_DEP_1) | instskip(SKIP_4) | instid1(VALU_DEP_1)
	v_fma_f64 v[2:3], v[104:105], v[122:123], v[2:3]
	scratch_load_b128 v[102:105], off, off offset:160
	s_waitcnt lgkmcnt(0)
	v_fma_f64 v[2:3], v[106:107], v[124:125], v[2:3]
	s_waitcnt vmcnt(4)
	v_fma_f64 v[2:3], v[108:109], v[126:127], v[2:3]
	ds_load_2addr_b64 v[106:109], v1 offset0:61 offset1:62
	ds_load_2addr_b64 v[120:123], v1 offset0:63 offset1:64
	scratch_load_b128 v[124:127], off, off offset:176
	s_waitcnt lgkmcnt(1)
	v_fma_f64 v[2:3], v[110:111], v[106:107], v[2:3]
	s_waitcnt vmcnt(4)
	s_delay_alu instid0(VALU_DEP_1) | instskip(SKIP_4) | instid1(VALU_DEP_1)
	v_fma_f64 v[2:3], v[112:113], v[108:109], v[2:3]
	scratch_load_b128 v[106:109], off, off offset:192
	s_waitcnt lgkmcnt(0)
	v_fma_f64 v[2:3], v[114:115], v[120:121], v[2:3]
	s_waitcnt vmcnt(4)
	v_fma_f64 v[2:3], v[116:117], v[122:123], v[2:3]
	ds_load_2addr_b64 v[110:113], v1 offset0:65 offset1:66
	ds_load_2addr_b64 v[114:117], v1 offset0:67 offset1:68
	s_waitcnt lgkmcnt(1)
	v_fma_f64 v[2:3], v[118:119], v[110:111], v[2:3]
	scratch_load_b128 v[118:121], off, off offset:208
	s_waitcnt vmcnt(4)
	v_fma_f64 v[2:3], v[128:129], v[112:113], v[2:3]
	scratch_load_b128 v[110:113], off, off offset:224
	s_waitcnt lgkmcnt(0)
	v_fma_f64 v[2:3], v[130:131], v[114:115], v[2:3]
	s_waitcnt vmcnt(4)
	s_delay_alu instid0(VALU_DEP_1)
	v_fma_f64 v[2:3], v[102:103], v[116:117], v[2:3]
	ds_load_2addr_b64 v[114:117], v1 offset0:69 offset1:70
	ds_load_2addr_b64 v[128:131], v1 offset0:71 offset1:72
	s_waitcnt lgkmcnt(1)
	v_fma_f64 v[2:3], v[104:105], v[114:115], v[2:3]
	scratch_load_b128 v[102:105], off, off offset:240
	s_waitcnt vmcnt(4)
	v_fma_f64 v[2:3], v[124:125], v[116:117], v[2:3]
	scratch_load_b128 v[114:117], off, off offset:256
	s_waitcnt lgkmcnt(0)
	v_fma_f64 v[2:3], v[126:127], v[128:129], v[2:3]
	ds_load_2addr_b64 v[122:125], v1 offset0:73 offset1:74
	ds_load_2addr_b64 v[126:129], v1 offset0:75 offset1:76
	s_waitcnt vmcnt(4)
	v_fma_f64 v[2:3], v[106:107], v[130:131], v[2:3]
	s_waitcnt lgkmcnt(1)
	s_delay_alu instid0(VALU_DEP_1) | instskip(SKIP_4) | instid1(VALU_DEP_1)
	v_fma_f64 v[2:3], v[108:109], v[122:123], v[2:3]
	scratch_load_b128 v[106:109], off, off offset:272
	s_waitcnt vmcnt(4)
	v_fma_f64 v[2:3], v[118:119], v[124:125], v[2:3]
	s_waitcnt lgkmcnt(0)
	v_fma_f64 v[2:3], v[120:121], v[126:127], v[2:3]
	scratch_load_b128 v[118:121], off, off offset:288
	s_waitcnt vmcnt(4)
	v_fma_f64 v[2:3], v[110:111], v[128:129], v[2:3]
	ds_load_2addr_b64 v[122:125], v1 offset0:77 offset1:78
	ds_load_2addr_b64 v[126:129], v1 offset0:79 offset1:80
	s_waitcnt lgkmcnt(1)
	v_fma_f64 v[2:3], v[112:113], v[122:123], v[2:3]
	scratch_load_b128 v[110:113], off, off offset:304
	s_waitcnt vmcnt(4)
	v_fma_f64 v[2:3], v[102:103], v[124:125], v[2:3]
	s_waitcnt lgkmcnt(0)
	s_delay_alu instid0(VALU_DEP_1)
	v_fma_f64 v[2:3], v[104:105], v[126:127], v[2:3]
	scratch_load_b128 v[102:105], off, off offset:320
	s_waitcnt vmcnt(4)
	v_fma_f64 v[2:3], v[114:115], v[128:129], v[2:3]
	ds_load_2addr_b64 v[122:125], v1 offset0:81 offset1:82
	ds_load_2addr_b64 v[126:129], v1 offset0:83 offset1:84
	s_waitcnt lgkmcnt(1)
	v_fma_f64 v[2:3], v[116:117], v[122:123], v[2:3]
	scratch_load_b128 v[114:117], off, off offset:336
	s_waitcnt vmcnt(4)
	v_fma_f64 v[2:3], v[106:107], v[124:125], v[2:3]
	s_waitcnt lgkmcnt(0)
	s_delay_alu instid0(VALU_DEP_1)
	v_fma_f64 v[2:3], v[108:109], v[126:127], v[2:3]
	scratch_load_b128 v[106:109], off, off offset:352
	s_waitcnt vmcnt(4)
	v_fma_f64 v[2:3], v[118:119], v[128:129], v[2:3]
	ds_load_2addr_b64 v[122:125], v1 offset0:85 offset1:86
	ds_load_2addr_b64 v[126:129], v1 offset0:87 offset1:88
	s_waitcnt lgkmcnt(1)
	v_fma_f64 v[2:3], v[120:121], v[122:123], v[2:3]
	scratch_load_b64 v[122:123], off, off offset:368
	s_waitcnt vmcnt(4)
	v_fma_f64 v[2:3], v[110:111], v[124:125], v[2:3]
	s_waitcnt lgkmcnt(0)
	s_delay_alu instid0(VALU_DEP_1)
	v_fma_f64 v[2:3], v[112:113], v[126:127], v[2:3]
	ds_load_2addr_b64 v[110:113], v1 offset0:89 offset1:90
	ds_load_2addr_b64 v[118:121], v1 offset0:91 offset1:92
	s_waitcnt vmcnt(3)
	v_fma_f64 v[2:3], v[102:103], v[128:129], v[2:3]
	s_waitcnt lgkmcnt(1)
	s_delay_alu instid0(VALU_DEP_1) | instskip(SKIP_1) | instid1(VALU_DEP_1)
	v_fma_f64 v[2:3], v[104:105], v[110:111], v[2:3]
	s_waitcnt vmcnt(2)
	v_fma_f64 v[2:3], v[114:115], v[112:113], v[2:3]
	s_waitcnt lgkmcnt(0)
	s_delay_alu instid0(VALU_DEP_1) | instskip(SKIP_1) | instid1(VALU_DEP_1)
	v_fma_f64 v[2:3], v[116:117], v[118:119], v[2:3]
	s_waitcnt vmcnt(1)
	v_fma_f64 v[102:103], v[106:107], v[120:121], v[2:3]
	ds_load_2addr_b64 v[1:4], v1 offset0:93 offset1:94
	s_waitcnt lgkmcnt(0)
	v_fma_f64 v[1:2], v[108:109], v[1:2], v[102:103]
	s_waitcnt vmcnt(0)
	s_delay_alu instid0(VALU_DEP_1) | instskip(NEXT) | instid1(VALU_DEP_1)
	v_fma_f64 v[1:2], v[122:123], v[3:4], v[1:2]
	v_add_f64 v[1:2], v[100:101], -v[1:2]
	scratch_store_b64 off, v[1:2], off offset:64
	v_cmpx_lt_u32_e32 7, v0
	s_cbranch_execz .LBB110_277
; %bb.276:
	scratch_load_b64 v[1:2], off, off offset:56
	v_mov_b32_e32 v3, 0
	s_delay_alu instid0(VALU_DEP_1)
	v_mov_b32_e32 v4, v3
	scratch_store_b64 off, v[3:4], off offset:56
	s_waitcnt vmcnt(0)
	ds_store_b64 v5, v[1:2]
.LBB110_277:
	s_or_b32 exec_lo, exec_lo, s0
	s_waitcnt lgkmcnt(0)
	s_waitcnt_vscnt null, 0x0
	s_barrier
	buffer_gl0_inv
	s_clause 0x4
	scratch_load_b128 v[100:103], off, off offset:56
	scratch_load_b128 v[104:107], off, off offset:72
	;; [unrolled: 1-line block ×5, first 2 shown]
	v_mov_b32_e32 v1, 0
	ds_load_b128 v[120:123], v1 offset:448
	ds_load_b128 v[124:127], v1 offset:464
	scratch_load_b128 v[128:131], off, off offset:136
	s_mov_b32 s0, exec_lo
	s_waitcnt vmcnt(5) lgkmcnt(1)
	v_fma_f64 v[2:3], v[102:103], v[120:121], 0
	s_waitcnt vmcnt(4)
	s_delay_alu instid0(VALU_DEP_1) | instskip(SKIP_4) | instid1(VALU_DEP_1)
	v_fma_f64 v[2:3], v[104:105], v[122:123], v[2:3]
	scratch_load_b128 v[102:105], off, off offset:152
	s_waitcnt lgkmcnt(0)
	v_fma_f64 v[2:3], v[106:107], v[124:125], v[2:3]
	s_waitcnt vmcnt(4)
	v_fma_f64 v[2:3], v[108:109], v[126:127], v[2:3]
	ds_load_b128 v[106:109], v1 offset:480
	ds_load_b128 v[120:123], v1 offset:496
	scratch_load_b128 v[124:127], off, off offset:168
	s_waitcnt lgkmcnt(1)
	v_fma_f64 v[2:3], v[110:111], v[106:107], v[2:3]
	s_waitcnt vmcnt(4)
	s_delay_alu instid0(VALU_DEP_1) | instskip(SKIP_4) | instid1(VALU_DEP_1)
	v_fma_f64 v[2:3], v[112:113], v[108:109], v[2:3]
	scratch_load_b128 v[106:109], off, off offset:184
	s_waitcnt lgkmcnt(0)
	v_fma_f64 v[2:3], v[114:115], v[120:121], v[2:3]
	s_waitcnt vmcnt(4)
	v_fma_f64 v[2:3], v[116:117], v[122:123], v[2:3]
	ds_load_b128 v[110:113], v1 offset:512
	ds_load_b128 v[114:117], v1 offset:528
	s_waitcnt lgkmcnt(1)
	v_fma_f64 v[2:3], v[118:119], v[110:111], v[2:3]
	scratch_load_b128 v[118:121], off, off offset:200
	s_waitcnt vmcnt(4)
	v_fma_f64 v[2:3], v[128:129], v[112:113], v[2:3]
	scratch_load_b128 v[110:113], off, off offset:216
	s_waitcnt lgkmcnt(0)
	v_fma_f64 v[2:3], v[130:131], v[114:115], v[2:3]
	s_waitcnt vmcnt(4)
	s_delay_alu instid0(VALU_DEP_1)
	v_fma_f64 v[2:3], v[102:103], v[116:117], v[2:3]
	ds_load_b128 v[114:117], v1 offset:544
	ds_load_b128 v[128:131], v1 offset:560
	s_waitcnt lgkmcnt(1)
	v_fma_f64 v[2:3], v[104:105], v[114:115], v[2:3]
	scratch_load_b128 v[102:105], off, off offset:232
	s_waitcnt vmcnt(4)
	v_fma_f64 v[2:3], v[124:125], v[116:117], v[2:3]
	scratch_load_b128 v[114:117], off, off offset:248
	s_waitcnt lgkmcnt(0)
	v_fma_f64 v[2:3], v[126:127], v[128:129], v[2:3]
	ds_load_b128 v[122:125], v1 offset:576
	ds_load_b128 v[126:129], v1 offset:592
	s_waitcnt vmcnt(4)
	v_fma_f64 v[2:3], v[106:107], v[130:131], v[2:3]
	s_waitcnt lgkmcnt(1)
	s_delay_alu instid0(VALU_DEP_1) | instskip(SKIP_4) | instid1(VALU_DEP_1)
	v_fma_f64 v[2:3], v[108:109], v[122:123], v[2:3]
	scratch_load_b128 v[106:109], off, off offset:264
	s_waitcnt vmcnt(4)
	v_fma_f64 v[2:3], v[118:119], v[124:125], v[2:3]
	s_waitcnt lgkmcnt(0)
	v_fma_f64 v[2:3], v[120:121], v[126:127], v[2:3]
	scratch_load_b128 v[118:121], off, off offset:280
	s_waitcnt vmcnt(4)
	v_fma_f64 v[2:3], v[110:111], v[128:129], v[2:3]
	ds_load_b128 v[122:125], v1 offset:608
	ds_load_b128 v[126:129], v1 offset:624
	s_waitcnt lgkmcnt(1)
	v_fma_f64 v[2:3], v[112:113], v[122:123], v[2:3]
	scratch_load_b128 v[110:113], off, off offset:296
	s_waitcnt vmcnt(4)
	v_fma_f64 v[2:3], v[102:103], v[124:125], v[2:3]
	s_waitcnt lgkmcnt(0)
	s_delay_alu instid0(VALU_DEP_1)
	v_fma_f64 v[2:3], v[104:105], v[126:127], v[2:3]
	scratch_load_b128 v[102:105], off, off offset:312
	s_waitcnt vmcnt(4)
	v_fma_f64 v[2:3], v[114:115], v[128:129], v[2:3]
	ds_load_b128 v[122:125], v1 offset:640
	ds_load_b128 v[126:129], v1 offset:656
	s_waitcnt lgkmcnt(1)
	v_fma_f64 v[2:3], v[116:117], v[122:123], v[2:3]
	scratch_load_b128 v[114:117], off, off offset:328
	s_waitcnt vmcnt(4)
	v_fma_f64 v[2:3], v[106:107], v[124:125], v[2:3]
	s_waitcnt lgkmcnt(0)
	s_delay_alu instid0(VALU_DEP_1)
	;; [unrolled: 13-line block ×3, first 2 shown]
	v_fma_f64 v[2:3], v[112:113], v[126:127], v[2:3]
	ds_load_b128 v[110:113], v1 offset:704
	ds_load_b128 v[122:125], v1 offset:720
	s_waitcnt vmcnt(3)
	v_fma_f64 v[2:3], v[102:103], v[128:129], v[2:3]
	s_waitcnt lgkmcnt(1)
	s_delay_alu instid0(VALU_DEP_1) | instskip(SKIP_1) | instid1(VALU_DEP_1)
	v_fma_f64 v[2:3], v[104:105], v[110:111], v[2:3]
	s_waitcnt vmcnt(2)
	v_fma_f64 v[2:3], v[114:115], v[112:113], v[2:3]
	s_waitcnt lgkmcnt(0)
	s_delay_alu instid0(VALU_DEP_1) | instskip(SKIP_1) | instid1(VALU_DEP_1)
	v_fma_f64 v[2:3], v[116:117], v[122:123], v[2:3]
	s_waitcnt vmcnt(1)
	v_fma_f64 v[2:3], v[106:107], v[124:125], v[2:3]
	ds_load_b128 v[102:105], v1 offset:736
	ds_load_b64 v[106:107], v1 offset:752
	s_waitcnt lgkmcnt(1)
	v_fma_f64 v[2:3], v[108:109], v[102:103], v[2:3]
	s_waitcnt vmcnt(0)
	s_delay_alu instid0(VALU_DEP_1) | instskip(SKIP_1) | instid1(VALU_DEP_1)
	v_fma_f64 v[2:3], v[118:119], v[104:105], v[2:3]
	s_waitcnt lgkmcnt(0)
	v_fma_f64 v[2:3], v[120:121], v[106:107], v[2:3]
	s_delay_alu instid0(VALU_DEP_1)
	v_add_f64 v[2:3], v[100:101], -v[2:3]
	scratch_store_b64 off, v[2:3], off offset:56
	v_cmpx_lt_u32_e32 6, v0
	s_cbranch_execz .LBB110_279
; %bb.278:
	scratch_load_b64 v[3:4], off, off offset:48
	v_mov_b32_e32 v2, v1
	scratch_store_b64 off, v[1:2], off offset:48
	s_waitcnt vmcnt(0)
	ds_store_b64 v5, v[3:4]
.LBB110_279:
	s_or_b32 exec_lo, exec_lo, s0
	s_waitcnt lgkmcnt(0)
	s_waitcnt_vscnt null, 0x0
	s_barrier
	buffer_gl0_inv
	s_clause 0x4
	scratch_load_b128 v[100:103], off, off offset:48
	scratch_load_b128 v[104:107], off, off offset:64
	;; [unrolled: 1-line block ×5, first 2 shown]
	ds_load_2addr_b64 v[120:123], v1 offset0:55 offset1:56
	ds_load_2addr_b64 v[124:127], v1 offset0:57 offset1:58
	scratch_load_b128 v[128:131], off, off offset:128
	s_mov_b32 s0, exec_lo
	s_waitcnt vmcnt(5) lgkmcnt(1)
	v_fma_f64 v[2:3], v[102:103], v[120:121], 0
	s_waitcnt vmcnt(4)
	s_delay_alu instid0(VALU_DEP_1) | instskip(SKIP_4) | instid1(VALU_DEP_1)
	v_fma_f64 v[2:3], v[104:105], v[122:123], v[2:3]
	scratch_load_b128 v[102:105], off, off offset:144
	s_waitcnt lgkmcnt(0)
	v_fma_f64 v[2:3], v[106:107], v[124:125], v[2:3]
	s_waitcnt vmcnt(4)
	v_fma_f64 v[2:3], v[108:109], v[126:127], v[2:3]
	ds_load_2addr_b64 v[106:109], v1 offset0:59 offset1:60
	ds_load_2addr_b64 v[120:123], v1 offset0:61 offset1:62
	scratch_load_b128 v[124:127], off, off offset:160
	s_waitcnt lgkmcnt(1)
	v_fma_f64 v[2:3], v[110:111], v[106:107], v[2:3]
	s_waitcnt vmcnt(4)
	s_delay_alu instid0(VALU_DEP_1) | instskip(SKIP_4) | instid1(VALU_DEP_1)
	v_fma_f64 v[2:3], v[112:113], v[108:109], v[2:3]
	scratch_load_b128 v[106:109], off, off offset:176
	s_waitcnt lgkmcnt(0)
	v_fma_f64 v[2:3], v[114:115], v[120:121], v[2:3]
	s_waitcnt vmcnt(4)
	v_fma_f64 v[2:3], v[116:117], v[122:123], v[2:3]
	ds_load_2addr_b64 v[110:113], v1 offset0:63 offset1:64
	ds_load_2addr_b64 v[114:117], v1 offset0:65 offset1:66
	s_waitcnt lgkmcnt(1)
	v_fma_f64 v[2:3], v[118:119], v[110:111], v[2:3]
	scratch_load_b128 v[118:121], off, off offset:192
	s_waitcnt vmcnt(4)
	v_fma_f64 v[2:3], v[128:129], v[112:113], v[2:3]
	scratch_load_b128 v[110:113], off, off offset:208
	s_waitcnt lgkmcnt(0)
	v_fma_f64 v[2:3], v[130:131], v[114:115], v[2:3]
	s_waitcnt vmcnt(4)
	s_delay_alu instid0(VALU_DEP_1)
	v_fma_f64 v[2:3], v[102:103], v[116:117], v[2:3]
	ds_load_2addr_b64 v[114:117], v1 offset0:67 offset1:68
	ds_load_2addr_b64 v[128:131], v1 offset0:69 offset1:70
	s_waitcnt lgkmcnt(1)
	v_fma_f64 v[2:3], v[104:105], v[114:115], v[2:3]
	scratch_load_b128 v[102:105], off, off offset:224
	s_waitcnt vmcnt(4)
	v_fma_f64 v[2:3], v[124:125], v[116:117], v[2:3]
	scratch_load_b128 v[114:117], off, off offset:240
	s_waitcnt lgkmcnt(0)
	v_fma_f64 v[2:3], v[126:127], v[128:129], v[2:3]
	ds_load_2addr_b64 v[122:125], v1 offset0:71 offset1:72
	ds_load_2addr_b64 v[126:129], v1 offset0:73 offset1:74
	s_waitcnt vmcnt(4)
	v_fma_f64 v[2:3], v[106:107], v[130:131], v[2:3]
	s_waitcnt lgkmcnt(1)
	s_delay_alu instid0(VALU_DEP_1) | instskip(SKIP_4) | instid1(VALU_DEP_1)
	v_fma_f64 v[2:3], v[108:109], v[122:123], v[2:3]
	scratch_load_b128 v[106:109], off, off offset:256
	s_waitcnt vmcnt(4)
	v_fma_f64 v[2:3], v[118:119], v[124:125], v[2:3]
	s_waitcnt lgkmcnt(0)
	v_fma_f64 v[2:3], v[120:121], v[126:127], v[2:3]
	scratch_load_b128 v[118:121], off, off offset:272
	s_waitcnt vmcnt(4)
	v_fma_f64 v[2:3], v[110:111], v[128:129], v[2:3]
	ds_load_2addr_b64 v[122:125], v1 offset0:75 offset1:76
	ds_load_2addr_b64 v[126:129], v1 offset0:77 offset1:78
	s_waitcnt lgkmcnt(1)
	v_fma_f64 v[2:3], v[112:113], v[122:123], v[2:3]
	scratch_load_b128 v[110:113], off, off offset:288
	s_waitcnt vmcnt(4)
	v_fma_f64 v[2:3], v[102:103], v[124:125], v[2:3]
	s_waitcnt lgkmcnt(0)
	s_delay_alu instid0(VALU_DEP_1)
	v_fma_f64 v[2:3], v[104:105], v[126:127], v[2:3]
	scratch_load_b128 v[102:105], off, off offset:304
	s_waitcnt vmcnt(4)
	v_fma_f64 v[2:3], v[114:115], v[128:129], v[2:3]
	ds_load_2addr_b64 v[122:125], v1 offset0:79 offset1:80
	ds_load_2addr_b64 v[126:129], v1 offset0:81 offset1:82
	s_waitcnt lgkmcnt(1)
	v_fma_f64 v[2:3], v[116:117], v[122:123], v[2:3]
	scratch_load_b128 v[114:117], off, off offset:320
	s_waitcnt vmcnt(4)
	v_fma_f64 v[2:3], v[106:107], v[124:125], v[2:3]
	s_waitcnt lgkmcnt(0)
	s_delay_alu instid0(VALU_DEP_1)
	;; [unrolled: 13-line block ×3, first 2 shown]
	v_fma_f64 v[2:3], v[112:113], v[126:127], v[2:3]
	scratch_load_b64 v[126:127], off, off offset:368
	ds_load_2addr_b64 v[110:113], v1 offset0:87 offset1:88
	ds_load_2addr_b64 v[122:125], v1 offset0:89 offset1:90
	s_waitcnt vmcnt(4)
	v_fma_f64 v[2:3], v[102:103], v[128:129], v[2:3]
	s_waitcnt lgkmcnt(1)
	s_delay_alu instid0(VALU_DEP_1) | instskip(SKIP_1) | instid1(VALU_DEP_1)
	v_fma_f64 v[2:3], v[104:105], v[110:111], v[2:3]
	s_waitcnt vmcnt(3)
	v_fma_f64 v[2:3], v[114:115], v[112:113], v[2:3]
	s_waitcnt lgkmcnt(0)
	s_delay_alu instid0(VALU_DEP_1) | instskip(SKIP_1) | instid1(VALU_DEP_1)
	v_fma_f64 v[2:3], v[116:117], v[122:123], v[2:3]
	s_waitcnt vmcnt(2)
	v_fma_f64 v[106:107], v[106:107], v[124:125], v[2:3]
	ds_load_2addr_b64 v[102:105], v1 offset0:91 offset1:92
	ds_load_2addr_b64 v[1:4], v1 offset0:93 offset1:94
	s_waitcnt lgkmcnt(1)
	v_fma_f64 v[102:103], v[108:109], v[102:103], v[106:107]
	s_waitcnt vmcnt(1)
	s_delay_alu instid0(VALU_DEP_1) | instskip(SKIP_1) | instid1(VALU_DEP_1)
	v_fma_f64 v[102:103], v[118:119], v[104:105], v[102:103]
	s_waitcnt lgkmcnt(0)
	v_fma_f64 v[1:2], v[120:121], v[1:2], v[102:103]
	s_waitcnt vmcnt(0)
	s_delay_alu instid0(VALU_DEP_1) | instskip(NEXT) | instid1(VALU_DEP_1)
	v_fma_f64 v[1:2], v[126:127], v[3:4], v[1:2]
	v_add_f64 v[1:2], v[100:101], -v[1:2]
	scratch_store_b64 off, v[1:2], off offset:48
	v_cmpx_lt_u32_e32 5, v0
	s_cbranch_execz .LBB110_281
; %bb.280:
	scratch_load_b64 v[1:2], off, off offset:40
	v_mov_b32_e32 v3, 0
	s_delay_alu instid0(VALU_DEP_1)
	v_mov_b32_e32 v4, v3
	scratch_store_b64 off, v[3:4], off offset:40
	s_waitcnt vmcnt(0)
	ds_store_b64 v5, v[1:2]
.LBB110_281:
	s_or_b32 exec_lo, exec_lo, s0
	s_waitcnt lgkmcnt(0)
	s_waitcnt_vscnt null, 0x0
	s_barrier
	buffer_gl0_inv
	s_clause 0x4
	scratch_load_b128 v[100:103], off, off offset:40
	scratch_load_b128 v[104:107], off, off offset:56
	;; [unrolled: 1-line block ×5, first 2 shown]
	v_mov_b32_e32 v1, 0
	ds_load_b128 v[120:123], v1 offset:432
	ds_load_b128 v[124:127], v1 offset:448
	scratch_load_b128 v[128:131], off, off offset:120
	s_mov_b32 s0, exec_lo
	s_waitcnt vmcnt(5) lgkmcnt(1)
	v_fma_f64 v[2:3], v[102:103], v[120:121], 0
	s_waitcnt vmcnt(4)
	s_delay_alu instid0(VALU_DEP_1) | instskip(SKIP_4) | instid1(VALU_DEP_1)
	v_fma_f64 v[2:3], v[104:105], v[122:123], v[2:3]
	scratch_load_b128 v[102:105], off, off offset:136
	s_waitcnt lgkmcnt(0)
	v_fma_f64 v[2:3], v[106:107], v[124:125], v[2:3]
	s_waitcnt vmcnt(4)
	v_fma_f64 v[2:3], v[108:109], v[126:127], v[2:3]
	ds_load_b128 v[106:109], v1 offset:464
	ds_load_b128 v[120:123], v1 offset:480
	scratch_load_b128 v[124:127], off, off offset:152
	s_waitcnt lgkmcnt(1)
	v_fma_f64 v[2:3], v[110:111], v[106:107], v[2:3]
	s_waitcnt vmcnt(4)
	s_delay_alu instid0(VALU_DEP_1) | instskip(SKIP_4) | instid1(VALU_DEP_1)
	v_fma_f64 v[2:3], v[112:113], v[108:109], v[2:3]
	scratch_load_b128 v[106:109], off, off offset:168
	s_waitcnt lgkmcnt(0)
	v_fma_f64 v[2:3], v[114:115], v[120:121], v[2:3]
	s_waitcnt vmcnt(4)
	v_fma_f64 v[2:3], v[116:117], v[122:123], v[2:3]
	ds_load_b128 v[110:113], v1 offset:496
	ds_load_b128 v[114:117], v1 offset:512
	s_waitcnt lgkmcnt(1)
	v_fma_f64 v[2:3], v[118:119], v[110:111], v[2:3]
	scratch_load_b128 v[118:121], off, off offset:184
	s_waitcnt vmcnt(4)
	v_fma_f64 v[2:3], v[128:129], v[112:113], v[2:3]
	scratch_load_b128 v[110:113], off, off offset:200
	s_waitcnt lgkmcnt(0)
	v_fma_f64 v[2:3], v[130:131], v[114:115], v[2:3]
	s_waitcnt vmcnt(4)
	s_delay_alu instid0(VALU_DEP_1)
	v_fma_f64 v[2:3], v[102:103], v[116:117], v[2:3]
	ds_load_b128 v[114:117], v1 offset:528
	ds_load_b128 v[128:131], v1 offset:544
	s_waitcnt lgkmcnt(1)
	v_fma_f64 v[2:3], v[104:105], v[114:115], v[2:3]
	scratch_load_b128 v[102:105], off, off offset:216
	s_waitcnt vmcnt(4)
	v_fma_f64 v[2:3], v[124:125], v[116:117], v[2:3]
	scratch_load_b128 v[114:117], off, off offset:232
	s_waitcnt lgkmcnt(0)
	v_fma_f64 v[2:3], v[126:127], v[128:129], v[2:3]
	ds_load_b128 v[122:125], v1 offset:560
	ds_load_b128 v[126:129], v1 offset:576
	s_waitcnt vmcnt(4)
	v_fma_f64 v[2:3], v[106:107], v[130:131], v[2:3]
	s_waitcnt lgkmcnt(1)
	s_delay_alu instid0(VALU_DEP_1) | instskip(SKIP_4) | instid1(VALU_DEP_1)
	v_fma_f64 v[2:3], v[108:109], v[122:123], v[2:3]
	scratch_load_b128 v[106:109], off, off offset:248
	s_waitcnt vmcnt(4)
	v_fma_f64 v[2:3], v[118:119], v[124:125], v[2:3]
	s_waitcnt lgkmcnt(0)
	v_fma_f64 v[2:3], v[120:121], v[126:127], v[2:3]
	scratch_load_b128 v[118:121], off, off offset:264
	s_waitcnt vmcnt(4)
	v_fma_f64 v[2:3], v[110:111], v[128:129], v[2:3]
	ds_load_b128 v[122:125], v1 offset:592
	ds_load_b128 v[126:129], v1 offset:608
	s_waitcnt lgkmcnt(1)
	v_fma_f64 v[2:3], v[112:113], v[122:123], v[2:3]
	scratch_load_b128 v[110:113], off, off offset:280
	s_waitcnt vmcnt(4)
	v_fma_f64 v[2:3], v[102:103], v[124:125], v[2:3]
	s_waitcnt lgkmcnt(0)
	s_delay_alu instid0(VALU_DEP_1)
	v_fma_f64 v[2:3], v[104:105], v[126:127], v[2:3]
	scratch_load_b128 v[102:105], off, off offset:296
	s_waitcnt vmcnt(4)
	v_fma_f64 v[2:3], v[114:115], v[128:129], v[2:3]
	ds_load_b128 v[122:125], v1 offset:624
	ds_load_b128 v[126:129], v1 offset:640
	s_waitcnt lgkmcnt(1)
	v_fma_f64 v[2:3], v[116:117], v[122:123], v[2:3]
	scratch_load_b128 v[114:117], off, off offset:312
	s_waitcnt vmcnt(4)
	v_fma_f64 v[2:3], v[106:107], v[124:125], v[2:3]
	s_waitcnt lgkmcnt(0)
	s_delay_alu instid0(VALU_DEP_1)
	;; [unrolled: 13-line block ×3, first 2 shown]
	v_fma_f64 v[2:3], v[112:113], v[126:127], v[2:3]
	scratch_load_b128 v[110:113], off, off offset:360
	s_waitcnt vmcnt(4)
	v_fma_f64 v[2:3], v[102:103], v[128:129], v[2:3]
	ds_load_b128 v[122:125], v1 offset:688
	ds_load_b128 v[126:129], v1 offset:704
	s_waitcnt lgkmcnt(1)
	v_fma_f64 v[2:3], v[104:105], v[122:123], v[2:3]
	s_waitcnt vmcnt(3)
	s_delay_alu instid0(VALU_DEP_1) | instskip(SKIP_1) | instid1(VALU_DEP_1)
	v_fma_f64 v[2:3], v[114:115], v[124:125], v[2:3]
	s_waitcnt lgkmcnt(0)
	v_fma_f64 v[2:3], v[116:117], v[126:127], v[2:3]
	ds_load_b128 v[102:105], v1 offset:720
	ds_load_b128 v[114:117], v1 offset:736
	s_waitcnt vmcnt(2)
	v_fma_f64 v[2:3], v[106:107], v[128:129], v[2:3]
	s_waitcnt lgkmcnt(1)
	s_delay_alu instid0(VALU_DEP_1) | instskip(SKIP_4) | instid1(VALU_DEP_1)
	v_fma_f64 v[2:3], v[108:109], v[102:103], v[2:3]
	ds_load_b64 v[102:103], v1 offset:752
	s_waitcnt vmcnt(1)
	v_fma_f64 v[2:3], v[118:119], v[104:105], v[2:3]
	s_waitcnt lgkmcnt(1)
	v_fma_f64 v[2:3], v[120:121], v[114:115], v[2:3]
	s_waitcnt vmcnt(0)
	s_delay_alu instid0(VALU_DEP_1) | instskip(SKIP_1) | instid1(VALU_DEP_1)
	v_fma_f64 v[2:3], v[110:111], v[116:117], v[2:3]
	s_waitcnt lgkmcnt(0)
	v_fma_f64 v[2:3], v[112:113], v[102:103], v[2:3]
	s_delay_alu instid0(VALU_DEP_1)
	v_add_f64 v[2:3], v[100:101], -v[2:3]
	scratch_store_b64 off, v[2:3], off offset:40
	v_cmpx_lt_u32_e32 4, v0
	s_cbranch_execz .LBB110_283
; %bb.282:
	scratch_load_b64 v[3:4], off, off offset:32
	v_mov_b32_e32 v2, v1
	scratch_store_b64 off, v[1:2], off offset:32
	s_waitcnt vmcnt(0)
	ds_store_b64 v5, v[3:4]
.LBB110_283:
	s_or_b32 exec_lo, exec_lo, s0
	s_waitcnt lgkmcnt(0)
	s_waitcnt_vscnt null, 0x0
	s_barrier
	buffer_gl0_inv
	s_clause 0x4
	scratch_load_b128 v[100:103], off, off offset:32
	scratch_load_b128 v[104:107], off, off offset:48
	;; [unrolled: 1-line block ×5, first 2 shown]
	ds_load_2addr_b64 v[120:123], v1 offset0:53 offset1:54
	ds_load_2addr_b64 v[124:127], v1 offset0:55 offset1:56
	scratch_load_b128 v[128:131], off, off offset:112
	s_mov_b32 s0, exec_lo
	s_waitcnt vmcnt(5) lgkmcnt(1)
	v_fma_f64 v[2:3], v[102:103], v[120:121], 0
	s_waitcnt vmcnt(4)
	s_delay_alu instid0(VALU_DEP_1) | instskip(SKIP_4) | instid1(VALU_DEP_1)
	v_fma_f64 v[2:3], v[104:105], v[122:123], v[2:3]
	scratch_load_b128 v[102:105], off, off offset:128
	s_waitcnt lgkmcnt(0)
	v_fma_f64 v[2:3], v[106:107], v[124:125], v[2:3]
	s_waitcnt vmcnt(4)
	v_fma_f64 v[2:3], v[108:109], v[126:127], v[2:3]
	ds_load_2addr_b64 v[106:109], v1 offset0:57 offset1:58
	ds_load_2addr_b64 v[120:123], v1 offset0:59 offset1:60
	scratch_load_b128 v[124:127], off, off offset:144
	s_waitcnt lgkmcnt(1)
	v_fma_f64 v[2:3], v[110:111], v[106:107], v[2:3]
	s_waitcnt vmcnt(4)
	s_delay_alu instid0(VALU_DEP_1) | instskip(SKIP_4) | instid1(VALU_DEP_1)
	v_fma_f64 v[2:3], v[112:113], v[108:109], v[2:3]
	scratch_load_b128 v[106:109], off, off offset:160
	s_waitcnt lgkmcnt(0)
	v_fma_f64 v[2:3], v[114:115], v[120:121], v[2:3]
	s_waitcnt vmcnt(4)
	v_fma_f64 v[2:3], v[116:117], v[122:123], v[2:3]
	ds_load_2addr_b64 v[110:113], v1 offset0:61 offset1:62
	ds_load_2addr_b64 v[114:117], v1 offset0:63 offset1:64
	s_waitcnt lgkmcnt(1)
	v_fma_f64 v[2:3], v[118:119], v[110:111], v[2:3]
	scratch_load_b128 v[118:121], off, off offset:176
	s_waitcnt vmcnt(4)
	v_fma_f64 v[2:3], v[128:129], v[112:113], v[2:3]
	scratch_load_b128 v[110:113], off, off offset:192
	s_waitcnt lgkmcnt(0)
	v_fma_f64 v[2:3], v[130:131], v[114:115], v[2:3]
	s_waitcnt vmcnt(4)
	s_delay_alu instid0(VALU_DEP_1)
	v_fma_f64 v[2:3], v[102:103], v[116:117], v[2:3]
	ds_load_2addr_b64 v[114:117], v1 offset0:65 offset1:66
	ds_load_2addr_b64 v[128:131], v1 offset0:67 offset1:68
	s_waitcnt lgkmcnt(1)
	v_fma_f64 v[2:3], v[104:105], v[114:115], v[2:3]
	scratch_load_b128 v[102:105], off, off offset:208
	s_waitcnt vmcnt(4)
	v_fma_f64 v[2:3], v[124:125], v[116:117], v[2:3]
	scratch_load_b128 v[114:117], off, off offset:224
	s_waitcnt lgkmcnt(0)
	v_fma_f64 v[2:3], v[126:127], v[128:129], v[2:3]
	ds_load_2addr_b64 v[122:125], v1 offset0:69 offset1:70
	ds_load_2addr_b64 v[126:129], v1 offset0:71 offset1:72
	s_waitcnt vmcnt(4)
	v_fma_f64 v[2:3], v[106:107], v[130:131], v[2:3]
	s_waitcnt lgkmcnt(1)
	s_delay_alu instid0(VALU_DEP_1) | instskip(SKIP_4) | instid1(VALU_DEP_1)
	v_fma_f64 v[2:3], v[108:109], v[122:123], v[2:3]
	scratch_load_b128 v[106:109], off, off offset:240
	s_waitcnt vmcnt(4)
	v_fma_f64 v[2:3], v[118:119], v[124:125], v[2:3]
	s_waitcnt lgkmcnt(0)
	v_fma_f64 v[2:3], v[120:121], v[126:127], v[2:3]
	scratch_load_b128 v[118:121], off, off offset:256
	s_waitcnt vmcnt(4)
	v_fma_f64 v[2:3], v[110:111], v[128:129], v[2:3]
	ds_load_2addr_b64 v[122:125], v1 offset0:73 offset1:74
	ds_load_2addr_b64 v[126:129], v1 offset0:75 offset1:76
	s_waitcnt lgkmcnt(1)
	v_fma_f64 v[2:3], v[112:113], v[122:123], v[2:3]
	scratch_load_b128 v[110:113], off, off offset:272
	s_waitcnt vmcnt(4)
	v_fma_f64 v[2:3], v[102:103], v[124:125], v[2:3]
	s_waitcnt lgkmcnt(0)
	s_delay_alu instid0(VALU_DEP_1)
	v_fma_f64 v[2:3], v[104:105], v[126:127], v[2:3]
	scratch_load_b128 v[102:105], off, off offset:288
	s_waitcnt vmcnt(4)
	v_fma_f64 v[2:3], v[114:115], v[128:129], v[2:3]
	ds_load_2addr_b64 v[122:125], v1 offset0:77 offset1:78
	ds_load_2addr_b64 v[126:129], v1 offset0:79 offset1:80
	s_waitcnt lgkmcnt(1)
	v_fma_f64 v[2:3], v[116:117], v[122:123], v[2:3]
	scratch_load_b128 v[114:117], off, off offset:304
	s_waitcnt vmcnt(4)
	v_fma_f64 v[2:3], v[106:107], v[124:125], v[2:3]
	s_waitcnt lgkmcnt(0)
	s_delay_alu instid0(VALU_DEP_1)
	;; [unrolled: 13-line block ×3, first 2 shown]
	v_fma_f64 v[2:3], v[112:113], v[126:127], v[2:3]
	scratch_load_b128 v[110:113], off, off offset:352
	s_waitcnt vmcnt(4)
	v_fma_f64 v[2:3], v[102:103], v[128:129], v[2:3]
	ds_load_2addr_b64 v[122:125], v1 offset0:85 offset1:86
	ds_load_2addr_b64 v[126:129], v1 offset0:87 offset1:88
	s_waitcnt lgkmcnt(1)
	v_fma_f64 v[2:3], v[104:105], v[122:123], v[2:3]
	scratch_load_b64 v[122:123], off, off offset:368
	s_waitcnt vmcnt(4)
	v_fma_f64 v[2:3], v[114:115], v[124:125], v[2:3]
	s_waitcnt lgkmcnt(0)
	s_delay_alu instid0(VALU_DEP_1)
	v_fma_f64 v[2:3], v[116:117], v[126:127], v[2:3]
	ds_load_2addr_b64 v[102:105], v1 offset0:89 offset1:90
	ds_load_2addr_b64 v[114:117], v1 offset0:91 offset1:92
	s_waitcnt vmcnt(3)
	v_fma_f64 v[2:3], v[106:107], v[128:129], v[2:3]
	s_waitcnt lgkmcnt(1)
	s_delay_alu instid0(VALU_DEP_1) | instskip(SKIP_1) | instid1(VALU_DEP_1)
	v_fma_f64 v[2:3], v[108:109], v[102:103], v[2:3]
	s_waitcnt vmcnt(2)
	v_fma_f64 v[2:3], v[118:119], v[104:105], v[2:3]
	s_waitcnt lgkmcnt(0)
	s_delay_alu instid0(VALU_DEP_1) | instskip(SKIP_1) | instid1(VALU_DEP_1)
	v_fma_f64 v[2:3], v[120:121], v[114:115], v[2:3]
	s_waitcnt vmcnt(1)
	v_fma_f64 v[102:103], v[110:111], v[116:117], v[2:3]
	ds_load_2addr_b64 v[1:4], v1 offset0:93 offset1:94
	s_waitcnt lgkmcnt(0)
	v_fma_f64 v[1:2], v[112:113], v[1:2], v[102:103]
	s_waitcnt vmcnt(0)
	s_delay_alu instid0(VALU_DEP_1) | instskip(NEXT) | instid1(VALU_DEP_1)
	v_fma_f64 v[1:2], v[122:123], v[3:4], v[1:2]
	v_add_f64 v[1:2], v[100:101], -v[1:2]
	scratch_store_b64 off, v[1:2], off offset:32
	v_cmpx_lt_u32_e32 3, v0
	s_cbranch_execz .LBB110_285
; %bb.284:
	scratch_load_b64 v[1:2], off, off offset:24
	v_mov_b32_e32 v3, 0
	s_delay_alu instid0(VALU_DEP_1)
	v_mov_b32_e32 v4, v3
	scratch_store_b64 off, v[3:4], off offset:24
	s_waitcnt vmcnt(0)
	ds_store_b64 v5, v[1:2]
.LBB110_285:
	s_or_b32 exec_lo, exec_lo, s0
	s_waitcnt lgkmcnt(0)
	s_waitcnt_vscnt null, 0x0
	s_barrier
	buffer_gl0_inv
	s_clause 0x4
	scratch_load_b128 v[100:103], off, off offset:24
	scratch_load_b128 v[104:107], off, off offset:40
	;; [unrolled: 1-line block ×5, first 2 shown]
	v_mov_b32_e32 v1, 0
	ds_load_b128 v[120:123], v1 offset:416
	ds_load_b128 v[124:127], v1 offset:432
	scratch_load_b128 v[128:131], off, off offset:104
	s_mov_b32 s0, exec_lo
	s_waitcnt vmcnt(5) lgkmcnt(1)
	v_fma_f64 v[2:3], v[102:103], v[120:121], 0
	s_waitcnt vmcnt(4)
	s_delay_alu instid0(VALU_DEP_1) | instskip(SKIP_4) | instid1(VALU_DEP_1)
	v_fma_f64 v[2:3], v[104:105], v[122:123], v[2:3]
	scratch_load_b128 v[102:105], off, off offset:120
	s_waitcnt lgkmcnt(0)
	v_fma_f64 v[2:3], v[106:107], v[124:125], v[2:3]
	s_waitcnt vmcnt(4)
	v_fma_f64 v[2:3], v[108:109], v[126:127], v[2:3]
	ds_load_b128 v[106:109], v1 offset:448
	ds_load_b128 v[120:123], v1 offset:464
	scratch_load_b128 v[124:127], off, off offset:136
	s_waitcnt lgkmcnt(1)
	v_fma_f64 v[2:3], v[110:111], v[106:107], v[2:3]
	s_waitcnt vmcnt(4)
	s_delay_alu instid0(VALU_DEP_1) | instskip(SKIP_4) | instid1(VALU_DEP_1)
	v_fma_f64 v[2:3], v[112:113], v[108:109], v[2:3]
	scratch_load_b128 v[106:109], off, off offset:152
	s_waitcnt lgkmcnt(0)
	v_fma_f64 v[2:3], v[114:115], v[120:121], v[2:3]
	s_waitcnt vmcnt(4)
	v_fma_f64 v[2:3], v[116:117], v[122:123], v[2:3]
	ds_load_b128 v[110:113], v1 offset:480
	ds_load_b128 v[114:117], v1 offset:496
	s_waitcnt lgkmcnt(1)
	v_fma_f64 v[2:3], v[118:119], v[110:111], v[2:3]
	scratch_load_b128 v[118:121], off, off offset:168
	s_waitcnt vmcnt(4)
	v_fma_f64 v[2:3], v[128:129], v[112:113], v[2:3]
	scratch_load_b128 v[110:113], off, off offset:184
	s_waitcnt lgkmcnt(0)
	v_fma_f64 v[2:3], v[130:131], v[114:115], v[2:3]
	s_waitcnt vmcnt(4)
	s_delay_alu instid0(VALU_DEP_1)
	v_fma_f64 v[2:3], v[102:103], v[116:117], v[2:3]
	ds_load_b128 v[114:117], v1 offset:512
	ds_load_b128 v[128:131], v1 offset:528
	s_waitcnt lgkmcnt(1)
	v_fma_f64 v[2:3], v[104:105], v[114:115], v[2:3]
	scratch_load_b128 v[102:105], off, off offset:200
	s_waitcnt vmcnt(4)
	v_fma_f64 v[2:3], v[124:125], v[116:117], v[2:3]
	scratch_load_b128 v[114:117], off, off offset:216
	s_waitcnt lgkmcnt(0)
	v_fma_f64 v[2:3], v[126:127], v[128:129], v[2:3]
	ds_load_b128 v[122:125], v1 offset:544
	ds_load_b128 v[126:129], v1 offset:560
	s_waitcnt vmcnt(4)
	v_fma_f64 v[2:3], v[106:107], v[130:131], v[2:3]
	s_waitcnt lgkmcnt(1)
	s_delay_alu instid0(VALU_DEP_1) | instskip(SKIP_4) | instid1(VALU_DEP_1)
	v_fma_f64 v[2:3], v[108:109], v[122:123], v[2:3]
	scratch_load_b128 v[106:109], off, off offset:232
	s_waitcnt vmcnt(4)
	v_fma_f64 v[2:3], v[118:119], v[124:125], v[2:3]
	s_waitcnt lgkmcnt(0)
	v_fma_f64 v[2:3], v[120:121], v[126:127], v[2:3]
	scratch_load_b128 v[118:121], off, off offset:248
	s_waitcnt vmcnt(4)
	v_fma_f64 v[2:3], v[110:111], v[128:129], v[2:3]
	ds_load_b128 v[122:125], v1 offset:576
	ds_load_b128 v[126:129], v1 offset:592
	s_waitcnt lgkmcnt(1)
	v_fma_f64 v[2:3], v[112:113], v[122:123], v[2:3]
	scratch_load_b128 v[110:113], off, off offset:264
	s_waitcnt vmcnt(4)
	v_fma_f64 v[2:3], v[102:103], v[124:125], v[2:3]
	s_waitcnt lgkmcnt(0)
	s_delay_alu instid0(VALU_DEP_1)
	v_fma_f64 v[2:3], v[104:105], v[126:127], v[2:3]
	scratch_load_b128 v[102:105], off, off offset:280
	s_waitcnt vmcnt(4)
	v_fma_f64 v[2:3], v[114:115], v[128:129], v[2:3]
	ds_load_b128 v[122:125], v1 offset:608
	ds_load_b128 v[126:129], v1 offset:624
	s_waitcnt lgkmcnt(1)
	v_fma_f64 v[2:3], v[116:117], v[122:123], v[2:3]
	scratch_load_b128 v[114:117], off, off offset:296
	s_waitcnt vmcnt(4)
	v_fma_f64 v[2:3], v[106:107], v[124:125], v[2:3]
	s_waitcnt lgkmcnt(0)
	s_delay_alu instid0(VALU_DEP_1)
	;; [unrolled: 13-line block ×4, first 2 shown]
	v_fma_f64 v[2:3], v[116:117], v[126:127], v[2:3]
	ds_load_b128 v[114:117], v1 offset:704
	ds_load_b128 v[122:125], v1 offset:720
	s_waitcnt vmcnt(3)
	v_fma_f64 v[2:3], v[106:107], v[128:129], v[2:3]
	s_waitcnt lgkmcnt(1)
	s_delay_alu instid0(VALU_DEP_1) | instskip(SKIP_1) | instid1(VALU_DEP_1)
	v_fma_f64 v[2:3], v[108:109], v[114:115], v[2:3]
	s_waitcnt vmcnt(2)
	v_fma_f64 v[2:3], v[118:119], v[116:117], v[2:3]
	s_waitcnt lgkmcnt(0)
	s_delay_alu instid0(VALU_DEP_1) | instskip(SKIP_1) | instid1(VALU_DEP_1)
	v_fma_f64 v[2:3], v[120:121], v[122:123], v[2:3]
	s_waitcnt vmcnt(1)
	v_fma_f64 v[2:3], v[110:111], v[124:125], v[2:3]
	ds_load_b128 v[106:109], v1 offset:736
	ds_load_b64 v[110:111], v1 offset:752
	s_waitcnt lgkmcnt(1)
	v_fma_f64 v[2:3], v[112:113], v[106:107], v[2:3]
	s_waitcnt vmcnt(0)
	s_delay_alu instid0(VALU_DEP_1) | instskip(SKIP_1) | instid1(VALU_DEP_1)
	v_fma_f64 v[2:3], v[102:103], v[108:109], v[2:3]
	s_waitcnt lgkmcnt(0)
	v_fma_f64 v[2:3], v[104:105], v[110:111], v[2:3]
	s_delay_alu instid0(VALU_DEP_1)
	v_add_f64 v[2:3], v[100:101], -v[2:3]
	scratch_store_b64 off, v[2:3], off offset:24
	v_cmpx_lt_u32_e32 2, v0
	s_cbranch_execz .LBB110_287
; %bb.286:
	scratch_load_b64 v[3:4], off, off offset:16
	v_mov_b32_e32 v2, v1
	scratch_store_b64 off, v[1:2], off offset:16
	s_waitcnt vmcnt(0)
	ds_store_b64 v5, v[3:4]
.LBB110_287:
	s_or_b32 exec_lo, exec_lo, s0
	s_waitcnt lgkmcnt(0)
	s_waitcnt_vscnt null, 0x0
	s_barrier
	buffer_gl0_inv
	s_clause 0x4
	scratch_load_b128 v[100:103], off, off offset:16
	scratch_load_b128 v[104:107], off, off offset:32
	;; [unrolled: 1-line block ×5, first 2 shown]
	ds_load_2addr_b64 v[120:123], v1 offset0:51 offset1:52
	ds_load_2addr_b64 v[124:127], v1 offset0:53 offset1:54
	scratch_load_b128 v[128:131], off, off offset:96
	s_mov_b32 s0, exec_lo
	s_waitcnt vmcnt(5) lgkmcnt(1)
	v_fma_f64 v[2:3], v[102:103], v[120:121], 0
	s_waitcnt vmcnt(4)
	s_delay_alu instid0(VALU_DEP_1) | instskip(SKIP_4) | instid1(VALU_DEP_1)
	v_fma_f64 v[2:3], v[104:105], v[122:123], v[2:3]
	scratch_load_b128 v[102:105], off, off offset:112
	s_waitcnt lgkmcnt(0)
	v_fma_f64 v[2:3], v[106:107], v[124:125], v[2:3]
	s_waitcnt vmcnt(4)
	v_fma_f64 v[2:3], v[108:109], v[126:127], v[2:3]
	ds_load_2addr_b64 v[106:109], v1 offset0:55 offset1:56
	ds_load_2addr_b64 v[120:123], v1 offset0:57 offset1:58
	scratch_load_b128 v[124:127], off, off offset:128
	s_waitcnt lgkmcnt(1)
	v_fma_f64 v[2:3], v[110:111], v[106:107], v[2:3]
	s_waitcnt vmcnt(4)
	s_delay_alu instid0(VALU_DEP_1) | instskip(SKIP_4) | instid1(VALU_DEP_1)
	v_fma_f64 v[2:3], v[112:113], v[108:109], v[2:3]
	scratch_load_b128 v[106:109], off, off offset:144
	s_waitcnt lgkmcnt(0)
	v_fma_f64 v[2:3], v[114:115], v[120:121], v[2:3]
	s_waitcnt vmcnt(4)
	v_fma_f64 v[2:3], v[116:117], v[122:123], v[2:3]
	ds_load_2addr_b64 v[110:113], v1 offset0:59 offset1:60
	ds_load_2addr_b64 v[114:117], v1 offset0:61 offset1:62
	s_waitcnt lgkmcnt(1)
	v_fma_f64 v[2:3], v[118:119], v[110:111], v[2:3]
	scratch_load_b128 v[118:121], off, off offset:160
	s_waitcnt vmcnt(4)
	v_fma_f64 v[2:3], v[128:129], v[112:113], v[2:3]
	scratch_load_b128 v[110:113], off, off offset:176
	s_waitcnt lgkmcnt(0)
	v_fma_f64 v[2:3], v[130:131], v[114:115], v[2:3]
	s_waitcnt vmcnt(4)
	s_delay_alu instid0(VALU_DEP_1)
	v_fma_f64 v[2:3], v[102:103], v[116:117], v[2:3]
	ds_load_2addr_b64 v[114:117], v1 offset0:63 offset1:64
	ds_load_2addr_b64 v[128:131], v1 offset0:65 offset1:66
	s_waitcnt lgkmcnt(1)
	v_fma_f64 v[2:3], v[104:105], v[114:115], v[2:3]
	scratch_load_b128 v[102:105], off, off offset:192
	s_waitcnt vmcnt(4)
	v_fma_f64 v[2:3], v[124:125], v[116:117], v[2:3]
	scratch_load_b128 v[114:117], off, off offset:208
	s_waitcnt lgkmcnt(0)
	v_fma_f64 v[2:3], v[126:127], v[128:129], v[2:3]
	ds_load_2addr_b64 v[122:125], v1 offset0:67 offset1:68
	ds_load_2addr_b64 v[126:129], v1 offset0:69 offset1:70
	s_waitcnt vmcnt(4)
	v_fma_f64 v[2:3], v[106:107], v[130:131], v[2:3]
	s_waitcnt lgkmcnt(1)
	s_delay_alu instid0(VALU_DEP_1) | instskip(SKIP_4) | instid1(VALU_DEP_1)
	v_fma_f64 v[2:3], v[108:109], v[122:123], v[2:3]
	scratch_load_b128 v[106:109], off, off offset:224
	s_waitcnt vmcnt(4)
	v_fma_f64 v[2:3], v[118:119], v[124:125], v[2:3]
	s_waitcnt lgkmcnt(0)
	v_fma_f64 v[2:3], v[120:121], v[126:127], v[2:3]
	scratch_load_b128 v[118:121], off, off offset:240
	s_waitcnt vmcnt(4)
	v_fma_f64 v[2:3], v[110:111], v[128:129], v[2:3]
	ds_load_2addr_b64 v[122:125], v1 offset0:71 offset1:72
	ds_load_2addr_b64 v[126:129], v1 offset0:73 offset1:74
	s_waitcnt lgkmcnt(1)
	v_fma_f64 v[2:3], v[112:113], v[122:123], v[2:3]
	scratch_load_b128 v[110:113], off, off offset:256
	s_waitcnt vmcnt(4)
	v_fma_f64 v[2:3], v[102:103], v[124:125], v[2:3]
	s_waitcnt lgkmcnt(0)
	s_delay_alu instid0(VALU_DEP_1)
	v_fma_f64 v[2:3], v[104:105], v[126:127], v[2:3]
	scratch_load_b128 v[102:105], off, off offset:272
	s_waitcnt vmcnt(4)
	v_fma_f64 v[2:3], v[114:115], v[128:129], v[2:3]
	ds_load_2addr_b64 v[122:125], v1 offset0:75 offset1:76
	ds_load_2addr_b64 v[126:129], v1 offset0:77 offset1:78
	s_waitcnt lgkmcnt(1)
	v_fma_f64 v[2:3], v[116:117], v[122:123], v[2:3]
	scratch_load_b128 v[114:117], off, off offset:288
	s_waitcnt vmcnt(4)
	v_fma_f64 v[2:3], v[106:107], v[124:125], v[2:3]
	s_waitcnt lgkmcnt(0)
	s_delay_alu instid0(VALU_DEP_1)
	;; [unrolled: 13-line block ×4, first 2 shown]
	v_fma_f64 v[2:3], v[116:117], v[126:127], v[2:3]
	scratch_load_b64 v[126:127], off, off offset:368
	ds_load_2addr_b64 v[114:117], v1 offset0:87 offset1:88
	ds_load_2addr_b64 v[122:125], v1 offset0:89 offset1:90
	s_waitcnt vmcnt(4)
	v_fma_f64 v[2:3], v[106:107], v[128:129], v[2:3]
	s_waitcnt lgkmcnt(1)
	s_delay_alu instid0(VALU_DEP_1) | instskip(SKIP_1) | instid1(VALU_DEP_1)
	v_fma_f64 v[2:3], v[108:109], v[114:115], v[2:3]
	s_waitcnt vmcnt(3)
	v_fma_f64 v[2:3], v[118:119], v[116:117], v[2:3]
	s_waitcnt lgkmcnt(0)
	s_delay_alu instid0(VALU_DEP_1) | instskip(SKIP_1) | instid1(VALU_DEP_1)
	v_fma_f64 v[2:3], v[120:121], v[122:123], v[2:3]
	s_waitcnt vmcnt(2)
	v_fma_f64 v[110:111], v[110:111], v[124:125], v[2:3]
	ds_load_2addr_b64 v[106:109], v1 offset0:91 offset1:92
	ds_load_2addr_b64 v[1:4], v1 offset0:93 offset1:94
	s_waitcnt lgkmcnt(1)
	v_fma_f64 v[106:107], v[112:113], v[106:107], v[110:111]
	s_waitcnt vmcnt(1)
	s_delay_alu instid0(VALU_DEP_1) | instskip(SKIP_1) | instid1(VALU_DEP_1)
	v_fma_f64 v[102:103], v[102:103], v[108:109], v[106:107]
	s_waitcnt lgkmcnt(0)
	v_fma_f64 v[1:2], v[104:105], v[1:2], v[102:103]
	s_waitcnt vmcnt(0)
	s_delay_alu instid0(VALU_DEP_1) | instskip(NEXT) | instid1(VALU_DEP_1)
	v_fma_f64 v[1:2], v[126:127], v[3:4], v[1:2]
	v_add_f64 v[1:2], v[100:101], -v[1:2]
	scratch_store_b64 off, v[1:2], off offset:16
	v_cmpx_lt_u32_e32 1, v0
	s_cbranch_execz .LBB110_289
; %bb.288:
	scratch_load_b64 v[1:2], off, off offset:8
	v_mov_b32_e32 v3, 0
	s_delay_alu instid0(VALU_DEP_1)
	v_mov_b32_e32 v4, v3
	scratch_store_b64 off, v[3:4], off offset:8
	s_waitcnt vmcnt(0)
	ds_store_b64 v5, v[1:2]
.LBB110_289:
	s_or_b32 exec_lo, exec_lo, s0
	s_waitcnt lgkmcnt(0)
	s_waitcnt_vscnt null, 0x0
	s_barrier
	buffer_gl0_inv
	s_clause 0x4
	scratch_load_b128 v[1:4], off, off offset:8
	scratch_load_b128 v[101:104], off, off offset:24
	;; [unrolled: 1-line block ×5, first 2 shown]
	v_mov_b32_e32 v100, 0
	ds_load_b128 v[117:120], v100 offset:400
	ds_load_b128 v[121:124], v100 offset:416
	scratch_load_b128 v[125:128], off, off offset:88
	s_mov_b32 s0, exec_lo
	s_waitcnt vmcnt(5) lgkmcnt(1)
	v_fma_f64 v[3:4], v[3:4], v[117:118], 0
	s_waitcnt vmcnt(4)
	s_delay_alu instid0(VALU_DEP_1) | instskip(SKIP_1) | instid1(VALU_DEP_1)
	v_fma_f64 v[3:4], v[101:102], v[119:120], v[3:4]
	s_waitcnt lgkmcnt(0)
	v_fma_f64 v[3:4], v[103:104], v[121:122], v[3:4]
	scratch_load_b128 v[101:104], off, off offset:104
	s_waitcnt vmcnt(4)
	v_fma_f64 v[3:4], v[105:106], v[123:124], v[3:4]
	ds_load_b128 v[117:120], v100 offset:432
	ds_load_b128 v[121:124], v100 offset:448
	s_waitcnt lgkmcnt(1)
	v_fma_f64 v[3:4], v[107:108], v[117:118], v[3:4]
	scratch_load_b128 v[105:108], off, off offset:120
	s_waitcnt vmcnt(4)
	v_fma_f64 v[3:4], v[109:110], v[119:120], v[3:4]
	s_waitcnt lgkmcnt(0)
	s_delay_alu instid0(VALU_DEP_1)
	v_fma_f64 v[3:4], v[111:112], v[121:122], v[3:4]
	scratch_load_b128 v[109:112], off, off offset:136
	s_waitcnt vmcnt(4)
	v_fma_f64 v[3:4], v[113:114], v[123:124], v[3:4]
	ds_load_b128 v[117:120], v100 offset:464
	ds_load_b128 v[121:124], v100 offset:480
	s_waitcnt lgkmcnt(1)
	v_fma_f64 v[3:4], v[115:116], v[117:118], v[3:4]
	scratch_load_b128 v[113:116], off, off offset:152
	s_waitcnt vmcnt(4)
	v_fma_f64 v[3:4], v[125:126], v[119:120], v[3:4]
	scratch_load_b128 v[117:120], off, off offset:168
	s_waitcnt lgkmcnt(0)
	v_fma_f64 v[3:4], v[127:128], v[121:122], v[3:4]
	s_waitcnt vmcnt(4)
	s_delay_alu instid0(VALU_DEP_1)
	v_fma_f64 v[3:4], v[101:102], v[123:124], v[3:4]
	ds_load_b128 v[121:124], v100 offset:496
	ds_load_b128 v[125:128], v100 offset:512
	s_waitcnt lgkmcnt(1)
	v_fma_f64 v[3:4], v[103:104], v[121:122], v[3:4]
	scratch_load_b128 v[101:104], off, off offset:184
	s_waitcnt vmcnt(4)
	v_fma_f64 v[3:4], v[105:106], v[123:124], v[3:4]
	s_waitcnt lgkmcnt(0)
	s_delay_alu instid0(VALU_DEP_1)
	v_fma_f64 v[3:4], v[107:108], v[125:126], v[3:4]
	scratch_load_b128 v[105:108], off, off offset:200
	s_waitcnt vmcnt(4)
	v_fma_f64 v[3:4], v[109:110], v[127:128], v[3:4]
	ds_load_b128 v[121:124], v100 offset:528
	ds_load_b128 v[125:128], v100 offset:544
	s_waitcnt lgkmcnt(1)
	v_fma_f64 v[3:4], v[111:112], v[121:122], v[3:4]
	scratch_load_b128 v[109:112], off, off offset:216
	s_waitcnt vmcnt(4)
	v_fma_f64 v[3:4], v[113:114], v[123:124], v[3:4]
	s_waitcnt lgkmcnt(0)
	s_delay_alu instid0(VALU_DEP_1)
	v_fma_f64 v[3:4], v[115:116], v[125:126], v[3:4]
	scratch_load_b128 v[113:116], off, off offset:232
	s_waitcnt vmcnt(4)
	;; [unrolled: 13-line block ×6, first 2 shown]
	v_fma_f64 v[3:4], v[109:110], v[127:128], v[3:4]
	ds_load_b128 v[121:124], v100 offset:688
	ds_load_b128 v[125:128], v100 offset:704
	s_waitcnt lgkmcnt(1)
	v_fma_f64 v[3:4], v[111:112], v[121:122], v[3:4]
	s_waitcnt vmcnt(3)
	s_delay_alu instid0(VALU_DEP_1) | instskip(SKIP_1) | instid1(VALU_DEP_1)
	v_fma_f64 v[3:4], v[113:114], v[123:124], v[3:4]
	s_waitcnt lgkmcnt(0)
	v_fma_f64 v[3:4], v[115:116], v[125:126], v[3:4]
	ds_load_b128 v[109:112], v100 offset:720
	ds_load_b128 v[113:116], v100 offset:736
	s_waitcnt vmcnt(2)
	v_fma_f64 v[3:4], v[117:118], v[127:128], v[3:4]
	s_waitcnt lgkmcnt(1)
	s_delay_alu instid0(VALU_DEP_1) | instskip(SKIP_1) | instid1(VALU_DEP_1)
	v_fma_f64 v[3:4], v[119:120], v[109:110], v[3:4]
	s_waitcnt vmcnt(1)
	v_fma_f64 v[3:4], v[101:102], v[111:112], v[3:4]
	ds_load_b64 v[101:102], v100 offset:752
	s_waitcnt lgkmcnt(1)
	v_fma_f64 v[3:4], v[103:104], v[113:114], v[3:4]
	s_waitcnt vmcnt(0)
	s_delay_alu instid0(VALU_DEP_1) | instskip(SKIP_1) | instid1(VALU_DEP_1)
	v_fma_f64 v[3:4], v[105:106], v[115:116], v[3:4]
	s_waitcnt lgkmcnt(0)
	v_fma_f64 v[3:4], v[107:108], v[101:102], v[3:4]
	s_delay_alu instid0(VALU_DEP_1)
	v_add_f64 v[1:2], v[1:2], -v[3:4]
	scratch_store_b64 off, v[1:2], off offset:8
	v_cmpx_ne_u32_e32 0, v0
	s_cbranch_execz .LBB110_291
; %bb.290:
	scratch_load_b64 v[0:1], off, off
	v_mov_b32_e32 v101, v100
	scratch_store_b64 off, v[100:101], off
	s_waitcnt vmcnt(0)
	ds_store_b64 v5, v[0:1]
.LBB110_291:
	s_or_b32 exec_lo, exec_lo, s0
	s_waitcnt lgkmcnt(0)
	s_waitcnt_vscnt null, 0x0
	s_barrier
	buffer_gl0_inv
	s_clause 0x4
	scratch_load_b128 v[0:3], off, off
	scratch_load_b128 v[101:104], off, off offset:16
	scratch_load_b128 v[105:108], off, off offset:32
	;; [unrolled: 1-line block ×4, first 2 shown]
	ds_load_2addr_b64 v[117:120], v100 offset0:49 offset1:50
	ds_load_2addr_b64 v[121:124], v100 offset0:51 offset1:52
	s_and_b32 vcc_lo, exec_lo, s12
	s_waitcnt vmcnt(4) lgkmcnt(1)
	v_fma_f64 v[117:118], v[2:3], v[117:118], 0
	scratch_load_b128 v[2:5], off, off offset:80
	s_waitcnt vmcnt(4)
	v_fma_f64 v[101:102], v[101:102], v[119:120], v[117:118]
	s_waitcnt lgkmcnt(0)
	s_delay_alu instid0(VALU_DEP_1)
	v_fma_f64 v[117:118], v[103:104], v[121:122], v[101:102]
	scratch_load_b128 v[101:104], off, off offset:96
	s_waitcnt vmcnt(4)
	v_fma_f64 v[105:106], v[105:106], v[123:124], v[117:118]
	ds_load_2addr_b64 v[117:120], v100 offset0:53 offset1:54
	ds_load_2addr_b64 v[121:124], v100 offset0:55 offset1:56
	s_waitcnt lgkmcnt(1)
	v_fma_f64 v[117:118], v[107:108], v[117:118], v[105:106]
	scratch_load_b128 v[105:108], off, off offset:112
	s_waitcnt vmcnt(4)
	v_fma_f64 v[109:110], v[109:110], v[119:120], v[117:118]
	s_waitcnt lgkmcnt(0)
	s_delay_alu instid0(VALU_DEP_1)
	v_fma_f64 v[117:118], v[111:112], v[121:122], v[109:110]
	scratch_load_b128 v[109:112], off, off offset:128
	s_waitcnt vmcnt(4)
	v_fma_f64 v[113:114], v[113:114], v[123:124], v[117:118]
	ds_load_2addr_b64 v[117:120], v100 offset0:57 offset1:58
	ds_load_2addr_b64 v[121:124], v100 offset0:59 offset1:60
	s_waitcnt lgkmcnt(1)
	;; [unrolled: 13-line block ×7, first 2 shown]
	v_fma_f64 v[117:118], v[115:116], v[117:118], v[113:114]
	scratch_load_b128 v[113:116], off, off offset:304
	s_waitcnt vmcnt(4)
	v_fma_f64 v[2:3], v[2:3], v[119:120], v[117:118]
	scratch_load_b128 v[117:120], off, off offset:320
	s_waitcnt lgkmcnt(0)
	v_fma_f64 v[2:3], v[4:5], v[121:122], v[2:3]
	s_waitcnt vmcnt(4)
	s_delay_alu instid0(VALU_DEP_1)
	v_fma_f64 v[101:102], v[101:102], v[123:124], v[2:3]
	ds_load_2addr_b64 v[2:5], v100 offset0:81 offset1:82
	ds_load_2addr_b64 v[121:124], v100 offset0:83 offset1:84
	s_waitcnt lgkmcnt(1)
	v_fma_f64 v[2:3], v[103:104], v[2:3], v[101:102]
	scratch_load_b128 v[101:104], off, off offset:336
	s_waitcnt vmcnt(4)
	v_fma_f64 v[2:3], v[105:106], v[4:5], v[2:3]
	s_waitcnt lgkmcnt(0)
	s_delay_alu instid0(VALU_DEP_1)
	v_fma_f64 v[105:106], v[107:108], v[121:122], v[2:3]
	scratch_load_b128 v[2:5], off, off offset:352
	s_waitcnt vmcnt(4)
	v_fma_f64 v[109:110], v[109:110], v[123:124], v[105:106]
	ds_load_2addr_b64 v[105:108], v100 offset0:85 offset1:86
	ds_load_2addr_b64 v[121:124], v100 offset0:87 offset1:88
	scratch_load_b64 v[125:126], off, off offset:368
	s_waitcnt lgkmcnt(1)
	v_fma_f64 v[105:106], v[111:112], v[105:106], v[109:110]
	s_waitcnt vmcnt(4)
	s_delay_alu instid0(VALU_DEP_1) | instskip(SKIP_1) | instid1(VALU_DEP_1)
	v_fma_f64 v[105:106], v[113:114], v[107:108], v[105:106]
	s_waitcnt lgkmcnt(0)
	v_fma_f64 v[105:106], v[115:116], v[121:122], v[105:106]
	s_waitcnt vmcnt(3)
	s_delay_alu instid0(VALU_DEP_1)
	v_fma_f64 v[113:114], v[117:118], v[123:124], v[105:106]
	ds_load_2addr_b64 v[105:108], v100 offset0:89 offset1:90
	ds_load_2addr_b64 v[109:112], v100 offset0:91 offset1:92
	s_waitcnt lgkmcnt(1)
	v_fma_f64 v[105:106], v[119:120], v[105:106], v[113:114]
	s_waitcnt vmcnt(2)
	s_delay_alu instid0(VALU_DEP_1) | instskip(SKIP_1) | instid1(VALU_DEP_1)
	v_fma_f64 v[101:102], v[101:102], v[107:108], v[105:106]
	s_waitcnt lgkmcnt(0)
	v_fma_f64 v[101:102], v[103:104], v[109:110], v[101:102]
	s_waitcnt vmcnt(1)
	s_delay_alu instid0(VALU_DEP_1) | instskip(SKIP_4) | instid1(VALU_DEP_1)
	v_fma_f64 v[2:3], v[2:3], v[111:112], v[101:102]
	ds_load_2addr_b64 v[100:103], v100 offset0:93 offset1:94
	s_waitcnt lgkmcnt(0)
	v_fma_f64 v[2:3], v[4:5], v[100:101], v[2:3]
	s_waitcnt vmcnt(0)
	v_fma_f64 v[2:3], v[125:126], v[102:103], v[2:3]
	s_delay_alu instid0(VALU_DEP_1)
	v_add_f64 v[0:1], v[0:1], -v[2:3]
	scratch_store_b64 off, v[0:1], off
	s_cbranch_vccz .LBB110_385
; %bb.292:
	v_dual_mov_b32 v0, s2 :: v_dual_mov_b32 v1, s3
	s_mov_b32 s0, exec_lo
	flat_load_b32 v0, v[0:1] offset:180
	s_waitcnt vmcnt(0) lgkmcnt(0)
	v_cmpx_ne_u32_e32 46, v0
	s_cbranch_execz .LBB110_294
; %bb.293:
	v_lshl_add_u32 v2, v0, 3, 0
	scratch_load_b64 v[0:1], v2, off offset:-8
	s_waitcnt vmcnt(0)
	scratch_store_b64 off, v[0:1], off offset:360
	scratch_store_b64 v2, v[4:5], off offset:-8
.LBB110_294:
	s_or_b32 exec_lo, exec_lo, s0
	v_dual_mov_b32 v0, s2 :: v_dual_mov_b32 v1, s3
	s_mov_b32 s0, exec_lo
	flat_load_b32 v0, v[0:1] offset:176
	s_waitcnt vmcnt(0) lgkmcnt(0)
	v_cmpx_ne_u32_e32 45, v0
	s_cbranch_execz .LBB110_296
; %bb.295:
	v_lshl_add_u32 v4, v0, 3, 0
	scratch_load_b64 v[0:1], v4, off offset:-8
	scratch_load_b64 v[2:3], off, off offset:352
	s_waitcnt vmcnt(1)
	scratch_store_b64 off, v[0:1], off offset:352
	s_waitcnt vmcnt(0)
	scratch_store_b64 v4, v[2:3], off offset:-8
.LBB110_296:
	s_or_b32 exec_lo, exec_lo, s0
	v_dual_mov_b32 v0, s2 :: v_dual_mov_b32 v1, s3
	s_mov_b32 s0, exec_lo
	flat_load_b32 v0, v[0:1] offset:172
	s_waitcnt vmcnt(0) lgkmcnt(0)
	v_cmpx_ne_u32_e32 44, v0
	s_cbranch_execz .LBB110_298
; %bb.297:
	v_lshl_add_u32 v4, v0, 3, 0
	scratch_load_b64 v[0:1], v4, off offset:-8
	scratch_load_b64 v[2:3], off, off offset:344
	s_waitcnt vmcnt(1)
	scratch_store_b64 off, v[0:1], off offset:344
	s_waitcnt vmcnt(0)
	scratch_store_b64 v4, v[2:3], off offset:-8
.LBB110_298:
	;; [unrolled: 16-line block ×44, first 2 shown]
	s_or_b32 exec_lo, exec_lo, s0
	v_dual_mov_b32 v0, s2 :: v_dual_mov_b32 v1, s3
	s_mov_b32 s0, exec_lo
	flat_load_b32 v2, v[0:1]
	scratch_load_b64 v[0:1], off, off
	s_waitcnt vmcnt(1) lgkmcnt(0)
	v_cmpx_ne_u32_e32 1, v2
	s_cbranch_execz .LBB110_384
; %bb.383:
	v_lshl_add_u32 v4, v2, 3, 0
	scratch_load_b64 v[2:3], v4, off offset:-8
	s_waitcnt vmcnt(0)
	scratch_store_b64 off, v[2:3], off
	scratch_store_b64 v4, v[0:1], off offset:-8
	scratch_load_b64 v[0:1], off, off
.LBB110_384:
	s_or_b32 exec_lo, exec_lo, s0
.LBB110_385:
	s_clause 0x9
	scratch_load_b128 v[2:5], off, off offset:8
	scratch_load_b128 v[100:103], off, off offset:24
	;; [unrolled: 1-line block ×10, first 2 shown]
	s_waitcnt vmcnt(10)
	global_store_b64 v[30:31], v[0:1], off
	s_clause 0x1
	scratch_load_b128 v[136:139], off, off offset:168
	scratch_load_b128 v[140:143], off, off offset:184
	s_waitcnt vmcnt(11)
	s_clause 0x1
	global_store_b64 v[10:11], v[2:3], off
	global_store_b64 v[18:19], v[4:5], off
	s_clause 0x1
	scratch_load_b128 v[0:3], off, off offset:200
	scratch_load_b128 v[144:147], off, off offset:216
	s_waitcnt vmcnt(12)
	s_clause 0x1
	global_store_b64 v[8:9], v[100:101], off
	;; [unrolled: 7-line block ×6, first 2 shown]
	global_store_b64 v[22:23], v[118:119], off
	scratch_load_b128 v[12:15], off, off offset:360
	s_waitcnt vmcnt(16)
	s_clause 0x1
	global_store_b64 v[20:21], v[120:121], off
	global_store_b64 v[28:29], v[122:123], off
	s_waitcnt vmcnt(15)
	s_clause 0x1
	global_store_b64 v[36:37], v[124:125], off
	global_store_b64 v[38:39], v[126:127], off
	;; [unrolled: 4-line block ×17, first 2 shown]
	s_endpgm
	.section	.rodata,"a",@progbits
	.p2align	6, 0x0
	.amdhsa_kernel _ZN9rocsolver6v33100L18getri_kernel_smallILi47EdPKPdEEvT1_iilPiilS6_bb
		.amdhsa_group_segment_fixed_size 760
		.amdhsa_private_segment_fixed_size 384
		.amdhsa_kernarg_size 60
		.amdhsa_user_sgpr_count 15
		.amdhsa_user_sgpr_dispatch_ptr 0
		.amdhsa_user_sgpr_queue_ptr 0
		.amdhsa_user_sgpr_kernarg_segment_ptr 1
		.amdhsa_user_sgpr_dispatch_id 0
		.amdhsa_user_sgpr_private_segment_size 0
		.amdhsa_wavefront_size32 1
		.amdhsa_uses_dynamic_stack 0
		.amdhsa_enable_private_segment 1
		.amdhsa_system_sgpr_workgroup_id_x 1
		.amdhsa_system_sgpr_workgroup_id_y 0
		.amdhsa_system_sgpr_workgroup_id_z 0
		.amdhsa_system_sgpr_workgroup_info 0
		.amdhsa_system_vgpr_workitem_id 0
		.amdhsa_next_free_vgpr 148
		.amdhsa_next_free_sgpr 17
		.amdhsa_reserve_vcc 1
		.amdhsa_float_round_mode_32 0
		.amdhsa_float_round_mode_16_64 0
		.amdhsa_float_denorm_mode_32 3
		.amdhsa_float_denorm_mode_16_64 3
		.amdhsa_dx10_clamp 1
		.amdhsa_ieee_mode 1
		.amdhsa_fp16_overflow 0
		.amdhsa_workgroup_processor_mode 1
		.amdhsa_memory_ordered 1
		.amdhsa_forward_progress 0
		.amdhsa_shared_vgpr_count 0
		.amdhsa_exception_fp_ieee_invalid_op 0
		.amdhsa_exception_fp_denorm_src 0
		.amdhsa_exception_fp_ieee_div_zero 0
		.amdhsa_exception_fp_ieee_overflow 0
		.amdhsa_exception_fp_ieee_underflow 0
		.amdhsa_exception_fp_ieee_inexact 0
		.amdhsa_exception_int_div_zero 0
	.end_amdhsa_kernel
	.section	.text._ZN9rocsolver6v33100L18getri_kernel_smallILi47EdPKPdEEvT1_iilPiilS6_bb,"axG",@progbits,_ZN9rocsolver6v33100L18getri_kernel_smallILi47EdPKPdEEvT1_iilPiilS6_bb,comdat
.Lfunc_end110:
	.size	_ZN9rocsolver6v33100L18getri_kernel_smallILi47EdPKPdEEvT1_iilPiilS6_bb, .Lfunc_end110-_ZN9rocsolver6v33100L18getri_kernel_smallILi47EdPKPdEEvT1_iilPiilS6_bb
                                        ; -- End function
	.section	.AMDGPU.csdata,"",@progbits
; Kernel info:
; codeLenInByte = 43856
; NumSgprs: 19
; NumVgprs: 148
; ScratchSize: 384
; MemoryBound: 0
; FloatMode: 240
; IeeeMode: 1
; LDSByteSize: 760 bytes/workgroup (compile time only)
; SGPRBlocks: 2
; VGPRBlocks: 18
; NumSGPRsForWavesPerEU: 19
; NumVGPRsForWavesPerEU: 148
; Occupancy: 9
; WaveLimiterHint : 1
; COMPUTE_PGM_RSRC2:SCRATCH_EN: 1
; COMPUTE_PGM_RSRC2:USER_SGPR: 15
; COMPUTE_PGM_RSRC2:TRAP_HANDLER: 0
; COMPUTE_PGM_RSRC2:TGID_X_EN: 1
; COMPUTE_PGM_RSRC2:TGID_Y_EN: 0
; COMPUTE_PGM_RSRC2:TGID_Z_EN: 0
; COMPUTE_PGM_RSRC2:TIDIG_COMP_CNT: 0
	.section	.text._ZN9rocsolver6v33100L18getri_kernel_smallILi48EdPKPdEEvT1_iilPiilS6_bb,"axG",@progbits,_ZN9rocsolver6v33100L18getri_kernel_smallILi48EdPKPdEEvT1_iilPiilS6_bb,comdat
	.globl	_ZN9rocsolver6v33100L18getri_kernel_smallILi48EdPKPdEEvT1_iilPiilS6_bb ; -- Begin function _ZN9rocsolver6v33100L18getri_kernel_smallILi48EdPKPdEEvT1_iilPiilS6_bb
	.p2align	8
	.type	_ZN9rocsolver6v33100L18getri_kernel_smallILi48EdPKPdEEvT1_iilPiilS6_bb,@function
_ZN9rocsolver6v33100L18getri_kernel_smallILi48EdPKPdEEvT1_iilPiilS6_bb: ; @_ZN9rocsolver6v33100L18getri_kernel_smallILi48EdPKPdEEvT1_iilPiilS6_bb
; %bb.0:
	s_mov_b32 s2, exec_lo
	v_cmpx_gt_u32_e32 48, v0
	s_cbranch_execz .LBB111_202
; %bb.1:
	s_clause 0x1
	s_load_b32 s13, s[0:1], 0x38
	s_load_b64 s[2:3], s[0:1], 0x0
	s_mov_b32 s8, s15
	s_load_b128 s[4:7], s[0:1], 0x28
	s_waitcnt lgkmcnt(0)
	s_bitcmp1_b32 s13, 8
	s_cselect_b32 s12, -1, 0
	s_ashr_i32 s9, s15, 31
	s_delay_alu instid0(SALU_CYCLE_1) | instskip(NEXT) | instid1(SALU_CYCLE_1)
	s_lshl_b64 s[10:11], s[8:9], 3
	s_add_u32 s2, s2, s10
	s_addc_u32 s3, s3, s11
	s_load_b64 s[10:11], s[2:3], 0x0
	s_bfe_u32 s2, s13, 0x10008
	s_delay_alu instid0(SALU_CYCLE_1)
	s_cmp_eq_u32 s2, 0
                                        ; implicit-def: $sgpr2_sgpr3
	s_cbranch_scc1 .LBB111_3
; %bb.2:
	s_clause 0x1
	s_load_b32 s2, s[0:1], 0x20
	s_load_b64 s[14:15], s[0:1], 0x18
	s_mul_i32 s3, s8, s5
	s_mul_hi_u32 s5, s8, s4
	s_mul_i32 s16, s9, s4
	s_add_i32 s3, s5, s3
	s_mul_i32 s4, s8, s4
	s_add_i32 s5, s3, s16
	s_delay_alu instid0(SALU_CYCLE_1)
	s_lshl_b64 s[4:5], s[4:5], 2
	s_waitcnt lgkmcnt(0)
	s_ashr_i32 s3, s2, 31
	s_add_u32 s4, s14, s4
	s_addc_u32 s5, s15, s5
	s_lshl_b64 s[2:3], s[2:3], 2
	s_delay_alu instid0(SALU_CYCLE_1)
	s_add_u32 s2, s4, s2
	s_addc_u32 s3, s5, s3
.LBB111_3:
	s_load_b64 s[0:1], s[0:1], 0x8
	v_lshlrev_b32_e32 v3, 3, v0
	s_waitcnt lgkmcnt(0)
	v_add3_u32 v1, s1, s1, v0
	s_ashr_i32 s5, s0, 31
	s_mov_b32 s4, s0
	s_mov_b32 s14, s1
	s_lshl_b64 s[4:5], s[4:5], 3
	v_add_nc_u32_e32 v4, s1, v1
	v_ashrrev_i32_e32 v2, 31, v1
	s_add_u32 s4, s10, s4
	s_addc_u32 s5, s11, s5
	v_add_co_u32 v30, s0, s4, v3
	v_add_nc_u32_e32 v6, s1, v4
	v_ashrrev_i32_e32 v5, 31, v4
	s_ashr_i32 s15, s1, 31
	v_add_co_ci_u32_e64 v31, null, s5, 0, s0
	v_lshlrev_b64 v[1:2], 3, v[1:2]
	s_lshl_b64 s[10:11], s[14:15], 3
	v_add_nc_u32_e32 v8, s1, v6
	v_add_co_u32 v22, vcc_lo, v30, s10
	v_lshlrev_b64 v[4:5], 3, v[4:5]
	v_ashrrev_i32_e32 v7, 31, v6
	v_add_co_ci_u32_e32 v23, vcc_lo, s11, v31, vcc_lo
	v_add_co_u32 v20, vcc_lo, s4, v1
	v_ashrrev_i32_e32 v9, 31, v8
	v_add_co_ci_u32_e32 v21, vcc_lo, s5, v2, vcc_lo
	v_lshlrev_b64 v[6:7], 3, v[6:7]
	v_add_co_u32 v24, vcc_lo, s4, v4
	s_clause 0x1
	global_load_b64 v[48:49], v3, s[4:5]
	global_load_b64 v[50:51], v[22:23], off
	v_add_co_ci_u32_e32 v25, vcc_lo, s5, v5, vcc_lo
	v_lshlrev_b64 v[4:5], 3, v[8:9]
	v_add_nc_u32_e32 v1, s1, v8
	v_add_co_u32 v14, vcc_lo, s4, v6
	v_add_co_ci_u32_e32 v15, vcc_lo, s5, v7, vcc_lo
	s_delay_alu instid0(VALU_DEP_4) | instskip(NEXT) | instid1(VALU_DEP_4)
	v_add_co_u32 v8, vcc_lo, s4, v4
	v_add_nc_u32_e32 v4, s1, v1
	v_ashrrev_i32_e32 v2, 31, v1
	v_add_co_ci_u32_e32 v9, vcc_lo, s5, v5, vcc_lo
	s_clause 0x3
	global_load_b64 v[56:57], v[20:21], off
	global_load_b64 v[58:59], v[24:25], off
	;; [unrolled: 1-line block ×4, first 2 shown]
	v_add_nc_u32_e32 v6, s1, v4
	v_ashrrev_i32_e32 v5, 31, v4
	v_lshlrev_b64 v[1:2], 3, v[1:2]
	s_bitcmp0_b32 s13, 0
	s_delay_alu instid0(VALU_DEP_3) | instskip(NEXT) | instid1(VALU_DEP_3)
	v_add_nc_u32_e32 v18, s1, v6
	v_lshlrev_b64 v[4:5], 3, v[4:5]
	v_ashrrev_i32_e32 v7, 31, v6
	s_delay_alu instid0(VALU_DEP_4) | instskip(NEXT) | instid1(VALU_DEP_4)
	v_add_co_u32 v16, vcc_lo, s4, v1
	v_ashrrev_i32_e32 v19, 31, v18
	v_add_co_ci_u32_e32 v17, vcc_lo, s5, v2, vcc_lo
	s_delay_alu instid0(VALU_DEP_4) | instskip(SKIP_3) | instid1(VALU_DEP_4)
	v_lshlrev_b64 v[1:2], 3, v[6:7]
	v_add_co_u32 v10, vcc_lo, s4, v4
	v_add_co_ci_u32_e32 v11, vcc_lo, s5, v5, vcc_lo
	v_lshlrev_b64 v[4:5], 3, v[18:19]
	v_add_co_u32 v12, vcc_lo, s4, v1
	v_add_co_ci_u32_e32 v13, vcc_lo, s5, v2, vcc_lo
	s_clause 0x1
	global_load_b64 v[64:65], v[16:17], off
	global_load_b64 v[66:67], v[10:11], off
	v_add_co_u32 v6, vcc_lo, s4, v4
	v_add_co_ci_u32_e32 v7, vcc_lo, s5, v5, vcc_lo
	s_clause 0x1
	global_load_b64 v[68:69], v[12:13], off
	global_load_b64 v[70:71], v[6:7], off
	v_add_nc_u32_e32 v1, s1, v18
	s_delay_alu instid0(VALU_DEP_1) | instskip(SKIP_1) | instid1(VALU_DEP_2)
	v_add_nc_u32_e32 v4, s1, v1
	v_ashrrev_i32_e32 v2, 31, v1
	v_add_nc_u32_e32 v18, s1, v4
	v_ashrrev_i32_e32 v5, 31, v4
	s_delay_alu instid0(VALU_DEP_3) | instskip(NEXT) | instid1(VALU_DEP_3)
	v_lshlrev_b64 v[1:2], 3, v[1:2]
	v_add_nc_u32_e32 v26, s1, v18
	s_delay_alu instid0(VALU_DEP_3) | instskip(SKIP_1) | instid1(VALU_DEP_4)
	v_lshlrev_b64 v[4:5], 3, v[4:5]
	v_ashrrev_i32_e32 v19, 31, v18
	v_add_co_u32 v36, vcc_lo, s4, v1
	s_delay_alu instid0(VALU_DEP_4) | instskip(SKIP_3) | instid1(VALU_DEP_4)
	v_add_nc_u32_e32 v34, s1, v26
	v_ashrrev_i32_e32 v27, 31, v26
	v_add_co_ci_u32_e32 v37, vcc_lo, s5, v2, vcc_lo
	v_lshlrev_b64 v[1:2], 3, v[18:19]
	v_add_nc_u32_e32 v38, s1, v34
	v_add_co_u32 v32, vcc_lo, s4, v4
	v_add_co_ci_u32_e32 v33, vcc_lo, s5, v5, vcc_lo
	s_delay_alu instid0(VALU_DEP_3) | instskip(SKIP_3) | instid1(VALU_DEP_4)
	v_add_nc_u32_e32 v40, s1, v38
	v_lshlrev_b64 v[4:5], 3, v[26:27]
	v_ashrrev_i32_e32 v35, 31, v34
	v_add_co_u32 v28, vcc_lo, s4, v1
	v_add_nc_u32_e32 v42, s1, v40
	v_ashrrev_i32_e32 v39, 31, v38
	v_add_co_ci_u32_e32 v29, vcc_lo, s5, v2, vcc_lo
	v_lshlrev_b64 v[1:2], 3, v[34:35]
	s_delay_alu instid0(VALU_DEP_4) | instskip(SKIP_2) | instid1(VALU_DEP_3)
	v_add_nc_u32_e32 v44, s1, v42
	v_add_co_u32 v18, vcc_lo, s4, v4
	v_add_co_ci_u32_e32 v19, vcc_lo, s5, v5, vcc_lo
	v_add_nc_u32_e32 v46, s1, v44
	v_lshlrev_b64 v[4:5], 3, v[38:39]
	v_ashrrev_i32_e32 v41, 31, v40
	v_add_co_u32 v26, vcc_lo, s4, v1
	s_delay_alu instid0(VALU_DEP_4) | instskip(SKIP_1) | instid1(VALU_DEP_4)
	v_add_nc_u32_e32 v52, s1, v46
	v_add_co_ci_u32_e32 v27, vcc_lo, s5, v2, vcc_lo
	v_lshlrev_b64 v[1:2], 3, v[40:41]
	v_add_co_u32 v34, vcc_lo, s4, v4
	s_delay_alu instid0(VALU_DEP_4)
	v_add_nc_u32_e32 v54, s1, v52
	s_clause 0x2
	global_load_b64 v[72:73], v[36:37], off
	global_load_b64 v[74:75], v[32:33], off
	;; [unrolled: 1-line block ×3, first 2 shown]
	v_ashrrev_i32_e32 v43, 31, v42
	v_add_co_ci_u32_e32 v35, vcc_lo, s5, v5, vcc_lo
	v_add_nc_u32_e32 v92, s1, v54
	v_add_co_u32 v38, vcc_lo, s4, v1
	v_ashrrev_i32_e32 v45, 31, v44
	v_lshlrev_b64 v[40:41], 3, v[42:43]
	s_delay_alu instid0(VALU_DEP_4) | instskip(SKIP_1) | instid1(VALU_DEP_4)
	v_add_nc_u32_e32 v94, s1, v92
	v_add_co_ci_u32_e32 v39, vcc_lo, s5, v2, vcc_lo
	v_lshlrev_b64 v[44:45], 3, v[44:45]
	v_ashrrev_i32_e32 v47, 31, v46
	s_delay_alu instid0(VALU_DEP_4)
	v_add_nc_u32_e32 v100, s1, v94
	v_add_co_u32 v42, vcc_lo, s4, v40
	s_clause 0x2
	global_load_b64 v[78:79], v[18:19], off
	global_load_b64 v[80:81], v[26:27], off
	;; [unrolled: 1-line block ×3, first 2 shown]
	v_add_co_ci_u32_e32 v43, vcc_lo, s5, v41, vcc_lo
	v_add_nc_u32_e32 v102, s1, v100
	v_ashrrev_i32_e32 v53, 31, v52
	v_add_co_u32 v44, vcc_lo, s4, v44
	v_lshlrev_b64 v[46:47], 3, v[46:47]
	s_delay_alu instid0(VALU_DEP_4) | instskip(SKIP_3) | instid1(VALU_DEP_4)
	v_add_nc_u32_e32 v106, s1, v102
	v_add_co_ci_u32_e32 v45, vcc_lo, s5, v45, vcc_lo
	v_ashrrev_i32_e32 v55, 31, v54
	v_ashrrev_i32_e32 v93, 31, v92
	v_add_nc_u32_e32 v108, s1, v106
	v_ashrrev_i32_e32 v95, 31, v94
	global_load_b64 v[84:85], v[38:39], off
	v_ashrrev_i32_e32 v101, 31, v100
	v_ashrrev_i32_e32 v103, 31, v102
	v_add_nc_u32_e32 v114, s1, v108
	v_ashrrev_i32_e32 v107, 31, v106
	v_ashrrev_i32_e32 v109, 31, v108
	s_delay_alu instid0(VALU_DEP_3) | instskip(SKIP_1) | instid1(VALU_DEP_2)
	v_add_nc_u32_e32 v116, s1, v114
	v_ashrrev_i32_e32 v115, 31, v114
	v_add_nc_u32_e32 v118, s1, v116
	v_ashrrev_i32_e32 v117, 31, v116
	s_delay_alu instid0(VALU_DEP_2) | instskip(SKIP_1) | instid1(VALU_DEP_2)
	v_add_nc_u32_e32 v120, s1, v118
	v_ashrrev_i32_e32 v119, 31, v118
	v_add_nc_u32_e32 v122, s1, v120
	v_ashrrev_i32_e32 v121, 31, v120
	s_delay_alu instid0(VALU_DEP_2) | instskip(SKIP_1) | instid1(VALU_DEP_2)
	;; [unrolled: 5-line block ×8, first 2 shown]
	v_add_nc_u32_e32 v148, s1, v146
	v_ashrrev_i32_e32 v147, 31, v146
	v_add_nc_u32_e32 v4, s1, v148
	v_ashrrev_i32_e32 v149, 31, v148
	s_delay_alu instid0(VALU_DEP_2) | instskip(SKIP_2) | instid1(VALU_DEP_2)
	v_add_nc_u32_e32 v1, s1, v4
	v_ashrrev_i32_e32 v5, 31, v4
	s_mov_b32 s1, -1
	v_ashrrev_i32_e32 v2, 31, v1
	s_delay_alu instid0(VALU_DEP_2) | instskip(NEXT) | instid1(VALU_DEP_2)
	v_lshlrev_b64 v[4:5], 3, v[4:5]
	v_lshlrev_b64 v[1:2], 3, v[1:2]
	s_delay_alu instid0(VALU_DEP_1) | instskip(NEXT) | instid1(VALU_DEP_2)
	v_add_co_u32 v40, vcc_lo, s4, v1
	v_add_co_ci_u32_e32 v41, vcc_lo, s5, v2, vcc_lo
	v_lshlrev_b64 v[1:2], 3, v[52:53]
	v_add_co_u32 v46, vcc_lo, s4, v46
	global_load_b64 v[104:105], v[40:41], off
	v_add_co_ci_u32_e32 v47, vcc_lo, s5, v47, vcc_lo
	s_waitcnt vmcnt(16)
	scratch_store_b128 off, v[48:51], off
	v_lshlrev_b64 v[50:51], 3, v[54:55]
	v_add_co_u32 v48, vcc_lo, s4, v1
	v_add_co_ci_u32_e32 v49, vcc_lo, s5, v2, vcc_lo
	v_lshlrev_b64 v[1:2], 3, v[92:93]
	s_clause 0x2
	global_load_b64 v[86:87], v[42:43], off
	global_load_b64 v[88:89], v[44:45], off
	global_load_b64 v[90:91], v[46:47], off
	v_add_co_u32 v50, vcc_lo, s4, v50
	v_add_co_ci_u32_e32 v51, vcc_lo, s5, v51, vcc_lo
	v_lshlrev_b64 v[54:55], 3, v[94:95]
	v_add_co_u32 v52, vcc_lo, s4, v1
	v_add_co_ci_u32_e32 v53, vcc_lo, s5, v2, vcc_lo
	v_lshlrev_b64 v[1:2], 3, v[100:101]
	s_delay_alu instid0(VALU_DEP_4)
	v_add_co_u32 v54, vcc_lo, s4, v54
	v_add_co_ci_u32_e32 v55, vcc_lo, s5, v55, vcc_lo
	s_waitcnt vmcnt(17)
	scratch_store_b128 off, v[56:59], off offset:16
	s_waitcnt vmcnt(15)
	scratch_store_b128 off, v[60:63], off offset:32
	v_add_co_u32 v56, vcc_lo, s4, v1
	v_add_co_ci_u32_e32 v57, vcc_lo, s5, v2, vcc_lo
	v_lshlrev_b64 v[1:2], 3, v[102:103]
	s_clause 0x3
	global_load_b64 v[92:93], v[48:49], off
	global_load_b64 v[94:95], v[50:51], off
	;; [unrolled: 1-line block ×4, first 2 shown]
	v_lshlrev_b64 v[60:61], 3, v[106:107]
	global_load_b64 v[106:107], v[56:57], off
	v_lshlrev_b64 v[100:101], 3, v[126:127]
	v_add_co_u32 v58, vcc_lo, s4, v1
	v_add_co_ci_u32_e32 v59, vcc_lo, s5, v2, vcc_lo
	v_lshlrev_b64 v[1:2], 3, v[108:109]
	v_add_co_u32 v60, vcc_lo, s4, v60
	global_load_b64 v[108:109], v[58:59], off
	v_add_co_ci_u32_e32 v61, vcc_lo, s5, v61, vcc_lo
	v_add_co_u32 v62, vcc_lo, s4, v1
	v_add_co_ci_u32_e32 v63, vcc_lo, s5, v2, vcc_lo
	s_waitcnt vmcnt(19)
	scratch_store_b128 off, v[64:67], off offset:48
	s_waitcnt vmcnt(17)
	scratch_store_b128 off, v[68:71], off offset:64
	s_clause 0x1
	global_load_b64 v[110:111], v[60:61], off
	global_load_b64 v[112:113], v[62:63], off
	v_lshlrev_b64 v[1:2], 3, v[114:115]
	v_lshlrev_b64 v[68:69], 3, v[118:119]
	s_delay_alu instid0(VALU_DEP_2) | instskip(NEXT) | instid1(VALU_DEP_3)
	v_add_co_u32 v64, vcc_lo, s4, v1
	v_add_co_ci_u32_e32 v65, vcc_lo, s5, v2, vcc_lo
	v_lshlrev_b64 v[1:2], 3, v[116:117]
	global_load_b64 v[114:115], v[64:65], off
	v_add_co_u32 v66, vcc_lo, s4, v1
	v_add_co_ci_u32_e32 v67, vcc_lo, s5, v2, vcc_lo
	v_lshlrev_b64 v[1:2], 3, v[120:121]
	v_add_co_u32 v68, vcc_lo, s4, v68
	v_add_co_ci_u32_e32 v69, vcc_lo, s5, v69, vcc_lo
	s_delay_alu instid0(VALU_DEP_3) | instskip(NEXT) | instid1(VALU_DEP_4)
	v_add_co_u32 v70, vcc_lo, s4, v1
	v_add_co_ci_u32_e32 v71, vcc_lo, s5, v2, vcc_lo
	v_lshlrev_b64 v[1:2], 3, v[124:125]
	s_waitcnt vmcnt(18)
	scratch_store_b128 off, v[72:75], off offset:80
	v_lshlrev_b64 v[72:73], 3, v[122:123]
	s_waitcnt vmcnt(16)
	scratch_store_b128 off, v[76:79], off offset:96
	s_waitcnt vmcnt(14)
	scratch_store_b128 off, v[80:83], off offset:112
	v_add_co_u32 v72, vcc_lo, s4, v72
	v_add_co_ci_u32_e32 v73, vcc_lo, s5, v73, vcc_lo
	v_add_co_u32 v74, vcc_lo, s4, v1
	v_add_co_ci_u32_e32 v75, vcc_lo, s5, v2, vcc_lo
	v_lshlrev_b64 v[1:2], 3, v[128:129]
	v_add_co_u32 v76, vcc_lo, s4, v100
	v_add_co_ci_u32_e32 v77, vcc_lo, s5, v101, vcc_lo
	v_lshlrev_b64 v[80:81], 3, v[130:131]
	s_delay_alu instid0(VALU_DEP_4) | instskip(SKIP_2) | instid1(VALU_DEP_4)
	v_add_co_u32 v78, vcc_lo, s4, v1
	v_add_co_ci_u32_e32 v79, vcc_lo, s5, v2, vcc_lo
	v_lshlrev_b64 v[1:2], 3, v[132:133]
	v_add_co_u32 v80, vcc_lo, s4, v80
	v_add_co_ci_u32_e32 v81, vcc_lo, s5, v81, vcc_lo
	v_lshlrev_b64 v[100:101], 3, v[134:135]
	s_delay_alu instid0(VALU_DEP_4)
	v_add_co_u32 v82, vcc_lo, s4, v1
	v_add_co_ci_u32_e32 v83, vcc_lo, s5, v2, vcc_lo
	v_lshlrev_b64 v[1:2], 3, v[136:137]
	s_clause 0x3
	global_load_b64 v[116:117], v[66:67], off
	global_load_b64 v[118:119], v[68:69], off
	;; [unrolled: 1-line block ×4, first 2 shown]
	s_waitcnt vmcnt(15)
	scratch_store_b128 off, v[84:87], off offset:128
	s_waitcnt vmcnt(13)
	scratch_store_b128 off, v[88:91], off offset:144
	v_add_co_u32 v84, vcc_lo, s4, v100
	v_add_co_ci_u32_e32 v85, vcc_lo, s5, v101, vcc_lo
	v_lshlrev_b64 v[88:89], 3, v[138:139]
	v_add_co_u32 v86, vcc_lo, s4, v1
	v_add_co_ci_u32_e32 v87, vcc_lo, s5, v2, vcc_lo
	v_lshlrev_b64 v[1:2], 3, v[140:141]
	s_delay_alu instid0(VALU_DEP_4) | instskip(SKIP_2) | instid1(VALU_DEP_4)
	v_add_co_u32 v88, vcc_lo, s4, v88
	v_add_co_ci_u32_e32 v89, vcc_lo, s5, v89, vcc_lo
	v_lshlrev_b64 v[100:101], 3, v[142:143]
	v_add_co_u32 v90, vcc_lo, s4, v1
	v_add_co_ci_u32_e32 v91, vcc_lo, s5, v2, vcc_lo
	v_lshlrev_b64 v[1:2], 3, v[144:145]
	s_clause 0x3
	global_load_b64 v[124:125], v[74:75], off
	global_load_b64 v[126:127], v[76:77], off
	;; [unrolled: 1-line block ×4, first 2 shown]
	s_waitcnt vmcnt(15)
	scratch_store_b128 off, v[92:95], off offset:160
	s_waitcnt vmcnt(13)
	scratch_store_b128 off, v[96:99], off offset:176
	v_add_co_u32 v92, vcc_lo, s4, v100
	v_add_co_ci_u32_e32 v93, vcc_lo, s5, v101, vcc_lo
	v_lshlrev_b64 v[96:97], 3, v[146:147]
	v_add_co_u32 v94, vcc_lo, s4, v1
	v_add_co_ci_u32_e32 v95, vcc_lo, s5, v2, vcc_lo
	v_lshlrev_b64 v[1:2], 3, v[148:149]
	s_delay_alu instid0(VALU_DEP_4)
	v_add_co_u32 v96, vcc_lo, s4, v96
	v_add_co_ci_u32_e32 v97, vcc_lo, s5, v97, vcc_lo
	s_clause 0x3
	global_load_b64 v[132:133], v[82:83], off
	global_load_b64 v[134:135], v[84:85], off
	;; [unrolled: 1-line block ×4, first 2 shown]
	v_add_co_u32 v98, vcc_lo, s4, v1
	v_add_co_ci_u32_e32 v99, vcc_lo, s5, v2, vcc_lo
	v_add_co_u32 v100, vcc_lo, s4, v4
	v_add_co_ci_u32_e32 v101, vcc_lo, s5, v5, vcc_lo
	s_waitcnt vmcnt(15)
	scratch_store_b128 off, v[106:109], off offset:192
	s_clause 0x2
	global_load_b64 v[140:141], v[90:91], off
	global_load_b64 v[106:107], v[92:93], off
	;; [unrolled: 1-line block ×3, first 2 shown]
	s_waitcnt vmcnt(16)
	scratch_store_b128 off, v[110:113], off offset:208
	s_clause 0x2
	global_load_b64 v[110:111], v[96:97], off
	global_load_b64 v[112:113], v[98:99], off
	;; [unrolled: 1-line block ×3, first 2 shown]
	s_waitcnt vmcnt(17)
	scratch_store_b128 off, v[114:117], off offset:224
	s_waitcnt vmcnt(15)
	scratch_store_b128 off, v[118:121], off offset:240
	;; [unrolled: 2-line block ×10, first 2 shown]
	s_cbranch_scc1 .LBB111_200
; %bb.4:
	v_cmp_eq_u32_e64 s0, 0, v0
	s_delay_alu instid0(VALU_DEP_1)
	s_and_saveexec_b32 s1, s0
	s_cbranch_execz .LBB111_6
; %bb.5:
	v_mov_b32_e32 v1, 0
	ds_store_b32 v1, v1 offset:768
.LBB111_6:
	s_or_b32 exec_lo, exec_lo, s1
	s_waitcnt lgkmcnt(0)
	s_waitcnt_vscnt null, 0x0
	s_barrier
	buffer_gl0_inv
	scratch_load_b64 v[1:2], v3, off
	s_mov_b32 s4, exec_lo
	s_waitcnt vmcnt(0)
	v_cmpx_eq_f64_e32 0, v[1:2]
	s_cbranch_execz .LBB111_10
; %bb.7:
	v_mov_b32_e32 v1, 0
	s_mov_b32 s5, 0
	ds_load_b32 v2, v1 offset:768
	s_waitcnt lgkmcnt(0)
	v_readfirstlane_b32 s1, v2
	v_add_nc_u32_e32 v2, 1, v0
	s_delay_alu instid0(VALU_DEP_2) | instskip(NEXT) | instid1(VALU_DEP_1)
	s_cmp_eq_u32 s1, 0
	v_cmp_gt_i32_e32 vcc_lo, s1, v2
	s_cselect_b32 s10, -1, 0
	s_delay_alu instid0(SALU_CYCLE_1) | instskip(NEXT) | instid1(SALU_CYCLE_1)
	s_or_b32 s10, s10, vcc_lo
	s_and_b32 exec_lo, exec_lo, s10
	s_cbranch_execz .LBB111_10
; %bb.8:
	v_mov_b32_e32 v4, s1
.LBB111_9:                              ; =>This Inner Loop Header: Depth=1
	ds_cmpstore_rtn_b32 v4, v1, v2, v4 offset:768
	s_waitcnt lgkmcnt(0)
	v_cmp_ne_u32_e32 vcc_lo, 0, v4
	v_cmp_le_i32_e64 s1, v4, v2
	s_delay_alu instid0(VALU_DEP_1) | instskip(NEXT) | instid1(SALU_CYCLE_1)
	s_and_b32 s1, vcc_lo, s1
	s_and_b32 s1, exec_lo, s1
	s_delay_alu instid0(SALU_CYCLE_1) | instskip(NEXT) | instid1(SALU_CYCLE_1)
	s_or_b32 s5, s1, s5
	s_and_not1_b32 exec_lo, exec_lo, s5
	s_cbranch_execnz .LBB111_9
.LBB111_10:
	s_or_b32 exec_lo, exec_lo, s4
	v_mov_b32_e32 v1, 0
	s_barrier
	buffer_gl0_inv
	ds_load_b32 v2, v1 offset:768
	s_and_saveexec_b32 s1, s0
	s_cbranch_execz .LBB111_12
; %bb.11:
	s_lshl_b64 s[4:5], s[8:9], 2
	s_delay_alu instid0(SALU_CYCLE_1)
	s_add_u32 s4, s6, s4
	s_addc_u32 s5, s7, s5
	s_waitcnt lgkmcnt(0)
	global_store_b32 v1, v2, s[4:5]
.LBB111_12:
	s_or_b32 exec_lo, exec_lo, s1
	s_waitcnt lgkmcnt(0)
	v_cmp_ne_u32_e32 vcc_lo, 0, v2
	s_mov_b32 s1, 0
	s_cbranch_vccnz .LBB111_200
; %bb.13:
	v_add_nc_u32_e32 v4, 0, v3
	v_add_nc_u32_e32 v5, 0x180, v3
	scratch_load_b64 v[1:2], v4, off
	s_waitcnt vmcnt(0)
	v_div_scale_f64 v[102:103], null, v[1:2], v[1:2], 1.0
	v_div_scale_f64 v[108:109], vcc_lo, 1.0, v[1:2], 1.0
	s_delay_alu instid0(VALU_DEP_2) | instskip(SKIP_2) | instid1(VALU_DEP_1)
	v_rcp_f64_e32 v[104:105], v[102:103]
	s_waitcnt_depctr 0xfff
	v_fma_f64 v[106:107], -v[102:103], v[104:105], 1.0
	v_fma_f64 v[104:105], v[104:105], v[106:107], v[104:105]
	s_delay_alu instid0(VALU_DEP_1) | instskip(NEXT) | instid1(VALU_DEP_1)
	v_fma_f64 v[106:107], -v[102:103], v[104:105], 1.0
	v_fma_f64 v[104:105], v[104:105], v[106:107], v[104:105]
	s_delay_alu instid0(VALU_DEP_1) | instskip(NEXT) | instid1(VALU_DEP_1)
	v_mul_f64 v[106:107], v[108:109], v[104:105]
	v_fma_f64 v[102:103], -v[102:103], v[106:107], v[108:109]
	s_delay_alu instid0(VALU_DEP_1) | instskip(NEXT) | instid1(VALU_DEP_1)
	v_div_fmas_f64 v[102:103], v[102:103], v[104:105], v[106:107]
	v_div_fixup_f64 v[1:2], v[102:103], v[1:2], 1.0
	scratch_store_b64 v4, v[1:2], off
	scratch_load_b64 v[102:103], off, off offset:8
	v_xor_b32_e32 v2, 0x80000000, v2
	s_waitcnt vmcnt(0)
	ds_store_2addr_b64 v3, v[1:2], v[102:103] offset1:48
	s_waitcnt lgkmcnt(0)
	s_waitcnt_vscnt null, 0x0
	s_barrier
	buffer_gl0_inv
	s_and_saveexec_b32 s1, s0
	s_cbranch_execz .LBB111_15
; %bb.14:
	scratch_load_b64 v[1:2], v4, off
	ds_load_b64 v[102:103], v5
	s_waitcnt vmcnt(0) lgkmcnt(0)
	v_fma_f64 v[1:2], v[1:2], v[102:103], 0
	v_mov_b32_e32 v102, 0
	ds_load_b64 v[102:103], v102 offset:8
	s_waitcnt lgkmcnt(0)
	v_mul_f64 v[1:2], v[1:2], v[102:103]
	scratch_store_b64 off, v[1:2], off offset:8
.LBB111_15:
	s_or_b32 exec_lo, exec_lo, s1
	s_waitcnt_vscnt null, 0x0
	s_barrier
	buffer_gl0_inv
	scratch_load_b64 v[1:2], off, off offset:16
	s_mov_b32 s1, exec_lo
	s_waitcnt vmcnt(0)
	ds_store_b64 v5, v[1:2]
	s_waitcnt lgkmcnt(0)
	s_barrier
	buffer_gl0_inv
	v_cmpx_gt_u32_e32 2, v0
	s_cbranch_execz .LBB111_19
; %bb.16:
	scratch_load_b64 v[1:2], v4, off
	ds_load_b64 v[102:103], v5
	s_waitcnt vmcnt(0) lgkmcnt(0)
	v_fma_f64 v[1:2], v[1:2], v[102:103], 0
	s_and_saveexec_b32 s4, s0
	s_cbranch_execz .LBB111_18
; %bb.17:
	scratch_load_b64 v[102:103], off, off offset:8
	v_mov_b32_e32 v104, 0
	ds_load_b64 v[104:105], v104 offset:392
	s_waitcnt vmcnt(0) lgkmcnt(0)
	v_fma_f64 v[1:2], v[102:103], v[104:105], v[1:2]
.LBB111_18:
	s_or_b32 exec_lo, exec_lo, s4
	v_mov_b32_e32 v102, 0
	ds_load_b64 v[102:103], v102 offset:16
	s_waitcnt lgkmcnt(0)
	v_mul_f64 v[1:2], v[1:2], v[102:103]
	scratch_store_b64 off, v[1:2], off offset:16
.LBB111_19:
	s_or_b32 exec_lo, exec_lo, s1
	s_waitcnt_vscnt null, 0x0
	s_barrier
	buffer_gl0_inv
	scratch_load_b64 v[1:2], off, off offset:24
	v_add_nc_u32_e32 v102, -1, v0
	s_mov_b32 s0, exec_lo
	s_waitcnt vmcnt(0)
	ds_store_b64 v5, v[1:2]
	s_waitcnt lgkmcnt(0)
	s_barrier
	buffer_gl0_inv
	v_cmpx_gt_u32_e32 3, v0
	s_cbranch_execz .LBB111_23
; %bb.20:
	v_dual_mov_b32 v1, 0 :: v_dual_add_nc_u32 v104, 0x180, v3
	v_dual_mov_b32 v2, 0 :: v_dual_add_nc_u32 v103, -1, v0
	v_add_nc_u32_e32 v105, 0, v3
	s_mov_b32 s1, 0
.LBB111_21:                             ; =>This Inner Loop Header: Depth=1
	scratch_load_b64 v[106:107], v105, off
	ds_load_b64 v[108:109], v104
	v_add_nc_u32_e32 v103, 1, v103
	v_add_nc_u32_e32 v104, 8, v104
	v_add_nc_u32_e32 v105, 8, v105
	s_delay_alu instid0(VALU_DEP_3)
	v_cmp_lt_u32_e32 vcc_lo, 1, v103
	s_or_b32 s1, vcc_lo, s1
	s_waitcnt vmcnt(0) lgkmcnt(0)
	v_fma_f64 v[1:2], v[106:107], v[108:109], v[1:2]
	s_and_not1_b32 exec_lo, exec_lo, s1
	s_cbranch_execnz .LBB111_21
; %bb.22:
	s_or_b32 exec_lo, exec_lo, s1
	v_mov_b32_e32 v103, 0
	ds_load_b64 v[103:104], v103 offset:24
	s_waitcnt lgkmcnt(0)
	v_mul_f64 v[1:2], v[1:2], v[103:104]
	scratch_store_b64 off, v[1:2], off offset:24
.LBB111_23:
	s_or_b32 exec_lo, exec_lo, s0
	s_waitcnt_vscnt null, 0x0
	s_barrier
	buffer_gl0_inv
	scratch_load_b64 v[1:2], off, off offset:32
	s_mov_b32 s0, exec_lo
	s_waitcnt vmcnt(0)
	ds_store_b64 v5, v[1:2]
	s_waitcnt lgkmcnt(0)
	s_barrier
	buffer_gl0_inv
	v_cmpx_gt_u32_e32 4, v0
	s_cbranch_execz .LBB111_27
; %bb.24:
	v_dual_mov_b32 v1, 0 :: v_dual_add_nc_u32 v104, 0x180, v3
	v_dual_mov_b32 v2, 0 :: v_dual_add_nc_u32 v103, -1, v0
	v_add_nc_u32_e32 v105, 0, v3
	s_mov_b32 s1, 0
.LBB111_25:                             ; =>This Inner Loop Header: Depth=1
	scratch_load_b64 v[106:107], v105, off
	ds_load_b64 v[108:109], v104
	v_add_nc_u32_e32 v103, 1, v103
	v_add_nc_u32_e32 v104, 8, v104
	v_add_nc_u32_e32 v105, 8, v105
	s_delay_alu instid0(VALU_DEP_3)
	v_cmp_lt_u32_e32 vcc_lo, 2, v103
	s_or_b32 s1, vcc_lo, s1
	s_waitcnt vmcnt(0) lgkmcnt(0)
	v_fma_f64 v[1:2], v[106:107], v[108:109], v[1:2]
	s_and_not1_b32 exec_lo, exec_lo, s1
	s_cbranch_execnz .LBB111_25
; %bb.26:
	s_or_b32 exec_lo, exec_lo, s1
	v_mov_b32_e32 v103, 0
	ds_load_b64 v[103:104], v103 offset:32
	s_waitcnt lgkmcnt(0)
	v_mul_f64 v[1:2], v[1:2], v[103:104]
	scratch_store_b64 off, v[1:2], off offset:32
.LBB111_27:
	s_or_b32 exec_lo, exec_lo, s0
	s_waitcnt_vscnt null, 0x0
	s_barrier
	buffer_gl0_inv
	scratch_load_b64 v[1:2], off, off offset:40
	;; [unrolled: 39-line block ×20, first 2 shown]
	s_mov_b32 s0, exec_lo
	s_waitcnt vmcnt(0)
	ds_store_b64 v5, v[1:2]
	s_waitcnt lgkmcnt(0)
	s_barrier
	buffer_gl0_inv
	v_cmpx_gt_u32_e32 23, v0
	s_cbranch_execz .LBB111_103
; %bb.100:
	v_dual_mov_b32 v1, 0 :: v_dual_add_nc_u32 v104, 0x180, v3
	v_dual_mov_b32 v2, 0 :: v_dual_add_nc_u32 v103, -1, v0
	v_add_nc_u32_e32 v105, 0, v3
	s_mov_b32 s1, 0
.LBB111_101:                            ; =>This Inner Loop Header: Depth=1
	scratch_load_b64 v[106:107], v105, off
	ds_load_b64 v[108:109], v104
	v_add_nc_u32_e32 v103, 1, v103
	v_add_nc_u32_e32 v104, 8, v104
	v_add_nc_u32_e32 v105, 8, v105
	s_delay_alu instid0(VALU_DEP_3)
	v_cmp_lt_u32_e32 vcc_lo, 21, v103
	s_or_b32 s1, vcc_lo, s1
	s_waitcnt vmcnt(0) lgkmcnt(0)
	v_fma_f64 v[1:2], v[106:107], v[108:109], v[1:2]
	s_and_not1_b32 exec_lo, exec_lo, s1
	s_cbranch_execnz .LBB111_101
; %bb.102:
	s_or_b32 exec_lo, exec_lo, s1
	v_mov_b32_e32 v103, 0
	ds_load_b64 v[103:104], v103 offset:184
	s_waitcnt lgkmcnt(0)
	v_mul_f64 v[1:2], v[1:2], v[103:104]
	scratch_store_b64 off, v[1:2], off offset:184
.LBB111_103:
	s_or_b32 exec_lo, exec_lo, s0
	s_waitcnt_vscnt null, 0x0
	s_barrier
	buffer_gl0_inv
	scratch_load_b64 v[1:2], off, off offset:192
	s_mov_b32 s0, exec_lo
	s_waitcnt vmcnt(0)
	ds_store_b64 v5, v[1:2]
	s_waitcnt lgkmcnt(0)
	s_barrier
	buffer_gl0_inv
	v_cmpx_gt_u32_e32 24, v0
	s_cbranch_execz .LBB111_107
; %bb.104:
	v_dual_mov_b32 v1, 0 :: v_dual_add_nc_u32 v104, 0x180, v3
	v_dual_mov_b32 v2, 0 :: v_dual_add_nc_u32 v103, -1, v0
	v_add_nc_u32_e32 v105, 0, v3
	s_mov_b32 s1, 0
.LBB111_105:                            ; =>This Inner Loop Header: Depth=1
	scratch_load_b64 v[106:107], v105, off
	ds_load_b64 v[108:109], v104
	v_add_nc_u32_e32 v103, 1, v103
	v_add_nc_u32_e32 v104, 8, v104
	v_add_nc_u32_e32 v105, 8, v105
	s_delay_alu instid0(VALU_DEP_3)
	v_cmp_lt_u32_e32 vcc_lo, 22, v103
	s_or_b32 s1, vcc_lo, s1
	s_waitcnt vmcnt(0) lgkmcnt(0)
	v_fma_f64 v[1:2], v[106:107], v[108:109], v[1:2]
	s_and_not1_b32 exec_lo, exec_lo, s1
	s_cbranch_execnz .LBB111_105
; %bb.106:
	s_or_b32 exec_lo, exec_lo, s1
	v_mov_b32_e32 v103, 0
	ds_load_b64 v[103:104], v103 offset:192
	s_waitcnt lgkmcnt(0)
	v_mul_f64 v[1:2], v[1:2], v[103:104]
	scratch_store_b64 off, v[1:2], off offset:192
.LBB111_107:
	s_or_b32 exec_lo, exec_lo, s0
	s_waitcnt_vscnt null, 0x0
	s_barrier
	buffer_gl0_inv
	scratch_load_b64 v[1:2], off, off offset:200
	;; [unrolled: 39-line block ×24, first 2 shown]
	s_mov_b32 s0, exec_lo
	s_waitcnt vmcnt(0)
	ds_store_b64 v5, v[1:2]
	s_waitcnt lgkmcnt(0)
	s_barrier
	buffer_gl0_inv
	v_cmpx_ne_u32_e32 47, v0
	s_cbranch_execz .LBB111_199
; %bb.196:
	v_mov_b32_e32 v1, 0
	v_mov_b32_e32 v2, 0
	s_mov_b32 s1, 0
.LBB111_197:                            ; =>This Inner Loop Header: Depth=1
	scratch_load_b64 v[103:104], v4, off
	ds_load_b64 v[105:106], v5
	v_add_nc_u32_e32 v102, 1, v102
	v_add_nc_u32_e32 v5, 8, v5
	v_add_nc_u32_e32 v4, 8, v4
	s_delay_alu instid0(VALU_DEP_3)
	v_cmp_lt_u32_e32 vcc_lo, 45, v102
	s_or_b32 s1, vcc_lo, s1
	s_waitcnt vmcnt(0) lgkmcnt(0)
	v_fma_f64 v[1:2], v[103:104], v[105:106], v[1:2]
	s_and_not1_b32 exec_lo, exec_lo, s1
	s_cbranch_execnz .LBB111_197
; %bb.198:
	s_or_b32 exec_lo, exec_lo, s1
	v_mov_b32_e32 v3, 0
	ds_load_b64 v[3:4], v3 offset:376
	s_waitcnt lgkmcnt(0)
	v_mul_f64 v[1:2], v[1:2], v[3:4]
	scratch_store_b64 off, v[1:2], off offset:376
.LBB111_199:
	s_or_b32 exec_lo, exec_lo, s0
	s_mov_b32 s1, -1
	s_waitcnt_vscnt null, 0x0
	s_barrier
	buffer_gl0_inv
.LBB111_200:
	s_and_b32 vcc_lo, exec_lo, s1
	s_cbranch_vccz .LBB111_202
; %bb.201:
	s_lshl_b64 s[0:1], s[8:9], 2
	v_mov_b32_e32 v1, 0
	s_add_u32 s0, s6, s0
	s_addc_u32 s1, s7, s1
	global_load_b32 v1, v1, s[0:1]
	s_waitcnt vmcnt(0)
	v_cmp_ne_u32_e32 vcc_lo, 0, v1
	s_cbranch_vccz .LBB111_203
.LBB111_202:
	s_endpgm
.LBB111_203:
	v_lshl_add_u32 v5, v0, 3, 0x180
	s_mov_b32 s0, exec_lo
	v_cmpx_eq_u32_e32 47, v0
	s_cbranch_execz .LBB111_205
; %bb.204:
	scratch_load_b64 v[1:2], off, off offset:368
	v_mov_b32_e32 v3, 0
	s_delay_alu instid0(VALU_DEP_1)
	v_mov_b32_e32 v4, v3
	scratch_store_b64 off, v[3:4], off offset:368
	s_waitcnt vmcnt(0)
	ds_store_b64 v5, v[1:2]
.LBB111_205:
	s_or_b32 exec_lo, exec_lo, s0
	s_waitcnt lgkmcnt(0)
	s_waitcnt_vscnt null, 0x0
	s_barrier
	buffer_gl0_inv
	scratch_load_b128 v[102:105], off, off offset:368
	v_mov_b32_e32 v1, 0
	s_mov_b32 s0, exec_lo
	ds_load_b64 v[2:3], v1 offset:760
	s_waitcnt vmcnt(0) lgkmcnt(0)
	v_fma_f64 v[2:3], v[104:105], v[2:3], 0
	s_delay_alu instid0(VALU_DEP_1)
	v_add_f64 v[2:3], v[102:103], -v[2:3]
	scratch_store_b64 off, v[2:3], off offset:368
	v_cmpx_lt_u32_e32 45, v0
	s_cbranch_execz .LBB111_207
; %bb.206:
	scratch_load_b64 v[3:4], off, off offset:360
	v_mov_b32_e32 v2, v1
	scratch_store_b64 off, v[1:2], off offset:360
	s_waitcnt vmcnt(0)
	ds_store_b64 v5, v[3:4]
.LBB111_207:
	s_or_b32 exec_lo, exec_lo, s0
	s_waitcnt lgkmcnt(0)
	s_waitcnt_vscnt null, 0x0
	s_barrier
	buffer_gl0_inv
	s_clause 0x1
	scratch_load_b128 v[102:105], off, off offset:360
	scratch_load_b64 v[106:107], off, off offset:376
	ds_load_b128 v[1:4], v1 offset:752
	s_mov_b32 s0, exec_lo
	s_waitcnt vmcnt(1) lgkmcnt(0)
	v_fma_f64 v[1:2], v[104:105], v[1:2], 0
	s_waitcnt vmcnt(0)
	s_delay_alu instid0(VALU_DEP_1) | instskip(NEXT) | instid1(VALU_DEP_1)
	v_fma_f64 v[1:2], v[106:107], v[3:4], v[1:2]
	v_add_f64 v[1:2], v[102:103], -v[1:2]
	scratch_store_b64 off, v[1:2], off offset:360
	v_cmpx_lt_u32_e32 44, v0
	s_cbranch_execz .LBB111_209
; %bb.208:
	scratch_load_b64 v[1:2], off, off offset:352
	v_mov_b32_e32 v3, 0
	s_delay_alu instid0(VALU_DEP_1)
	v_mov_b32_e32 v4, v3
	scratch_store_b64 off, v[3:4], off offset:352
	s_waitcnt vmcnt(0)
	ds_store_b64 v5, v[1:2]
.LBB111_209:
	s_or_b32 exec_lo, exec_lo, s0
	s_waitcnt lgkmcnt(0)
	s_waitcnt_vscnt null, 0x0
	s_barrier
	buffer_gl0_inv
	s_clause 0x1
	scratch_load_b128 v[102:105], off, off offset:352
	scratch_load_b128 v[106:109], off, off offset:368
	v_mov_b32_e32 v1, 0
	ds_load_2addr_b64 v[110:113], v1 offset0:93 offset1:94
	ds_load_b64 v[2:3], v1 offset:760
	s_mov_b32 s0, exec_lo
	s_waitcnt vmcnt(1) lgkmcnt(1)
	v_fma_f64 v[104:105], v[104:105], v[110:111], 0
	s_waitcnt vmcnt(0)
	s_delay_alu instid0(VALU_DEP_1) | instskip(SKIP_1) | instid1(VALU_DEP_1)
	v_fma_f64 v[104:105], v[106:107], v[112:113], v[104:105]
	s_waitcnt lgkmcnt(0)
	v_fma_f64 v[2:3], v[108:109], v[2:3], v[104:105]
	s_delay_alu instid0(VALU_DEP_1)
	v_add_f64 v[2:3], v[102:103], -v[2:3]
	scratch_store_b64 off, v[2:3], off offset:352
	v_cmpx_lt_u32_e32 43, v0
	s_cbranch_execz .LBB111_211
; %bb.210:
	scratch_load_b64 v[3:4], off, off offset:344
	v_mov_b32_e32 v2, v1
	scratch_store_b64 off, v[1:2], off offset:344
	s_waitcnt vmcnt(0)
	ds_store_b64 v5, v[3:4]
.LBB111_211:
	s_or_b32 exec_lo, exec_lo, s0
	s_waitcnt lgkmcnt(0)
	s_waitcnt_vscnt null, 0x0
	s_barrier
	buffer_gl0_inv
	s_clause 0x2
	scratch_load_b128 v[102:105], off, off offset:344
	scratch_load_b128 v[106:109], off, off offset:360
	scratch_load_b64 v[114:115], off, off offset:376
	ds_load_b128 v[110:113], v1 offset:736
	ds_load_b128 v[1:4], v1 offset:752
	s_mov_b32 s0, exec_lo
	s_waitcnt vmcnt(2) lgkmcnt(1)
	v_fma_f64 v[104:105], v[104:105], v[110:111], 0
	s_waitcnt vmcnt(1)
	s_delay_alu instid0(VALU_DEP_1) | instskip(SKIP_1) | instid1(VALU_DEP_1)
	v_fma_f64 v[104:105], v[106:107], v[112:113], v[104:105]
	s_waitcnt lgkmcnt(0)
	v_fma_f64 v[1:2], v[108:109], v[1:2], v[104:105]
	s_waitcnt vmcnt(0)
	s_delay_alu instid0(VALU_DEP_1) | instskip(NEXT) | instid1(VALU_DEP_1)
	v_fma_f64 v[1:2], v[114:115], v[3:4], v[1:2]
	v_add_f64 v[1:2], v[102:103], -v[1:2]
	scratch_store_b64 off, v[1:2], off offset:344
	v_cmpx_lt_u32_e32 42, v0
	s_cbranch_execz .LBB111_213
; %bb.212:
	scratch_load_b64 v[1:2], off, off offset:336
	v_mov_b32_e32 v3, 0
	s_delay_alu instid0(VALU_DEP_1)
	v_mov_b32_e32 v4, v3
	scratch_store_b64 off, v[3:4], off offset:336
	s_waitcnt vmcnt(0)
	ds_store_b64 v5, v[1:2]
.LBB111_213:
	s_or_b32 exec_lo, exec_lo, s0
	s_waitcnt lgkmcnt(0)
	s_waitcnt_vscnt null, 0x0
	s_barrier
	buffer_gl0_inv
	s_clause 0x2
	scratch_load_b128 v[102:105], off, off offset:336
	scratch_load_b128 v[106:109], off, off offset:352
	;; [unrolled: 1-line block ×3, first 2 shown]
	v_mov_b32_e32 v1, 0
	s_mov_b32 s0, exec_lo
	ds_load_2addr_b64 v[114:117], v1 offset0:91 offset1:92
	s_waitcnt vmcnt(2) lgkmcnt(0)
	v_fma_f64 v[2:3], v[104:105], v[114:115], 0
	s_waitcnt vmcnt(1)
	s_delay_alu instid0(VALU_DEP_1)
	v_fma_f64 v[2:3], v[106:107], v[116:117], v[2:3]
	ds_load_2addr_b64 v[104:107], v1 offset0:93 offset1:94
	s_waitcnt lgkmcnt(0)
	v_fma_f64 v[2:3], v[108:109], v[104:105], v[2:3]
	ds_load_b64 v[104:105], v1 offset:760
	s_waitcnt vmcnt(0)
	v_fma_f64 v[2:3], v[110:111], v[106:107], v[2:3]
	s_waitcnt lgkmcnt(0)
	s_delay_alu instid0(VALU_DEP_1) | instskip(NEXT) | instid1(VALU_DEP_1)
	v_fma_f64 v[2:3], v[112:113], v[104:105], v[2:3]
	v_add_f64 v[2:3], v[102:103], -v[2:3]
	scratch_store_b64 off, v[2:3], off offset:336
	v_cmpx_lt_u32_e32 41, v0
	s_cbranch_execz .LBB111_215
; %bb.214:
	scratch_load_b64 v[3:4], off, off offset:328
	v_mov_b32_e32 v2, v1
	scratch_store_b64 off, v[1:2], off offset:328
	s_waitcnt vmcnt(0)
	ds_store_b64 v5, v[3:4]
.LBB111_215:
	s_or_b32 exec_lo, exec_lo, s0
	s_waitcnt lgkmcnt(0)
	s_waitcnt_vscnt null, 0x0
	s_barrier
	buffer_gl0_inv
	s_clause 0x3
	scratch_load_b128 v[102:105], off, off offset:328
	scratch_load_b128 v[106:109], off, off offset:344
	;; [unrolled: 1-line block ×3, first 2 shown]
	scratch_load_b64 v[118:119], off, off offset:376
	ds_load_b128 v[114:117], v1 offset:720
	s_mov_b32 s0, exec_lo
	s_waitcnt vmcnt(3) lgkmcnt(0)
	v_fma_f64 v[2:3], v[104:105], v[114:115], 0
	s_waitcnt vmcnt(2)
	s_delay_alu instid0(VALU_DEP_1) | instskip(SKIP_4) | instid1(VALU_DEP_1)
	v_fma_f64 v[2:3], v[106:107], v[116:117], v[2:3]
	ds_load_b128 v[104:107], v1 offset:736
	s_waitcnt lgkmcnt(0)
	v_fma_f64 v[2:3], v[108:109], v[104:105], v[2:3]
	s_waitcnt vmcnt(1)
	v_fma_f64 v[104:105], v[110:111], v[106:107], v[2:3]
	ds_load_b128 v[1:4], v1 offset:752
	s_waitcnt lgkmcnt(0)
	v_fma_f64 v[1:2], v[112:113], v[1:2], v[104:105]
	s_waitcnt vmcnt(0)
	s_delay_alu instid0(VALU_DEP_1) | instskip(NEXT) | instid1(VALU_DEP_1)
	v_fma_f64 v[1:2], v[118:119], v[3:4], v[1:2]
	v_add_f64 v[1:2], v[102:103], -v[1:2]
	scratch_store_b64 off, v[1:2], off offset:328
	v_cmpx_lt_u32_e32 40, v0
	s_cbranch_execz .LBB111_217
; %bb.216:
	scratch_load_b64 v[1:2], off, off offset:320
	v_mov_b32_e32 v3, 0
	s_delay_alu instid0(VALU_DEP_1)
	v_mov_b32_e32 v4, v3
	scratch_store_b64 off, v[3:4], off offset:320
	s_waitcnt vmcnt(0)
	ds_store_b64 v5, v[1:2]
.LBB111_217:
	s_or_b32 exec_lo, exec_lo, s0
	s_waitcnt lgkmcnt(0)
	s_waitcnt_vscnt null, 0x0
	s_barrier
	buffer_gl0_inv
	s_clause 0x3
	scratch_load_b128 v[102:105], off, off offset:320
	scratch_load_b128 v[106:109], off, off offset:336
	;; [unrolled: 1-line block ×4, first 2 shown]
	v_mov_b32_e32 v1, 0
	s_mov_b32 s0, exec_lo
	ds_load_2addr_b64 v[118:121], v1 offset0:89 offset1:90
	s_waitcnt vmcnt(3) lgkmcnt(0)
	v_fma_f64 v[2:3], v[104:105], v[118:119], 0
	s_waitcnt vmcnt(2)
	s_delay_alu instid0(VALU_DEP_1) | instskip(SKIP_4) | instid1(VALU_DEP_1)
	v_fma_f64 v[2:3], v[106:107], v[120:121], v[2:3]
	ds_load_2addr_b64 v[104:107], v1 offset0:91 offset1:92
	s_waitcnt lgkmcnt(0)
	v_fma_f64 v[2:3], v[108:109], v[104:105], v[2:3]
	s_waitcnt vmcnt(1)
	v_fma_f64 v[2:3], v[110:111], v[106:107], v[2:3]
	ds_load_2addr_b64 v[104:107], v1 offset0:93 offset1:94
	s_waitcnt lgkmcnt(0)
	v_fma_f64 v[2:3], v[112:113], v[104:105], v[2:3]
	ds_load_b64 v[104:105], v1 offset:760
	s_waitcnt vmcnt(0)
	v_fma_f64 v[2:3], v[114:115], v[106:107], v[2:3]
	s_waitcnt lgkmcnt(0)
	s_delay_alu instid0(VALU_DEP_1) | instskip(NEXT) | instid1(VALU_DEP_1)
	v_fma_f64 v[2:3], v[116:117], v[104:105], v[2:3]
	v_add_f64 v[2:3], v[102:103], -v[2:3]
	scratch_store_b64 off, v[2:3], off offset:320
	v_cmpx_lt_u32_e32 39, v0
	s_cbranch_execz .LBB111_219
; %bb.218:
	scratch_load_b64 v[3:4], off, off offset:312
	v_mov_b32_e32 v2, v1
	scratch_store_b64 off, v[1:2], off offset:312
	s_waitcnt vmcnt(0)
	ds_store_b64 v5, v[3:4]
.LBB111_219:
	s_or_b32 exec_lo, exec_lo, s0
	s_waitcnt lgkmcnt(0)
	s_waitcnt_vscnt null, 0x0
	s_barrier
	buffer_gl0_inv
	s_clause 0x4
	scratch_load_b128 v[102:105], off, off offset:312
	scratch_load_b128 v[106:109], off, off offset:328
	;; [unrolled: 1-line block ×4, first 2 shown]
	scratch_load_b64 v[126:127], off, off offset:376
	ds_load_b128 v[118:121], v1 offset:704
	ds_load_b128 v[122:125], v1 offset:720
	s_mov_b32 s0, exec_lo
	s_waitcnt vmcnt(4) lgkmcnt(1)
	v_fma_f64 v[2:3], v[104:105], v[118:119], 0
	s_waitcnt vmcnt(3)
	s_delay_alu instid0(VALU_DEP_1) | instskip(SKIP_1) | instid1(VALU_DEP_1)
	v_fma_f64 v[2:3], v[106:107], v[120:121], v[2:3]
	s_waitcnt lgkmcnt(0)
	v_fma_f64 v[2:3], v[108:109], v[122:123], v[2:3]
	s_waitcnt vmcnt(2)
	s_delay_alu instid0(VALU_DEP_1)
	v_fma_f64 v[108:109], v[110:111], v[124:125], v[2:3]
	ds_load_b128 v[104:107], v1 offset:736
	ds_load_b128 v[1:4], v1 offset:752
	s_waitcnt lgkmcnt(1)
	v_fma_f64 v[104:105], v[112:113], v[104:105], v[108:109]
	s_waitcnt vmcnt(1)
	s_delay_alu instid0(VALU_DEP_1) | instskip(SKIP_1) | instid1(VALU_DEP_1)
	v_fma_f64 v[104:105], v[114:115], v[106:107], v[104:105]
	s_waitcnt lgkmcnt(0)
	v_fma_f64 v[1:2], v[116:117], v[1:2], v[104:105]
	s_waitcnt vmcnt(0)
	s_delay_alu instid0(VALU_DEP_1) | instskip(NEXT) | instid1(VALU_DEP_1)
	v_fma_f64 v[1:2], v[126:127], v[3:4], v[1:2]
	v_add_f64 v[1:2], v[102:103], -v[1:2]
	scratch_store_b64 off, v[1:2], off offset:312
	v_cmpx_lt_u32_e32 38, v0
	s_cbranch_execz .LBB111_221
; %bb.220:
	scratch_load_b64 v[1:2], off, off offset:304
	v_mov_b32_e32 v3, 0
	s_delay_alu instid0(VALU_DEP_1)
	v_mov_b32_e32 v4, v3
	scratch_store_b64 off, v[3:4], off offset:304
	s_waitcnt vmcnt(0)
	ds_store_b64 v5, v[1:2]
.LBB111_221:
	s_or_b32 exec_lo, exec_lo, s0
	s_waitcnt lgkmcnt(0)
	s_waitcnt_vscnt null, 0x0
	s_barrier
	buffer_gl0_inv
	s_clause 0x4
	scratch_load_b128 v[102:105], off, off offset:304
	scratch_load_b128 v[106:109], off, off offset:320
	;; [unrolled: 1-line block ×5, first 2 shown]
	v_mov_b32_e32 v1, 0
	ds_load_2addr_b64 v[122:125], v1 offset0:87 offset1:88
	ds_load_2addr_b64 v[126:129], v1 offset0:89 offset1:90
	s_mov_b32 s0, exec_lo
	s_waitcnt vmcnt(4) lgkmcnt(1)
	v_fma_f64 v[2:3], v[104:105], v[122:123], 0
	s_waitcnt vmcnt(3)
	s_delay_alu instid0(VALU_DEP_1) | instskip(SKIP_1) | instid1(VALU_DEP_1)
	v_fma_f64 v[2:3], v[106:107], v[124:125], v[2:3]
	s_waitcnt lgkmcnt(0)
	v_fma_f64 v[2:3], v[108:109], v[126:127], v[2:3]
	s_waitcnt vmcnt(2)
	s_delay_alu instid0(VALU_DEP_1)
	v_fma_f64 v[2:3], v[110:111], v[128:129], v[2:3]
	ds_load_2addr_b64 v[104:107], v1 offset0:91 offset1:92
	ds_load_2addr_b64 v[108:111], v1 offset0:93 offset1:94
	s_waitcnt lgkmcnt(1)
	v_fma_f64 v[2:3], v[112:113], v[104:105], v[2:3]
	ds_load_b64 v[104:105], v1 offset:760
	s_waitcnt vmcnt(1)
	v_fma_f64 v[2:3], v[114:115], v[106:107], v[2:3]
	s_waitcnt lgkmcnt(1)
	s_delay_alu instid0(VALU_DEP_1) | instskip(SKIP_1) | instid1(VALU_DEP_1)
	v_fma_f64 v[2:3], v[116:117], v[108:109], v[2:3]
	s_waitcnt vmcnt(0)
	v_fma_f64 v[2:3], v[118:119], v[110:111], v[2:3]
	s_waitcnt lgkmcnt(0)
	s_delay_alu instid0(VALU_DEP_1) | instskip(NEXT) | instid1(VALU_DEP_1)
	v_fma_f64 v[2:3], v[120:121], v[104:105], v[2:3]
	v_add_f64 v[2:3], v[102:103], -v[2:3]
	scratch_store_b64 off, v[2:3], off offset:304
	v_cmpx_lt_u32_e32 37, v0
	s_cbranch_execz .LBB111_223
; %bb.222:
	scratch_load_b64 v[3:4], off, off offset:296
	v_mov_b32_e32 v2, v1
	scratch_store_b64 off, v[1:2], off offset:296
	s_waitcnt vmcnt(0)
	ds_store_b64 v5, v[3:4]
.LBB111_223:
	s_or_b32 exec_lo, exec_lo, s0
	s_waitcnt lgkmcnt(0)
	s_waitcnt_vscnt null, 0x0
	s_barrier
	buffer_gl0_inv
	s_clause 0x4
	scratch_load_b128 v[102:105], off, off offset:296
	scratch_load_b128 v[106:109], off, off offset:312
	;; [unrolled: 1-line block ×5, first 2 shown]
	ds_load_b128 v[122:125], v1 offset:688
	ds_load_b128 v[126:129], v1 offset:704
	s_mov_b32 s0, exec_lo
	s_waitcnt vmcnt(4) lgkmcnt(1)
	v_fma_f64 v[2:3], v[104:105], v[122:123], 0
	scratch_load_b64 v[122:123], off, off offset:376
	s_waitcnt vmcnt(4)
	v_fma_f64 v[2:3], v[106:107], v[124:125], v[2:3]
	s_waitcnt lgkmcnt(0)
	s_delay_alu instid0(VALU_DEP_1) | instskip(SKIP_1) | instid1(VALU_DEP_1)
	v_fma_f64 v[2:3], v[108:109], v[126:127], v[2:3]
	s_waitcnt vmcnt(3)
	v_fma_f64 v[2:3], v[110:111], v[128:129], v[2:3]
	ds_load_b128 v[104:107], v1 offset:720
	ds_load_b128 v[108:111], v1 offset:736
	s_waitcnt lgkmcnt(1)
	v_fma_f64 v[2:3], v[112:113], v[104:105], v[2:3]
	s_waitcnt vmcnt(2)
	s_delay_alu instid0(VALU_DEP_1) | instskip(SKIP_1) | instid1(VALU_DEP_1)
	v_fma_f64 v[2:3], v[114:115], v[106:107], v[2:3]
	s_waitcnt lgkmcnt(0)
	v_fma_f64 v[2:3], v[116:117], v[108:109], v[2:3]
	s_waitcnt vmcnt(1)
	s_delay_alu instid0(VALU_DEP_1) | instskip(SKIP_4) | instid1(VALU_DEP_1)
	v_fma_f64 v[104:105], v[118:119], v[110:111], v[2:3]
	ds_load_b128 v[1:4], v1 offset:752
	s_waitcnt lgkmcnt(0)
	v_fma_f64 v[1:2], v[120:121], v[1:2], v[104:105]
	s_waitcnt vmcnt(0)
	v_fma_f64 v[1:2], v[122:123], v[3:4], v[1:2]
	s_delay_alu instid0(VALU_DEP_1)
	v_add_f64 v[1:2], v[102:103], -v[1:2]
	scratch_store_b64 off, v[1:2], off offset:296
	v_cmpx_lt_u32_e32 36, v0
	s_cbranch_execz .LBB111_225
; %bb.224:
	scratch_load_b64 v[1:2], off, off offset:288
	v_mov_b32_e32 v3, 0
	s_delay_alu instid0(VALU_DEP_1)
	v_mov_b32_e32 v4, v3
	scratch_store_b64 off, v[3:4], off offset:288
	s_waitcnt vmcnt(0)
	ds_store_b64 v5, v[1:2]
.LBB111_225:
	s_or_b32 exec_lo, exec_lo, s0
	s_waitcnt lgkmcnt(0)
	s_waitcnt_vscnt null, 0x0
	s_barrier
	buffer_gl0_inv
	s_clause 0x4
	scratch_load_b128 v[102:105], off, off offset:288
	scratch_load_b128 v[106:109], off, off offset:304
	;; [unrolled: 1-line block ×5, first 2 shown]
	v_mov_b32_e32 v1, 0
	ds_load_2addr_b64 v[122:125], v1 offset0:85 offset1:86
	ds_load_2addr_b64 v[126:129], v1 offset0:87 offset1:88
	scratch_load_b128 v[130:133], off, off offset:368
	s_mov_b32 s0, exec_lo
	s_waitcnt vmcnt(5) lgkmcnt(1)
	v_fma_f64 v[2:3], v[104:105], v[122:123], 0
	s_waitcnt vmcnt(4)
	s_delay_alu instid0(VALU_DEP_1) | instskip(SKIP_1) | instid1(VALU_DEP_1)
	v_fma_f64 v[2:3], v[106:107], v[124:125], v[2:3]
	s_waitcnt lgkmcnt(0)
	v_fma_f64 v[2:3], v[108:109], v[126:127], v[2:3]
	s_waitcnt vmcnt(3)
	s_delay_alu instid0(VALU_DEP_1)
	v_fma_f64 v[2:3], v[110:111], v[128:129], v[2:3]
	ds_load_2addr_b64 v[104:107], v1 offset0:89 offset1:90
	ds_load_2addr_b64 v[108:111], v1 offset0:91 offset1:92
	s_waitcnt lgkmcnt(1)
	v_fma_f64 v[2:3], v[112:113], v[104:105], v[2:3]
	s_waitcnt vmcnt(2)
	s_delay_alu instid0(VALU_DEP_1) | instskip(SKIP_1) | instid1(VALU_DEP_1)
	v_fma_f64 v[2:3], v[114:115], v[106:107], v[2:3]
	s_waitcnt lgkmcnt(0)
	v_fma_f64 v[2:3], v[116:117], v[108:109], v[2:3]
	ds_load_2addr_b64 v[104:107], v1 offset0:93 offset1:94
	ds_load_b64 v[108:109], v1 offset:760
	s_waitcnt vmcnt(1)
	v_fma_f64 v[2:3], v[118:119], v[110:111], v[2:3]
	s_waitcnt lgkmcnt(1)
	s_delay_alu instid0(VALU_DEP_1) | instskip(SKIP_1) | instid1(VALU_DEP_1)
	v_fma_f64 v[2:3], v[120:121], v[104:105], v[2:3]
	s_waitcnt vmcnt(0)
	v_fma_f64 v[2:3], v[130:131], v[106:107], v[2:3]
	s_waitcnt lgkmcnt(0)
	s_delay_alu instid0(VALU_DEP_1) | instskip(NEXT) | instid1(VALU_DEP_1)
	v_fma_f64 v[2:3], v[132:133], v[108:109], v[2:3]
	v_add_f64 v[2:3], v[102:103], -v[2:3]
	scratch_store_b64 off, v[2:3], off offset:288
	v_cmpx_lt_u32_e32 35, v0
	s_cbranch_execz .LBB111_227
; %bb.226:
	scratch_load_b64 v[3:4], off, off offset:280
	v_mov_b32_e32 v2, v1
	scratch_store_b64 off, v[1:2], off offset:280
	s_waitcnt vmcnt(0)
	ds_store_b64 v5, v[3:4]
.LBB111_227:
	s_or_b32 exec_lo, exec_lo, s0
	s_waitcnt lgkmcnt(0)
	s_waitcnt_vscnt null, 0x0
	s_barrier
	buffer_gl0_inv
	s_clause 0x4
	scratch_load_b128 v[102:105], off, off offset:280
	scratch_load_b128 v[106:109], off, off offset:296
	;; [unrolled: 1-line block ×5, first 2 shown]
	ds_load_b128 v[122:125], v1 offset:672
	ds_load_b128 v[126:129], v1 offset:688
	scratch_load_b128 v[130:133], off, off offset:360
	s_mov_b32 s0, exec_lo
	s_waitcnt vmcnt(5) lgkmcnt(1)
	v_fma_f64 v[2:3], v[104:105], v[122:123], 0
	scratch_load_b64 v[122:123], off, off offset:376
	s_waitcnt vmcnt(5)
	v_fma_f64 v[2:3], v[106:107], v[124:125], v[2:3]
	s_waitcnt lgkmcnt(0)
	s_delay_alu instid0(VALU_DEP_1) | instskip(SKIP_1) | instid1(VALU_DEP_1)
	v_fma_f64 v[2:3], v[108:109], v[126:127], v[2:3]
	s_waitcnt vmcnt(4)
	v_fma_f64 v[2:3], v[110:111], v[128:129], v[2:3]
	ds_load_b128 v[104:107], v1 offset:704
	ds_load_b128 v[108:111], v1 offset:720
	s_waitcnt lgkmcnt(1)
	v_fma_f64 v[2:3], v[112:113], v[104:105], v[2:3]
	s_waitcnt vmcnt(3)
	s_delay_alu instid0(VALU_DEP_1) | instskip(SKIP_1) | instid1(VALU_DEP_1)
	v_fma_f64 v[2:3], v[114:115], v[106:107], v[2:3]
	s_waitcnt lgkmcnt(0)
	v_fma_f64 v[2:3], v[116:117], v[108:109], v[2:3]
	s_waitcnt vmcnt(2)
	s_delay_alu instid0(VALU_DEP_1)
	v_fma_f64 v[108:109], v[118:119], v[110:111], v[2:3]
	ds_load_b128 v[104:107], v1 offset:736
	ds_load_b128 v[1:4], v1 offset:752
	s_waitcnt lgkmcnt(1)
	v_fma_f64 v[104:105], v[120:121], v[104:105], v[108:109]
	s_waitcnt vmcnt(1)
	s_delay_alu instid0(VALU_DEP_1) | instskip(SKIP_1) | instid1(VALU_DEP_1)
	v_fma_f64 v[104:105], v[130:131], v[106:107], v[104:105]
	s_waitcnt lgkmcnt(0)
	v_fma_f64 v[1:2], v[132:133], v[1:2], v[104:105]
	s_waitcnt vmcnt(0)
	s_delay_alu instid0(VALU_DEP_1) | instskip(NEXT) | instid1(VALU_DEP_1)
	v_fma_f64 v[1:2], v[122:123], v[3:4], v[1:2]
	v_add_f64 v[1:2], v[102:103], -v[1:2]
	scratch_store_b64 off, v[1:2], off offset:280
	v_cmpx_lt_u32_e32 34, v0
	s_cbranch_execz .LBB111_229
; %bb.228:
	scratch_load_b64 v[1:2], off, off offset:272
	v_mov_b32_e32 v3, 0
	s_delay_alu instid0(VALU_DEP_1)
	v_mov_b32_e32 v4, v3
	scratch_store_b64 off, v[3:4], off offset:272
	s_waitcnt vmcnt(0)
	ds_store_b64 v5, v[1:2]
.LBB111_229:
	s_or_b32 exec_lo, exec_lo, s0
	s_waitcnt lgkmcnt(0)
	s_waitcnt_vscnt null, 0x0
	s_barrier
	buffer_gl0_inv
	s_clause 0x4
	scratch_load_b128 v[102:105], off, off offset:272
	scratch_load_b128 v[106:109], off, off offset:288
	;; [unrolled: 1-line block ×5, first 2 shown]
	v_mov_b32_e32 v1, 0
	ds_load_2addr_b64 v[122:125], v1 offset0:83 offset1:84
	ds_load_2addr_b64 v[126:129], v1 offset0:85 offset1:86
	scratch_load_b128 v[130:133], off, off offset:352
	s_mov_b32 s0, exec_lo
	s_waitcnt vmcnt(5) lgkmcnt(1)
	v_fma_f64 v[2:3], v[104:105], v[122:123], 0
	s_waitcnt vmcnt(4)
	s_delay_alu instid0(VALU_DEP_1) | instskip(SKIP_4) | instid1(VALU_DEP_1)
	v_fma_f64 v[2:3], v[106:107], v[124:125], v[2:3]
	scratch_load_b128 v[104:107], off, off offset:368
	s_waitcnt lgkmcnt(0)
	v_fma_f64 v[2:3], v[108:109], v[126:127], v[2:3]
	s_waitcnt vmcnt(4)
	v_fma_f64 v[2:3], v[110:111], v[128:129], v[2:3]
	ds_load_2addr_b64 v[108:111], v1 offset0:87 offset1:88
	ds_load_2addr_b64 v[122:125], v1 offset0:89 offset1:90
	s_waitcnt lgkmcnt(1)
	v_fma_f64 v[2:3], v[112:113], v[108:109], v[2:3]
	s_waitcnt vmcnt(3)
	s_delay_alu instid0(VALU_DEP_1)
	v_fma_f64 v[2:3], v[114:115], v[110:111], v[2:3]
	ds_load_2addr_b64 v[108:111], v1 offset0:91 offset1:92
	ds_load_2addr_b64 v[112:115], v1 offset0:93 offset1:94
	s_waitcnt lgkmcnt(2)
	v_fma_f64 v[2:3], v[116:117], v[122:123], v[2:3]
	s_waitcnt vmcnt(2)
	s_delay_alu instid0(VALU_DEP_1) | instskip(SKIP_1) | instid1(VALU_DEP_1)
	v_fma_f64 v[2:3], v[118:119], v[124:125], v[2:3]
	s_waitcnt lgkmcnt(1)
	v_fma_f64 v[2:3], v[120:121], v[108:109], v[2:3]
	s_waitcnt vmcnt(1)
	s_delay_alu instid0(VALU_DEP_1) | instskip(SKIP_1) | instid1(VALU_DEP_1)
	v_fma_f64 v[2:3], v[130:131], v[110:111], v[2:3]
	s_waitcnt lgkmcnt(0)
	v_fma_f64 v[2:3], v[132:133], v[112:113], v[2:3]
	s_waitcnt vmcnt(0)
	s_delay_alu instid0(VALU_DEP_1) | instskip(SKIP_3) | instid1(VALU_DEP_1)
	v_fma_f64 v[2:3], v[104:105], v[114:115], v[2:3]
	ds_load_b64 v[104:105], v1 offset:760
	s_waitcnt lgkmcnt(0)
	v_fma_f64 v[2:3], v[106:107], v[104:105], v[2:3]
	v_add_f64 v[2:3], v[102:103], -v[2:3]
	scratch_store_b64 off, v[2:3], off offset:272
	v_cmpx_lt_u32_e32 33, v0
	s_cbranch_execz .LBB111_231
; %bb.230:
	scratch_load_b64 v[3:4], off, off offset:264
	v_mov_b32_e32 v2, v1
	scratch_store_b64 off, v[1:2], off offset:264
	s_waitcnt vmcnt(0)
	ds_store_b64 v5, v[3:4]
.LBB111_231:
	s_or_b32 exec_lo, exec_lo, s0
	s_waitcnt lgkmcnt(0)
	s_waitcnt_vscnt null, 0x0
	s_barrier
	buffer_gl0_inv
	s_clause 0x4
	scratch_load_b128 v[102:105], off, off offset:264
	scratch_load_b128 v[106:109], off, off offset:280
	;; [unrolled: 1-line block ×5, first 2 shown]
	ds_load_b128 v[122:125], v1 offset:656
	ds_load_b128 v[126:129], v1 offset:672
	scratch_load_b128 v[130:133], off, off offset:344
	s_mov_b32 s0, exec_lo
	s_waitcnt vmcnt(5) lgkmcnt(1)
	v_fma_f64 v[2:3], v[104:105], v[122:123], 0
	s_waitcnt vmcnt(4)
	s_delay_alu instid0(VALU_DEP_1) | instskip(SKIP_4) | instid1(VALU_DEP_1)
	v_fma_f64 v[2:3], v[106:107], v[124:125], v[2:3]
	scratch_load_b128 v[104:107], off, off offset:360
	s_waitcnt lgkmcnt(0)
	v_fma_f64 v[2:3], v[108:109], v[126:127], v[2:3]
	s_waitcnt vmcnt(4)
	v_fma_f64 v[2:3], v[110:111], v[128:129], v[2:3]
	ds_load_b128 v[108:111], v1 offset:688
	ds_load_b128 v[122:125], v1 offset:704
	scratch_load_b64 v[126:127], off, off offset:376
	s_waitcnt lgkmcnt(1)
	v_fma_f64 v[2:3], v[112:113], v[108:109], v[2:3]
	s_waitcnt vmcnt(4)
	s_delay_alu instid0(VALU_DEP_1)
	v_fma_f64 v[2:3], v[114:115], v[110:111], v[2:3]
	ds_load_b128 v[108:111], v1 offset:720
	ds_load_b128 v[112:115], v1 offset:736
	s_waitcnt lgkmcnt(2)
	v_fma_f64 v[2:3], v[116:117], v[122:123], v[2:3]
	s_waitcnt vmcnt(3)
	s_delay_alu instid0(VALU_DEP_1) | instskip(SKIP_1) | instid1(VALU_DEP_1)
	v_fma_f64 v[2:3], v[118:119], v[124:125], v[2:3]
	s_waitcnt lgkmcnt(1)
	v_fma_f64 v[2:3], v[120:121], v[108:109], v[2:3]
	s_waitcnt vmcnt(2)
	s_delay_alu instid0(VALU_DEP_1) | instskip(SKIP_1) | instid1(VALU_DEP_1)
	v_fma_f64 v[2:3], v[130:131], v[110:111], v[2:3]
	s_waitcnt lgkmcnt(0)
	v_fma_f64 v[2:3], v[132:133], v[112:113], v[2:3]
	s_waitcnt vmcnt(1)
	s_delay_alu instid0(VALU_DEP_1) | instskip(SKIP_4) | instid1(VALU_DEP_1)
	v_fma_f64 v[104:105], v[104:105], v[114:115], v[2:3]
	ds_load_b128 v[1:4], v1 offset:752
	s_waitcnt lgkmcnt(0)
	v_fma_f64 v[1:2], v[106:107], v[1:2], v[104:105]
	s_waitcnt vmcnt(0)
	v_fma_f64 v[1:2], v[126:127], v[3:4], v[1:2]
	s_delay_alu instid0(VALU_DEP_1)
	v_add_f64 v[1:2], v[102:103], -v[1:2]
	scratch_store_b64 off, v[1:2], off offset:264
	v_cmpx_lt_u32_e32 32, v0
	s_cbranch_execz .LBB111_233
; %bb.232:
	scratch_load_b64 v[1:2], off, off offset:256
	v_mov_b32_e32 v3, 0
	s_delay_alu instid0(VALU_DEP_1)
	v_mov_b32_e32 v4, v3
	scratch_store_b64 off, v[3:4], off offset:256
	s_waitcnt vmcnt(0)
	ds_store_b64 v5, v[1:2]
.LBB111_233:
	s_or_b32 exec_lo, exec_lo, s0
	s_waitcnt lgkmcnt(0)
	s_waitcnt_vscnt null, 0x0
	s_barrier
	buffer_gl0_inv
	s_clause 0x4
	scratch_load_b128 v[102:105], off, off offset:256
	scratch_load_b128 v[106:109], off, off offset:272
	scratch_load_b128 v[110:113], off, off offset:288
	scratch_load_b128 v[114:117], off, off offset:304
	scratch_load_b128 v[118:121], off, off offset:320
	v_mov_b32_e32 v1, 0
	ds_load_2addr_b64 v[122:125], v1 offset0:81 offset1:82
	ds_load_2addr_b64 v[126:129], v1 offset0:83 offset1:84
	scratch_load_b128 v[130:133], off, off offset:336
	s_mov_b32 s0, exec_lo
	s_waitcnt vmcnt(5) lgkmcnt(1)
	v_fma_f64 v[2:3], v[104:105], v[122:123], 0
	s_waitcnt vmcnt(4)
	s_delay_alu instid0(VALU_DEP_1) | instskip(SKIP_4) | instid1(VALU_DEP_1)
	v_fma_f64 v[2:3], v[106:107], v[124:125], v[2:3]
	scratch_load_b128 v[104:107], off, off offset:352
	s_waitcnt lgkmcnt(0)
	v_fma_f64 v[2:3], v[108:109], v[126:127], v[2:3]
	s_waitcnt vmcnt(4)
	v_fma_f64 v[2:3], v[110:111], v[128:129], v[2:3]
	ds_load_2addr_b64 v[108:111], v1 offset0:85 offset1:86
	ds_load_2addr_b64 v[122:125], v1 offset0:87 offset1:88
	scratch_load_b128 v[126:129], off, off offset:368
	s_waitcnt lgkmcnt(1)
	v_fma_f64 v[2:3], v[112:113], v[108:109], v[2:3]
	s_waitcnt vmcnt(4)
	s_delay_alu instid0(VALU_DEP_1)
	v_fma_f64 v[2:3], v[114:115], v[110:111], v[2:3]
	ds_load_2addr_b64 v[108:111], v1 offset0:89 offset1:90
	ds_load_2addr_b64 v[112:115], v1 offset0:91 offset1:92
	s_waitcnt lgkmcnt(2)
	v_fma_f64 v[2:3], v[116:117], v[122:123], v[2:3]
	s_waitcnt vmcnt(3)
	s_delay_alu instid0(VALU_DEP_1) | instskip(SKIP_1) | instid1(VALU_DEP_1)
	v_fma_f64 v[2:3], v[118:119], v[124:125], v[2:3]
	s_waitcnt lgkmcnt(1)
	v_fma_f64 v[2:3], v[120:121], v[108:109], v[2:3]
	s_waitcnt vmcnt(2)
	s_delay_alu instid0(VALU_DEP_1) | instskip(SKIP_1) | instid1(VALU_DEP_1)
	v_fma_f64 v[2:3], v[130:131], v[110:111], v[2:3]
	s_waitcnt lgkmcnt(0)
	v_fma_f64 v[2:3], v[132:133], v[112:113], v[2:3]
	s_waitcnt vmcnt(1)
	s_delay_alu instid0(VALU_DEP_1)
	v_fma_f64 v[2:3], v[104:105], v[114:115], v[2:3]
	ds_load_2addr_b64 v[108:111], v1 offset0:93 offset1:94
	ds_load_b64 v[104:105], v1 offset:760
	s_waitcnt lgkmcnt(1)
	v_fma_f64 v[2:3], v[106:107], v[108:109], v[2:3]
	s_waitcnt vmcnt(0)
	s_delay_alu instid0(VALU_DEP_1) | instskip(SKIP_1) | instid1(VALU_DEP_1)
	v_fma_f64 v[2:3], v[126:127], v[110:111], v[2:3]
	s_waitcnt lgkmcnt(0)
	v_fma_f64 v[2:3], v[128:129], v[104:105], v[2:3]
	s_delay_alu instid0(VALU_DEP_1)
	v_add_f64 v[2:3], v[102:103], -v[2:3]
	scratch_store_b64 off, v[2:3], off offset:256
	v_cmpx_lt_u32_e32 31, v0
	s_cbranch_execz .LBB111_235
; %bb.234:
	scratch_load_b64 v[3:4], off, off offset:248
	v_mov_b32_e32 v2, v1
	scratch_store_b64 off, v[1:2], off offset:248
	s_waitcnt vmcnt(0)
	ds_store_b64 v5, v[3:4]
.LBB111_235:
	s_or_b32 exec_lo, exec_lo, s0
	s_waitcnt lgkmcnt(0)
	s_waitcnt_vscnt null, 0x0
	s_barrier
	buffer_gl0_inv
	s_clause 0x4
	scratch_load_b128 v[102:105], off, off offset:248
	scratch_load_b128 v[106:109], off, off offset:264
	;; [unrolled: 1-line block ×5, first 2 shown]
	ds_load_b128 v[122:125], v1 offset:640
	ds_load_b128 v[126:129], v1 offset:656
	scratch_load_b128 v[130:133], off, off offset:328
	s_mov_b32 s0, exec_lo
	s_waitcnt vmcnt(5) lgkmcnt(1)
	v_fma_f64 v[2:3], v[104:105], v[122:123], 0
	s_waitcnt vmcnt(4)
	s_delay_alu instid0(VALU_DEP_1) | instskip(SKIP_4) | instid1(VALU_DEP_1)
	v_fma_f64 v[2:3], v[106:107], v[124:125], v[2:3]
	scratch_load_b128 v[104:107], off, off offset:344
	s_waitcnt lgkmcnt(0)
	v_fma_f64 v[2:3], v[108:109], v[126:127], v[2:3]
	s_waitcnt vmcnt(4)
	v_fma_f64 v[2:3], v[110:111], v[128:129], v[2:3]
	ds_load_b128 v[108:111], v1 offset:672
	ds_load_b128 v[122:125], v1 offset:688
	scratch_load_b128 v[126:129], off, off offset:360
	s_waitcnt lgkmcnt(1)
	v_fma_f64 v[2:3], v[112:113], v[108:109], v[2:3]
	s_waitcnt vmcnt(4)
	s_delay_alu instid0(VALU_DEP_1) | instskip(SKIP_1) | instid1(VALU_DEP_1)
	v_fma_f64 v[2:3], v[114:115], v[110:111], v[2:3]
	s_waitcnt lgkmcnt(0)
	v_fma_f64 v[2:3], v[116:117], v[122:123], v[2:3]
	scratch_load_b64 v[116:117], off, off offset:376
	ds_load_b128 v[108:111], v1 offset:704
	ds_load_b128 v[112:115], v1 offset:720
	s_waitcnt vmcnt(4)
	v_fma_f64 v[2:3], v[118:119], v[124:125], v[2:3]
	s_waitcnt lgkmcnt(1)
	s_delay_alu instid0(VALU_DEP_1) | instskip(SKIP_1) | instid1(VALU_DEP_1)
	v_fma_f64 v[2:3], v[120:121], v[108:109], v[2:3]
	s_waitcnt vmcnt(3)
	v_fma_f64 v[2:3], v[130:131], v[110:111], v[2:3]
	s_waitcnt lgkmcnt(0)
	s_delay_alu instid0(VALU_DEP_1) | instskip(SKIP_1) | instid1(VALU_DEP_1)
	v_fma_f64 v[2:3], v[132:133], v[112:113], v[2:3]
	s_waitcnt vmcnt(2)
	v_fma_f64 v[104:105], v[104:105], v[114:115], v[2:3]
	ds_load_b128 v[108:111], v1 offset:736
	ds_load_b128 v[1:4], v1 offset:752
	s_waitcnt lgkmcnt(1)
	v_fma_f64 v[104:105], v[106:107], v[108:109], v[104:105]
	s_waitcnt vmcnt(1)
	s_delay_alu instid0(VALU_DEP_1) | instskip(SKIP_1) | instid1(VALU_DEP_1)
	v_fma_f64 v[104:105], v[126:127], v[110:111], v[104:105]
	s_waitcnt lgkmcnt(0)
	v_fma_f64 v[1:2], v[128:129], v[1:2], v[104:105]
	s_waitcnt vmcnt(0)
	s_delay_alu instid0(VALU_DEP_1) | instskip(NEXT) | instid1(VALU_DEP_1)
	v_fma_f64 v[1:2], v[116:117], v[3:4], v[1:2]
	v_add_f64 v[1:2], v[102:103], -v[1:2]
	scratch_store_b64 off, v[1:2], off offset:248
	v_cmpx_lt_u32_e32 30, v0
	s_cbranch_execz .LBB111_237
; %bb.236:
	scratch_load_b64 v[1:2], off, off offset:240
	v_mov_b32_e32 v3, 0
	s_delay_alu instid0(VALU_DEP_1)
	v_mov_b32_e32 v4, v3
	scratch_store_b64 off, v[3:4], off offset:240
	s_waitcnt vmcnt(0)
	ds_store_b64 v5, v[1:2]
.LBB111_237:
	s_or_b32 exec_lo, exec_lo, s0
	s_waitcnt lgkmcnt(0)
	s_waitcnt_vscnt null, 0x0
	s_barrier
	buffer_gl0_inv
	s_clause 0x4
	scratch_load_b128 v[102:105], off, off offset:240
	scratch_load_b128 v[106:109], off, off offset:256
	;; [unrolled: 1-line block ×5, first 2 shown]
	v_mov_b32_e32 v1, 0
	ds_load_2addr_b64 v[122:125], v1 offset0:79 offset1:80
	ds_load_2addr_b64 v[126:129], v1 offset0:81 offset1:82
	scratch_load_b128 v[130:133], off, off offset:320
	s_mov_b32 s0, exec_lo
	s_waitcnt vmcnt(5) lgkmcnt(1)
	v_fma_f64 v[2:3], v[104:105], v[122:123], 0
	s_waitcnt vmcnt(4)
	s_delay_alu instid0(VALU_DEP_1) | instskip(SKIP_4) | instid1(VALU_DEP_1)
	v_fma_f64 v[2:3], v[106:107], v[124:125], v[2:3]
	scratch_load_b128 v[104:107], off, off offset:336
	s_waitcnt lgkmcnt(0)
	v_fma_f64 v[2:3], v[108:109], v[126:127], v[2:3]
	s_waitcnt vmcnt(4)
	v_fma_f64 v[2:3], v[110:111], v[128:129], v[2:3]
	ds_load_2addr_b64 v[108:111], v1 offset0:83 offset1:84
	ds_load_2addr_b64 v[122:125], v1 offset0:85 offset1:86
	scratch_load_b128 v[126:129], off, off offset:352
	s_waitcnt lgkmcnt(1)
	v_fma_f64 v[2:3], v[112:113], v[108:109], v[2:3]
	s_waitcnt vmcnt(4)
	s_delay_alu instid0(VALU_DEP_1) | instskip(SKIP_4) | instid1(VALU_DEP_1)
	v_fma_f64 v[2:3], v[114:115], v[110:111], v[2:3]
	scratch_load_b128 v[108:111], off, off offset:368
	s_waitcnt lgkmcnt(0)
	v_fma_f64 v[2:3], v[116:117], v[122:123], v[2:3]
	s_waitcnt vmcnt(4)
	v_fma_f64 v[2:3], v[118:119], v[124:125], v[2:3]
	ds_load_2addr_b64 v[112:115], v1 offset0:87 offset1:88
	ds_load_2addr_b64 v[116:119], v1 offset0:89 offset1:90
	s_waitcnt lgkmcnt(1)
	v_fma_f64 v[2:3], v[120:121], v[112:113], v[2:3]
	s_waitcnt vmcnt(3)
	s_delay_alu instid0(VALU_DEP_1) | instskip(SKIP_1) | instid1(VALU_DEP_1)
	v_fma_f64 v[2:3], v[130:131], v[114:115], v[2:3]
	s_waitcnt lgkmcnt(0)
	v_fma_f64 v[2:3], v[132:133], v[116:117], v[2:3]
	s_waitcnt vmcnt(2)
	s_delay_alu instid0(VALU_DEP_1)
	v_fma_f64 v[2:3], v[104:105], v[118:119], v[2:3]
	ds_load_2addr_b64 v[112:115], v1 offset0:91 offset1:92
	ds_load_2addr_b64 v[116:119], v1 offset0:93 offset1:94
	ds_load_b64 v[104:105], v1 offset:760
	s_waitcnt lgkmcnt(2)
	v_fma_f64 v[2:3], v[106:107], v[112:113], v[2:3]
	s_waitcnt vmcnt(1)
	s_delay_alu instid0(VALU_DEP_1) | instskip(SKIP_1) | instid1(VALU_DEP_1)
	v_fma_f64 v[2:3], v[126:127], v[114:115], v[2:3]
	s_waitcnt lgkmcnt(1)
	v_fma_f64 v[2:3], v[128:129], v[116:117], v[2:3]
	s_waitcnt vmcnt(0)
	s_delay_alu instid0(VALU_DEP_1) | instskip(SKIP_1) | instid1(VALU_DEP_1)
	v_fma_f64 v[2:3], v[108:109], v[118:119], v[2:3]
	s_waitcnt lgkmcnt(0)
	v_fma_f64 v[2:3], v[110:111], v[104:105], v[2:3]
	s_delay_alu instid0(VALU_DEP_1)
	v_add_f64 v[2:3], v[102:103], -v[2:3]
	scratch_store_b64 off, v[2:3], off offset:240
	v_cmpx_lt_u32_e32 29, v0
	s_cbranch_execz .LBB111_239
; %bb.238:
	scratch_load_b64 v[3:4], off, off offset:232
	v_mov_b32_e32 v2, v1
	scratch_store_b64 off, v[1:2], off offset:232
	s_waitcnt vmcnt(0)
	ds_store_b64 v5, v[3:4]
.LBB111_239:
	s_or_b32 exec_lo, exec_lo, s0
	s_waitcnt lgkmcnt(0)
	s_waitcnt_vscnt null, 0x0
	s_barrier
	buffer_gl0_inv
	s_clause 0x4
	scratch_load_b128 v[102:105], off, off offset:232
	scratch_load_b128 v[106:109], off, off offset:248
	;; [unrolled: 1-line block ×5, first 2 shown]
	ds_load_b128 v[122:125], v1 offset:624
	ds_load_b128 v[126:129], v1 offset:640
	scratch_load_b128 v[130:133], off, off offset:312
	s_mov_b32 s0, exec_lo
	s_waitcnt vmcnt(5) lgkmcnt(1)
	v_fma_f64 v[2:3], v[104:105], v[122:123], 0
	s_waitcnt vmcnt(4)
	s_delay_alu instid0(VALU_DEP_1) | instskip(SKIP_4) | instid1(VALU_DEP_1)
	v_fma_f64 v[2:3], v[106:107], v[124:125], v[2:3]
	scratch_load_b128 v[104:107], off, off offset:328
	s_waitcnt lgkmcnt(0)
	v_fma_f64 v[2:3], v[108:109], v[126:127], v[2:3]
	s_waitcnt vmcnt(4)
	v_fma_f64 v[2:3], v[110:111], v[128:129], v[2:3]
	ds_load_b128 v[108:111], v1 offset:656
	ds_load_b128 v[122:125], v1 offset:672
	scratch_load_b128 v[126:129], off, off offset:344
	s_waitcnt lgkmcnt(1)
	v_fma_f64 v[2:3], v[112:113], v[108:109], v[2:3]
	s_waitcnt vmcnt(4)
	s_delay_alu instid0(VALU_DEP_1) | instskip(SKIP_4) | instid1(VALU_DEP_1)
	v_fma_f64 v[2:3], v[114:115], v[110:111], v[2:3]
	scratch_load_b128 v[108:111], off, off offset:360
	s_waitcnt lgkmcnt(0)
	v_fma_f64 v[2:3], v[116:117], v[122:123], v[2:3]
	s_waitcnt vmcnt(4)
	v_fma_f64 v[2:3], v[118:119], v[124:125], v[2:3]
	ds_load_b128 v[112:115], v1 offset:688
	ds_load_b128 v[116:119], v1 offset:704
	s_waitcnt lgkmcnt(1)
	v_fma_f64 v[2:3], v[120:121], v[112:113], v[2:3]
	scratch_load_b64 v[120:121], off, off offset:376
	s_waitcnt vmcnt(4)
	v_fma_f64 v[2:3], v[130:131], v[114:115], v[2:3]
	s_waitcnt lgkmcnt(0)
	s_delay_alu instid0(VALU_DEP_1) | instskip(SKIP_1) | instid1(VALU_DEP_1)
	v_fma_f64 v[2:3], v[132:133], v[116:117], v[2:3]
	s_waitcnt vmcnt(3)
	v_fma_f64 v[2:3], v[104:105], v[118:119], v[2:3]
	ds_load_b128 v[112:115], v1 offset:720
	ds_load_b128 v[116:119], v1 offset:736
	s_waitcnt lgkmcnt(1)
	v_fma_f64 v[2:3], v[106:107], v[112:113], v[2:3]
	s_waitcnt vmcnt(2)
	s_delay_alu instid0(VALU_DEP_1) | instskip(SKIP_1) | instid1(VALU_DEP_1)
	v_fma_f64 v[2:3], v[126:127], v[114:115], v[2:3]
	s_waitcnt lgkmcnt(0)
	v_fma_f64 v[2:3], v[128:129], v[116:117], v[2:3]
	s_waitcnt vmcnt(1)
	s_delay_alu instid0(VALU_DEP_1) | instskip(SKIP_4) | instid1(VALU_DEP_1)
	v_fma_f64 v[104:105], v[108:109], v[118:119], v[2:3]
	ds_load_b128 v[1:4], v1 offset:752
	s_waitcnt lgkmcnt(0)
	v_fma_f64 v[1:2], v[110:111], v[1:2], v[104:105]
	s_waitcnt vmcnt(0)
	v_fma_f64 v[1:2], v[120:121], v[3:4], v[1:2]
	s_delay_alu instid0(VALU_DEP_1)
	v_add_f64 v[1:2], v[102:103], -v[1:2]
	scratch_store_b64 off, v[1:2], off offset:232
	v_cmpx_lt_u32_e32 28, v0
	s_cbranch_execz .LBB111_241
; %bb.240:
	scratch_load_b64 v[1:2], off, off offset:224
	v_mov_b32_e32 v3, 0
	s_delay_alu instid0(VALU_DEP_1)
	v_mov_b32_e32 v4, v3
	scratch_store_b64 off, v[3:4], off offset:224
	s_waitcnt vmcnt(0)
	ds_store_b64 v5, v[1:2]
.LBB111_241:
	s_or_b32 exec_lo, exec_lo, s0
	s_waitcnt lgkmcnt(0)
	s_waitcnt_vscnt null, 0x0
	s_barrier
	buffer_gl0_inv
	s_clause 0x4
	scratch_load_b128 v[102:105], off, off offset:224
	scratch_load_b128 v[106:109], off, off offset:240
	;; [unrolled: 1-line block ×5, first 2 shown]
	v_mov_b32_e32 v1, 0
	ds_load_2addr_b64 v[122:125], v1 offset0:77 offset1:78
	ds_load_2addr_b64 v[126:129], v1 offset0:79 offset1:80
	scratch_load_b128 v[130:133], off, off offset:304
	s_mov_b32 s0, exec_lo
	s_waitcnt vmcnt(5) lgkmcnt(1)
	v_fma_f64 v[2:3], v[104:105], v[122:123], 0
	s_waitcnt vmcnt(4)
	s_delay_alu instid0(VALU_DEP_1) | instskip(SKIP_4) | instid1(VALU_DEP_1)
	v_fma_f64 v[2:3], v[106:107], v[124:125], v[2:3]
	scratch_load_b128 v[104:107], off, off offset:320
	s_waitcnt lgkmcnt(0)
	v_fma_f64 v[2:3], v[108:109], v[126:127], v[2:3]
	s_waitcnt vmcnt(4)
	v_fma_f64 v[2:3], v[110:111], v[128:129], v[2:3]
	ds_load_2addr_b64 v[108:111], v1 offset0:81 offset1:82
	ds_load_2addr_b64 v[122:125], v1 offset0:83 offset1:84
	scratch_load_b128 v[126:129], off, off offset:336
	s_waitcnt lgkmcnt(1)
	v_fma_f64 v[2:3], v[112:113], v[108:109], v[2:3]
	s_waitcnt vmcnt(4)
	s_delay_alu instid0(VALU_DEP_1) | instskip(SKIP_4) | instid1(VALU_DEP_1)
	v_fma_f64 v[2:3], v[114:115], v[110:111], v[2:3]
	scratch_load_b128 v[108:111], off, off offset:352
	s_waitcnt lgkmcnt(0)
	v_fma_f64 v[2:3], v[116:117], v[122:123], v[2:3]
	s_waitcnt vmcnt(4)
	v_fma_f64 v[2:3], v[118:119], v[124:125], v[2:3]
	ds_load_2addr_b64 v[112:115], v1 offset0:85 offset1:86
	ds_load_2addr_b64 v[116:119], v1 offset0:87 offset1:88
	s_waitcnt lgkmcnt(1)
	v_fma_f64 v[2:3], v[120:121], v[112:113], v[2:3]
	scratch_load_b128 v[120:123], off, off offset:368
	s_waitcnt vmcnt(4)
	v_fma_f64 v[2:3], v[130:131], v[114:115], v[2:3]
	s_waitcnt lgkmcnt(0)
	s_delay_alu instid0(VALU_DEP_1) | instskip(SKIP_1) | instid1(VALU_DEP_1)
	v_fma_f64 v[2:3], v[132:133], v[116:117], v[2:3]
	s_waitcnt vmcnt(3)
	v_fma_f64 v[2:3], v[104:105], v[118:119], v[2:3]
	ds_load_2addr_b64 v[112:115], v1 offset0:89 offset1:90
	ds_load_2addr_b64 v[116:119], v1 offset0:91 offset1:92
	s_waitcnt lgkmcnt(1)
	v_fma_f64 v[2:3], v[106:107], v[112:113], v[2:3]
	s_waitcnt vmcnt(2)
	s_delay_alu instid0(VALU_DEP_1) | instskip(SKIP_1) | instid1(VALU_DEP_1)
	v_fma_f64 v[2:3], v[126:127], v[114:115], v[2:3]
	s_waitcnt lgkmcnt(0)
	v_fma_f64 v[2:3], v[128:129], v[116:117], v[2:3]
	s_waitcnt vmcnt(1)
	s_delay_alu instid0(VALU_DEP_1)
	v_fma_f64 v[2:3], v[108:109], v[118:119], v[2:3]
	ds_load_2addr_b64 v[104:107], v1 offset0:93 offset1:94
	ds_load_b64 v[108:109], v1 offset:760
	s_waitcnt lgkmcnt(1)
	v_fma_f64 v[2:3], v[110:111], v[104:105], v[2:3]
	s_waitcnt vmcnt(0)
	s_delay_alu instid0(VALU_DEP_1) | instskip(SKIP_1) | instid1(VALU_DEP_1)
	v_fma_f64 v[2:3], v[120:121], v[106:107], v[2:3]
	s_waitcnt lgkmcnt(0)
	v_fma_f64 v[2:3], v[122:123], v[108:109], v[2:3]
	s_delay_alu instid0(VALU_DEP_1)
	v_add_f64 v[2:3], v[102:103], -v[2:3]
	scratch_store_b64 off, v[2:3], off offset:224
	v_cmpx_lt_u32_e32 27, v0
	s_cbranch_execz .LBB111_243
; %bb.242:
	scratch_load_b64 v[3:4], off, off offset:216
	v_mov_b32_e32 v2, v1
	scratch_store_b64 off, v[1:2], off offset:216
	s_waitcnt vmcnt(0)
	ds_store_b64 v5, v[3:4]
.LBB111_243:
	s_or_b32 exec_lo, exec_lo, s0
	s_waitcnt lgkmcnt(0)
	s_waitcnt_vscnt null, 0x0
	s_barrier
	buffer_gl0_inv
	s_clause 0x4
	scratch_load_b128 v[102:105], off, off offset:216
	scratch_load_b128 v[106:109], off, off offset:232
	;; [unrolled: 1-line block ×5, first 2 shown]
	ds_load_b128 v[122:125], v1 offset:608
	ds_load_b128 v[126:129], v1 offset:624
	scratch_load_b128 v[130:133], off, off offset:296
	s_mov_b32 s0, exec_lo
	s_waitcnt vmcnt(5) lgkmcnt(1)
	v_fma_f64 v[2:3], v[104:105], v[122:123], 0
	s_waitcnt vmcnt(4)
	s_delay_alu instid0(VALU_DEP_1) | instskip(SKIP_4) | instid1(VALU_DEP_1)
	v_fma_f64 v[2:3], v[106:107], v[124:125], v[2:3]
	scratch_load_b128 v[104:107], off, off offset:312
	s_waitcnt lgkmcnt(0)
	v_fma_f64 v[2:3], v[108:109], v[126:127], v[2:3]
	s_waitcnt vmcnt(4)
	v_fma_f64 v[2:3], v[110:111], v[128:129], v[2:3]
	ds_load_b128 v[108:111], v1 offset:640
	ds_load_b128 v[122:125], v1 offset:656
	scratch_load_b128 v[126:129], off, off offset:328
	s_waitcnt lgkmcnt(1)
	v_fma_f64 v[2:3], v[112:113], v[108:109], v[2:3]
	s_waitcnt vmcnt(4)
	s_delay_alu instid0(VALU_DEP_1) | instskip(SKIP_4) | instid1(VALU_DEP_1)
	v_fma_f64 v[2:3], v[114:115], v[110:111], v[2:3]
	scratch_load_b128 v[108:111], off, off offset:344
	s_waitcnt lgkmcnt(0)
	v_fma_f64 v[2:3], v[116:117], v[122:123], v[2:3]
	s_waitcnt vmcnt(4)
	v_fma_f64 v[2:3], v[118:119], v[124:125], v[2:3]
	ds_load_b128 v[112:115], v1 offset:672
	ds_load_b128 v[116:119], v1 offset:688
	scratch_load_b64 v[124:125], off, off offset:376
	s_waitcnt lgkmcnt(1)
	v_fma_f64 v[2:3], v[120:121], v[112:113], v[2:3]
	scratch_load_b128 v[120:123], off, off offset:360
	s_waitcnt vmcnt(5)
	v_fma_f64 v[2:3], v[130:131], v[114:115], v[2:3]
	s_waitcnt lgkmcnt(0)
	s_delay_alu instid0(VALU_DEP_1) | instskip(SKIP_1) | instid1(VALU_DEP_1)
	v_fma_f64 v[2:3], v[132:133], v[116:117], v[2:3]
	s_waitcnt vmcnt(4)
	v_fma_f64 v[2:3], v[104:105], v[118:119], v[2:3]
	ds_load_b128 v[112:115], v1 offset:704
	ds_load_b128 v[116:119], v1 offset:720
	s_waitcnt lgkmcnt(1)
	v_fma_f64 v[2:3], v[106:107], v[112:113], v[2:3]
	s_waitcnt vmcnt(3)
	s_delay_alu instid0(VALU_DEP_1) | instskip(SKIP_1) | instid1(VALU_DEP_1)
	v_fma_f64 v[2:3], v[126:127], v[114:115], v[2:3]
	s_waitcnt lgkmcnt(0)
	v_fma_f64 v[2:3], v[128:129], v[116:117], v[2:3]
	s_waitcnt vmcnt(2)
	s_delay_alu instid0(VALU_DEP_1)
	v_fma_f64 v[108:109], v[108:109], v[118:119], v[2:3]
	ds_load_b128 v[104:107], v1 offset:736
	ds_load_b128 v[1:4], v1 offset:752
	s_waitcnt lgkmcnt(1)
	v_fma_f64 v[104:105], v[110:111], v[104:105], v[108:109]
	s_waitcnt vmcnt(0)
	s_delay_alu instid0(VALU_DEP_1) | instskip(SKIP_1) | instid1(VALU_DEP_1)
	v_fma_f64 v[104:105], v[120:121], v[106:107], v[104:105]
	s_waitcnt lgkmcnt(0)
	v_fma_f64 v[1:2], v[122:123], v[1:2], v[104:105]
	s_delay_alu instid0(VALU_DEP_1) | instskip(NEXT) | instid1(VALU_DEP_1)
	v_fma_f64 v[1:2], v[124:125], v[3:4], v[1:2]
	v_add_f64 v[1:2], v[102:103], -v[1:2]
	scratch_store_b64 off, v[1:2], off offset:216
	v_cmpx_lt_u32_e32 26, v0
	s_cbranch_execz .LBB111_245
; %bb.244:
	scratch_load_b64 v[1:2], off, off offset:208
	v_mov_b32_e32 v3, 0
	s_delay_alu instid0(VALU_DEP_1)
	v_mov_b32_e32 v4, v3
	scratch_store_b64 off, v[3:4], off offset:208
	s_waitcnt vmcnt(0)
	ds_store_b64 v5, v[1:2]
.LBB111_245:
	s_or_b32 exec_lo, exec_lo, s0
	s_waitcnt lgkmcnt(0)
	s_waitcnt_vscnt null, 0x0
	s_barrier
	buffer_gl0_inv
	s_clause 0x4
	scratch_load_b128 v[102:105], off, off offset:208
	scratch_load_b128 v[106:109], off, off offset:224
	;; [unrolled: 1-line block ×5, first 2 shown]
	v_mov_b32_e32 v1, 0
	ds_load_2addr_b64 v[122:125], v1 offset0:75 offset1:76
	ds_load_2addr_b64 v[126:129], v1 offset0:77 offset1:78
	scratch_load_b128 v[130:133], off, off offset:288
	s_mov_b32 s0, exec_lo
	s_waitcnt vmcnt(5) lgkmcnt(1)
	v_fma_f64 v[2:3], v[104:105], v[122:123], 0
	s_waitcnt vmcnt(4)
	s_delay_alu instid0(VALU_DEP_1) | instskip(SKIP_4) | instid1(VALU_DEP_1)
	v_fma_f64 v[2:3], v[106:107], v[124:125], v[2:3]
	scratch_load_b128 v[104:107], off, off offset:304
	s_waitcnt lgkmcnt(0)
	v_fma_f64 v[2:3], v[108:109], v[126:127], v[2:3]
	s_waitcnt vmcnt(4)
	v_fma_f64 v[2:3], v[110:111], v[128:129], v[2:3]
	ds_load_2addr_b64 v[108:111], v1 offset0:79 offset1:80
	ds_load_2addr_b64 v[122:125], v1 offset0:81 offset1:82
	scratch_load_b128 v[126:129], off, off offset:320
	s_waitcnt lgkmcnt(1)
	v_fma_f64 v[2:3], v[112:113], v[108:109], v[2:3]
	s_waitcnt vmcnt(4)
	s_delay_alu instid0(VALU_DEP_1) | instskip(SKIP_4) | instid1(VALU_DEP_1)
	v_fma_f64 v[2:3], v[114:115], v[110:111], v[2:3]
	scratch_load_b128 v[108:111], off, off offset:336
	s_waitcnt lgkmcnt(0)
	v_fma_f64 v[2:3], v[116:117], v[122:123], v[2:3]
	s_waitcnt vmcnt(4)
	v_fma_f64 v[2:3], v[118:119], v[124:125], v[2:3]
	ds_load_2addr_b64 v[112:115], v1 offset0:83 offset1:84
	ds_load_2addr_b64 v[116:119], v1 offset0:85 offset1:86
	s_waitcnt lgkmcnt(1)
	v_fma_f64 v[2:3], v[120:121], v[112:113], v[2:3]
	scratch_load_b128 v[120:123], off, off offset:352
	s_waitcnt vmcnt(4)
	v_fma_f64 v[2:3], v[130:131], v[114:115], v[2:3]
	scratch_load_b128 v[112:115], off, off offset:368
	s_waitcnt lgkmcnt(0)
	v_fma_f64 v[2:3], v[132:133], v[116:117], v[2:3]
	s_waitcnt vmcnt(4)
	s_delay_alu instid0(VALU_DEP_1)
	v_fma_f64 v[2:3], v[104:105], v[118:119], v[2:3]
	ds_load_2addr_b64 v[116:119], v1 offset0:87 offset1:88
	ds_load_2addr_b64 v[130:133], v1 offset0:89 offset1:90
	s_waitcnt lgkmcnt(1)
	v_fma_f64 v[2:3], v[106:107], v[116:117], v[2:3]
	s_waitcnt vmcnt(3)
	s_delay_alu instid0(VALU_DEP_1)
	v_fma_f64 v[2:3], v[126:127], v[118:119], v[2:3]
	ds_load_2addr_b64 v[104:107], v1 offset0:91 offset1:92
	ds_load_2addr_b64 v[116:119], v1 offset0:93 offset1:94
	s_waitcnt lgkmcnt(2)
	v_fma_f64 v[2:3], v[128:129], v[130:131], v[2:3]
	s_waitcnt vmcnt(2)
	s_delay_alu instid0(VALU_DEP_1) | instskip(SKIP_1) | instid1(VALU_DEP_1)
	v_fma_f64 v[2:3], v[108:109], v[132:133], v[2:3]
	s_waitcnt lgkmcnt(1)
	v_fma_f64 v[2:3], v[110:111], v[104:105], v[2:3]
	ds_load_b64 v[104:105], v1 offset:760
	s_waitcnt vmcnt(1)
	v_fma_f64 v[2:3], v[120:121], v[106:107], v[2:3]
	s_waitcnt lgkmcnt(1)
	s_delay_alu instid0(VALU_DEP_1) | instskip(SKIP_1) | instid1(VALU_DEP_1)
	v_fma_f64 v[2:3], v[122:123], v[116:117], v[2:3]
	s_waitcnt vmcnt(0)
	v_fma_f64 v[2:3], v[112:113], v[118:119], v[2:3]
	s_waitcnt lgkmcnt(0)
	s_delay_alu instid0(VALU_DEP_1) | instskip(NEXT) | instid1(VALU_DEP_1)
	v_fma_f64 v[2:3], v[114:115], v[104:105], v[2:3]
	v_add_f64 v[2:3], v[102:103], -v[2:3]
	scratch_store_b64 off, v[2:3], off offset:208
	v_cmpx_lt_u32_e32 25, v0
	s_cbranch_execz .LBB111_247
; %bb.246:
	scratch_load_b64 v[3:4], off, off offset:200
	v_mov_b32_e32 v2, v1
	scratch_store_b64 off, v[1:2], off offset:200
	s_waitcnt vmcnt(0)
	ds_store_b64 v5, v[3:4]
.LBB111_247:
	s_or_b32 exec_lo, exec_lo, s0
	s_waitcnt lgkmcnt(0)
	s_waitcnt_vscnt null, 0x0
	s_barrier
	buffer_gl0_inv
	s_clause 0x4
	scratch_load_b128 v[102:105], off, off offset:200
	scratch_load_b128 v[106:109], off, off offset:216
	;; [unrolled: 1-line block ×5, first 2 shown]
	ds_load_b128 v[122:125], v1 offset:592
	ds_load_b128 v[126:129], v1 offset:608
	scratch_load_b128 v[130:133], off, off offset:280
	s_mov_b32 s0, exec_lo
	s_waitcnt vmcnt(5) lgkmcnt(1)
	v_fma_f64 v[2:3], v[104:105], v[122:123], 0
	s_waitcnt vmcnt(4)
	s_delay_alu instid0(VALU_DEP_1) | instskip(SKIP_4) | instid1(VALU_DEP_1)
	v_fma_f64 v[2:3], v[106:107], v[124:125], v[2:3]
	scratch_load_b128 v[104:107], off, off offset:296
	s_waitcnt lgkmcnt(0)
	v_fma_f64 v[2:3], v[108:109], v[126:127], v[2:3]
	s_waitcnt vmcnt(4)
	v_fma_f64 v[2:3], v[110:111], v[128:129], v[2:3]
	ds_load_b128 v[108:111], v1 offset:624
	ds_load_b128 v[122:125], v1 offset:640
	scratch_load_b128 v[126:129], off, off offset:312
	s_waitcnt lgkmcnt(1)
	v_fma_f64 v[2:3], v[112:113], v[108:109], v[2:3]
	s_waitcnt vmcnt(4)
	s_delay_alu instid0(VALU_DEP_1) | instskip(SKIP_4) | instid1(VALU_DEP_1)
	v_fma_f64 v[2:3], v[114:115], v[110:111], v[2:3]
	scratch_load_b128 v[108:111], off, off offset:328
	s_waitcnt lgkmcnt(0)
	v_fma_f64 v[2:3], v[116:117], v[122:123], v[2:3]
	s_waitcnt vmcnt(4)
	v_fma_f64 v[2:3], v[118:119], v[124:125], v[2:3]
	ds_load_b128 v[112:115], v1 offset:656
	ds_load_b128 v[116:119], v1 offset:672
	s_waitcnt lgkmcnt(1)
	v_fma_f64 v[2:3], v[120:121], v[112:113], v[2:3]
	scratch_load_b128 v[120:123], off, off offset:344
	s_waitcnt vmcnt(4)
	v_fma_f64 v[2:3], v[130:131], v[114:115], v[2:3]
	scratch_load_b128 v[112:115], off, off offset:360
	s_waitcnt lgkmcnt(0)
	v_fma_f64 v[2:3], v[132:133], v[116:117], v[2:3]
	s_waitcnt vmcnt(4)
	s_delay_alu instid0(VALU_DEP_1)
	v_fma_f64 v[2:3], v[104:105], v[118:119], v[2:3]
	ds_load_b128 v[116:119], v1 offset:688
	ds_load_b128 v[130:133], v1 offset:704
	scratch_load_b64 v[124:125], off, off offset:376
	s_waitcnt lgkmcnt(1)
	v_fma_f64 v[2:3], v[106:107], v[116:117], v[2:3]
	s_waitcnt vmcnt(4)
	s_delay_alu instid0(VALU_DEP_1)
	v_fma_f64 v[2:3], v[126:127], v[118:119], v[2:3]
	ds_load_b128 v[104:107], v1 offset:720
	ds_load_b128 v[116:119], v1 offset:736
	s_waitcnt lgkmcnt(2)
	v_fma_f64 v[2:3], v[128:129], v[130:131], v[2:3]
	s_waitcnt vmcnt(3)
	s_delay_alu instid0(VALU_DEP_1) | instskip(SKIP_1) | instid1(VALU_DEP_1)
	v_fma_f64 v[2:3], v[108:109], v[132:133], v[2:3]
	s_waitcnt lgkmcnt(1)
	v_fma_f64 v[2:3], v[110:111], v[104:105], v[2:3]
	s_waitcnt vmcnt(2)
	s_delay_alu instid0(VALU_DEP_1) | instskip(SKIP_1) | instid1(VALU_DEP_1)
	v_fma_f64 v[2:3], v[120:121], v[106:107], v[2:3]
	s_waitcnt lgkmcnt(0)
	v_fma_f64 v[2:3], v[122:123], v[116:117], v[2:3]
	s_waitcnt vmcnt(1)
	s_delay_alu instid0(VALU_DEP_1) | instskip(SKIP_4) | instid1(VALU_DEP_1)
	v_fma_f64 v[104:105], v[112:113], v[118:119], v[2:3]
	ds_load_b128 v[1:4], v1 offset:752
	s_waitcnt lgkmcnt(0)
	v_fma_f64 v[1:2], v[114:115], v[1:2], v[104:105]
	s_waitcnt vmcnt(0)
	v_fma_f64 v[1:2], v[124:125], v[3:4], v[1:2]
	s_delay_alu instid0(VALU_DEP_1)
	v_add_f64 v[1:2], v[102:103], -v[1:2]
	scratch_store_b64 off, v[1:2], off offset:200
	v_cmpx_lt_u32_e32 24, v0
	s_cbranch_execz .LBB111_249
; %bb.248:
	scratch_load_b64 v[1:2], off, off offset:192
	v_mov_b32_e32 v3, 0
	s_delay_alu instid0(VALU_DEP_1)
	v_mov_b32_e32 v4, v3
	scratch_store_b64 off, v[3:4], off offset:192
	s_waitcnt vmcnt(0)
	ds_store_b64 v5, v[1:2]
.LBB111_249:
	s_or_b32 exec_lo, exec_lo, s0
	s_waitcnt lgkmcnt(0)
	s_waitcnt_vscnt null, 0x0
	s_barrier
	buffer_gl0_inv
	s_clause 0x4
	scratch_load_b128 v[102:105], off, off offset:192
	scratch_load_b128 v[106:109], off, off offset:208
	scratch_load_b128 v[110:113], off, off offset:224
	scratch_load_b128 v[114:117], off, off offset:240
	scratch_load_b128 v[118:121], off, off offset:256
	v_mov_b32_e32 v1, 0
	ds_load_2addr_b64 v[122:125], v1 offset0:73 offset1:74
	ds_load_2addr_b64 v[126:129], v1 offset0:75 offset1:76
	scratch_load_b128 v[130:133], off, off offset:272
	s_mov_b32 s0, exec_lo
	s_waitcnt vmcnt(5) lgkmcnt(1)
	v_fma_f64 v[2:3], v[104:105], v[122:123], 0
	s_waitcnt vmcnt(4)
	s_delay_alu instid0(VALU_DEP_1) | instskip(SKIP_4) | instid1(VALU_DEP_1)
	v_fma_f64 v[2:3], v[106:107], v[124:125], v[2:3]
	scratch_load_b128 v[104:107], off, off offset:288
	s_waitcnt lgkmcnt(0)
	v_fma_f64 v[2:3], v[108:109], v[126:127], v[2:3]
	s_waitcnt vmcnt(4)
	v_fma_f64 v[2:3], v[110:111], v[128:129], v[2:3]
	ds_load_2addr_b64 v[108:111], v1 offset0:77 offset1:78
	ds_load_2addr_b64 v[122:125], v1 offset0:79 offset1:80
	scratch_load_b128 v[126:129], off, off offset:304
	s_waitcnt lgkmcnt(1)
	v_fma_f64 v[2:3], v[112:113], v[108:109], v[2:3]
	s_waitcnt vmcnt(4)
	s_delay_alu instid0(VALU_DEP_1) | instskip(SKIP_4) | instid1(VALU_DEP_1)
	v_fma_f64 v[2:3], v[114:115], v[110:111], v[2:3]
	scratch_load_b128 v[108:111], off, off offset:320
	s_waitcnt lgkmcnt(0)
	v_fma_f64 v[2:3], v[116:117], v[122:123], v[2:3]
	s_waitcnt vmcnt(4)
	v_fma_f64 v[2:3], v[118:119], v[124:125], v[2:3]
	ds_load_2addr_b64 v[112:115], v1 offset0:81 offset1:82
	ds_load_2addr_b64 v[116:119], v1 offset0:83 offset1:84
	s_waitcnt lgkmcnt(1)
	v_fma_f64 v[2:3], v[120:121], v[112:113], v[2:3]
	scratch_load_b128 v[120:123], off, off offset:336
	s_waitcnt vmcnt(4)
	v_fma_f64 v[2:3], v[130:131], v[114:115], v[2:3]
	scratch_load_b128 v[112:115], off, off offset:352
	s_waitcnt lgkmcnt(0)
	v_fma_f64 v[2:3], v[132:133], v[116:117], v[2:3]
	s_waitcnt vmcnt(4)
	s_delay_alu instid0(VALU_DEP_1)
	v_fma_f64 v[2:3], v[104:105], v[118:119], v[2:3]
	ds_load_2addr_b64 v[116:119], v1 offset0:85 offset1:86
	ds_load_2addr_b64 v[130:133], v1 offset0:87 offset1:88
	s_waitcnt lgkmcnt(1)
	v_fma_f64 v[2:3], v[106:107], v[116:117], v[2:3]
	scratch_load_b128 v[104:107], off, off offset:368
	s_waitcnt vmcnt(4)
	v_fma_f64 v[2:3], v[126:127], v[118:119], v[2:3]
	ds_load_2addr_b64 v[116:119], v1 offset0:89 offset1:90
	ds_load_2addr_b64 v[124:127], v1 offset0:91 offset1:92
	s_waitcnt lgkmcnt(2)
	v_fma_f64 v[2:3], v[128:129], v[130:131], v[2:3]
	s_waitcnt vmcnt(3)
	s_delay_alu instid0(VALU_DEP_1) | instskip(SKIP_1) | instid1(VALU_DEP_1)
	v_fma_f64 v[2:3], v[108:109], v[132:133], v[2:3]
	s_waitcnt lgkmcnt(1)
	v_fma_f64 v[2:3], v[110:111], v[116:117], v[2:3]
	s_waitcnt vmcnt(2)
	s_delay_alu instid0(VALU_DEP_1) | instskip(SKIP_1) | instid1(VALU_DEP_1)
	v_fma_f64 v[2:3], v[120:121], v[118:119], v[2:3]
	s_waitcnt lgkmcnt(0)
	v_fma_f64 v[2:3], v[122:123], v[124:125], v[2:3]
	s_waitcnt vmcnt(1)
	s_delay_alu instid0(VALU_DEP_1)
	v_fma_f64 v[2:3], v[112:113], v[126:127], v[2:3]
	ds_load_2addr_b64 v[108:111], v1 offset0:93 offset1:94
	ds_load_b64 v[112:113], v1 offset:760
	s_waitcnt lgkmcnt(1)
	v_fma_f64 v[2:3], v[114:115], v[108:109], v[2:3]
	s_waitcnt vmcnt(0)
	s_delay_alu instid0(VALU_DEP_1) | instskip(SKIP_1) | instid1(VALU_DEP_1)
	v_fma_f64 v[2:3], v[104:105], v[110:111], v[2:3]
	s_waitcnt lgkmcnt(0)
	v_fma_f64 v[2:3], v[106:107], v[112:113], v[2:3]
	s_delay_alu instid0(VALU_DEP_1)
	v_add_f64 v[2:3], v[102:103], -v[2:3]
	scratch_store_b64 off, v[2:3], off offset:192
	v_cmpx_lt_u32_e32 23, v0
	s_cbranch_execz .LBB111_251
; %bb.250:
	scratch_load_b64 v[3:4], off, off offset:184
	v_mov_b32_e32 v2, v1
	scratch_store_b64 off, v[1:2], off offset:184
	s_waitcnt vmcnt(0)
	ds_store_b64 v5, v[3:4]
.LBB111_251:
	s_or_b32 exec_lo, exec_lo, s0
	s_waitcnt lgkmcnt(0)
	s_waitcnt_vscnt null, 0x0
	s_barrier
	buffer_gl0_inv
	s_clause 0x4
	scratch_load_b128 v[102:105], off, off offset:184
	scratch_load_b128 v[106:109], off, off offset:200
	;; [unrolled: 1-line block ×5, first 2 shown]
	ds_load_b128 v[122:125], v1 offset:576
	ds_load_b128 v[126:129], v1 offset:592
	scratch_load_b128 v[130:133], off, off offset:264
	s_mov_b32 s0, exec_lo
	s_waitcnt vmcnt(5) lgkmcnt(1)
	v_fma_f64 v[2:3], v[104:105], v[122:123], 0
	s_waitcnt vmcnt(4)
	s_delay_alu instid0(VALU_DEP_1) | instskip(SKIP_4) | instid1(VALU_DEP_1)
	v_fma_f64 v[2:3], v[106:107], v[124:125], v[2:3]
	scratch_load_b128 v[104:107], off, off offset:280
	s_waitcnt lgkmcnt(0)
	v_fma_f64 v[2:3], v[108:109], v[126:127], v[2:3]
	s_waitcnt vmcnt(4)
	v_fma_f64 v[2:3], v[110:111], v[128:129], v[2:3]
	ds_load_b128 v[108:111], v1 offset:608
	ds_load_b128 v[122:125], v1 offset:624
	scratch_load_b128 v[126:129], off, off offset:296
	s_waitcnt lgkmcnt(1)
	v_fma_f64 v[2:3], v[112:113], v[108:109], v[2:3]
	s_waitcnt vmcnt(4)
	s_delay_alu instid0(VALU_DEP_1) | instskip(SKIP_4) | instid1(VALU_DEP_1)
	v_fma_f64 v[2:3], v[114:115], v[110:111], v[2:3]
	scratch_load_b128 v[108:111], off, off offset:312
	s_waitcnt lgkmcnt(0)
	v_fma_f64 v[2:3], v[116:117], v[122:123], v[2:3]
	s_waitcnt vmcnt(4)
	v_fma_f64 v[2:3], v[118:119], v[124:125], v[2:3]
	ds_load_b128 v[112:115], v1 offset:640
	ds_load_b128 v[116:119], v1 offset:656
	s_waitcnt lgkmcnt(1)
	v_fma_f64 v[2:3], v[120:121], v[112:113], v[2:3]
	scratch_load_b128 v[120:123], off, off offset:328
	s_waitcnt vmcnt(4)
	v_fma_f64 v[2:3], v[130:131], v[114:115], v[2:3]
	scratch_load_b128 v[112:115], off, off offset:344
	s_waitcnt lgkmcnt(0)
	v_fma_f64 v[2:3], v[132:133], v[116:117], v[2:3]
	s_waitcnt vmcnt(4)
	s_delay_alu instid0(VALU_DEP_1)
	v_fma_f64 v[2:3], v[104:105], v[118:119], v[2:3]
	ds_load_b128 v[116:119], v1 offset:672
	ds_load_b128 v[130:133], v1 offset:688
	s_waitcnt lgkmcnt(1)
	v_fma_f64 v[2:3], v[106:107], v[116:117], v[2:3]
	scratch_load_b128 v[104:107], off, off offset:360
	s_waitcnt vmcnt(4)
	v_fma_f64 v[2:3], v[126:127], v[118:119], v[2:3]
	s_waitcnt lgkmcnt(0)
	s_delay_alu instid0(VALU_DEP_1)
	v_fma_f64 v[2:3], v[128:129], v[130:131], v[2:3]
	scratch_load_b64 v[128:129], off, off offset:376
	ds_load_b128 v[116:119], v1 offset:704
	ds_load_b128 v[124:127], v1 offset:720
	s_waitcnt vmcnt(4)
	v_fma_f64 v[2:3], v[108:109], v[132:133], v[2:3]
	s_waitcnt lgkmcnt(1)
	s_delay_alu instid0(VALU_DEP_1) | instskip(SKIP_1) | instid1(VALU_DEP_1)
	v_fma_f64 v[2:3], v[110:111], v[116:117], v[2:3]
	s_waitcnt vmcnt(3)
	v_fma_f64 v[2:3], v[120:121], v[118:119], v[2:3]
	s_waitcnt lgkmcnt(0)
	s_delay_alu instid0(VALU_DEP_1) | instskip(SKIP_1) | instid1(VALU_DEP_1)
	v_fma_f64 v[2:3], v[122:123], v[124:125], v[2:3]
	s_waitcnt vmcnt(2)
	v_fma_f64 v[112:113], v[112:113], v[126:127], v[2:3]
	ds_load_b128 v[108:111], v1 offset:736
	ds_load_b128 v[1:4], v1 offset:752
	s_waitcnt lgkmcnt(1)
	v_fma_f64 v[108:109], v[114:115], v[108:109], v[112:113]
	s_waitcnt vmcnt(1)
	s_delay_alu instid0(VALU_DEP_1) | instskip(SKIP_1) | instid1(VALU_DEP_1)
	v_fma_f64 v[104:105], v[104:105], v[110:111], v[108:109]
	s_waitcnt lgkmcnt(0)
	v_fma_f64 v[1:2], v[106:107], v[1:2], v[104:105]
	s_waitcnt vmcnt(0)
	s_delay_alu instid0(VALU_DEP_1) | instskip(NEXT) | instid1(VALU_DEP_1)
	v_fma_f64 v[1:2], v[128:129], v[3:4], v[1:2]
	v_add_f64 v[1:2], v[102:103], -v[1:2]
	scratch_store_b64 off, v[1:2], off offset:184
	v_cmpx_lt_u32_e32 22, v0
	s_cbranch_execz .LBB111_253
; %bb.252:
	scratch_load_b64 v[1:2], off, off offset:176
	v_mov_b32_e32 v3, 0
	s_delay_alu instid0(VALU_DEP_1)
	v_mov_b32_e32 v4, v3
	scratch_store_b64 off, v[3:4], off offset:176
	s_waitcnt vmcnt(0)
	ds_store_b64 v5, v[1:2]
.LBB111_253:
	s_or_b32 exec_lo, exec_lo, s0
	s_waitcnt lgkmcnt(0)
	s_waitcnt_vscnt null, 0x0
	s_barrier
	buffer_gl0_inv
	s_clause 0x4
	scratch_load_b128 v[102:105], off, off offset:176
	scratch_load_b128 v[106:109], off, off offset:192
	;; [unrolled: 1-line block ×5, first 2 shown]
	v_mov_b32_e32 v1, 0
	ds_load_2addr_b64 v[122:125], v1 offset0:71 offset1:72
	ds_load_2addr_b64 v[126:129], v1 offset0:73 offset1:74
	scratch_load_b128 v[130:133], off, off offset:256
	s_mov_b32 s0, exec_lo
	s_waitcnt vmcnt(5) lgkmcnt(1)
	v_fma_f64 v[2:3], v[104:105], v[122:123], 0
	s_waitcnt vmcnt(4)
	s_delay_alu instid0(VALU_DEP_1) | instskip(SKIP_4) | instid1(VALU_DEP_1)
	v_fma_f64 v[2:3], v[106:107], v[124:125], v[2:3]
	scratch_load_b128 v[104:107], off, off offset:272
	s_waitcnt lgkmcnt(0)
	v_fma_f64 v[2:3], v[108:109], v[126:127], v[2:3]
	s_waitcnt vmcnt(4)
	v_fma_f64 v[2:3], v[110:111], v[128:129], v[2:3]
	ds_load_2addr_b64 v[108:111], v1 offset0:75 offset1:76
	ds_load_2addr_b64 v[122:125], v1 offset0:77 offset1:78
	scratch_load_b128 v[126:129], off, off offset:288
	s_waitcnt lgkmcnt(1)
	v_fma_f64 v[2:3], v[112:113], v[108:109], v[2:3]
	s_waitcnt vmcnt(4)
	s_delay_alu instid0(VALU_DEP_1) | instskip(SKIP_4) | instid1(VALU_DEP_1)
	v_fma_f64 v[2:3], v[114:115], v[110:111], v[2:3]
	scratch_load_b128 v[108:111], off, off offset:304
	s_waitcnt lgkmcnt(0)
	v_fma_f64 v[2:3], v[116:117], v[122:123], v[2:3]
	s_waitcnt vmcnt(4)
	v_fma_f64 v[2:3], v[118:119], v[124:125], v[2:3]
	ds_load_2addr_b64 v[112:115], v1 offset0:79 offset1:80
	ds_load_2addr_b64 v[116:119], v1 offset0:81 offset1:82
	s_waitcnt lgkmcnt(1)
	v_fma_f64 v[2:3], v[120:121], v[112:113], v[2:3]
	scratch_load_b128 v[120:123], off, off offset:320
	s_waitcnt vmcnt(4)
	v_fma_f64 v[2:3], v[130:131], v[114:115], v[2:3]
	scratch_load_b128 v[112:115], off, off offset:336
	s_waitcnt lgkmcnt(0)
	v_fma_f64 v[2:3], v[132:133], v[116:117], v[2:3]
	s_waitcnt vmcnt(4)
	s_delay_alu instid0(VALU_DEP_1)
	v_fma_f64 v[2:3], v[104:105], v[118:119], v[2:3]
	ds_load_2addr_b64 v[116:119], v1 offset0:83 offset1:84
	ds_load_2addr_b64 v[130:133], v1 offset0:85 offset1:86
	s_waitcnt lgkmcnt(1)
	v_fma_f64 v[2:3], v[106:107], v[116:117], v[2:3]
	scratch_load_b128 v[104:107], off, off offset:352
	s_waitcnt vmcnt(4)
	v_fma_f64 v[2:3], v[126:127], v[118:119], v[2:3]
	scratch_load_b128 v[116:119], off, off offset:368
	s_waitcnt lgkmcnt(0)
	v_fma_f64 v[2:3], v[128:129], v[130:131], v[2:3]
	ds_load_2addr_b64 v[124:127], v1 offset0:87 offset1:88
	ds_load_2addr_b64 v[128:131], v1 offset0:89 offset1:90
	s_waitcnt vmcnt(4)
	v_fma_f64 v[2:3], v[108:109], v[132:133], v[2:3]
	s_waitcnt lgkmcnt(1)
	s_delay_alu instid0(VALU_DEP_1) | instskip(SKIP_1) | instid1(VALU_DEP_1)
	v_fma_f64 v[2:3], v[110:111], v[124:125], v[2:3]
	s_waitcnt vmcnt(3)
	v_fma_f64 v[2:3], v[120:121], v[126:127], v[2:3]
	s_waitcnt lgkmcnt(0)
	s_delay_alu instid0(VALU_DEP_1)
	v_fma_f64 v[2:3], v[122:123], v[128:129], v[2:3]
	ds_load_2addr_b64 v[108:111], v1 offset0:91 offset1:92
	ds_load_2addr_b64 v[120:123], v1 offset0:93 offset1:94
	s_waitcnt vmcnt(2)
	v_fma_f64 v[2:3], v[112:113], v[130:131], v[2:3]
	s_waitcnt lgkmcnt(1)
	s_delay_alu instid0(VALU_DEP_1) | instskip(SKIP_1) | instid1(VALU_DEP_1)
	v_fma_f64 v[2:3], v[114:115], v[108:109], v[2:3]
	s_waitcnt vmcnt(1)
	v_fma_f64 v[2:3], v[104:105], v[110:111], v[2:3]
	ds_load_b64 v[104:105], v1 offset:760
	s_waitcnt lgkmcnt(1)
	v_fma_f64 v[2:3], v[106:107], v[120:121], v[2:3]
	s_waitcnt vmcnt(0)
	s_delay_alu instid0(VALU_DEP_1) | instskip(SKIP_1) | instid1(VALU_DEP_1)
	v_fma_f64 v[2:3], v[116:117], v[122:123], v[2:3]
	s_waitcnt lgkmcnt(0)
	v_fma_f64 v[2:3], v[118:119], v[104:105], v[2:3]
	s_delay_alu instid0(VALU_DEP_1)
	v_add_f64 v[2:3], v[102:103], -v[2:3]
	scratch_store_b64 off, v[2:3], off offset:176
	v_cmpx_lt_u32_e32 21, v0
	s_cbranch_execz .LBB111_255
; %bb.254:
	scratch_load_b64 v[3:4], off, off offset:168
	v_mov_b32_e32 v2, v1
	scratch_store_b64 off, v[1:2], off offset:168
	s_waitcnt vmcnt(0)
	ds_store_b64 v5, v[3:4]
.LBB111_255:
	s_or_b32 exec_lo, exec_lo, s0
	s_waitcnt lgkmcnt(0)
	s_waitcnt_vscnt null, 0x0
	s_barrier
	buffer_gl0_inv
	s_clause 0x4
	scratch_load_b128 v[102:105], off, off offset:168
	scratch_load_b128 v[106:109], off, off offset:184
	;; [unrolled: 1-line block ×5, first 2 shown]
	ds_load_b128 v[122:125], v1 offset:560
	ds_load_b128 v[126:129], v1 offset:576
	scratch_load_b128 v[130:133], off, off offset:248
	s_mov_b32 s0, exec_lo
	s_waitcnt vmcnt(5) lgkmcnt(1)
	v_fma_f64 v[2:3], v[104:105], v[122:123], 0
	s_waitcnt vmcnt(4)
	s_delay_alu instid0(VALU_DEP_1) | instskip(SKIP_4) | instid1(VALU_DEP_1)
	v_fma_f64 v[2:3], v[106:107], v[124:125], v[2:3]
	scratch_load_b128 v[104:107], off, off offset:264
	s_waitcnt lgkmcnt(0)
	v_fma_f64 v[2:3], v[108:109], v[126:127], v[2:3]
	s_waitcnt vmcnt(4)
	v_fma_f64 v[2:3], v[110:111], v[128:129], v[2:3]
	ds_load_b128 v[108:111], v1 offset:592
	ds_load_b128 v[122:125], v1 offset:608
	scratch_load_b128 v[126:129], off, off offset:280
	s_waitcnt lgkmcnt(1)
	v_fma_f64 v[2:3], v[112:113], v[108:109], v[2:3]
	s_waitcnt vmcnt(4)
	s_delay_alu instid0(VALU_DEP_1) | instskip(SKIP_4) | instid1(VALU_DEP_1)
	v_fma_f64 v[2:3], v[114:115], v[110:111], v[2:3]
	scratch_load_b128 v[108:111], off, off offset:296
	s_waitcnt lgkmcnt(0)
	v_fma_f64 v[2:3], v[116:117], v[122:123], v[2:3]
	s_waitcnt vmcnt(4)
	v_fma_f64 v[2:3], v[118:119], v[124:125], v[2:3]
	ds_load_b128 v[112:115], v1 offset:624
	ds_load_b128 v[116:119], v1 offset:640
	s_waitcnt lgkmcnt(1)
	v_fma_f64 v[2:3], v[120:121], v[112:113], v[2:3]
	scratch_load_b128 v[120:123], off, off offset:312
	s_waitcnt vmcnt(4)
	v_fma_f64 v[2:3], v[130:131], v[114:115], v[2:3]
	scratch_load_b128 v[112:115], off, off offset:328
	s_waitcnt lgkmcnt(0)
	v_fma_f64 v[2:3], v[132:133], v[116:117], v[2:3]
	s_waitcnt vmcnt(4)
	s_delay_alu instid0(VALU_DEP_1)
	v_fma_f64 v[2:3], v[104:105], v[118:119], v[2:3]
	ds_load_b128 v[116:119], v1 offset:656
	ds_load_b128 v[130:133], v1 offset:672
	s_waitcnt lgkmcnt(1)
	v_fma_f64 v[2:3], v[106:107], v[116:117], v[2:3]
	scratch_load_b128 v[104:107], off, off offset:344
	s_waitcnt vmcnt(4)
	v_fma_f64 v[2:3], v[126:127], v[118:119], v[2:3]
	scratch_load_b128 v[116:119], off, off offset:360
	s_waitcnt lgkmcnt(0)
	v_fma_f64 v[2:3], v[128:129], v[130:131], v[2:3]
	ds_load_b128 v[124:127], v1 offset:688
	ds_load_b128 v[128:131], v1 offset:704
	s_waitcnt vmcnt(4)
	v_fma_f64 v[2:3], v[108:109], v[132:133], v[2:3]
	s_waitcnt lgkmcnt(1)
	s_delay_alu instid0(VALU_DEP_1) | instskip(SKIP_4) | instid1(VALU_DEP_1)
	v_fma_f64 v[2:3], v[110:111], v[124:125], v[2:3]
	scratch_load_b64 v[124:125], off, off offset:376
	s_waitcnt vmcnt(4)
	v_fma_f64 v[2:3], v[120:121], v[126:127], v[2:3]
	s_waitcnt lgkmcnt(0)
	v_fma_f64 v[2:3], v[122:123], v[128:129], v[2:3]
	ds_load_b128 v[108:111], v1 offset:720
	ds_load_b128 v[120:123], v1 offset:736
	s_waitcnt vmcnt(3)
	v_fma_f64 v[2:3], v[112:113], v[130:131], v[2:3]
	s_waitcnt lgkmcnt(1)
	s_delay_alu instid0(VALU_DEP_1) | instskip(SKIP_1) | instid1(VALU_DEP_1)
	v_fma_f64 v[2:3], v[114:115], v[108:109], v[2:3]
	s_waitcnt vmcnt(2)
	v_fma_f64 v[2:3], v[104:105], v[110:111], v[2:3]
	s_waitcnt lgkmcnt(0)
	s_delay_alu instid0(VALU_DEP_1) | instskip(SKIP_1) | instid1(VALU_DEP_1)
	v_fma_f64 v[2:3], v[106:107], v[120:121], v[2:3]
	s_waitcnt vmcnt(1)
	v_fma_f64 v[104:105], v[116:117], v[122:123], v[2:3]
	ds_load_b128 v[1:4], v1 offset:752
	s_waitcnt lgkmcnt(0)
	v_fma_f64 v[1:2], v[118:119], v[1:2], v[104:105]
	s_waitcnt vmcnt(0)
	s_delay_alu instid0(VALU_DEP_1) | instskip(NEXT) | instid1(VALU_DEP_1)
	v_fma_f64 v[1:2], v[124:125], v[3:4], v[1:2]
	v_add_f64 v[1:2], v[102:103], -v[1:2]
	scratch_store_b64 off, v[1:2], off offset:168
	v_cmpx_lt_u32_e32 20, v0
	s_cbranch_execz .LBB111_257
; %bb.256:
	scratch_load_b64 v[1:2], off, off offset:160
	v_mov_b32_e32 v3, 0
	s_delay_alu instid0(VALU_DEP_1)
	v_mov_b32_e32 v4, v3
	scratch_store_b64 off, v[3:4], off offset:160
	s_waitcnt vmcnt(0)
	ds_store_b64 v5, v[1:2]
.LBB111_257:
	s_or_b32 exec_lo, exec_lo, s0
	s_waitcnt lgkmcnt(0)
	s_waitcnt_vscnt null, 0x0
	s_barrier
	buffer_gl0_inv
	s_clause 0x4
	scratch_load_b128 v[102:105], off, off offset:160
	scratch_load_b128 v[106:109], off, off offset:176
	;; [unrolled: 1-line block ×5, first 2 shown]
	v_mov_b32_e32 v1, 0
	ds_load_2addr_b64 v[122:125], v1 offset0:69 offset1:70
	ds_load_2addr_b64 v[126:129], v1 offset0:71 offset1:72
	scratch_load_b128 v[130:133], off, off offset:240
	s_mov_b32 s0, exec_lo
	s_waitcnt vmcnt(5) lgkmcnt(1)
	v_fma_f64 v[2:3], v[104:105], v[122:123], 0
	s_waitcnt vmcnt(4)
	s_delay_alu instid0(VALU_DEP_1) | instskip(SKIP_4) | instid1(VALU_DEP_1)
	v_fma_f64 v[2:3], v[106:107], v[124:125], v[2:3]
	scratch_load_b128 v[104:107], off, off offset:256
	s_waitcnt lgkmcnt(0)
	v_fma_f64 v[2:3], v[108:109], v[126:127], v[2:3]
	s_waitcnt vmcnt(4)
	v_fma_f64 v[2:3], v[110:111], v[128:129], v[2:3]
	ds_load_2addr_b64 v[108:111], v1 offset0:73 offset1:74
	ds_load_2addr_b64 v[122:125], v1 offset0:75 offset1:76
	scratch_load_b128 v[126:129], off, off offset:272
	s_waitcnt lgkmcnt(1)
	v_fma_f64 v[2:3], v[112:113], v[108:109], v[2:3]
	s_waitcnt vmcnt(4)
	s_delay_alu instid0(VALU_DEP_1) | instskip(SKIP_4) | instid1(VALU_DEP_1)
	v_fma_f64 v[2:3], v[114:115], v[110:111], v[2:3]
	scratch_load_b128 v[108:111], off, off offset:288
	s_waitcnt lgkmcnt(0)
	v_fma_f64 v[2:3], v[116:117], v[122:123], v[2:3]
	s_waitcnt vmcnt(4)
	v_fma_f64 v[2:3], v[118:119], v[124:125], v[2:3]
	ds_load_2addr_b64 v[112:115], v1 offset0:77 offset1:78
	ds_load_2addr_b64 v[116:119], v1 offset0:79 offset1:80
	s_waitcnt lgkmcnt(1)
	v_fma_f64 v[2:3], v[120:121], v[112:113], v[2:3]
	scratch_load_b128 v[120:123], off, off offset:304
	s_waitcnt vmcnt(4)
	v_fma_f64 v[2:3], v[130:131], v[114:115], v[2:3]
	scratch_load_b128 v[112:115], off, off offset:320
	s_waitcnt lgkmcnt(0)
	v_fma_f64 v[2:3], v[132:133], v[116:117], v[2:3]
	s_waitcnt vmcnt(4)
	s_delay_alu instid0(VALU_DEP_1)
	v_fma_f64 v[2:3], v[104:105], v[118:119], v[2:3]
	ds_load_2addr_b64 v[116:119], v1 offset0:81 offset1:82
	ds_load_2addr_b64 v[130:133], v1 offset0:83 offset1:84
	s_waitcnt lgkmcnt(1)
	v_fma_f64 v[2:3], v[106:107], v[116:117], v[2:3]
	scratch_load_b128 v[104:107], off, off offset:336
	s_waitcnt vmcnt(4)
	v_fma_f64 v[2:3], v[126:127], v[118:119], v[2:3]
	scratch_load_b128 v[116:119], off, off offset:352
	s_waitcnt lgkmcnt(0)
	v_fma_f64 v[2:3], v[128:129], v[130:131], v[2:3]
	ds_load_2addr_b64 v[124:127], v1 offset0:85 offset1:86
	ds_load_2addr_b64 v[128:131], v1 offset0:87 offset1:88
	s_waitcnt vmcnt(4)
	v_fma_f64 v[2:3], v[108:109], v[132:133], v[2:3]
	s_waitcnt lgkmcnt(1)
	s_delay_alu instid0(VALU_DEP_1) | instskip(SKIP_4) | instid1(VALU_DEP_1)
	v_fma_f64 v[2:3], v[110:111], v[124:125], v[2:3]
	scratch_load_b128 v[108:111], off, off offset:368
	s_waitcnt vmcnt(4)
	v_fma_f64 v[2:3], v[120:121], v[126:127], v[2:3]
	s_waitcnt lgkmcnt(0)
	v_fma_f64 v[2:3], v[122:123], v[128:129], v[2:3]
	ds_load_2addr_b64 v[120:123], v1 offset0:89 offset1:90
	ds_load_2addr_b64 v[124:127], v1 offset0:91 offset1:92
	s_waitcnt vmcnt(3)
	v_fma_f64 v[2:3], v[112:113], v[130:131], v[2:3]
	s_waitcnt lgkmcnt(1)
	s_delay_alu instid0(VALU_DEP_1) | instskip(SKIP_1) | instid1(VALU_DEP_1)
	v_fma_f64 v[2:3], v[114:115], v[120:121], v[2:3]
	s_waitcnt vmcnt(2)
	v_fma_f64 v[2:3], v[104:105], v[122:123], v[2:3]
	s_waitcnt lgkmcnt(0)
	s_delay_alu instid0(VALU_DEP_1)
	v_fma_f64 v[2:3], v[106:107], v[124:125], v[2:3]
	ds_load_2addr_b64 v[104:107], v1 offset0:93 offset1:94
	ds_load_b64 v[112:113], v1 offset:760
	s_waitcnt vmcnt(1)
	v_fma_f64 v[2:3], v[116:117], v[126:127], v[2:3]
	s_waitcnt lgkmcnt(1)
	s_delay_alu instid0(VALU_DEP_1) | instskip(SKIP_1) | instid1(VALU_DEP_1)
	v_fma_f64 v[2:3], v[118:119], v[104:105], v[2:3]
	s_waitcnt vmcnt(0)
	v_fma_f64 v[2:3], v[108:109], v[106:107], v[2:3]
	s_waitcnt lgkmcnt(0)
	s_delay_alu instid0(VALU_DEP_1) | instskip(NEXT) | instid1(VALU_DEP_1)
	v_fma_f64 v[2:3], v[110:111], v[112:113], v[2:3]
	v_add_f64 v[2:3], v[102:103], -v[2:3]
	scratch_store_b64 off, v[2:3], off offset:160
	v_cmpx_lt_u32_e32 19, v0
	s_cbranch_execz .LBB111_259
; %bb.258:
	scratch_load_b64 v[3:4], off, off offset:152
	v_mov_b32_e32 v2, v1
	scratch_store_b64 off, v[1:2], off offset:152
	s_waitcnt vmcnt(0)
	ds_store_b64 v5, v[3:4]
.LBB111_259:
	s_or_b32 exec_lo, exec_lo, s0
	s_waitcnt lgkmcnt(0)
	s_waitcnt_vscnt null, 0x0
	s_barrier
	buffer_gl0_inv
	s_clause 0x4
	scratch_load_b128 v[102:105], off, off offset:152
	scratch_load_b128 v[106:109], off, off offset:168
	;; [unrolled: 1-line block ×5, first 2 shown]
	ds_load_b128 v[122:125], v1 offset:544
	ds_load_b128 v[126:129], v1 offset:560
	scratch_load_b128 v[130:133], off, off offset:232
	s_mov_b32 s0, exec_lo
	s_waitcnt vmcnt(5) lgkmcnt(1)
	v_fma_f64 v[2:3], v[104:105], v[122:123], 0
	s_waitcnt vmcnt(4)
	s_delay_alu instid0(VALU_DEP_1) | instskip(SKIP_4) | instid1(VALU_DEP_1)
	v_fma_f64 v[2:3], v[106:107], v[124:125], v[2:3]
	scratch_load_b128 v[104:107], off, off offset:248
	s_waitcnt lgkmcnt(0)
	v_fma_f64 v[2:3], v[108:109], v[126:127], v[2:3]
	s_waitcnt vmcnt(4)
	v_fma_f64 v[2:3], v[110:111], v[128:129], v[2:3]
	ds_load_b128 v[108:111], v1 offset:576
	ds_load_b128 v[122:125], v1 offset:592
	scratch_load_b128 v[126:129], off, off offset:264
	s_waitcnt lgkmcnt(1)
	v_fma_f64 v[2:3], v[112:113], v[108:109], v[2:3]
	s_waitcnt vmcnt(4)
	s_delay_alu instid0(VALU_DEP_1) | instskip(SKIP_4) | instid1(VALU_DEP_1)
	v_fma_f64 v[2:3], v[114:115], v[110:111], v[2:3]
	scratch_load_b128 v[108:111], off, off offset:280
	s_waitcnt lgkmcnt(0)
	v_fma_f64 v[2:3], v[116:117], v[122:123], v[2:3]
	s_waitcnt vmcnt(4)
	v_fma_f64 v[2:3], v[118:119], v[124:125], v[2:3]
	ds_load_b128 v[112:115], v1 offset:608
	ds_load_b128 v[116:119], v1 offset:624
	s_waitcnt lgkmcnt(1)
	v_fma_f64 v[2:3], v[120:121], v[112:113], v[2:3]
	scratch_load_b128 v[120:123], off, off offset:296
	s_waitcnt vmcnt(4)
	v_fma_f64 v[2:3], v[130:131], v[114:115], v[2:3]
	scratch_load_b128 v[112:115], off, off offset:312
	s_waitcnt lgkmcnt(0)
	v_fma_f64 v[2:3], v[132:133], v[116:117], v[2:3]
	s_waitcnt vmcnt(4)
	s_delay_alu instid0(VALU_DEP_1)
	v_fma_f64 v[2:3], v[104:105], v[118:119], v[2:3]
	ds_load_b128 v[116:119], v1 offset:640
	ds_load_b128 v[130:133], v1 offset:656
	s_waitcnt lgkmcnt(1)
	v_fma_f64 v[2:3], v[106:107], v[116:117], v[2:3]
	scratch_load_b128 v[104:107], off, off offset:328
	s_waitcnt vmcnt(4)
	v_fma_f64 v[2:3], v[126:127], v[118:119], v[2:3]
	scratch_load_b128 v[116:119], off, off offset:344
	s_waitcnt lgkmcnt(0)
	v_fma_f64 v[2:3], v[128:129], v[130:131], v[2:3]
	ds_load_b128 v[124:127], v1 offset:672
	ds_load_b128 v[128:131], v1 offset:688
	s_waitcnt vmcnt(4)
	v_fma_f64 v[2:3], v[108:109], v[132:133], v[2:3]
	s_waitcnt lgkmcnt(1)
	s_delay_alu instid0(VALU_DEP_1) | instskip(SKIP_4) | instid1(VALU_DEP_1)
	v_fma_f64 v[2:3], v[110:111], v[124:125], v[2:3]
	scratch_load_b128 v[108:111], off, off offset:360
	s_waitcnt vmcnt(4)
	v_fma_f64 v[2:3], v[120:121], v[126:127], v[2:3]
	s_waitcnt lgkmcnt(0)
	v_fma_f64 v[2:3], v[122:123], v[128:129], v[2:3]
	scratch_load_b64 v[128:129], off, off offset:376
	ds_load_b128 v[120:123], v1 offset:704
	ds_load_b128 v[124:127], v1 offset:720
	s_waitcnt vmcnt(4)
	v_fma_f64 v[2:3], v[112:113], v[130:131], v[2:3]
	s_waitcnt lgkmcnt(1)
	s_delay_alu instid0(VALU_DEP_1) | instskip(SKIP_1) | instid1(VALU_DEP_1)
	v_fma_f64 v[2:3], v[114:115], v[120:121], v[2:3]
	s_waitcnt vmcnt(3)
	v_fma_f64 v[2:3], v[104:105], v[122:123], v[2:3]
	s_waitcnt lgkmcnt(0)
	s_delay_alu instid0(VALU_DEP_1) | instskip(SKIP_1) | instid1(VALU_DEP_1)
	v_fma_f64 v[2:3], v[106:107], v[124:125], v[2:3]
	s_waitcnt vmcnt(2)
	v_fma_f64 v[112:113], v[116:117], v[126:127], v[2:3]
	ds_load_b128 v[104:107], v1 offset:736
	ds_load_b128 v[1:4], v1 offset:752
	s_waitcnt lgkmcnt(1)
	v_fma_f64 v[104:105], v[118:119], v[104:105], v[112:113]
	s_waitcnt vmcnt(1)
	s_delay_alu instid0(VALU_DEP_1) | instskip(SKIP_1) | instid1(VALU_DEP_1)
	v_fma_f64 v[104:105], v[108:109], v[106:107], v[104:105]
	s_waitcnt lgkmcnt(0)
	v_fma_f64 v[1:2], v[110:111], v[1:2], v[104:105]
	s_waitcnt vmcnt(0)
	s_delay_alu instid0(VALU_DEP_1) | instskip(NEXT) | instid1(VALU_DEP_1)
	v_fma_f64 v[1:2], v[128:129], v[3:4], v[1:2]
	v_add_f64 v[1:2], v[102:103], -v[1:2]
	scratch_store_b64 off, v[1:2], off offset:152
	v_cmpx_lt_u32_e32 18, v0
	s_cbranch_execz .LBB111_261
; %bb.260:
	scratch_load_b64 v[1:2], off, off offset:144
	v_mov_b32_e32 v3, 0
	s_delay_alu instid0(VALU_DEP_1)
	v_mov_b32_e32 v4, v3
	scratch_store_b64 off, v[3:4], off offset:144
	s_waitcnt vmcnt(0)
	ds_store_b64 v5, v[1:2]
.LBB111_261:
	s_or_b32 exec_lo, exec_lo, s0
	s_waitcnt lgkmcnt(0)
	s_waitcnt_vscnt null, 0x0
	s_barrier
	buffer_gl0_inv
	s_clause 0x4
	scratch_load_b128 v[102:105], off, off offset:144
	scratch_load_b128 v[106:109], off, off offset:160
	scratch_load_b128 v[110:113], off, off offset:176
	scratch_load_b128 v[114:117], off, off offset:192
	scratch_load_b128 v[118:121], off, off offset:208
	v_mov_b32_e32 v1, 0
	ds_load_2addr_b64 v[122:125], v1 offset0:67 offset1:68
	ds_load_2addr_b64 v[126:129], v1 offset0:69 offset1:70
	scratch_load_b128 v[130:133], off, off offset:224
	s_mov_b32 s0, exec_lo
	s_waitcnt vmcnt(5) lgkmcnt(1)
	v_fma_f64 v[2:3], v[104:105], v[122:123], 0
	s_waitcnt vmcnt(4)
	s_delay_alu instid0(VALU_DEP_1) | instskip(SKIP_4) | instid1(VALU_DEP_1)
	v_fma_f64 v[2:3], v[106:107], v[124:125], v[2:3]
	scratch_load_b128 v[104:107], off, off offset:240
	s_waitcnt lgkmcnt(0)
	v_fma_f64 v[2:3], v[108:109], v[126:127], v[2:3]
	s_waitcnt vmcnt(4)
	v_fma_f64 v[2:3], v[110:111], v[128:129], v[2:3]
	ds_load_2addr_b64 v[108:111], v1 offset0:71 offset1:72
	ds_load_2addr_b64 v[122:125], v1 offset0:73 offset1:74
	scratch_load_b128 v[126:129], off, off offset:256
	s_waitcnt lgkmcnt(1)
	v_fma_f64 v[2:3], v[112:113], v[108:109], v[2:3]
	s_waitcnt vmcnt(4)
	s_delay_alu instid0(VALU_DEP_1) | instskip(SKIP_4) | instid1(VALU_DEP_1)
	v_fma_f64 v[2:3], v[114:115], v[110:111], v[2:3]
	scratch_load_b128 v[108:111], off, off offset:272
	s_waitcnt lgkmcnt(0)
	v_fma_f64 v[2:3], v[116:117], v[122:123], v[2:3]
	s_waitcnt vmcnt(4)
	v_fma_f64 v[2:3], v[118:119], v[124:125], v[2:3]
	ds_load_2addr_b64 v[112:115], v1 offset0:75 offset1:76
	ds_load_2addr_b64 v[116:119], v1 offset0:77 offset1:78
	s_waitcnt lgkmcnt(1)
	v_fma_f64 v[2:3], v[120:121], v[112:113], v[2:3]
	scratch_load_b128 v[120:123], off, off offset:288
	s_waitcnt vmcnt(4)
	v_fma_f64 v[2:3], v[130:131], v[114:115], v[2:3]
	scratch_load_b128 v[112:115], off, off offset:304
	s_waitcnt lgkmcnt(0)
	v_fma_f64 v[2:3], v[132:133], v[116:117], v[2:3]
	s_waitcnt vmcnt(4)
	s_delay_alu instid0(VALU_DEP_1)
	v_fma_f64 v[2:3], v[104:105], v[118:119], v[2:3]
	ds_load_2addr_b64 v[116:119], v1 offset0:79 offset1:80
	ds_load_2addr_b64 v[130:133], v1 offset0:81 offset1:82
	s_waitcnt lgkmcnt(1)
	v_fma_f64 v[2:3], v[106:107], v[116:117], v[2:3]
	scratch_load_b128 v[104:107], off, off offset:320
	s_waitcnt vmcnt(4)
	v_fma_f64 v[2:3], v[126:127], v[118:119], v[2:3]
	scratch_load_b128 v[116:119], off, off offset:336
	s_waitcnt lgkmcnt(0)
	v_fma_f64 v[2:3], v[128:129], v[130:131], v[2:3]
	ds_load_2addr_b64 v[124:127], v1 offset0:83 offset1:84
	ds_load_2addr_b64 v[128:131], v1 offset0:85 offset1:86
	s_waitcnt vmcnt(4)
	v_fma_f64 v[2:3], v[108:109], v[132:133], v[2:3]
	s_waitcnt lgkmcnt(1)
	s_delay_alu instid0(VALU_DEP_1) | instskip(SKIP_4) | instid1(VALU_DEP_1)
	v_fma_f64 v[2:3], v[110:111], v[124:125], v[2:3]
	scratch_load_b128 v[108:111], off, off offset:352
	s_waitcnt vmcnt(4)
	v_fma_f64 v[2:3], v[120:121], v[126:127], v[2:3]
	s_waitcnt lgkmcnt(0)
	v_fma_f64 v[2:3], v[122:123], v[128:129], v[2:3]
	scratch_load_b128 v[120:123], off, off offset:368
	s_waitcnt vmcnt(4)
	v_fma_f64 v[2:3], v[112:113], v[130:131], v[2:3]
	ds_load_2addr_b64 v[124:127], v1 offset0:87 offset1:88
	ds_load_2addr_b64 v[128:131], v1 offset0:89 offset1:90
	s_waitcnt lgkmcnt(1)
	v_fma_f64 v[2:3], v[114:115], v[124:125], v[2:3]
	s_waitcnt vmcnt(3)
	s_delay_alu instid0(VALU_DEP_1) | instskip(SKIP_1) | instid1(VALU_DEP_1)
	v_fma_f64 v[2:3], v[104:105], v[126:127], v[2:3]
	s_waitcnt lgkmcnt(0)
	v_fma_f64 v[2:3], v[106:107], v[128:129], v[2:3]
	ds_load_2addr_b64 v[104:107], v1 offset0:91 offset1:92
	ds_load_2addr_b64 v[112:115], v1 offset0:93 offset1:94
	s_waitcnt vmcnt(2)
	v_fma_f64 v[2:3], v[116:117], v[130:131], v[2:3]
	s_waitcnt lgkmcnt(1)
	s_delay_alu instid0(VALU_DEP_1) | instskip(SKIP_4) | instid1(VALU_DEP_1)
	v_fma_f64 v[2:3], v[118:119], v[104:105], v[2:3]
	ds_load_b64 v[104:105], v1 offset:760
	s_waitcnt vmcnt(1)
	v_fma_f64 v[2:3], v[108:109], v[106:107], v[2:3]
	s_waitcnt lgkmcnt(1)
	v_fma_f64 v[2:3], v[110:111], v[112:113], v[2:3]
	s_waitcnt vmcnt(0)
	s_delay_alu instid0(VALU_DEP_1) | instskip(SKIP_1) | instid1(VALU_DEP_1)
	v_fma_f64 v[2:3], v[120:121], v[114:115], v[2:3]
	s_waitcnt lgkmcnt(0)
	v_fma_f64 v[2:3], v[122:123], v[104:105], v[2:3]
	s_delay_alu instid0(VALU_DEP_1)
	v_add_f64 v[2:3], v[102:103], -v[2:3]
	scratch_store_b64 off, v[2:3], off offset:144
	v_cmpx_lt_u32_e32 17, v0
	s_cbranch_execz .LBB111_263
; %bb.262:
	scratch_load_b64 v[3:4], off, off offset:136
	v_mov_b32_e32 v2, v1
	scratch_store_b64 off, v[1:2], off offset:136
	s_waitcnt vmcnt(0)
	ds_store_b64 v5, v[3:4]
.LBB111_263:
	s_or_b32 exec_lo, exec_lo, s0
	s_waitcnt lgkmcnt(0)
	s_waitcnt_vscnt null, 0x0
	s_barrier
	buffer_gl0_inv
	s_clause 0x4
	scratch_load_b128 v[102:105], off, off offset:136
	scratch_load_b128 v[106:109], off, off offset:152
	;; [unrolled: 1-line block ×5, first 2 shown]
	ds_load_b128 v[122:125], v1 offset:528
	ds_load_b128 v[126:129], v1 offset:544
	scratch_load_b128 v[130:133], off, off offset:216
	s_mov_b32 s0, exec_lo
	s_waitcnt vmcnt(5) lgkmcnt(1)
	v_fma_f64 v[2:3], v[104:105], v[122:123], 0
	s_waitcnt vmcnt(4)
	s_delay_alu instid0(VALU_DEP_1) | instskip(SKIP_4) | instid1(VALU_DEP_1)
	v_fma_f64 v[2:3], v[106:107], v[124:125], v[2:3]
	scratch_load_b128 v[104:107], off, off offset:232
	s_waitcnt lgkmcnt(0)
	v_fma_f64 v[2:3], v[108:109], v[126:127], v[2:3]
	s_waitcnt vmcnt(4)
	v_fma_f64 v[2:3], v[110:111], v[128:129], v[2:3]
	ds_load_b128 v[108:111], v1 offset:560
	ds_load_b128 v[122:125], v1 offset:576
	scratch_load_b128 v[126:129], off, off offset:248
	s_waitcnt lgkmcnt(1)
	v_fma_f64 v[2:3], v[112:113], v[108:109], v[2:3]
	s_waitcnt vmcnt(4)
	s_delay_alu instid0(VALU_DEP_1) | instskip(SKIP_4) | instid1(VALU_DEP_1)
	v_fma_f64 v[2:3], v[114:115], v[110:111], v[2:3]
	scratch_load_b128 v[108:111], off, off offset:264
	s_waitcnt lgkmcnt(0)
	v_fma_f64 v[2:3], v[116:117], v[122:123], v[2:3]
	s_waitcnt vmcnt(4)
	v_fma_f64 v[2:3], v[118:119], v[124:125], v[2:3]
	ds_load_b128 v[112:115], v1 offset:592
	ds_load_b128 v[116:119], v1 offset:608
	s_waitcnt lgkmcnt(1)
	v_fma_f64 v[2:3], v[120:121], v[112:113], v[2:3]
	scratch_load_b128 v[120:123], off, off offset:280
	s_waitcnt vmcnt(4)
	v_fma_f64 v[2:3], v[130:131], v[114:115], v[2:3]
	scratch_load_b128 v[112:115], off, off offset:296
	s_waitcnt lgkmcnt(0)
	v_fma_f64 v[2:3], v[132:133], v[116:117], v[2:3]
	s_waitcnt vmcnt(4)
	s_delay_alu instid0(VALU_DEP_1)
	v_fma_f64 v[2:3], v[104:105], v[118:119], v[2:3]
	ds_load_b128 v[116:119], v1 offset:624
	ds_load_b128 v[130:133], v1 offset:640
	s_waitcnt lgkmcnt(1)
	v_fma_f64 v[2:3], v[106:107], v[116:117], v[2:3]
	scratch_load_b128 v[104:107], off, off offset:312
	s_waitcnt vmcnt(4)
	v_fma_f64 v[2:3], v[126:127], v[118:119], v[2:3]
	scratch_load_b128 v[116:119], off, off offset:328
	s_waitcnt lgkmcnt(0)
	v_fma_f64 v[2:3], v[128:129], v[130:131], v[2:3]
	ds_load_b128 v[124:127], v1 offset:656
	ds_load_b128 v[128:131], v1 offset:672
	s_waitcnt vmcnt(4)
	v_fma_f64 v[2:3], v[108:109], v[132:133], v[2:3]
	s_waitcnt lgkmcnt(1)
	s_delay_alu instid0(VALU_DEP_1) | instskip(SKIP_4) | instid1(VALU_DEP_1)
	v_fma_f64 v[2:3], v[110:111], v[124:125], v[2:3]
	scratch_load_b128 v[108:111], off, off offset:344
	s_waitcnt vmcnt(4)
	v_fma_f64 v[2:3], v[120:121], v[126:127], v[2:3]
	s_waitcnt lgkmcnt(0)
	v_fma_f64 v[2:3], v[122:123], v[128:129], v[2:3]
	scratch_load_b128 v[120:123], off, off offset:360
	s_waitcnt vmcnt(4)
	v_fma_f64 v[2:3], v[112:113], v[130:131], v[2:3]
	ds_load_b128 v[124:127], v1 offset:688
	ds_load_b128 v[128:131], v1 offset:704
	s_waitcnt lgkmcnt(1)
	v_fma_f64 v[2:3], v[114:115], v[124:125], v[2:3]
	scratch_load_b64 v[124:125], off, off offset:376
	s_waitcnt vmcnt(4)
	v_fma_f64 v[2:3], v[104:105], v[126:127], v[2:3]
	s_waitcnt lgkmcnt(0)
	s_delay_alu instid0(VALU_DEP_1)
	v_fma_f64 v[2:3], v[106:107], v[128:129], v[2:3]
	ds_load_b128 v[104:107], v1 offset:720
	ds_load_b128 v[112:115], v1 offset:736
	s_waitcnt vmcnt(3)
	v_fma_f64 v[2:3], v[116:117], v[130:131], v[2:3]
	s_waitcnt lgkmcnt(1)
	s_delay_alu instid0(VALU_DEP_1) | instskip(SKIP_1) | instid1(VALU_DEP_1)
	v_fma_f64 v[2:3], v[118:119], v[104:105], v[2:3]
	s_waitcnt vmcnt(2)
	v_fma_f64 v[2:3], v[108:109], v[106:107], v[2:3]
	s_waitcnt lgkmcnt(0)
	s_delay_alu instid0(VALU_DEP_1) | instskip(SKIP_1) | instid1(VALU_DEP_1)
	v_fma_f64 v[2:3], v[110:111], v[112:113], v[2:3]
	s_waitcnt vmcnt(1)
	v_fma_f64 v[104:105], v[120:121], v[114:115], v[2:3]
	ds_load_b128 v[1:4], v1 offset:752
	s_waitcnt lgkmcnt(0)
	v_fma_f64 v[1:2], v[122:123], v[1:2], v[104:105]
	s_waitcnt vmcnt(0)
	s_delay_alu instid0(VALU_DEP_1) | instskip(NEXT) | instid1(VALU_DEP_1)
	v_fma_f64 v[1:2], v[124:125], v[3:4], v[1:2]
	v_add_f64 v[1:2], v[102:103], -v[1:2]
	scratch_store_b64 off, v[1:2], off offset:136
	v_cmpx_lt_u32_e32 16, v0
	s_cbranch_execz .LBB111_265
; %bb.264:
	scratch_load_b64 v[1:2], off, off offset:128
	v_mov_b32_e32 v3, 0
	s_delay_alu instid0(VALU_DEP_1)
	v_mov_b32_e32 v4, v3
	scratch_store_b64 off, v[3:4], off offset:128
	s_waitcnt vmcnt(0)
	ds_store_b64 v5, v[1:2]
.LBB111_265:
	s_or_b32 exec_lo, exec_lo, s0
	s_waitcnt lgkmcnt(0)
	s_waitcnt_vscnt null, 0x0
	s_barrier
	buffer_gl0_inv
	s_clause 0x4
	scratch_load_b128 v[102:105], off, off offset:128
	scratch_load_b128 v[106:109], off, off offset:144
	;; [unrolled: 1-line block ×5, first 2 shown]
	v_mov_b32_e32 v1, 0
	ds_load_2addr_b64 v[122:125], v1 offset0:65 offset1:66
	ds_load_2addr_b64 v[126:129], v1 offset0:67 offset1:68
	scratch_load_b128 v[130:133], off, off offset:208
	s_mov_b32 s0, exec_lo
	s_waitcnt vmcnt(5) lgkmcnt(1)
	v_fma_f64 v[2:3], v[104:105], v[122:123], 0
	s_waitcnt vmcnt(4)
	s_delay_alu instid0(VALU_DEP_1) | instskip(SKIP_4) | instid1(VALU_DEP_1)
	v_fma_f64 v[2:3], v[106:107], v[124:125], v[2:3]
	scratch_load_b128 v[104:107], off, off offset:224
	s_waitcnt lgkmcnt(0)
	v_fma_f64 v[2:3], v[108:109], v[126:127], v[2:3]
	s_waitcnt vmcnt(4)
	v_fma_f64 v[2:3], v[110:111], v[128:129], v[2:3]
	ds_load_2addr_b64 v[108:111], v1 offset0:69 offset1:70
	ds_load_2addr_b64 v[122:125], v1 offset0:71 offset1:72
	scratch_load_b128 v[126:129], off, off offset:240
	s_waitcnt lgkmcnt(1)
	v_fma_f64 v[2:3], v[112:113], v[108:109], v[2:3]
	s_waitcnt vmcnt(4)
	s_delay_alu instid0(VALU_DEP_1) | instskip(SKIP_4) | instid1(VALU_DEP_1)
	v_fma_f64 v[2:3], v[114:115], v[110:111], v[2:3]
	scratch_load_b128 v[108:111], off, off offset:256
	s_waitcnt lgkmcnt(0)
	v_fma_f64 v[2:3], v[116:117], v[122:123], v[2:3]
	s_waitcnt vmcnt(4)
	v_fma_f64 v[2:3], v[118:119], v[124:125], v[2:3]
	ds_load_2addr_b64 v[112:115], v1 offset0:73 offset1:74
	ds_load_2addr_b64 v[116:119], v1 offset0:75 offset1:76
	s_waitcnt lgkmcnt(1)
	v_fma_f64 v[2:3], v[120:121], v[112:113], v[2:3]
	scratch_load_b128 v[120:123], off, off offset:272
	s_waitcnt vmcnt(4)
	v_fma_f64 v[2:3], v[130:131], v[114:115], v[2:3]
	scratch_load_b128 v[112:115], off, off offset:288
	s_waitcnt lgkmcnt(0)
	v_fma_f64 v[2:3], v[132:133], v[116:117], v[2:3]
	s_waitcnt vmcnt(4)
	s_delay_alu instid0(VALU_DEP_1)
	v_fma_f64 v[2:3], v[104:105], v[118:119], v[2:3]
	ds_load_2addr_b64 v[116:119], v1 offset0:77 offset1:78
	ds_load_2addr_b64 v[130:133], v1 offset0:79 offset1:80
	s_waitcnt lgkmcnt(1)
	v_fma_f64 v[2:3], v[106:107], v[116:117], v[2:3]
	scratch_load_b128 v[104:107], off, off offset:304
	s_waitcnt vmcnt(4)
	v_fma_f64 v[2:3], v[126:127], v[118:119], v[2:3]
	scratch_load_b128 v[116:119], off, off offset:320
	s_waitcnt lgkmcnt(0)
	v_fma_f64 v[2:3], v[128:129], v[130:131], v[2:3]
	ds_load_2addr_b64 v[124:127], v1 offset0:81 offset1:82
	ds_load_2addr_b64 v[128:131], v1 offset0:83 offset1:84
	s_waitcnt vmcnt(4)
	v_fma_f64 v[2:3], v[108:109], v[132:133], v[2:3]
	s_waitcnt lgkmcnt(1)
	s_delay_alu instid0(VALU_DEP_1) | instskip(SKIP_4) | instid1(VALU_DEP_1)
	v_fma_f64 v[2:3], v[110:111], v[124:125], v[2:3]
	scratch_load_b128 v[108:111], off, off offset:336
	s_waitcnt vmcnt(4)
	v_fma_f64 v[2:3], v[120:121], v[126:127], v[2:3]
	s_waitcnt lgkmcnt(0)
	v_fma_f64 v[2:3], v[122:123], v[128:129], v[2:3]
	scratch_load_b128 v[120:123], off, off offset:352
	s_waitcnt vmcnt(4)
	v_fma_f64 v[2:3], v[112:113], v[130:131], v[2:3]
	ds_load_2addr_b64 v[124:127], v1 offset0:85 offset1:86
	ds_load_2addr_b64 v[128:131], v1 offset0:87 offset1:88
	s_waitcnt lgkmcnt(1)
	v_fma_f64 v[2:3], v[114:115], v[124:125], v[2:3]
	scratch_load_b128 v[112:115], off, off offset:368
	s_waitcnt vmcnt(4)
	v_fma_f64 v[2:3], v[104:105], v[126:127], v[2:3]
	s_waitcnt lgkmcnt(0)
	s_delay_alu instid0(VALU_DEP_1)
	v_fma_f64 v[2:3], v[106:107], v[128:129], v[2:3]
	ds_load_2addr_b64 v[104:107], v1 offset0:89 offset1:90
	ds_load_2addr_b64 v[124:127], v1 offset0:91 offset1:92
	s_waitcnt vmcnt(3)
	v_fma_f64 v[2:3], v[116:117], v[130:131], v[2:3]
	s_waitcnt lgkmcnt(1)
	s_delay_alu instid0(VALU_DEP_1) | instskip(SKIP_1) | instid1(VALU_DEP_1)
	v_fma_f64 v[2:3], v[118:119], v[104:105], v[2:3]
	s_waitcnt vmcnt(2)
	v_fma_f64 v[2:3], v[108:109], v[106:107], v[2:3]
	ds_load_2addr_b64 v[104:107], v1 offset0:93 offset1:94
	ds_load_b64 v[108:109], v1 offset:760
	s_waitcnt lgkmcnt(2)
	v_fma_f64 v[2:3], v[110:111], v[124:125], v[2:3]
	s_waitcnt vmcnt(1)
	s_delay_alu instid0(VALU_DEP_1) | instskip(SKIP_1) | instid1(VALU_DEP_1)
	v_fma_f64 v[2:3], v[120:121], v[126:127], v[2:3]
	s_waitcnt lgkmcnt(1)
	v_fma_f64 v[2:3], v[122:123], v[104:105], v[2:3]
	s_waitcnt vmcnt(0)
	s_delay_alu instid0(VALU_DEP_1) | instskip(SKIP_1) | instid1(VALU_DEP_1)
	v_fma_f64 v[2:3], v[112:113], v[106:107], v[2:3]
	s_waitcnt lgkmcnt(0)
	v_fma_f64 v[2:3], v[114:115], v[108:109], v[2:3]
	s_delay_alu instid0(VALU_DEP_1)
	v_add_f64 v[2:3], v[102:103], -v[2:3]
	scratch_store_b64 off, v[2:3], off offset:128
	v_cmpx_lt_u32_e32 15, v0
	s_cbranch_execz .LBB111_267
; %bb.266:
	scratch_load_b64 v[3:4], off, off offset:120
	v_mov_b32_e32 v2, v1
	scratch_store_b64 off, v[1:2], off offset:120
	s_waitcnt vmcnt(0)
	ds_store_b64 v5, v[3:4]
.LBB111_267:
	s_or_b32 exec_lo, exec_lo, s0
	s_waitcnt lgkmcnt(0)
	s_waitcnt_vscnt null, 0x0
	s_barrier
	buffer_gl0_inv
	s_clause 0x4
	scratch_load_b128 v[102:105], off, off offset:120
	scratch_load_b128 v[106:109], off, off offset:136
	;; [unrolled: 1-line block ×5, first 2 shown]
	ds_load_b128 v[122:125], v1 offset:512
	ds_load_b128 v[126:129], v1 offset:528
	scratch_load_b128 v[130:133], off, off offset:200
	s_mov_b32 s0, exec_lo
	s_waitcnt vmcnt(5) lgkmcnt(1)
	v_fma_f64 v[2:3], v[104:105], v[122:123], 0
	s_waitcnt vmcnt(4)
	s_delay_alu instid0(VALU_DEP_1) | instskip(SKIP_4) | instid1(VALU_DEP_1)
	v_fma_f64 v[2:3], v[106:107], v[124:125], v[2:3]
	scratch_load_b128 v[104:107], off, off offset:216
	s_waitcnt lgkmcnt(0)
	v_fma_f64 v[2:3], v[108:109], v[126:127], v[2:3]
	s_waitcnt vmcnt(4)
	v_fma_f64 v[2:3], v[110:111], v[128:129], v[2:3]
	ds_load_b128 v[108:111], v1 offset:544
	ds_load_b128 v[122:125], v1 offset:560
	scratch_load_b128 v[126:129], off, off offset:232
	s_waitcnt lgkmcnt(1)
	v_fma_f64 v[2:3], v[112:113], v[108:109], v[2:3]
	s_waitcnt vmcnt(4)
	s_delay_alu instid0(VALU_DEP_1) | instskip(SKIP_4) | instid1(VALU_DEP_1)
	v_fma_f64 v[2:3], v[114:115], v[110:111], v[2:3]
	scratch_load_b128 v[108:111], off, off offset:248
	s_waitcnt lgkmcnt(0)
	v_fma_f64 v[2:3], v[116:117], v[122:123], v[2:3]
	s_waitcnt vmcnt(4)
	v_fma_f64 v[2:3], v[118:119], v[124:125], v[2:3]
	ds_load_b128 v[112:115], v1 offset:576
	ds_load_b128 v[116:119], v1 offset:592
	s_waitcnt lgkmcnt(1)
	v_fma_f64 v[2:3], v[120:121], v[112:113], v[2:3]
	scratch_load_b128 v[120:123], off, off offset:264
	s_waitcnt vmcnt(4)
	v_fma_f64 v[2:3], v[130:131], v[114:115], v[2:3]
	scratch_load_b128 v[112:115], off, off offset:280
	s_waitcnt lgkmcnt(0)
	v_fma_f64 v[2:3], v[132:133], v[116:117], v[2:3]
	s_waitcnt vmcnt(4)
	s_delay_alu instid0(VALU_DEP_1)
	v_fma_f64 v[2:3], v[104:105], v[118:119], v[2:3]
	ds_load_b128 v[116:119], v1 offset:608
	ds_load_b128 v[130:133], v1 offset:624
	s_waitcnt lgkmcnt(1)
	v_fma_f64 v[2:3], v[106:107], v[116:117], v[2:3]
	scratch_load_b128 v[104:107], off, off offset:296
	s_waitcnt vmcnt(4)
	v_fma_f64 v[2:3], v[126:127], v[118:119], v[2:3]
	scratch_load_b128 v[116:119], off, off offset:312
	s_waitcnt lgkmcnt(0)
	v_fma_f64 v[2:3], v[128:129], v[130:131], v[2:3]
	ds_load_b128 v[124:127], v1 offset:640
	ds_load_b128 v[128:131], v1 offset:656
	s_waitcnt vmcnt(4)
	v_fma_f64 v[2:3], v[108:109], v[132:133], v[2:3]
	s_waitcnt lgkmcnt(1)
	s_delay_alu instid0(VALU_DEP_1) | instskip(SKIP_4) | instid1(VALU_DEP_1)
	v_fma_f64 v[2:3], v[110:111], v[124:125], v[2:3]
	scratch_load_b128 v[108:111], off, off offset:328
	s_waitcnt vmcnt(4)
	v_fma_f64 v[2:3], v[120:121], v[126:127], v[2:3]
	s_waitcnt lgkmcnt(0)
	v_fma_f64 v[2:3], v[122:123], v[128:129], v[2:3]
	scratch_load_b128 v[120:123], off, off offset:344
	s_waitcnt vmcnt(4)
	v_fma_f64 v[2:3], v[112:113], v[130:131], v[2:3]
	ds_load_b128 v[124:127], v1 offset:672
	ds_load_b128 v[128:131], v1 offset:688
	s_waitcnt lgkmcnt(1)
	v_fma_f64 v[2:3], v[114:115], v[124:125], v[2:3]
	scratch_load_b128 v[112:115], off, off offset:360
	s_waitcnt vmcnt(4)
	v_fma_f64 v[2:3], v[104:105], v[126:127], v[2:3]
	s_waitcnt lgkmcnt(0)
	s_delay_alu instid0(VALU_DEP_1)
	v_fma_f64 v[2:3], v[106:107], v[128:129], v[2:3]
	scratch_load_b64 v[128:129], off, off offset:376
	ds_load_b128 v[104:107], v1 offset:704
	ds_load_b128 v[124:127], v1 offset:720
	s_waitcnt vmcnt(4)
	v_fma_f64 v[2:3], v[116:117], v[130:131], v[2:3]
	s_waitcnt lgkmcnt(1)
	s_delay_alu instid0(VALU_DEP_1) | instskip(SKIP_1) | instid1(VALU_DEP_1)
	v_fma_f64 v[2:3], v[118:119], v[104:105], v[2:3]
	s_waitcnt vmcnt(3)
	v_fma_f64 v[2:3], v[108:109], v[106:107], v[2:3]
	s_waitcnt lgkmcnt(0)
	s_delay_alu instid0(VALU_DEP_1) | instskip(SKIP_1) | instid1(VALU_DEP_1)
	v_fma_f64 v[2:3], v[110:111], v[124:125], v[2:3]
	s_waitcnt vmcnt(2)
	v_fma_f64 v[108:109], v[120:121], v[126:127], v[2:3]
	ds_load_b128 v[104:107], v1 offset:736
	ds_load_b128 v[1:4], v1 offset:752
	s_waitcnt lgkmcnt(1)
	v_fma_f64 v[104:105], v[122:123], v[104:105], v[108:109]
	s_waitcnt vmcnt(1)
	s_delay_alu instid0(VALU_DEP_1) | instskip(SKIP_1) | instid1(VALU_DEP_1)
	v_fma_f64 v[104:105], v[112:113], v[106:107], v[104:105]
	s_waitcnt lgkmcnt(0)
	v_fma_f64 v[1:2], v[114:115], v[1:2], v[104:105]
	s_waitcnt vmcnt(0)
	s_delay_alu instid0(VALU_DEP_1) | instskip(NEXT) | instid1(VALU_DEP_1)
	v_fma_f64 v[1:2], v[128:129], v[3:4], v[1:2]
	v_add_f64 v[1:2], v[102:103], -v[1:2]
	scratch_store_b64 off, v[1:2], off offset:120
	v_cmpx_lt_u32_e32 14, v0
	s_cbranch_execz .LBB111_269
; %bb.268:
	scratch_load_b64 v[1:2], off, off offset:112
	v_mov_b32_e32 v3, 0
	s_delay_alu instid0(VALU_DEP_1)
	v_mov_b32_e32 v4, v3
	scratch_store_b64 off, v[3:4], off offset:112
	s_waitcnt vmcnt(0)
	ds_store_b64 v5, v[1:2]
.LBB111_269:
	s_or_b32 exec_lo, exec_lo, s0
	s_waitcnt lgkmcnt(0)
	s_waitcnt_vscnt null, 0x0
	s_barrier
	buffer_gl0_inv
	s_clause 0x4
	scratch_load_b128 v[102:105], off, off offset:112
	scratch_load_b128 v[106:109], off, off offset:128
	;; [unrolled: 1-line block ×5, first 2 shown]
	v_mov_b32_e32 v1, 0
	ds_load_2addr_b64 v[122:125], v1 offset0:63 offset1:64
	ds_load_2addr_b64 v[126:129], v1 offset0:65 offset1:66
	scratch_load_b128 v[130:133], off, off offset:192
	s_mov_b32 s0, exec_lo
	s_waitcnt vmcnt(5) lgkmcnt(1)
	v_fma_f64 v[2:3], v[104:105], v[122:123], 0
	s_waitcnt vmcnt(4)
	s_delay_alu instid0(VALU_DEP_1) | instskip(SKIP_4) | instid1(VALU_DEP_1)
	v_fma_f64 v[2:3], v[106:107], v[124:125], v[2:3]
	scratch_load_b128 v[104:107], off, off offset:208
	s_waitcnt lgkmcnt(0)
	v_fma_f64 v[2:3], v[108:109], v[126:127], v[2:3]
	s_waitcnt vmcnt(4)
	v_fma_f64 v[2:3], v[110:111], v[128:129], v[2:3]
	ds_load_2addr_b64 v[108:111], v1 offset0:67 offset1:68
	ds_load_2addr_b64 v[122:125], v1 offset0:69 offset1:70
	scratch_load_b128 v[126:129], off, off offset:224
	s_waitcnt lgkmcnt(1)
	v_fma_f64 v[2:3], v[112:113], v[108:109], v[2:3]
	s_waitcnt vmcnt(4)
	s_delay_alu instid0(VALU_DEP_1) | instskip(SKIP_4) | instid1(VALU_DEP_1)
	v_fma_f64 v[2:3], v[114:115], v[110:111], v[2:3]
	scratch_load_b128 v[108:111], off, off offset:240
	s_waitcnt lgkmcnt(0)
	v_fma_f64 v[2:3], v[116:117], v[122:123], v[2:3]
	s_waitcnt vmcnt(4)
	v_fma_f64 v[2:3], v[118:119], v[124:125], v[2:3]
	ds_load_2addr_b64 v[112:115], v1 offset0:71 offset1:72
	ds_load_2addr_b64 v[116:119], v1 offset0:73 offset1:74
	s_waitcnt lgkmcnt(1)
	v_fma_f64 v[2:3], v[120:121], v[112:113], v[2:3]
	scratch_load_b128 v[120:123], off, off offset:256
	s_waitcnt vmcnt(4)
	v_fma_f64 v[2:3], v[130:131], v[114:115], v[2:3]
	scratch_load_b128 v[112:115], off, off offset:272
	s_waitcnt lgkmcnt(0)
	v_fma_f64 v[2:3], v[132:133], v[116:117], v[2:3]
	s_waitcnt vmcnt(4)
	s_delay_alu instid0(VALU_DEP_1)
	v_fma_f64 v[2:3], v[104:105], v[118:119], v[2:3]
	ds_load_2addr_b64 v[116:119], v1 offset0:75 offset1:76
	ds_load_2addr_b64 v[130:133], v1 offset0:77 offset1:78
	s_waitcnt lgkmcnt(1)
	v_fma_f64 v[2:3], v[106:107], v[116:117], v[2:3]
	scratch_load_b128 v[104:107], off, off offset:288
	s_waitcnt vmcnt(4)
	v_fma_f64 v[2:3], v[126:127], v[118:119], v[2:3]
	scratch_load_b128 v[116:119], off, off offset:304
	s_waitcnt lgkmcnt(0)
	v_fma_f64 v[2:3], v[128:129], v[130:131], v[2:3]
	ds_load_2addr_b64 v[124:127], v1 offset0:79 offset1:80
	ds_load_2addr_b64 v[128:131], v1 offset0:81 offset1:82
	s_waitcnt vmcnt(4)
	v_fma_f64 v[2:3], v[108:109], v[132:133], v[2:3]
	s_waitcnt lgkmcnt(1)
	s_delay_alu instid0(VALU_DEP_1) | instskip(SKIP_4) | instid1(VALU_DEP_1)
	v_fma_f64 v[2:3], v[110:111], v[124:125], v[2:3]
	scratch_load_b128 v[108:111], off, off offset:320
	s_waitcnt vmcnt(4)
	v_fma_f64 v[2:3], v[120:121], v[126:127], v[2:3]
	s_waitcnt lgkmcnt(0)
	v_fma_f64 v[2:3], v[122:123], v[128:129], v[2:3]
	scratch_load_b128 v[120:123], off, off offset:336
	s_waitcnt vmcnt(4)
	v_fma_f64 v[2:3], v[112:113], v[130:131], v[2:3]
	ds_load_2addr_b64 v[124:127], v1 offset0:83 offset1:84
	ds_load_2addr_b64 v[128:131], v1 offset0:85 offset1:86
	s_waitcnt lgkmcnt(1)
	v_fma_f64 v[2:3], v[114:115], v[124:125], v[2:3]
	scratch_load_b128 v[112:115], off, off offset:352
	s_waitcnt vmcnt(4)
	v_fma_f64 v[2:3], v[104:105], v[126:127], v[2:3]
	s_waitcnt lgkmcnt(0)
	s_delay_alu instid0(VALU_DEP_1)
	v_fma_f64 v[2:3], v[106:107], v[128:129], v[2:3]
	scratch_load_b128 v[104:107], off, off offset:368
	s_waitcnt vmcnt(4)
	v_fma_f64 v[2:3], v[116:117], v[130:131], v[2:3]
	ds_load_2addr_b64 v[124:127], v1 offset0:87 offset1:88
	ds_load_2addr_b64 v[128:131], v1 offset0:89 offset1:90
	s_waitcnt lgkmcnt(1)
	v_fma_f64 v[2:3], v[118:119], v[124:125], v[2:3]
	s_waitcnt vmcnt(3)
	s_delay_alu instid0(VALU_DEP_1) | instskip(SKIP_1) | instid1(VALU_DEP_1)
	v_fma_f64 v[2:3], v[108:109], v[126:127], v[2:3]
	s_waitcnt lgkmcnt(0)
	v_fma_f64 v[2:3], v[110:111], v[128:129], v[2:3]
	ds_load_2addr_b64 v[108:111], v1 offset0:91 offset1:92
	ds_load_2addr_b64 v[116:119], v1 offset0:93 offset1:94
	s_waitcnt vmcnt(2)
	v_fma_f64 v[2:3], v[120:121], v[130:131], v[2:3]
	s_waitcnt lgkmcnt(1)
	s_delay_alu instid0(VALU_DEP_1) | instskip(SKIP_1) | instid1(VALU_DEP_1)
	v_fma_f64 v[2:3], v[122:123], v[108:109], v[2:3]
	s_waitcnt vmcnt(1)
	v_fma_f64 v[2:3], v[112:113], v[110:111], v[2:3]
	s_waitcnt lgkmcnt(0)
	s_delay_alu instid0(VALU_DEP_1) | instskip(SKIP_1) | instid1(VALU_DEP_1)
	v_fma_f64 v[2:3], v[114:115], v[116:117], v[2:3]
	s_waitcnt vmcnt(0)
	v_fma_f64 v[2:3], v[104:105], v[118:119], v[2:3]
	ds_load_b64 v[104:105], v1 offset:760
	s_waitcnt lgkmcnt(0)
	v_fma_f64 v[2:3], v[106:107], v[104:105], v[2:3]
	s_delay_alu instid0(VALU_DEP_1)
	v_add_f64 v[2:3], v[102:103], -v[2:3]
	scratch_store_b64 off, v[2:3], off offset:112
	v_cmpx_lt_u32_e32 13, v0
	s_cbranch_execz .LBB111_271
; %bb.270:
	scratch_load_b64 v[3:4], off, off offset:104
	v_mov_b32_e32 v2, v1
	scratch_store_b64 off, v[1:2], off offset:104
	s_waitcnt vmcnt(0)
	ds_store_b64 v5, v[3:4]
.LBB111_271:
	s_or_b32 exec_lo, exec_lo, s0
	s_waitcnt lgkmcnt(0)
	s_waitcnt_vscnt null, 0x0
	s_barrier
	buffer_gl0_inv
	s_clause 0x4
	scratch_load_b128 v[102:105], off, off offset:104
	scratch_load_b128 v[106:109], off, off offset:120
	;; [unrolled: 1-line block ×5, first 2 shown]
	ds_load_b128 v[122:125], v1 offset:496
	ds_load_b128 v[126:129], v1 offset:512
	scratch_load_b128 v[130:133], off, off offset:184
	s_mov_b32 s0, exec_lo
	s_waitcnt vmcnt(5) lgkmcnt(1)
	v_fma_f64 v[2:3], v[104:105], v[122:123], 0
	s_waitcnt vmcnt(4)
	s_delay_alu instid0(VALU_DEP_1) | instskip(SKIP_4) | instid1(VALU_DEP_1)
	v_fma_f64 v[2:3], v[106:107], v[124:125], v[2:3]
	scratch_load_b128 v[104:107], off, off offset:200
	s_waitcnt lgkmcnt(0)
	v_fma_f64 v[2:3], v[108:109], v[126:127], v[2:3]
	s_waitcnt vmcnt(4)
	v_fma_f64 v[2:3], v[110:111], v[128:129], v[2:3]
	ds_load_b128 v[108:111], v1 offset:528
	ds_load_b128 v[122:125], v1 offset:544
	scratch_load_b128 v[126:129], off, off offset:216
	s_waitcnt lgkmcnt(1)
	v_fma_f64 v[2:3], v[112:113], v[108:109], v[2:3]
	s_waitcnt vmcnt(4)
	s_delay_alu instid0(VALU_DEP_1) | instskip(SKIP_4) | instid1(VALU_DEP_1)
	v_fma_f64 v[2:3], v[114:115], v[110:111], v[2:3]
	scratch_load_b128 v[108:111], off, off offset:232
	s_waitcnt lgkmcnt(0)
	v_fma_f64 v[2:3], v[116:117], v[122:123], v[2:3]
	s_waitcnt vmcnt(4)
	v_fma_f64 v[2:3], v[118:119], v[124:125], v[2:3]
	ds_load_b128 v[112:115], v1 offset:560
	ds_load_b128 v[116:119], v1 offset:576
	s_waitcnt lgkmcnt(1)
	v_fma_f64 v[2:3], v[120:121], v[112:113], v[2:3]
	scratch_load_b128 v[120:123], off, off offset:248
	s_waitcnt vmcnt(4)
	v_fma_f64 v[2:3], v[130:131], v[114:115], v[2:3]
	scratch_load_b128 v[112:115], off, off offset:264
	s_waitcnt lgkmcnt(0)
	v_fma_f64 v[2:3], v[132:133], v[116:117], v[2:3]
	s_waitcnt vmcnt(4)
	s_delay_alu instid0(VALU_DEP_1)
	v_fma_f64 v[2:3], v[104:105], v[118:119], v[2:3]
	ds_load_b128 v[116:119], v1 offset:592
	ds_load_b128 v[130:133], v1 offset:608
	s_waitcnt lgkmcnt(1)
	v_fma_f64 v[2:3], v[106:107], v[116:117], v[2:3]
	scratch_load_b128 v[104:107], off, off offset:280
	s_waitcnt vmcnt(4)
	v_fma_f64 v[2:3], v[126:127], v[118:119], v[2:3]
	scratch_load_b128 v[116:119], off, off offset:296
	s_waitcnt lgkmcnt(0)
	v_fma_f64 v[2:3], v[128:129], v[130:131], v[2:3]
	ds_load_b128 v[124:127], v1 offset:624
	ds_load_b128 v[128:131], v1 offset:640
	s_waitcnt vmcnt(4)
	v_fma_f64 v[2:3], v[108:109], v[132:133], v[2:3]
	s_waitcnt lgkmcnt(1)
	s_delay_alu instid0(VALU_DEP_1) | instskip(SKIP_4) | instid1(VALU_DEP_1)
	v_fma_f64 v[2:3], v[110:111], v[124:125], v[2:3]
	scratch_load_b128 v[108:111], off, off offset:312
	s_waitcnt vmcnt(4)
	v_fma_f64 v[2:3], v[120:121], v[126:127], v[2:3]
	s_waitcnt lgkmcnt(0)
	v_fma_f64 v[2:3], v[122:123], v[128:129], v[2:3]
	scratch_load_b128 v[120:123], off, off offset:328
	s_waitcnt vmcnt(4)
	v_fma_f64 v[2:3], v[112:113], v[130:131], v[2:3]
	ds_load_b128 v[124:127], v1 offset:656
	ds_load_b128 v[128:131], v1 offset:672
	s_waitcnt lgkmcnt(1)
	v_fma_f64 v[2:3], v[114:115], v[124:125], v[2:3]
	scratch_load_b128 v[112:115], off, off offset:344
	s_waitcnt vmcnt(4)
	v_fma_f64 v[2:3], v[104:105], v[126:127], v[2:3]
	s_waitcnt lgkmcnt(0)
	s_delay_alu instid0(VALU_DEP_1)
	v_fma_f64 v[2:3], v[106:107], v[128:129], v[2:3]
	scratch_load_b128 v[104:107], off, off offset:360
	s_waitcnt vmcnt(4)
	v_fma_f64 v[2:3], v[116:117], v[130:131], v[2:3]
	ds_load_b128 v[124:127], v1 offset:688
	ds_load_b128 v[128:131], v1 offset:704
	s_waitcnt lgkmcnt(1)
	v_fma_f64 v[2:3], v[118:119], v[124:125], v[2:3]
	scratch_load_b64 v[124:125], off, off offset:376
	s_waitcnt vmcnt(4)
	v_fma_f64 v[2:3], v[108:109], v[126:127], v[2:3]
	s_waitcnt lgkmcnt(0)
	s_delay_alu instid0(VALU_DEP_1)
	v_fma_f64 v[2:3], v[110:111], v[128:129], v[2:3]
	ds_load_b128 v[108:111], v1 offset:720
	ds_load_b128 v[116:119], v1 offset:736
	s_waitcnt vmcnt(3)
	v_fma_f64 v[2:3], v[120:121], v[130:131], v[2:3]
	s_waitcnt lgkmcnt(1)
	s_delay_alu instid0(VALU_DEP_1) | instskip(SKIP_1) | instid1(VALU_DEP_1)
	v_fma_f64 v[2:3], v[122:123], v[108:109], v[2:3]
	s_waitcnt vmcnt(2)
	v_fma_f64 v[2:3], v[112:113], v[110:111], v[2:3]
	s_waitcnt lgkmcnt(0)
	s_delay_alu instid0(VALU_DEP_1) | instskip(SKIP_1) | instid1(VALU_DEP_1)
	v_fma_f64 v[2:3], v[114:115], v[116:117], v[2:3]
	s_waitcnt vmcnt(1)
	v_fma_f64 v[104:105], v[104:105], v[118:119], v[2:3]
	ds_load_b128 v[1:4], v1 offset:752
	s_waitcnt lgkmcnt(0)
	v_fma_f64 v[1:2], v[106:107], v[1:2], v[104:105]
	s_waitcnt vmcnt(0)
	s_delay_alu instid0(VALU_DEP_1) | instskip(NEXT) | instid1(VALU_DEP_1)
	v_fma_f64 v[1:2], v[124:125], v[3:4], v[1:2]
	v_add_f64 v[1:2], v[102:103], -v[1:2]
	scratch_store_b64 off, v[1:2], off offset:104
	v_cmpx_lt_u32_e32 12, v0
	s_cbranch_execz .LBB111_273
; %bb.272:
	scratch_load_b64 v[1:2], off, off offset:96
	v_mov_b32_e32 v3, 0
	s_delay_alu instid0(VALU_DEP_1)
	v_mov_b32_e32 v4, v3
	scratch_store_b64 off, v[3:4], off offset:96
	s_waitcnt vmcnt(0)
	ds_store_b64 v5, v[1:2]
.LBB111_273:
	s_or_b32 exec_lo, exec_lo, s0
	s_waitcnt lgkmcnt(0)
	s_waitcnt_vscnt null, 0x0
	s_barrier
	buffer_gl0_inv
	s_clause 0x4
	scratch_load_b128 v[102:105], off, off offset:96
	scratch_load_b128 v[106:109], off, off offset:112
	;; [unrolled: 1-line block ×5, first 2 shown]
	v_mov_b32_e32 v1, 0
	ds_load_2addr_b64 v[122:125], v1 offset0:61 offset1:62
	ds_load_2addr_b64 v[126:129], v1 offset0:63 offset1:64
	scratch_load_b128 v[130:133], off, off offset:176
	s_mov_b32 s0, exec_lo
	s_waitcnt vmcnt(5) lgkmcnt(1)
	v_fma_f64 v[2:3], v[104:105], v[122:123], 0
	s_waitcnt vmcnt(4)
	s_delay_alu instid0(VALU_DEP_1) | instskip(SKIP_4) | instid1(VALU_DEP_1)
	v_fma_f64 v[2:3], v[106:107], v[124:125], v[2:3]
	scratch_load_b128 v[104:107], off, off offset:192
	s_waitcnt lgkmcnt(0)
	v_fma_f64 v[2:3], v[108:109], v[126:127], v[2:3]
	s_waitcnt vmcnt(4)
	v_fma_f64 v[2:3], v[110:111], v[128:129], v[2:3]
	ds_load_2addr_b64 v[108:111], v1 offset0:65 offset1:66
	ds_load_2addr_b64 v[122:125], v1 offset0:67 offset1:68
	scratch_load_b128 v[126:129], off, off offset:208
	s_waitcnt lgkmcnt(1)
	v_fma_f64 v[2:3], v[112:113], v[108:109], v[2:3]
	s_waitcnt vmcnt(4)
	s_delay_alu instid0(VALU_DEP_1) | instskip(SKIP_4) | instid1(VALU_DEP_1)
	v_fma_f64 v[2:3], v[114:115], v[110:111], v[2:3]
	scratch_load_b128 v[108:111], off, off offset:224
	s_waitcnt lgkmcnt(0)
	v_fma_f64 v[2:3], v[116:117], v[122:123], v[2:3]
	s_waitcnt vmcnt(4)
	v_fma_f64 v[2:3], v[118:119], v[124:125], v[2:3]
	ds_load_2addr_b64 v[112:115], v1 offset0:69 offset1:70
	ds_load_2addr_b64 v[116:119], v1 offset0:71 offset1:72
	s_waitcnt lgkmcnt(1)
	v_fma_f64 v[2:3], v[120:121], v[112:113], v[2:3]
	scratch_load_b128 v[120:123], off, off offset:240
	s_waitcnt vmcnt(4)
	v_fma_f64 v[2:3], v[130:131], v[114:115], v[2:3]
	scratch_load_b128 v[112:115], off, off offset:256
	s_waitcnt lgkmcnt(0)
	v_fma_f64 v[2:3], v[132:133], v[116:117], v[2:3]
	s_waitcnt vmcnt(4)
	s_delay_alu instid0(VALU_DEP_1)
	v_fma_f64 v[2:3], v[104:105], v[118:119], v[2:3]
	ds_load_2addr_b64 v[116:119], v1 offset0:73 offset1:74
	ds_load_2addr_b64 v[130:133], v1 offset0:75 offset1:76
	s_waitcnt lgkmcnt(1)
	v_fma_f64 v[2:3], v[106:107], v[116:117], v[2:3]
	scratch_load_b128 v[104:107], off, off offset:272
	s_waitcnt vmcnt(4)
	v_fma_f64 v[2:3], v[126:127], v[118:119], v[2:3]
	scratch_load_b128 v[116:119], off, off offset:288
	s_waitcnt lgkmcnt(0)
	v_fma_f64 v[2:3], v[128:129], v[130:131], v[2:3]
	ds_load_2addr_b64 v[124:127], v1 offset0:77 offset1:78
	ds_load_2addr_b64 v[128:131], v1 offset0:79 offset1:80
	s_waitcnt vmcnt(4)
	v_fma_f64 v[2:3], v[108:109], v[132:133], v[2:3]
	s_waitcnt lgkmcnt(1)
	s_delay_alu instid0(VALU_DEP_1) | instskip(SKIP_4) | instid1(VALU_DEP_1)
	v_fma_f64 v[2:3], v[110:111], v[124:125], v[2:3]
	scratch_load_b128 v[108:111], off, off offset:304
	s_waitcnt vmcnt(4)
	v_fma_f64 v[2:3], v[120:121], v[126:127], v[2:3]
	s_waitcnt lgkmcnt(0)
	v_fma_f64 v[2:3], v[122:123], v[128:129], v[2:3]
	scratch_load_b128 v[120:123], off, off offset:320
	s_waitcnt vmcnt(4)
	v_fma_f64 v[2:3], v[112:113], v[130:131], v[2:3]
	ds_load_2addr_b64 v[124:127], v1 offset0:81 offset1:82
	ds_load_2addr_b64 v[128:131], v1 offset0:83 offset1:84
	s_waitcnt lgkmcnt(1)
	v_fma_f64 v[2:3], v[114:115], v[124:125], v[2:3]
	scratch_load_b128 v[112:115], off, off offset:336
	s_waitcnt vmcnt(4)
	v_fma_f64 v[2:3], v[104:105], v[126:127], v[2:3]
	s_waitcnt lgkmcnt(0)
	s_delay_alu instid0(VALU_DEP_1)
	v_fma_f64 v[2:3], v[106:107], v[128:129], v[2:3]
	scratch_load_b128 v[104:107], off, off offset:352
	s_waitcnt vmcnt(4)
	v_fma_f64 v[2:3], v[116:117], v[130:131], v[2:3]
	ds_load_2addr_b64 v[124:127], v1 offset0:85 offset1:86
	ds_load_2addr_b64 v[128:131], v1 offset0:87 offset1:88
	s_waitcnt lgkmcnt(1)
	v_fma_f64 v[2:3], v[118:119], v[124:125], v[2:3]
	scratch_load_b128 v[116:119], off, off offset:368
	s_waitcnt vmcnt(4)
	v_fma_f64 v[2:3], v[108:109], v[126:127], v[2:3]
	s_waitcnt lgkmcnt(0)
	s_delay_alu instid0(VALU_DEP_1)
	v_fma_f64 v[2:3], v[110:111], v[128:129], v[2:3]
	ds_load_2addr_b64 v[108:111], v1 offset0:89 offset1:90
	ds_load_2addr_b64 v[124:127], v1 offset0:91 offset1:92
	s_waitcnt vmcnt(3)
	v_fma_f64 v[2:3], v[120:121], v[130:131], v[2:3]
	s_waitcnt lgkmcnt(1)
	s_delay_alu instid0(VALU_DEP_1) | instskip(SKIP_1) | instid1(VALU_DEP_1)
	v_fma_f64 v[2:3], v[122:123], v[108:109], v[2:3]
	s_waitcnt vmcnt(2)
	v_fma_f64 v[2:3], v[112:113], v[110:111], v[2:3]
	s_waitcnt lgkmcnt(0)
	s_delay_alu instid0(VALU_DEP_1) | instskip(SKIP_1) | instid1(VALU_DEP_1)
	v_fma_f64 v[2:3], v[114:115], v[124:125], v[2:3]
	s_waitcnt vmcnt(1)
	v_fma_f64 v[2:3], v[104:105], v[126:127], v[2:3]
	ds_load_2addr_b64 v[108:111], v1 offset0:93 offset1:94
	ds_load_b64 v[104:105], v1 offset:760
	s_waitcnt lgkmcnt(1)
	v_fma_f64 v[2:3], v[106:107], v[108:109], v[2:3]
	s_waitcnt vmcnt(0)
	s_delay_alu instid0(VALU_DEP_1) | instskip(SKIP_1) | instid1(VALU_DEP_1)
	v_fma_f64 v[2:3], v[116:117], v[110:111], v[2:3]
	s_waitcnt lgkmcnt(0)
	v_fma_f64 v[2:3], v[118:119], v[104:105], v[2:3]
	s_delay_alu instid0(VALU_DEP_1)
	v_add_f64 v[2:3], v[102:103], -v[2:3]
	scratch_store_b64 off, v[2:3], off offset:96
	v_cmpx_lt_u32_e32 11, v0
	s_cbranch_execz .LBB111_275
; %bb.274:
	scratch_load_b64 v[3:4], off, off offset:88
	v_mov_b32_e32 v2, v1
	scratch_store_b64 off, v[1:2], off offset:88
	s_waitcnt vmcnt(0)
	ds_store_b64 v5, v[3:4]
.LBB111_275:
	s_or_b32 exec_lo, exec_lo, s0
	s_waitcnt lgkmcnt(0)
	s_waitcnt_vscnt null, 0x0
	s_barrier
	buffer_gl0_inv
	s_clause 0x4
	scratch_load_b128 v[102:105], off, off offset:88
	scratch_load_b128 v[106:109], off, off offset:104
	;; [unrolled: 1-line block ×5, first 2 shown]
	ds_load_b128 v[122:125], v1 offset:480
	ds_load_b128 v[126:129], v1 offset:496
	scratch_load_b128 v[130:133], off, off offset:168
	s_mov_b32 s0, exec_lo
	s_waitcnt vmcnt(5) lgkmcnt(1)
	v_fma_f64 v[2:3], v[104:105], v[122:123], 0
	s_waitcnt vmcnt(4)
	s_delay_alu instid0(VALU_DEP_1) | instskip(SKIP_4) | instid1(VALU_DEP_1)
	v_fma_f64 v[2:3], v[106:107], v[124:125], v[2:3]
	scratch_load_b128 v[104:107], off, off offset:184
	s_waitcnt lgkmcnt(0)
	v_fma_f64 v[2:3], v[108:109], v[126:127], v[2:3]
	s_waitcnt vmcnt(4)
	v_fma_f64 v[2:3], v[110:111], v[128:129], v[2:3]
	ds_load_b128 v[108:111], v1 offset:512
	ds_load_b128 v[122:125], v1 offset:528
	scratch_load_b128 v[126:129], off, off offset:200
	s_waitcnt lgkmcnt(1)
	v_fma_f64 v[2:3], v[112:113], v[108:109], v[2:3]
	s_waitcnt vmcnt(4)
	s_delay_alu instid0(VALU_DEP_1) | instskip(SKIP_4) | instid1(VALU_DEP_1)
	v_fma_f64 v[2:3], v[114:115], v[110:111], v[2:3]
	scratch_load_b128 v[108:111], off, off offset:216
	s_waitcnt lgkmcnt(0)
	v_fma_f64 v[2:3], v[116:117], v[122:123], v[2:3]
	s_waitcnt vmcnt(4)
	v_fma_f64 v[2:3], v[118:119], v[124:125], v[2:3]
	ds_load_b128 v[112:115], v1 offset:544
	ds_load_b128 v[116:119], v1 offset:560
	s_waitcnt lgkmcnt(1)
	v_fma_f64 v[2:3], v[120:121], v[112:113], v[2:3]
	scratch_load_b128 v[120:123], off, off offset:232
	s_waitcnt vmcnt(4)
	v_fma_f64 v[2:3], v[130:131], v[114:115], v[2:3]
	scratch_load_b128 v[112:115], off, off offset:248
	s_waitcnt lgkmcnt(0)
	v_fma_f64 v[2:3], v[132:133], v[116:117], v[2:3]
	s_waitcnt vmcnt(4)
	s_delay_alu instid0(VALU_DEP_1)
	v_fma_f64 v[2:3], v[104:105], v[118:119], v[2:3]
	ds_load_b128 v[116:119], v1 offset:576
	ds_load_b128 v[130:133], v1 offset:592
	s_waitcnt lgkmcnt(1)
	v_fma_f64 v[2:3], v[106:107], v[116:117], v[2:3]
	scratch_load_b128 v[104:107], off, off offset:264
	s_waitcnt vmcnt(4)
	v_fma_f64 v[2:3], v[126:127], v[118:119], v[2:3]
	scratch_load_b128 v[116:119], off, off offset:280
	s_waitcnt lgkmcnt(0)
	v_fma_f64 v[2:3], v[128:129], v[130:131], v[2:3]
	ds_load_b128 v[124:127], v1 offset:608
	ds_load_b128 v[128:131], v1 offset:624
	s_waitcnt vmcnt(4)
	v_fma_f64 v[2:3], v[108:109], v[132:133], v[2:3]
	s_waitcnt lgkmcnt(1)
	s_delay_alu instid0(VALU_DEP_1) | instskip(SKIP_4) | instid1(VALU_DEP_1)
	v_fma_f64 v[2:3], v[110:111], v[124:125], v[2:3]
	scratch_load_b128 v[108:111], off, off offset:296
	s_waitcnt vmcnt(4)
	v_fma_f64 v[2:3], v[120:121], v[126:127], v[2:3]
	s_waitcnt lgkmcnt(0)
	v_fma_f64 v[2:3], v[122:123], v[128:129], v[2:3]
	scratch_load_b128 v[120:123], off, off offset:312
	s_waitcnt vmcnt(4)
	v_fma_f64 v[2:3], v[112:113], v[130:131], v[2:3]
	ds_load_b128 v[124:127], v1 offset:640
	ds_load_b128 v[128:131], v1 offset:656
	s_waitcnt lgkmcnt(1)
	v_fma_f64 v[2:3], v[114:115], v[124:125], v[2:3]
	scratch_load_b128 v[112:115], off, off offset:328
	s_waitcnt vmcnt(4)
	v_fma_f64 v[2:3], v[104:105], v[126:127], v[2:3]
	s_waitcnt lgkmcnt(0)
	s_delay_alu instid0(VALU_DEP_1)
	v_fma_f64 v[2:3], v[106:107], v[128:129], v[2:3]
	scratch_load_b128 v[104:107], off, off offset:344
	s_waitcnt vmcnt(4)
	v_fma_f64 v[2:3], v[116:117], v[130:131], v[2:3]
	ds_load_b128 v[124:127], v1 offset:672
	ds_load_b128 v[128:131], v1 offset:688
	s_waitcnt lgkmcnt(1)
	v_fma_f64 v[2:3], v[118:119], v[124:125], v[2:3]
	scratch_load_b128 v[116:119], off, off offset:360
	s_waitcnt vmcnt(4)
	v_fma_f64 v[2:3], v[108:109], v[126:127], v[2:3]
	s_waitcnt lgkmcnt(0)
	s_delay_alu instid0(VALU_DEP_1)
	v_fma_f64 v[2:3], v[110:111], v[128:129], v[2:3]
	scratch_load_b64 v[128:129], off, off offset:376
	ds_load_b128 v[108:111], v1 offset:704
	ds_load_b128 v[124:127], v1 offset:720
	s_waitcnt vmcnt(4)
	v_fma_f64 v[2:3], v[120:121], v[130:131], v[2:3]
	s_waitcnt lgkmcnt(1)
	s_delay_alu instid0(VALU_DEP_1) | instskip(SKIP_1) | instid1(VALU_DEP_1)
	v_fma_f64 v[2:3], v[122:123], v[108:109], v[2:3]
	s_waitcnt vmcnt(3)
	v_fma_f64 v[2:3], v[112:113], v[110:111], v[2:3]
	s_waitcnt lgkmcnt(0)
	s_delay_alu instid0(VALU_DEP_1) | instskip(SKIP_1) | instid1(VALU_DEP_1)
	v_fma_f64 v[2:3], v[114:115], v[124:125], v[2:3]
	s_waitcnt vmcnt(2)
	v_fma_f64 v[104:105], v[104:105], v[126:127], v[2:3]
	ds_load_b128 v[108:111], v1 offset:736
	ds_load_b128 v[1:4], v1 offset:752
	s_waitcnt lgkmcnt(1)
	v_fma_f64 v[104:105], v[106:107], v[108:109], v[104:105]
	s_waitcnt vmcnt(1)
	s_delay_alu instid0(VALU_DEP_1) | instskip(SKIP_1) | instid1(VALU_DEP_1)
	v_fma_f64 v[104:105], v[116:117], v[110:111], v[104:105]
	s_waitcnt lgkmcnt(0)
	v_fma_f64 v[1:2], v[118:119], v[1:2], v[104:105]
	s_waitcnt vmcnt(0)
	s_delay_alu instid0(VALU_DEP_1) | instskip(NEXT) | instid1(VALU_DEP_1)
	v_fma_f64 v[1:2], v[128:129], v[3:4], v[1:2]
	v_add_f64 v[1:2], v[102:103], -v[1:2]
	scratch_store_b64 off, v[1:2], off offset:88
	v_cmpx_lt_u32_e32 10, v0
	s_cbranch_execz .LBB111_277
; %bb.276:
	scratch_load_b64 v[1:2], off, off offset:80
	v_mov_b32_e32 v3, 0
	s_delay_alu instid0(VALU_DEP_1)
	v_mov_b32_e32 v4, v3
	scratch_store_b64 off, v[3:4], off offset:80
	s_waitcnt vmcnt(0)
	ds_store_b64 v5, v[1:2]
.LBB111_277:
	s_or_b32 exec_lo, exec_lo, s0
	s_waitcnt lgkmcnt(0)
	s_waitcnt_vscnt null, 0x0
	s_barrier
	buffer_gl0_inv
	s_clause 0x4
	scratch_load_b128 v[102:105], off, off offset:80
	scratch_load_b128 v[106:109], off, off offset:96
	;; [unrolled: 1-line block ×5, first 2 shown]
	v_mov_b32_e32 v1, 0
	ds_load_2addr_b64 v[122:125], v1 offset0:59 offset1:60
	ds_load_2addr_b64 v[126:129], v1 offset0:61 offset1:62
	scratch_load_b128 v[130:133], off, off offset:160
	s_mov_b32 s0, exec_lo
	s_waitcnt vmcnt(5) lgkmcnt(1)
	v_fma_f64 v[2:3], v[104:105], v[122:123], 0
	s_waitcnt vmcnt(4)
	s_delay_alu instid0(VALU_DEP_1) | instskip(SKIP_4) | instid1(VALU_DEP_1)
	v_fma_f64 v[2:3], v[106:107], v[124:125], v[2:3]
	scratch_load_b128 v[104:107], off, off offset:176
	s_waitcnt lgkmcnt(0)
	v_fma_f64 v[2:3], v[108:109], v[126:127], v[2:3]
	s_waitcnt vmcnt(4)
	v_fma_f64 v[2:3], v[110:111], v[128:129], v[2:3]
	ds_load_2addr_b64 v[108:111], v1 offset0:63 offset1:64
	ds_load_2addr_b64 v[122:125], v1 offset0:65 offset1:66
	scratch_load_b128 v[126:129], off, off offset:192
	s_waitcnt lgkmcnt(1)
	v_fma_f64 v[2:3], v[112:113], v[108:109], v[2:3]
	s_waitcnt vmcnt(4)
	s_delay_alu instid0(VALU_DEP_1) | instskip(SKIP_4) | instid1(VALU_DEP_1)
	v_fma_f64 v[2:3], v[114:115], v[110:111], v[2:3]
	scratch_load_b128 v[108:111], off, off offset:208
	s_waitcnt lgkmcnt(0)
	v_fma_f64 v[2:3], v[116:117], v[122:123], v[2:3]
	s_waitcnt vmcnt(4)
	v_fma_f64 v[2:3], v[118:119], v[124:125], v[2:3]
	ds_load_2addr_b64 v[112:115], v1 offset0:67 offset1:68
	ds_load_2addr_b64 v[116:119], v1 offset0:69 offset1:70
	s_waitcnt lgkmcnt(1)
	v_fma_f64 v[2:3], v[120:121], v[112:113], v[2:3]
	scratch_load_b128 v[120:123], off, off offset:224
	s_waitcnt vmcnt(4)
	v_fma_f64 v[2:3], v[130:131], v[114:115], v[2:3]
	scratch_load_b128 v[112:115], off, off offset:240
	s_waitcnt lgkmcnt(0)
	v_fma_f64 v[2:3], v[132:133], v[116:117], v[2:3]
	s_waitcnt vmcnt(4)
	s_delay_alu instid0(VALU_DEP_1)
	v_fma_f64 v[2:3], v[104:105], v[118:119], v[2:3]
	ds_load_2addr_b64 v[116:119], v1 offset0:71 offset1:72
	ds_load_2addr_b64 v[130:133], v1 offset0:73 offset1:74
	s_waitcnt lgkmcnt(1)
	v_fma_f64 v[2:3], v[106:107], v[116:117], v[2:3]
	scratch_load_b128 v[104:107], off, off offset:256
	s_waitcnt vmcnt(4)
	v_fma_f64 v[2:3], v[126:127], v[118:119], v[2:3]
	scratch_load_b128 v[116:119], off, off offset:272
	s_waitcnt lgkmcnt(0)
	v_fma_f64 v[2:3], v[128:129], v[130:131], v[2:3]
	ds_load_2addr_b64 v[124:127], v1 offset0:75 offset1:76
	ds_load_2addr_b64 v[128:131], v1 offset0:77 offset1:78
	s_waitcnt vmcnt(4)
	v_fma_f64 v[2:3], v[108:109], v[132:133], v[2:3]
	s_waitcnt lgkmcnt(1)
	s_delay_alu instid0(VALU_DEP_1) | instskip(SKIP_4) | instid1(VALU_DEP_1)
	v_fma_f64 v[2:3], v[110:111], v[124:125], v[2:3]
	scratch_load_b128 v[108:111], off, off offset:288
	s_waitcnt vmcnt(4)
	v_fma_f64 v[2:3], v[120:121], v[126:127], v[2:3]
	s_waitcnt lgkmcnt(0)
	v_fma_f64 v[2:3], v[122:123], v[128:129], v[2:3]
	scratch_load_b128 v[120:123], off, off offset:304
	s_waitcnt vmcnt(4)
	v_fma_f64 v[2:3], v[112:113], v[130:131], v[2:3]
	ds_load_2addr_b64 v[124:127], v1 offset0:79 offset1:80
	ds_load_2addr_b64 v[128:131], v1 offset0:81 offset1:82
	s_waitcnt lgkmcnt(1)
	v_fma_f64 v[2:3], v[114:115], v[124:125], v[2:3]
	scratch_load_b128 v[112:115], off, off offset:320
	s_waitcnt vmcnt(4)
	v_fma_f64 v[2:3], v[104:105], v[126:127], v[2:3]
	s_waitcnt lgkmcnt(0)
	s_delay_alu instid0(VALU_DEP_1)
	v_fma_f64 v[2:3], v[106:107], v[128:129], v[2:3]
	scratch_load_b128 v[104:107], off, off offset:336
	s_waitcnt vmcnt(4)
	v_fma_f64 v[2:3], v[116:117], v[130:131], v[2:3]
	ds_load_2addr_b64 v[124:127], v1 offset0:83 offset1:84
	ds_load_2addr_b64 v[128:131], v1 offset0:85 offset1:86
	s_waitcnt lgkmcnt(1)
	v_fma_f64 v[2:3], v[118:119], v[124:125], v[2:3]
	scratch_load_b128 v[116:119], off, off offset:352
	s_waitcnt vmcnt(4)
	v_fma_f64 v[2:3], v[108:109], v[126:127], v[2:3]
	s_waitcnt lgkmcnt(0)
	s_delay_alu instid0(VALU_DEP_1)
	v_fma_f64 v[2:3], v[110:111], v[128:129], v[2:3]
	scratch_load_b128 v[108:111], off, off offset:368
	s_waitcnt vmcnt(4)
	v_fma_f64 v[2:3], v[120:121], v[130:131], v[2:3]
	ds_load_2addr_b64 v[124:127], v1 offset0:87 offset1:88
	ds_load_2addr_b64 v[128:131], v1 offset0:89 offset1:90
	s_waitcnt lgkmcnt(1)
	v_fma_f64 v[2:3], v[122:123], v[124:125], v[2:3]
	s_waitcnt vmcnt(3)
	s_delay_alu instid0(VALU_DEP_1) | instskip(SKIP_1) | instid1(VALU_DEP_1)
	v_fma_f64 v[2:3], v[112:113], v[126:127], v[2:3]
	s_waitcnt lgkmcnt(0)
	v_fma_f64 v[2:3], v[114:115], v[128:129], v[2:3]
	ds_load_2addr_b64 v[112:115], v1 offset0:91 offset1:92
	ds_load_2addr_b64 v[120:123], v1 offset0:93 offset1:94
	s_waitcnt vmcnt(2)
	v_fma_f64 v[2:3], v[104:105], v[130:131], v[2:3]
	ds_load_b64 v[104:105], v1 offset:760
	s_waitcnt lgkmcnt(2)
	v_fma_f64 v[2:3], v[106:107], v[112:113], v[2:3]
	s_waitcnt vmcnt(1)
	s_delay_alu instid0(VALU_DEP_1) | instskip(SKIP_1) | instid1(VALU_DEP_1)
	v_fma_f64 v[2:3], v[116:117], v[114:115], v[2:3]
	s_waitcnt lgkmcnt(1)
	v_fma_f64 v[2:3], v[118:119], v[120:121], v[2:3]
	s_waitcnt vmcnt(0)
	s_delay_alu instid0(VALU_DEP_1) | instskip(SKIP_1) | instid1(VALU_DEP_1)
	v_fma_f64 v[2:3], v[108:109], v[122:123], v[2:3]
	s_waitcnt lgkmcnt(0)
	v_fma_f64 v[2:3], v[110:111], v[104:105], v[2:3]
	s_delay_alu instid0(VALU_DEP_1)
	v_add_f64 v[2:3], v[102:103], -v[2:3]
	scratch_store_b64 off, v[2:3], off offset:80
	v_cmpx_lt_u32_e32 9, v0
	s_cbranch_execz .LBB111_279
; %bb.278:
	scratch_load_b64 v[3:4], off, off offset:72
	v_mov_b32_e32 v2, v1
	scratch_store_b64 off, v[1:2], off offset:72
	s_waitcnt vmcnt(0)
	ds_store_b64 v5, v[3:4]
.LBB111_279:
	s_or_b32 exec_lo, exec_lo, s0
	s_waitcnt lgkmcnt(0)
	s_waitcnt_vscnt null, 0x0
	s_barrier
	buffer_gl0_inv
	s_clause 0x4
	scratch_load_b128 v[102:105], off, off offset:72
	scratch_load_b128 v[106:109], off, off offset:88
	;; [unrolled: 1-line block ×5, first 2 shown]
	ds_load_b128 v[122:125], v1 offset:464
	ds_load_b128 v[126:129], v1 offset:480
	scratch_load_b128 v[130:133], off, off offset:152
	s_mov_b32 s0, exec_lo
	s_waitcnt vmcnt(5) lgkmcnt(1)
	v_fma_f64 v[2:3], v[104:105], v[122:123], 0
	s_waitcnt vmcnt(4)
	s_delay_alu instid0(VALU_DEP_1) | instskip(SKIP_4) | instid1(VALU_DEP_1)
	v_fma_f64 v[2:3], v[106:107], v[124:125], v[2:3]
	scratch_load_b128 v[104:107], off, off offset:168
	s_waitcnt lgkmcnt(0)
	v_fma_f64 v[2:3], v[108:109], v[126:127], v[2:3]
	s_waitcnt vmcnt(4)
	v_fma_f64 v[2:3], v[110:111], v[128:129], v[2:3]
	ds_load_b128 v[108:111], v1 offset:496
	ds_load_b128 v[122:125], v1 offset:512
	scratch_load_b128 v[126:129], off, off offset:184
	s_waitcnt lgkmcnt(1)
	v_fma_f64 v[2:3], v[112:113], v[108:109], v[2:3]
	s_waitcnt vmcnt(4)
	s_delay_alu instid0(VALU_DEP_1) | instskip(SKIP_4) | instid1(VALU_DEP_1)
	v_fma_f64 v[2:3], v[114:115], v[110:111], v[2:3]
	scratch_load_b128 v[108:111], off, off offset:200
	s_waitcnt lgkmcnt(0)
	v_fma_f64 v[2:3], v[116:117], v[122:123], v[2:3]
	s_waitcnt vmcnt(4)
	v_fma_f64 v[2:3], v[118:119], v[124:125], v[2:3]
	ds_load_b128 v[112:115], v1 offset:528
	ds_load_b128 v[116:119], v1 offset:544
	s_waitcnt lgkmcnt(1)
	v_fma_f64 v[2:3], v[120:121], v[112:113], v[2:3]
	scratch_load_b128 v[120:123], off, off offset:216
	s_waitcnt vmcnt(4)
	v_fma_f64 v[2:3], v[130:131], v[114:115], v[2:3]
	scratch_load_b128 v[112:115], off, off offset:232
	s_waitcnt lgkmcnt(0)
	v_fma_f64 v[2:3], v[132:133], v[116:117], v[2:3]
	s_waitcnt vmcnt(4)
	s_delay_alu instid0(VALU_DEP_1)
	v_fma_f64 v[2:3], v[104:105], v[118:119], v[2:3]
	ds_load_b128 v[116:119], v1 offset:560
	ds_load_b128 v[130:133], v1 offset:576
	s_waitcnt lgkmcnt(1)
	v_fma_f64 v[2:3], v[106:107], v[116:117], v[2:3]
	scratch_load_b128 v[104:107], off, off offset:248
	s_waitcnt vmcnt(4)
	v_fma_f64 v[2:3], v[126:127], v[118:119], v[2:3]
	scratch_load_b128 v[116:119], off, off offset:264
	s_waitcnt lgkmcnt(0)
	v_fma_f64 v[2:3], v[128:129], v[130:131], v[2:3]
	ds_load_b128 v[124:127], v1 offset:592
	ds_load_b128 v[128:131], v1 offset:608
	s_waitcnt vmcnt(4)
	v_fma_f64 v[2:3], v[108:109], v[132:133], v[2:3]
	s_waitcnt lgkmcnt(1)
	s_delay_alu instid0(VALU_DEP_1) | instskip(SKIP_4) | instid1(VALU_DEP_1)
	v_fma_f64 v[2:3], v[110:111], v[124:125], v[2:3]
	scratch_load_b128 v[108:111], off, off offset:280
	s_waitcnt vmcnt(4)
	v_fma_f64 v[2:3], v[120:121], v[126:127], v[2:3]
	s_waitcnt lgkmcnt(0)
	v_fma_f64 v[2:3], v[122:123], v[128:129], v[2:3]
	scratch_load_b128 v[120:123], off, off offset:296
	s_waitcnt vmcnt(4)
	v_fma_f64 v[2:3], v[112:113], v[130:131], v[2:3]
	ds_load_b128 v[124:127], v1 offset:624
	ds_load_b128 v[128:131], v1 offset:640
	s_waitcnt lgkmcnt(1)
	v_fma_f64 v[2:3], v[114:115], v[124:125], v[2:3]
	scratch_load_b128 v[112:115], off, off offset:312
	s_waitcnt vmcnt(4)
	v_fma_f64 v[2:3], v[104:105], v[126:127], v[2:3]
	s_waitcnt lgkmcnt(0)
	s_delay_alu instid0(VALU_DEP_1)
	v_fma_f64 v[2:3], v[106:107], v[128:129], v[2:3]
	scratch_load_b128 v[104:107], off, off offset:328
	s_waitcnt vmcnt(4)
	v_fma_f64 v[2:3], v[116:117], v[130:131], v[2:3]
	ds_load_b128 v[124:127], v1 offset:656
	ds_load_b128 v[128:131], v1 offset:672
	s_waitcnt lgkmcnt(1)
	v_fma_f64 v[2:3], v[118:119], v[124:125], v[2:3]
	scratch_load_b128 v[116:119], off, off offset:344
	s_waitcnt vmcnt(4)
	v_fma_f64 v[2:3], v[108:109], v[126:127], v[2:3]
	s_waitcnt lgkmcnt(0)
	s_delay_alu instid0(VALU_DEP_1)
	v_fma_f64 v[2:3], v[110:111], v[128:129], v[2:3]
	scratch_load_b128 v[108:111], off, off offset:360
	s_waitcnt vmcnt(4)
	v_fma_f64 v[2:3], v[120:121], v[130:131], v[2:3]
	ds_load_b128 v[124:127], v1 offset:688
	ds_load_b128 v[128:131], v1 offset:704
	s_waitcnt lgkmcnt(1)
	v_fma_f64 v[2:3], v[122:123], v[124:125], v[2:3]
	scratch_load_b64 v[124:125], off, off offset:376
	s_waitcnt vmcnt(4)
	v_fma_f64 v[2:3], v[112:113], v[126:127], v[2:3]
	s_waitcnt lgkmcnt(0)
	s_delay_alu instid0(VALU_DEP_1)
	v_fma_f64 v[2:3], v[114:115], v[128:129], v[2:3]
	ds_load_b128 v[112:115], v1 offset:720
	ds_load_b128 v[120:123], v1 offset:736
	s_waitcnt vmcnt(3)
	v_fma_f64 v[2:3], v[104:105], v[130:131], v[2:3]
	s_waitcnt lgkmcnt(1)
	s_delay_alu instid0(VALU_DEP_1) | instskip(SKIP_1) | instid1(VALU_DEP_1)
	v_fma_f64 v[2:3], v[106:107], v[112:113], v[2:3]
	s_waitcnt vmcnt(2)
	v_fma_f64 v[2:3], v[116:117], v[114:115], v[2:3]
	s_waitcnt lgkmcnt(0)
	s_delay_alu instid0(VALU_DEP_1) | instskip(SKIP_1) | instid1(VALU_DEP_1)
	v_fma_f64 v[2:3], v[118:119], v[120:121], v[2:3]
	s_waitcnt vmcnt(1)
	v_fma_f64 v[104:105], v[108:109], v[122:123], v[2:3]
	ds_load_b128 v[1:4], v1 offset:752
	s_waitcnt lgkmcnt(0)
	v_fma_f64 v[1:2], v[110:111], v[1:2], v[104:105]
	s_waitcnt vmcnt(0)
	s_delay_alu instid0(VALU_DEP_1) | instskip(NEXT) | instid1(VALU_DEP_1)
	v_fma_f64 v[1:2], v[124:125], v[3:4], v[1:2]
	v_add_f64 v[1:2], v[102:103], -v[1:2]
	scratch_store_b64 off, v[1:2], off offset:72
	v_cmpx_lt_u32_e32 8, v0
	s_cbranch_execz .LBB111_281
; %bb.280:
	scratch_load_b64 v[1:2], off, off offset:64
	v_mov_b32_e32 v3, 0
	s_delay_alu instid0(VALU_DEP_1)
	v_mov_b32_e32 v4, v3
	scratch_store_b64 off, v[3:4], off offset:64
	s_waitcnt vmcnt(0)
	ds_store_b64 v5, v[1:2]
.LBB111_281:
	s_or_b32 exec_lo, exec_lo, s0
	s_waitcnt lgkmcnt(0)
	s_waitcnt_vscnt null, 0x0
	s_barrier
	buffer_gl0_inv
	s_clause 0x4
	scratch_load_b128 v[102:105], off, off offset:64
	scratch_load_b128 v[106:109], off, off offset:80
	;; [unrolled: 1-line block ×5, first 2 shown]
	v_mov_b32_e32 v1, 0
	ds_load_2addr_b64 v[122:125], v1 offset0:57 offset1:58
	ds_load_2addr_b64 v[126:129], v1 offset0:59 offset1:60
	scratch_load_b128 v[130:133], off, off offset:144
	s_mov_b32 s0, exec_lo
	s_waitcnt vmcnt(5) lgkmcnt(1)
	v_fma_f64 v[2:3], v[104:105], v[122:123], 0
	s_waitcnt vmcnt(4)
	s_delay_alu instid0(VALU_DEP_1) | instskip(SKIP_4) | instid1(VALU_DEP_1)
	v_fma_f64 v[2:3], v[106:107], v[124:125], v[2:3]
	scratch_load_b128 v[104:107], off, off offset:160
	s_waitcnt lgkmcnt(0)
	v_fma_f64 v[2:3], v[108:109], v[126:127], v[2:3]
	s_waitcnt vmcnt(4)
	v_fma_f64 v[2:3], v[110:111], v[128:129], v[2:3]
	ds_load_2addr_b64 v[108:111], v1 offset0:61 offset1:62
	ds_load_2addr_b64 v[122:125], v1 offset0:63 offset1:64
	scratch_load_b128 v[126:129], off, off offset:176
	s_waitcnt lgkmcnt(1)
	v_fma_f64 v[2:3], v[112:113], v[108:109], v[2:3]
	s_waitcnt vmcnt(4)
	s_delay_alu instid0(VALU_DEP_1) | instskip(SKIP_4) | instid1(VALU_DEP_1)
	v_fma_f64 v[2:3], v[114:115], v[110:111], v[2:3]
	scratch_load_b128 v[108:111], off, off offset:192
	s_waitcnt lgkmcnt(0)
	v_fma_f64 v[2:3], v[116:117], v[122:123], v[2:3]
	s_waitcnt vmcnt(4)
	v_fma_f64 v[2:3], v[118:119], v[124:125], v[2:3]
	ds_load_2addr_b64 v[112:115], v1 offset0:65 offset1:66
	ds_load_2addr_b64 v[116:119], v1 offset0:67 offset1:68
	s_waitcnt lgkmcnt(1)
	v_fma_f64 v[2:3], v[120:121], v[112:113], v[2:3]
	scratch_load_b128 v[120:123], off, off offset:208
	s_waitcnt vmcnt(4)
	v_fma_f64 v[2:3], v[130:131], v[114:115], v[2:3]
	scratch_load_b128 v[112:115], off, off offset:224
	s_waitcnt lgkmcnt(0)
	v_fma_f64 v[2:3], v[132:133], v[116:117], v[2:3]
	s_waitcnt vmcnt(4)
	s_delay_alu instid0(VALU_DEP_1)
	v_fma_f64 v[2:3], v[104:105], v[118:119], v[2:3]
	ds_load_2addr_b64 v[116:119], v1 offset0:69 offset1:70
	ds_load_2addr_b64 v[130:133], v1 offset0:71 offset1:72
	s_waitcnt lgkmcnt(1)
	v_fma_f64 v[2:3], v[106:107], v[116:117], v[2:3]
	scratch_load_b128 v[104:107], off, off offset:240
	s_waitcnt vmcnt(4)
	v_fma_f64 v[2:3], v[126:127], v[118:119], v[2:3]
	scratch_load_b128 v[116:119], off, off offset:256
	s_waitcnt lgkmcnt(0)
	v_fma_f64 v[2:3], v[128:129], v[130:131], v[2:3]
	ds_load_2addr_b64 v[124:127], v1 offset0:73 offset1:74
	ds_load_2addr_b64 v[128:131], v1 offset0:75 offset1:76
	s_waitcnt vmcnt(4)
	v_fma_f64 v[2:3], v[108:109], v[132:133], v[2:3]
	s_waitcnt lgkmcnt(1)
	s_delay_alu instid0(VALU_DEP_1) | instskip(SKIP_4) | instid1(VALU_DEP_1)
	v_fma_f64 v[2:3], v[110:111], v[124:125], v[2:3]
	scratch_load_b128 v[108:111], off, off offset:272
	s_waitcnt vmcnt(4)
	v_fma_f64 v[2:3], v[120:121], v[126:127], v[2:3]
	s_waitcnt lgkmcnt(0)
	v_fma_f64 v[2:3], v[122:123], v[128:129], v[2:3]
	scratch_load_b128 v[120:123], off, off offset:288
	s_waitcnt vmcnt(4)
	v_fma_f64 v[2:3], v[112:113], v[130:131], v[2:3]
	ds_load_2addr_b64 v[124:127], v1 offset0:77 offset1:78
	ds_load_2addr_b64 v[128:131], v1 offset0:79 offset1:80
	s_waitcnt lgkmcnt(1)
	v_fma_f64 v[2:3], v[114:115], v[124:125], v[2:3]
	scratch_load_b128 v[112:115], off, off offset:304
	s_waitcnt vmcnt(4)
	v_fma_f64 v[2:3], v[104:105], v[126:127], v[2:3]
	s_waitcnt lgkmcnt(0)
	s_delay_alu instid0(VALU_DEP_1)
	v_fma_f64 v[2:3], v[106:107], v[128:129], v[2:3]
	scratch_load_b128 v[104:107], off, off offset:320
	s_waitcnt vmcnt(4)
	v_fma_f64 v[2:3], v[116:117], v[130:131], v[2:3]
	ds_load_2addr_b64 v[124:127], v1 offset0:81 offset1:82
	ds_load_2addr_b64 v[128:131], v1 offset0:83 offset1:84
	s_waitcnt lgkmcnt(1)
	v_fma_f64 v[2:3], v[118:119], v[124:125], v[2:3]
	scratch_load_b128 v[116:119], off, off offset:336
	s_waitcnt vmcnt(4)
	v_fma_f64 v[2:3], v[108:109], v[126:127], v[2:3]
	s_waitcnt lgkmcnt(0)
	s_delay_alu instid0(VALU_DEP_1)
	;; [unrolled: 13-line block ×3, first 2 shown]
	v_fma_f64 v[2:3], v[114:115], v[128:129], v[2:3]
	ds_load_2addr_b64 v[112:115], v1 offset0:89 offset1:90
	ds_load_2addr_b64 v[124:127], v1 offset0:91 offset1:92
	s_waitcnt vmcnt(3)
	v_fma_f64 v[2:3], v[104:105], v[130:131], v[2:3]
	s_waitcnt lgkmcnt(1)
	s_delay_alu instid0(VALU_DEP_1) | instskip(SKIP_1) | instid1(VALU_DEP_1)
	v_fma_f64 v[2:3], v[106:107], v[112:113], v[2:3]
	s_waitcnt vmcnt(2)
	v_fma_f64 v[2:3], v[116:117], v[114:115], v[2:3]
	s_waitcnt lgkmcnt(0)
	s_delay_alu instid0(VALU_DEP_1) | instskip(SKIP_1) | instid1(VALU_DEP_1)
	v_fma_f64 v[2:3], v[118:119], v[124:125], v[2:3]
	s_waitcnt vmcnt(1)
	v_fma_f64 v[2:3], v[108:109], v[126:127], v[2:3]
	ds_load_2addr_b64 v[104:107], v1 offset0:93 offset1:94
	ds_load_b64 v[108:109], v1 offset:760
	s_waitcnt lgkmcnt(1)
	v_fma_f64 v[2:3], v[110:111], v[104:105], v[2:3]
	s_waitcnt vmcnt(0)
	s_delay_alu instid0(VALU_DEP_1) | instskip(SKIP_1) | instid1(VALU_DEP_1)
	v_fma_f64 v[2:3], v[120:121], v[106:107], v[2:3]
	s_waitcnt lgkmcnt(0)
	v_fma_f64 v[2:3], v[122:123], v[108:109], v[2:3]
	s_delay_alu instid0(VALU_DEP_1)
	v_add_f64 v[2:3], v[102:103], -v[2:3]
	scratch_store_b64 off, v[2:3], off offset:64
	v_cmpx_lt_u32_e32 7, v0
	s_cbranch_execz .LBB111_283
; %bb.282:
	scratch_load_b64 v[3:4], off, off offset:56
	v_mov_b32_e32 v2, v1
	scratch_store_b64 off, v[1:2], off offset:56
	s_waitcnt vmcnt(0)
	ds_store_b64 v5, v[3:4]
.LBB111_283:
	s_or_b32 exec_lo, exec_lo, s0
	s_waitcnt lgkmcnt(0)
	s_waitcnt_vscnt null, 0x0
	s_barrier
	buffer_gl0_inv
	s_clause 0x4
	scratch_load_b128 v[102:105], off, off offset:56
	scratch_load_b128 v[106:109], off, off offset:72
	;; [unrolled: 1-line block ×5, first 2 shown]
	ds_load_b128 v[122:125], v1 offset:448
	ds_load_b128 v[126:129], v1 offset:464
	scratch_load_b128 v[130:133], off, off offset:136
	s_mov_b32 s0, exec_lo
	s_waitcnt vmcnt(5) lgkmcnt(1)
	v_fma_f64 v[2:3], v[104:105], v[122:123], 0
	s_waitcnt vmcnt(4)
	s_delay_alu instid0(VALU_DEP_1) | instskip(SKIP_4) | instid1(VALU_DEP_1)
	v_fma_f64 v[2:3], v[106:107], v[124:125], v[2:3]
	scratch_load_b128 v[104:107], off, off offset:152
	s_waitcnt lgkmcnt(0)
	v_fma_f64 v[2:3], v[108:109], v[126:127], v[2:3]
	s_waitcnt vmcnt(4)
	v_fma_f64 v[2:3], v[110:111], v[128:129], v[2:3]
	ds_load_b128 v[108:111], v1 offset:480
	ds_load_b128 v[122:125], v1 offset:496
	scratch_load_b128 v[126:129], off, off offset:168
	s_waitcnt lgkmcnt(1)
	v_fma_f64 v[2:3], v[112:113], v[108:109], v[2:3]
	s_waitcnt vmcnt(4)
	s_delay_alu instid0(VALU_DEP_1) | instskip(SKIP_4) | instid1(VALU_DEP_1)
	v_fma_f64 v[2:3], v[114:115], v[110:111], v[2:3]
	scratch_load_b128 v[108:111], off, off offset:184
	s_waitcnt lgkmcnt(0)
	v_fma_f64 v[2:3], v[116:117], v[122:123], v[2:3]
	s_waitcnt vmcnt(4)
	v_fma_f64 v[2:3], v[118:119], v[124:125], v[2:3]
	ds_load_b128 v[112:115], v1 offset:512
	ds_load_b128 v[116:119], v1 offset:528
	s_waitcnt lgkmcnt(1)
	v_fma_f64 v[2:3], v[120:121], v[112:113], v[2:3]
	scratch_load_b128 v[120:123], off, off offset:200
	s_waitcnt vmcnt(4)
	v_fma_f64 v[2:3], v[130:131], v[114:115], v[2:3]
	scratch_load_b128 v[112:115], off, off offset:216
	s_waitcnt lgkmcnt(0)
	v_fma_f64 v[2:3], v[132:133], v[116:117], v[2:3]
	s_waitcnt vmcnt(4)
	s_delay_alu instid0(VALU_DEP_1)
	v_fma_f64 v[2:3], v[104:105], v[118:119], v[2:3]
	ds_load_b128 v[116:119], v1 offset:544
	ds_load_b128 v[130:133], v1 offset:560
	s_waitcnt lgkmcnt(1)
	v_fma_f64 v[2:3], v[106:107], v[116:117], v[2:3]
	scratch_load_b128 v[104:107], off, off offset:232
	s_waitcnt vmcnt(4)
	v_fma_f64 v[2:3], v[126:127], v[118:119], v[2:3]
	scratch_load_b128 v[116:119], off, off offset:248
	s_waitcnt lgkmcnt(0)
	v_fma_f64 v[2:3], v[128:129], v[130:131], v[2:3]
	ds_load_b128 v[124:127], v1 offset:576
	ds_load_b128 v[128:131], v1 offset:592
	s_waitcnt vmcnt(4)
	v_fma_f64 v[2:3], v[108:109], v[132:133], v[2:3]
	s_waitcnt lgkmcnt(1)
	s_delay_alu instid0(VALU_DEP_1) | instskip(SKIP_4) | instid1(VALU_DEP_1)
	v_fma_f64 v[2:3], v[110:111], v[124:125], v[2:3]
	scratch_load_b128 v[108:111], off, off offset:264
	s_waitcnt vmcnt(4)
	v_fma_f64 v[2:3], v[120:121], v[126:127], v[2:3]
	s_waitcnt lgkmcnt(0)
	v_fma_f64 v[2:3], v[122:123], v[128:129], v[2:3]
	scratch_load_b128 v[120:123], off, off offset:280
	s_waitcnt vmcnt(4)
	v_fma_f64 v[2:3], v[112:113], v[130:131], v[2:3]
	ds_load_b128 v[124:127], v1 offset:608
	ds_load_b128 v[128:131], v1 offset:624
	s_waitcnt lgkmcnt(1)
	v_fma_f64 v[2:3], v[114:115], v[124:125], v[2:3]
	scratch_load_b128 v[112:115], off, off offset:296
	s_waitcnt vmcnt(4)
	v_fma_f64 v[2:3], v[104:105], v[126:127], v[2:3]
	s_waitcnt lgkmcnt(0)
	s_delay_alu instid0(VALU_DEP_1)
	v_fma_f64 v[2:3], v[106:107], v[128:129], v[2:3]
	scratch_load_b128 v[104:107], off, off offset:312
	s_waitcnt vmcnt(4)
	v_fma_f64 v[2:3], v[116:117], v[130:131], v[2:3]
	ds_load_b128 v[124:127], v1 offset:640
	ds_load_b128 v[128:131], v1 offset:656
	s_waitcnt lgkmcnt(1)
	v_fma_f64 v[2:3], v[118:119], v[124:125], v[2:3]
	scratch_load_b128 v[116:119], off, off offset:328
	s_waitcnt vmcnt(4)
	v_fma_f64 v[2:3], v[108:109], v[126:127], v[2:3]
	s_waitcnt lgkmcnt(0)
	s_delay_alu instid0(VALU_DEP_1)
	v_fma_f64 v[2:3], v[110:111], v[128:129], v[2:3]
	scratch_load_b128 v[108:111], off, off offset:344
	s_waitcnt vmcnt(4)
	v_fma_f64 v[2:3], v[120:121], v[130:131], v[2:3]
	ds_load_b128 v[124:127], v1 offset:672
	ds_load_b128 v[128:131], v1 offset:688
	s_waitcnt lgkmcnt(1)
	v_fma_f64 v[2:3], v[122:123], v[124:125], v[2:3]
	scratch_load_b128 v[120:123], off, off offset:360
	s_waitcnt vmcnt(4)
	v_fma_f64 v[2:3], v[112:113], v[126:127], v[2:3]
	s_waitcnt lgkmcnt(0)
	s_delay_alu instid0(VALU_DEP_1)
	v_fma_f64 v[2:3], v[114:115], v[128:129], v[2:3]
	scratch_load_b64 v[128:129], off, off offset:376
	ds_load_b128 v[112:115], v1 offset:704
	ds_load_b128 v[124:127], v1 offset:720
	s_waitcnt vmcnt(4)
	v_fma_f64 v[2:3], v[104:105], v[130:131], v[2:3]
	s_waitcnt lgkmcnt(1)
	s_delay_alu instid0(VALU_DEP_1) | instskip(SKIP_1) | instid1(VALU_DEP_1)
	v_fma_f64 v[2:3], v[106:107], v[112:113], v[2:3]
	s_waitcnt vmcnt(3)
	v_fma_f64 v[2:3], v[116:117], v[114:115], v[2:3]
	s_waitcnt lgkmcnt(0)
	s_delay_alu instid0(VALU_DEP_1) | instskip(SKIP_1) | instid1(VALU_DEP_1)
	v_fma_f64 v[2:3], v[118:119], v[124:125], v[2:3]
	s_waitcnt vmcnt(2)
	v_fma_f64 v[108:109], v[108:109], v[126:127], v[2:3]
	ds_load_b128 v[104:107], v1 offset:736
	ds_load_b128 v[1:4], v1 offset:752
	s_waitcnt lgkmcnt(1)
	v_fma_f64 v[104:105], v[110:111], v[104:105], v[108:109]
	s_waitcnt vmcnt(1)
	s_delay_alu instid0(VALU_DEP_1) | instskip(SKIP_1) | instid1(VALU_DEP_1)
	v_fma_f64 v[104:105], v[120:121], v[106:107], v[104:105]
	s_waitcnt lgkmcnt(0)
	v_fma_f64 v[1:2], v[122:123], v[1:2], v[104:105]
	s_waitcnt vmcnt(0)
	s_delay_alu instid0(VALU_DEP_1) | instskip(NEXT) | instid1(VALU_DEP_1)
	v_fma_f64 v[1:2], v[128:129], v[3:4], v[1:2]
	v_add_f64 v[1:2], v[102:103], -v[1:2]
	scratch_store_b64 off, v[1:2], off offset:56
	v_cmpx_lt_u32_e32 6, v0
	s_cbranch_execz .LBB111_285
; %bb.284:
	scratch_load_b64 v[1:2], off, off offset:48
	v_mov_b32_e32 v3, 0
	s_delay_alu instid0(VALU_DEP_1)
	v_mov_b32_e32 v4, v3
	scratch_store_b64 off, v[3:4], off offset:48
	s_waitcnt vmcnt(0)
	ds_store_b64 v5, v[1:2]
.LBB111_285:
	s_or_b32 exec_lo, exec_lo, s0
	s_waitcnt lgkmcnt(0)
	s_waitcnt_vscnt null, 0x0
	s_barrier
	buffer_gl0_inv
	s_clause 0x4
	scratch_load_b128 v[102:105], off, off offset:48
	scratch_load_b128 v[106:109], off, off offset:64
	;; [unrolled: 1-line block ×5, first 2 shown]
	v_mov_b32_e32 v1, 0
	ds_load_2addr_b64 v[122:125], v1 offset0:55 offset1:56
	ds_load_2addr_b64 v[126:129], v1 offset0:57 offset1:58
	scratch_load_b128 v[130:133], off, off offset:128
	s_mov_b32 s0, exec_lo
	s_waitcnt vmcnt(5) lgkmcnt(1)
	v_fma_f64 v[2:3], v[104:105], v[122:123], 0
	s_waitcnt vmcnt(4)
	s_delay_alu instid0(VALU_DEP_1) | instskip(SKIP_4) | instid1(VALU_DEP_1)
	v_fma_f64 v[2:3], v[106:107], v[124:125], v[2:3]
	scratch_load_b128 v[104:107], off, off offset:144
	s_waitcnt lgkmcnt(0)
	v_fma_f64 v[2:3], v[108:109], v[126:127], v[2:3]
	s_waitcnt vmcnt(4)
	v_fma_f64 v[2:3], v[110:111], v[128:129], v[2:3]
	ds_load_2addr_b64 v[108:111], v1 offset0:59 offset1:60
	ds_load_2addr_b64 v[122:125], v1 offset0:61 offset1:62
	scratch_load_b128 v[126:129], off, off offset:160
	s_waitcnt lgkmcnt(1)
	v_fma_f64 v[2:3], v[112:113], v[108:109], v[2:3]
	s_waitcnt vmcnt(4)
	s_delay_alu instid0(VALU_DEP_1) | instskip(SKIP_4) | instid1(VALU_DEP_1)
	v_fma_f64 v[2:3], v[114:115], v[110:111], v[2:3]
	scratch_load_b128 v[108:111], off, off offset:176
	s_waitcnt lgkmcnt(0)
	v_fma_f64 v[2:3], v[116:117], v[122:123], v[2:3]
	s_waitcnt vmcnt(4)
	v_fma_f64 v[2:3], v[118:119], v[124:125], v[2:3]
	ds_load_2addr_b64 v[112:115], v1 offset0:63 offset1:64
	ds_load_2addr_b64 v[116:119], v1 offset0:65 offset1:66
	s_waitcnt lgkmcnt(1)
	v_fma_f64 v[2:3], v[120:121], v[112:113], v[2:3]
	scratch_load_b128 v[120:123], off, off offset:192
	s_waitcnt vmcnt(4)
	v_fma_f64 v[2:3], v[130:131], v[114:115], v[2:3]
	scratch_load_b128 v[112:115], off, off offset:208
	s_waitcnt lgkmcnt(0)
	v_fma_f64 v[2:3], v[132:133], v[116:117], v[2:3]
	s_waitcnt vmcnt(4)
	s_delay_alu instid0(VALU_DEP_1)
	v_fma_f64 v[2:3], v[104:105], v[118:119], v[2:3]
	ds_load_2addr_b64 v[116:119], v1 offset0:67 offset1:68
	ds_load_2addr_b64 v[130:133], v1 offset0:69 offset1:70
	s_waitcnt lgkmcnt(1)
	v_fma_f64 v[2:3], v[106:107], v[116:117], v[2:3]
	scratch_load_b128 v[104:107], off, off offset:224
	s_waitcnt vmcnt(4)
	v_fma_f64 v[2:3], v[126:127], v[118:119], v[2:3]
	scratch_load_b128 v[116:119], off, off offset:240
	s_waitcnt lgkmcnt(0)
	v_fma_f64 v[2:3], v[128:129], v[130:131], v[2:3]
	ds_load_2addr_b64 v[124:127], v1 offset0:71 offset1:72
	ds_load_2addr_b64 v[128:131], v1 offset0:73 offset1:74
	s_waitcnt vmcnt(4)
	v_fma_f64 v[2:3], v[108:109], v[132:133], v[2:3]
	s_waitcnt lgkmcnt(1)
	s_delay_alu instid0(VALU_DEP_1) | instskip(SKIP_4) | instid1(VALU_DEP_1)
	v_fma_f64 v[2:3], v[110:111], v[124:125], v[2:3]
	scratch_load_b128 v[108:111], off, off offset:256
	s_waitcnt vmcnt(4)
	v_fma_f64 v[2:3], v[120:121], v[126:127], v[2:3]
	s_waitcnt lgkmcnt(0)
	v_fma_f64 v[2:3], v[122:123], v[128:129], v[2:3]
	scratch_load_b128 v[120:123], off, off offset:272
	s_waitcnt vmcnt(4)
	v_fma_f64 v[2:3], v[112:113], v[130:131], v[2:3]
	ds_load_2addr_b64 v[124:127], v1 offset0:75 offset1:76
	ds_load_2addr_b64 v[128:131], v1 offset0:77 offset1:78
	s_waitcnt lgkmcnt(1)
	v_fma_f64 v[2:3], v[114:115], v[124:125], v[2:3]
	scratch_load_b128 v[112:115], off, off offset:288
	s_waitcnt vmcnt(4)
	v_fma_f64 v[2:3], v[104:105], v[126:127], v[2:3]
	s_waitcnt lgkmcnt(0)
	s_delay_alu instid0(VALU_DEP_1)
	v_fma_f64 v[2:3], v[106:107], v[128:129], v[2:3]
	scratch_load_b128 v[104:107], off, off offset:304
	s_waitcnt vmcnt(4)
	v_fma_f64 v[2:3], v[116:117], v[130:131], v[2:3]
	ds_load_2addr_b64 v[124:127], v1 offset0:79 offset1:80
	ds_load_2addr_b64 v[128:131], v1 offset0:81 offset1:82
	s_waitcnt lgkmcnt(1)
	v_fma_f64 v[2:3], v[118:119], v[124:125], v[2:3]
	scratch_load_b128 v[116:119], off, off offset:320
	s_waitcnt vmcnt(4)
	v_fma_f64 v[2:3], v[108:109], v[126:127], v[2:3]
	s_waitcnt lgkmcnt(0)
	s_delay_alu instid0(VALU_DEP_1)
	;; [unrolled: 13-line block ×3, first 2 shown]
	v_fma_f64 v[2:3], v[114:115], v[128:129], v[2:3]
	scratch_load_b128 v[112:115], off, off offset:368
	s_waitcnt vmcnt(4)
	v_fma_f64 v[2:3], v[104:105], v[130:131], v[2:3]
	ds_load_2addr_b64 v[124:127], v1 offset0:87 offset1:88
	ds_load_2addr_b64 v[128:131], v1 offset0:89 offset1:90
	s_waitcnt lgkmcnt(1)
	v_fma_f64 v[2:3], v[106:107], v[124:125], v[2:3]
	s_waitcnt vmcnt(3)
	s_delay_alu instid0(VALU_DEP_1) | instskip(SKIP_1) | instid1(VALU_DEP_1)
	v_fma_f64 v[2:3], v[116:117], v[126:127], v[2:3]
	s_waitcnt lgkmcnt(0)
	v_fma_f64 v[2:3], v[118:119], v[128:129], v[2:3]
	ds_load_2addr_b64 v[104:107], v1 offset0:91 offset1:92
	ds_load_2addr_b64 v[116:119], v1 offset0:93 offset1:94
	s_waitcnt vmcnt(2)
	v_fma_f64 v[2:3], v[108:109], v[130:131], v[2:3]
	s_waitcnt lgkmcnt(1)
	s_delay_alu instid0(VALU_DEP_1) | instskip(SKIP_4) | instid1(VALU_DEP_1)
	v_fma_f64 v[2:3], v[110:111], v[104:105], v[2:3]
	ds_load_b64 v[104:105], v1 offset:760
	s_waitcnt vmcnt(1)
	v_fma_f64 v[2:3], v[120:121], v[106:107], v[2:3]
	s_waitcnt lgkmcnt(1)
	v_fma_f64 v[2:3], v[122:123], v[116:117], v[2:3]
	s_waitcnt vmcnt(0)
	s_delay_alu instid0(VALU_DEP_1) | instskip(SKIP_1) | instid1(VALU_DEP_1)
	v_fma_f64 v[2:3], v[112:113], v[118:119], v[2:3]
	s_waitcnt lgkmcnt(0)
	v_fma_f64 v[2:3], v[114:115], v[104:105], v[2:3]
	s_delay_alu instid0(VALU_DEP_1)
	v_add_f64 v[2:3], v[102:103], -v[2:3]
	scratch_store_b64 off, v[2:3], off offset:48
	v_cmpx_lt_u32_e32 5, v0
	s_cbranch_execz .LBB111_287
; %bb.286:
	scratch_load_b64 v[3:4], off, off offset:40
	v_mov_b32_e32 v2, v1
	scratch_store_b64 off, v[1:2], off offset:40
	s_waitcnt vmcnt(0)
	ds_store_b64 v5, v[3:4]
.LBB111_287:
	s_or_b32 exec_lo, exec_lo, s0
	s_waitcnt lgkmcnt(0)
	s_waitcnt_vscnt null, 0x0
	s_barrier
	buffer_gl0_inv
	s_clause 0x4
	scratch_load_b128 v[102:105], off, off offset:40
	scratch_load_b128 v[106:109], off, off offset:56
	;; [unrolled: 1-line block ×5, first 2 shown]
	ds_load_b128 v[122:125], v1 offset:432
	ds_load_b128 v[126:129], v1 offset:448
	scratch_load_b128 v[130:133], off, off offset:120
	s_mov_b32 s0, exec_lo
	s_waitcnt vmcnt(5) lgkmcnt(1)
	v_fma_f64 v[2:3], v[104:105], v[122:123], 0
	s_waitcnt vmcnt(4)
	s_delay_alu instid0(VALU_DEP_1) | instskip(SKIP_4) | instid1(VALU_DEP_1)
	v_fma_f64 v[2:3], v[106:107], v[124:125], v[2:3]
	scratch_load_b128 v[104:107], off, off offset:136
	s_waitcnt lgkmcnt(0)
	v_fma_f64 v[2:3], v[108:109], v[126:127], v[2:3]
	s_waitcnt vmcnt(4)
	v_fma_f64 v[2:3], v[110:111], v[128:129], v[2:3]
	ds_load_b128 v[108:111], v1 offset:464
	ds_load_b128 v[122:125], v1 offset:480
	scratch_load_b128 v[126:129], off, off offset:152
	s_waitcnt lgkmcnt(1)
	v_fma_f64 v[2:3], v[112:113], v[108:109], v[2:3]
	s_waitcnt vmcnt(4)
	s_delay_alu instid0(VALU_DEP_1) | instskip(SKIP_4) | instid1(VALU_DEP_1)
	v_fma_f64 v[2:3], v[114:115], v[110:111], v[2:3]
	scratch_load_b128 v[108:111], off, off offset:168
	s_waitcnt lgkmcnt(0)
	v_fma_f64 v[2:3], v[116:117], v[122:123], v[2:3]
	s_waitcnt vmcnt(4)
	v_fma_f64 v[2:3], v[118:119], v[124:125], v[2:3]
	ds_load_b128 v[112:115], v1 offset:496
	ds_load_b128 v[116:119], v1 offset:512
	s_waitcnt lgkmcnt(1)
	v_fma_f64 v[2:3], v[120:121], v[112:113], v[2:3]
	scratch_load_b128 v[120:123], off, off offset:184
	s_waitcnt vmcnt(4)
	v_fma_f64 v[2:3], v[130:131], v[114:115], v[2:3]
	scratch_load_b128 v[112:115], off, off offset:200
	s_waitcnt lgkmcnt(0)
	v_fma_f64 v[2:3], v[132:133], v[116:117], v[2:3]
	s_waitcnt vmcnt(4)
	s_delay_alu instid0(VALU_DEP_1)
	v_fma_f64 v[2:3], v[104:105], v[118:119], v[2:3]
	ds_load_b128 v[116:119], v1 offset:528
	ds_load_b128 v[130:133], v1 offset:544
	s_waitcnt lgkmcnt(1)
	v_fma_f64 v[2:3], v[106:107], v[116:117], v[2:3]
	scratch_load_b128 v[104:107], off, off offset:216
	s_waitcnt vmcnt(4)
	v_fma_f64 v[2:3], v[126:127], v[118:119], v[2:3]
	scratch_load_b128 v[116:119], off, off offset:232
	s_waitcnt lgkmcnt(0)
	v_fma_f64 v[2:3], v[128:129], v[130:131], v[2:3]
	ds_load_b128 v[124:127], v1 offset:560
	ds_load_b128 v[128:131], v1 offset:576
	s_waitcnt vmcnt(4)
	v_fma_f64 v[2:3], v[108:109], v[132:133], v[2:3]
	s_waitcnt lgkmcnt(1)
	s_delay_alu instid0(VALU_DEP_1) | instskip(SKIP_4) | instid1(VALU_DEP_1)
	v_fma_f64 v[2:3], v[110:111], v[124:125], v[2:3]
	scratch_load_b128 v[108:111], off, off offset:248
	s_waitcnt vmcnt(4)
	v_fma_f64 v[2:3], v[120:121], v[126:127], v[2:3]
	s_waitcnt lgkmcnt(0)
	v_fma_f64 v[2:3], v[122:123], v[128:129], v[2:3]
	scratch_load_b128 v[120:123], off, off offset:264
	s_waitcnt vmcnt(4)
	v_fma_f64 v[2:3], v[112:113], v[130:131], v[2:3]
	ds_load_b128 v[124:127], v1 offset:592
	ds_load_b128 v[128:131], v1 offset:608
	s_waitcnt lgkmcnt(1)
	v_fma_f64 v[2:3], v[114:115], v[124:125], v[2:3]
	scratch_load_b128 v[112:115], off, off offset:280
	s_waitcnt vmcnt(4)
	v_fma_f64 v[2:3], v[104:105], v[126:127], v[2:3]
	s_waitcnt lgkmcnt(0)
	s_delay_alu instid0(VALU_DEP_1)
	v_fma_f64 v[2:3], v[106:107], v[128:129], v[2:3]
	scratch_load_b128 v[104:107], off, off offset:296
	s_waitcnt vmcnt(4)
	v_fma_f64 v[2:3], v[116:117], v[130:131], v[2:3]
	ds_load_b128 v[124:127], v1 offset:624
	ds_load_b128 v[128:131], v1 offset:640
	s_waitcnt lgkmcnt(1)
	v_fma_f64 v[2:3], v[118:119], v[124:125], v[2:3]
	scratch_load_b128 v[116:119], off, off offset:312
	s_waitcnt vmcnt(4)
	v_fma_f64 v[2:3], v[108:109], v[126:127], v[2:3]
	s_waitcnt lgkmcnt(0)
	s_delay_alu instid0(VALU_DEP_1)
	;; [unrolled: 13-line block ×3, first 2 shown]
	v_fma_f64 v[2:3], v[114:115], v[128:129], v[2:3]
	scratch_load_b128 v[112:115], off, off offset:360
	s_waitcnt vmcnt(4)
	v_fma_f64 v[2:3], v[104:105], v[130:131], v[2:3]
	ds_load_b128 v[124:127], v1 offset:688
	ds_load_b128 v[128:131], v1 offset:704
	s_waitcnt lgkmcnt(1)
	v_fma_f64 v[2:3], v[106:107], v[124:125], v[2:3]
	scratch_load_b64 v[124:125], off, off offset:376
	s_waitcnt vmcnt(4)
	v_fma_f64 v[2:3], v[116:117], v[126:127], v[2:3]
	s_waitcnt lgkmcnt(0)
	s_delay_alu instid0(VALU_DEP_1)
	v_fma_f64 v[2:3], v[118:119], v[128:129], v[2:3]
	ds_load_b128 v[104:107], v1 offset:720
	ds_load_b128 v[116:119], v1 offset:736
	s_waitcnt vmcnt(3)
	v_fma_f64 v[2:3], v[108:109], v[130:131], v[2:3]
	s_waitcnt lgkmcnt(1)
	s_delay_alu instid0(VALU_DEP_1) | instskip(SKIP_1) | instid1(VALU_DEP_1)
	v_fma_f64 v[2:3], v[110:111], v[104:105], v[2:3]
	s_waitcnt vmcnt(2)
	v_fma_f64 v[2:3], v[120:121], v[106:107], v[2:3]
	s_waitcnt lgkmcnt(0)
	s_delay_alu instid0(VALU_DEP_1) | instskip(SKIP_1) | instid1(VALU_DEP_1)
	v_fma_f64 v[2:3], v[122:123], v[116:117], v[2:3]
	s_waitcnt vmcnt(1)
	v_fma_f64 v[104:105], v[112:113], v[118:119], v[2:3]
	ds_load_b128 v[1:4], v1 offset:752
	s_waitcnt lgkmcnt(0)
	v_fma_f64 v[1:2], v[114:115], v[1:2], v[104:105]
	s_waitcnt vmcnt(0)
	s_delay_alu instid0(VALU_DEP_1) | instskip(NEXT) | instid1(VALU_DEP_1)
	v_fma_f64 v[1:2], v[124:125], v[3:4], v[1:2]
	v_add_f64 v[1:2], v[102:103], -v[1:2]
	scratch_store_b64 off, v[1:2], off offset:40
	v_cmpx_lt_u32_e32 4, v0
	s_cbranch_execz .LBB111_289
; %bb.288:
	scratch_load_b64 v[1:2], off, off offset:32
	v_mov_b32_e32 v3, 0
	s_delay_alu instid0(VALU_DEP_1)
	v_mov_b32_e32 v4, v3
	scratch_store_b64 off, v[3:4], off offset:32
	s_waitcnt vmcnt(0)
	ds_store_b64 v5, v[1:2]
.LBB111_289:
	s_or_b32 exec_lo, exec_lo, s0
	s_waitcnt lgkmcnt(0)
	s_waitcnt_vscnt null, 0x0
	s_barrier
	buffer_gl0_inv
	s_clause 0x4
	scratch_load_b128 v[102:105], off, off offset:32
	scratch_load_b128 v[106:109], off, off offset:48
	;; [unrolled: 1-line block ×5, first 2 shown]
	v_mov_b32_e32 v1, 0
	ds_load_2addr_b64 v[122:125], v1 offset0:53 offset1:54
	ds_load_2addr_b64 v[126:129], v1 offset0:55 offset1:56
	scratch_load_b128 v[130:133], off, off offset:112
	s_mov_b32 s0, exec_lo
	s_waitcnt vmcnt(5) lgkmcnt(1)
	v_fma_f64 v[2:3], v[104:105], v[122:123], 0
	s_waitcnt vmcnt(4)
	s_delay_alu instid0(VALU_DEP_1) | instskip(SKIP_4) | instid1(VALU_DEP_1)
	v_fma_f64 v[2:3], v[106:107], v[124:125], v[2:3]
	scratch_load_b128 v[104:107], off, off offset:128
	s_waitcnt lgkmcnt(0)
	v_fma_f64 v[2:3], v[108:109], v[126:127], v[2:3]
	s_waitcnt vmcnt(4)
	v_fma_f64 v[2:3], v[110:111], v[128:129], v[2:3]
	ds_load_2addr_b64 v[108:111], v1 offset0:57 offset1:58
	ds_load_2addr_b64 v[122:125], v1 offset0:59 offset1:60
	scratch_load_b128 v[126:129], off, off offset:144
	s_waitcnt lgkmcnt(1)
	v_fma_f64 v[2:3], v[112:113], v[108:109], v[2:3]
	s_waitcnt vmcnt(4)
	s_delay_alu instid0(VALU_DEP_1) | instskip(SKIP_4) | instid1(VALU_DEP_1)
	v_fma_f64 v[2:3], v[114:115], v[110:111], v[2:3]
	scratch_load_b128 v[108:111], off, off offset:160
	s_waitcnt lgkmcnt(0)
	v_fma_f64 v[2:3], v[116:117], v[122:123], v[2:3]
	s_waitcnt vmcnt(4)
	v_fma_f64 v[2:3], v[118:119], v[124:125], v[2:3]
	ds_load_2addr_b64 v[112:115], v1 offset0:61 offset1:62
	ds_load_2addr_b64 v[116:119], v1 offset0:63 offset1:64
	s_waitcnt lgkmcnt(1)
	v_fma_f64 v[2:3], v[120:121], v[112:113], v[2:3]
	scratch_load_b128 v[120:123], off, off offset:176
	s_waitcnt vmcnt(4)
	v_fma_f64 v[2:3], v[130:131], v[114:115], v[2:3]
	scratch_load_b128 v[112:115], off, off offset:192
	s_waitcnt lgkmcnt(0)
	v_fma_f64 v[2:3], v[132:133], v[116:117], v[2:3]
	s_waitcnt vmcnt(4)
	s_delay_alu instid0(VALU_DEP_1)
	v_fma_f64 v[2:3], v[104:105], v[118:119], v[2:3]
	ds_load_2addr_b64 v[116:119], v1 offset0:65 offset1:66
	ds_load_2addr_b64 v[130:133], v1 offset0:67 offset1:68
	s_waitcnt lgkmcnt(1)
	v_fma_f64 v[2:3], v[106:107], v[116:117], v[2:3]
	scratch_load_b128 v[104:107], off, off offset:208
	s_waitcnt vmcnt(4)
	v_fma_f64 v[2:3], v[126:127], v[118:119], v[2:3]
	scratch_load_b128 v[116:119], off, off offset:224
	s_waitcnt lgkmcnt(0)
	v_fma_f64 v[2:3], v[128:129], v[130:131], v[2:3]
	ds_load_2addr_b64 v[124:127], v1 offset0:69 offset1:70
	ds_load_2addr_b64 v[128:131], v1 offset0:71 offset1:72
	s_waitcnt vmcnt(4)
	v_fma_f64 v[2:3], v[108:109], v[132:133], v[2:3]
	s_waitcnt lgkmcnt(1)
	s_delay_alu instid0(VALU_DEP_1) | instskip(SKIP_4) | instid1(VALU_DEP_1)
	v_fma_f64 v[2:3], v[110:111], v[124:125], v[2:3]
	scratch_load_b128 v[108:111], off, off offset:240
	s_waitcnt vmcnt(4)
	v_fma_f64 v[2:3], v[120:121], v[126:127], v[2:3]
	s_waitcnt lgkmcnt(0)
	v_fma_f64 v[2:3], v[122:123], v[128:129], v[2:3]
	scratch_load_b128 v[120:123], off, off offset:256
	s_waitcnt vmcnt(4)
	v_fma_f64 v[2:3], v[112:113], v[130:131], v[2:3]
	ds_load_2addr_b64 v[124:127], v1 offset0:73 offset1:74
	ds_load_2addr_b64 v[128:131], v1 offset0:75 offset1:76
	s_waitcnt lgkmcnt(1)
	v_fma_f64 v[2:3], v[114:115], v[124:125], v[2:3]
	scratch_load_b128 v[112:115], off, off offset:272
	s_waitcnt vmcnt(4)
	v_fma_f64 v[2:3], v[104:105], v[126:127], v[2:3]
	s_waitcnt lgkmcnt(0)
	s_delay_alu instid0(VALU_DEP_1)
	v_fma_f64 v[2:3], v[106:107], v[128:129], v[2:3]
	scratch_load_b128 v[104:107], off, off offset:288
	s_waitcnt vmcnt(4)
	v_fma_f64 v[2:3], v[116:117], v[130:131], v[2:3]
	ds_load_2addr_b64 v[124:127], v1 offset0:77 offset1:78
	ds_load_2addr_b64 v[128:131], v1 offset0:79 offset1:80
	s_waitcnt lgkmcnt(1)
	v_fma_f64 v[2:3], v[118:119], v[124:125], v[2:3]
	scratch_load_b128 v[116:119], off, off offset:304
	s_waitcnt vmcnt(4)
	v_fma_f64 v[2:3], v[108:109], v[126:127], v[2:3]
	s_waitcnt lgkmcnt(0)
	s_delay_alu instid0(VALU_DEP_1)
	;; [unrolled: 13-line block ×4, first 2 shown]
	v_fma_f64 v[2:3], v[118:119], v[128:129], v[2:3]
	ds_load_2addr_b64 v[116:119], v1 offset0:89 offset1:90
	ds_load_2addr_b64 v[124:127], v1 offset0:91 offset1:92
	s_waitcnt vmcnt(3)
	v_fma_f64 v[2:3], v[108:109], v[130:131], v[2:3]
	s_waitcnt lgkmcnt(1)
	s_delay_alu instid0(VALU_DEP_1) | instskip(SKIP_1) | instid1(VALU_DEP_1)
	v_fma_f64 v[2:3], v[110:111], v[116:117], v[2:3]
	s_waitcnt vmcnt(2)
	v_fma_f64 v[2:3], v[120:121], v[118:119], v[2:3]
	s_waitcnt lgkmcnt(0)
	s_delay_alu instid0(VALU_DEP_1) | instskip(SKIP_1) | instid1(VALU_DEP_1)
	v_fma_f64 v[2:3], v[122:123], v[124:125], v[2:3]
	s_waitcnt vmcnt(1)
	v_fma_f64 v[2:3], v[112:113], v[126:127], v[2:3]
	ds_load_2addr_b64 v[108:111], v1 offset0:93 offset1:94
	ds_load_b64 v[112:113], v1 offset:760
	s_waitcnt lgkmcnt(1)
	v_fma_f64 v[2:3], v[114:115], v[108:109], v[2:3]
	s_waitcnt vmcnt(0)
	s_delay_alu instid0(VALU_DEP_1) | instskip(SKIP_1) | instid1(VALU_DEP_1)
	v_fma_f64 v[2:3], v[104:105], v[110:111], v[2:3]
	s_waitcnt lgkmcnt(0)
	v_fma_f64 v[2:3], v[106:107], v[112:113], v[2:3]
	s_delay_alu instid0(VALU_DEP_1)
	v_add_f64 v[2:3], v[102:103], -v[2:3]
	scratch_store_b64 off, v[2:3], off offset:32
	v_cmpx_lt_u32_e32 3, v0
	s_cbranch_execz .LBB111_291
; %bb.290:
	scratch_load_b64 v[3:4], off, off offset:24
	v_mov_b32_e32 v2, v1
	scratch_store_b64 off, v[1:2], off offset:24
	s_waitcnt vmcnt(0)
	ds_store_b64 v5, v[3:4]
.LBB111_291:
	s_or_b32 exec_lo, exec_lo, s0
	s_waitcnt lgkmcnt(0)
	s_waitcnt_vscnt null, 0x0
	s_barrier
	buffer_gl0_inv
	s_clause 0x4
	scratch_load_b128 v[102:105], off, off offset:24
	scratch_load_b128 v[106:109], off, off offset:40
	scratch_load_b128 v[110:113], off, off offset:56
	scratch_load_b128 v[114:117], off, off offset:72
	scratch_load_b128 v[118:121], off, off offset:88
	ds_load_b128 v[122:125], v1 offset:416
	ds_load_b128 v[126:129], v1 offset:432
	scratch_load_b128 v[130:133], off, off offset:104
	s_mov_b32 s0, exec_lo
	s_waitcnt vmcnt(5) lgkmcnt(1)
	v_fma_f64 v[2:3], v[104:105], v[122:123], 0
	s_waitcnt vmcnt(4)
	s_delay_alu instid0(VALU_DEP_1) | instskip(SKIP_4) | instid1(VALU_DEP_1)
	v_fma_f64 v[2:3], v[106:107], v[124:125], v[2:3]
	scratch_load_b128 v[104:107], off, off offset:120
	s_waitcnt lgkmcnt(0)
	v_fma_f64 v[2:3], v[108:109], v[126:127], v[2:3]
	s_waitcnt vmcnt(4)
	v_fma_f64 v[2:3], v[110:111], v[128:129], v[2:3]
	ds_load_b128 v[108:111], v1 offset:448
	ds_load_b128 v[122:125], v1 offset:464
	scratch_load_b128 v[126:129], off, off offset:136
	s_waitcnt lgkmcnt(1)
	v_fma_f64 v[2:3], v[112:113], v[108:109], v[2:3]
	s_waitcnt vmcnt(4)
	s_delay_alu instid0(VALU_DEP_1) | instskip(SKIP_4) | instid1(VALU_DEP_1)
	v_fma_f64 v[2:3], v[114:115], v[110:111], v[2:3]
	scratch_load_b128 v[108:111], off, off offset:152
	s_waitcnt lgkmcnt(0)
	v_fma_f64 v[2:3], v[116:117], v[122:123], v[2:3]
	s_waitcnt vmcnt(4)
	v_fma_f64 v[2:3], v[118:119], v[124:125], v[2:3]
	ds_load_b128 v[112:115], v1 offset:480
	ds_load_b128 v[116:119], v1 offset:496
	s_waitcnt lgkmcnt(1)
	v_fma_f64 v[2:3], v[120:121], v[112:113], v[2:3]
	scratch_load_b128 v[120:123], off, off offset:168
	s_waitcnt vmcnt(4)
	v_fma_f64 v[2:3], v[130:131], v[114:115], v[2:3]
	scratch_load_b128 v[112:115], off, off offset:184
	s_waitcnt lgkmcnt(0)
	v_fma_f64 v[2:3], v[132:133], v[116:117], v[2:3]
	s_waitcnt vmcnt(4)
	s_delay_alu instid0(VALU_DEP_1)
	v_fma_f64 v[2:3], v[104:105], v[118:119], v[2:3]
	ds_load_b128 v[116:119], v1 offset:512
	ds_load_b128 v[130:133], v1 offset:528
	s_waitcnt lgkmcnt(1)
	v_fma_f64 v[2:3], v[106:107], v[116:117], v[2:3]
	scratch_load_b128 v[104:107], off, off offset:200
	s_waitcnt vmcnt(4)
	v_fma_f64 v[2:3], v[126:127], v[118:119], v[2:3]
	scratch_load_b128 v[116:119], off, off offset:216
	s_waitcnt lgkmcnt(0)
	v_fma_f64 v[2:3], v[128:129], v[130:131], v[2:3]
	ds_load_b128 v[124:127], v1 offset:544
	ds_load_b128 v[128:131], v1 offset:560
	s_waitcnt vmcnt(4)
	v_fma_f64 v[2:3], v[108:109], v[132:133], v[2:3]
	s_waitcnt lgkmcnt(1)
	s_delay_alu instid0(VALU_DEP_1) | instskip(SKIP_4) | instid1(VALU_DEP_1)
	v_fma_f64 v[2:3], v[110:111], v[124:125], v[2:3]
	scratch_load_b128 v[108:111], off, off offset:232
	s_waitcnt vmcnt(4)
	v_fma_f64 v[2:3], v[120:121], v[126:127], v[2:3]
	s_waitcnt lgkmcnt(0)
	v_fma_f64 v[2:3], v[122:123], v[128:129], v[2:3]
	scratch_load_b128 v[120:123], off, off offset:248
	s_waitcnt vmcnt(4)
	v_fma_f64 v[2:3], v[112:113], v[130:131], v[2:3]
	ds_load_b128 v[124:127], v1 offset:576
	ds_load_b128 v[128:131], v1 offset:592
	s_waitcnt lgkmcnt(1)
	v_fma_f64 v[2:3], v[114:115], v[124:125], v[2:3]
	scratch_load_b128 v[112:115], off, off offset:264
	s_waitcnt vmcnt(4)
	v_fma_f64 v[2:3], v[104:105], v[126:127], v[2:3]
	s_waitcnt lgkmcnt(0)
	s_delay_alu instid0(VALU_DEP_1)
	v_fma_f64 v[2:3], v[106:107], v[128:129], v[2:3]
	scratch_load_b128 v[104:107], off, off offset:280
	s_waitcnt vmcnt(4)
	v_fma_f64 v[2:3], v[116:117], v[130:131], v[2:3]
	ds_load_b128 v[124:127], v1 offset:608
	ds_load_b128 v[128:131], v1 offset:624
	s_waitcnt lgkmcnt(1)
	v_fma_f64 v[2:3], v[118:119], v[124:125], v[2:3]
	scratch_load_b128 v[116:119], off, off offset:296
	s_waitcnt vmcnt(4)
	v_fma_f64 v[2:3], v[108:109], v[126:127], v[2:3]
	s_waitcnt lgkmcnt(0)
	s_delay_alu instid0(VALU_DEP_1)
	;; [unrolled: 13-line block ×4, first 2 shown]
	v_fma_f64 v[2:3], v[118:119], v[128:129], v[2:3]
	scratch_load_b64 v[128:129], off, off offset:376
	ds_load_b128 v[116:119], v1 offset:704
	ds_load_b128 v[124:127], v1 offset:720
	s_waitcnt vmcnt(4)
	v_fma_f64 v[2:3], v[108:109], v[130:131], v[2:3]
	s_waitcnt lgkmcnt(1)
	s_delay_alu instid0(VALU_DEP_1) | instskip(SKIP_1) | instid1(VALU_DEP_1)
	v_fma_f64 v[2:3], v[110:111], v[116:117], v[2:3]
	s_waitcnt vmcnt(3)
	v_fma_f64 v[2:3], v[120:121], v[118:119], v[2:3]
	s_waitcnt lgkmcnt(0)
	s_delay_alu instid0(VALU_DEP_1) | instskip(SKIP_1) | instid1(VALU_DEP_1)
	v_fma_f64 v[2:3], v[122:123], v[124:125], v[2:3]
	s_waitcnt vmcnt(2)
	v_fma_f64 v[112:113], v[112:113], v[126:127], v[2:3]
	ds_load_b128 v[108:111], v1 offset:736
	ds_load_b128 v[1:4], v1 offset:752
	s_waitcnt lgkmcnt(1)
	v_fma_f64 v[108:109], v[114:115], v[108:109], v[112:113]
	s_waitcnt vmcnt(1)
	s_delay_alu instid0(VALU_DEP_1) | instskip(SKIP_1) | instid1(VALU_DEP_1)
	v_fma_f64 v[104:105], v[104:105], v[110:111], v[108:109]
	s_waitcnt lgkmcnt(0)
	v_fma_f64 v[1:2], v[106:107], v[1:2], v[104:105]
	s_waitcnt vmcnt(0)
	s_delay_alu instid0(VALU_DEP_1) | instskip(NEXT) | instid1(VALU_DEP_1)
	v_fma_f64 v[1:2], v[128:129], v[3:4], v[1:2]
	v_add_f64 v[1:2], v[102:103], -v[1:2]
	scratch_store_b64 off, v[1:2], off offset:24
	v_cmpx_lt_u32_e32 2, v0
	s_cbranch_execz .LBB111_293
; %bb.292:
	scratch_load_b64 v[1:2], off, off offset:16
	v_mov_b32_e32 v3, 0
	s_delay_alu instid0(VALU_DEP_1)
	v_mov_b32_e32 v4, v3
	scratch_store_b64 off, v[3:4], off offset:16
	s_waitcnt vmcnt(0)
	ds_store_b64 v5, v[1:2]
.LBB111_293:
	s_or_b32 exec_lo, exec_lo, s0
	s_waitcnt lgkmcnt(0)
	s_waitcnt_vscnt null, 0x0
	s_barrier
	buffer_gl0_inv
	s_clause 0x4
	scratch_load_b128 v[1:4], off, off offset:16
	scratch_load_b128 v[103:106], off, off offset:32
	;; [unrolled: 1-line block ×5, first 2 shown]
	v_mov_b32_e32 v102, 0
	ds_load_2addr_b64 v[119:122], v102 offset0:51 offset1:52
	ds_load_2addr_b64 v[123:126], v102 offset0:53 offset1:54
	scratch_load_b128 v[127:130], off, off offset:96
	s_mov_b32 s0, exec_lo
	s_waitcnt vmcnt(5) lgkmcnt(1)
	v_fma_f64 v[3:4], v[3:4], v[119:120], 0
	s_waitcnt vmcnt(4)
	s_delay_alu instid0(VALU_DEP_1) | instskip(SKIP_1) | instid1(VALU_DEP_1)
	v_fma_f64 v[3:4], v[103:104], v[121:122], v[3:4]
	s_waitcnt lgkmcnt(0)
	v_fma_f64 v[3:4], v[105:106], v[123:124], v[3:4]
	scratch_load_b128 v[103:106], off, off offset:112
	s_waitcnt vmcnt(4)
	v_fma_f64 v[3:4], v[107:108], v[125:126], v[3:4]
	ds_load_2addr_b64 v[119:122], v102 offset0:55 offset1:56
	ds_load_2addr_b64 v[123:126], v102 offset0:57 offset1:58
	s_waitcnt lgkmcnt(1)
	v_fma_f64 v[3:4], v[109:110], v[119:120], v[3:4]
	scratch_load_b128 v[107:110], off, off offset:128
	s_waitcnt vmcnt(4)
	v_fma_f64 v[3:4], v[111:112], v[121:122], v[3:4]
	s_waitcnt lgkmcnt(0)
	s_delay_alu instid0(VALU_DEP_1)
	v_fma_f64 v[3:4], v[113:114], v[123:124], v[3:4]
	scratch_load_b128 v[111:114], off, off offset:144
	s_waitcnt vmcnt(4)
	v_fma_f64 v[3:4], v[115:116], v[125:126], v[3:4]
	ds_load_2addr_b64 v[119:122], v102 offset0:59 offset1:60
	ds_load_2addr_b64 v[123:126], v102 offset0:61 offset1:62
	s_waitcnt lgkmcnt(1)
	v_fma_f64 v[3:4], v[117:118], v[119:120], v[3:4]
	scratch_load_b128 v[115:118], off, off offset:160
	s_waitcnt vmcnt(4)
	v_fma_f64 v[3:4], v[127:128], v[121:122], v[3:4]
	scratch_load_b128 v[119:122], off, off offset:176
	s_waitcnt lgkmcnt(0)
	v_fma_f64 v[3:4], v[129:130], v[123:124], v[3:4]
	s_waitcnt vmcnt(4)
	s_delay_alu instid0(VALU_DEP_1)
	v_fma_f64 v[3:4], v[103:104], v[125:126], v[3:4]
	ds_load_2addr_b64 v[123:126], v102 offset0:63 offset1:64
	ds_load_2addr_b64 v[127:130], v102 offset0:65 offset1:66
	s_waitcnt lgkmcnt(1)
	v_fma_f64 v[3:4], v[105:106], v[123:124], v[3:4]
	scratch_load_b128 v[103:106], off, off offset:192
	s_waitcnt vmcnt(4)
	v_fma_f64 v[3:4], v[107:108], v[125:126], v[3:4]
	s_waitcnt lgkmcnt(0)
	s_delay_alu instid0(VALU_DEP_1)
	v_fma_f64 v[3:4], v[109:110], v[127:128], v[3:4]
	scratch_load_b128 v[107:110], off, off offset:208
	s_waitcnt vmcnt(4)
	v_fma_f64 v[3:4], v[111:112], v[129:130], v[3:4]
	ds_load_2addr_b64 v[123:126], v102 offset0:67 offset1:68
	ds_load_2addr_b64 v[127:130], v102 offset0:69 offset1:70
	s_waitcnt lgkmcnt(1)
	v_fma_f64 v[3:4], v[113:114], v[123:124], v[3:4]
	scratch_load_b128 v[111:114], off, off offset:224
	s_waitcnt vmcnt(4)
	v_fma_f64 v[3:4], v[115:116], v[125:126], v[3:4]
	s_waitcnt lgkmcnt(0)
	s_delay_alu instid0(VALU_DEP_1)
	v_fma_f64 v[3:4], v[117:118], v[127:128], v[3:4]
	scratch_load_b128 v[115:118], off, off offset:240
	s_waitcnt vmcnt(4)
	;; [unrolled: 13-line block ×6, first 2 shown]
	v_fma_f64 v[3:4], v[111:112], v[129:130], v[3:4]
	ds_load_2addr_b64 v[123:126], v102 offset0:87 offset1:88
	ds_load_2addr_b64 v[127:130], v102 offset0:89 offset1:90
	s_waitcnt lgkmcnt(1)
	v_fma_f64 v[3:4], v[113:114], v[123:124], v[3:4]
	s_waitcnt vmcnt(3)
	s_delay_alu instid0(VALU_DEP_1) | instskip(SKIP_1) | instid1(VALU_DEP_1)
	v_fma_f64 v[3:4], v[115:116], v[125:126], v[3:4]
	s_waitcnt lgkmcnt(0)
	v_fma_f64 v[3:4], v[117:118], v[127:128], v[3:4]
	ds_load_2addr_b64 v[111:114], v102 offset0:91 offset1:92
	ds_load_2addr_b64 v[115:118], v102 offset0:93 offset1:94
	s_waitcnt vmcnt(2)
	v_fma_f64 v[3:4], v[119:120], v[129:130], v[3:4]
	s_waitcnt lgkmcnt(1)
	s_delay_alu instid0(VALU_DEP_1) | instskip(SKIP_1) | instid1(VALU_DEP_1)
	v_fma_f64 v[3:4], v[121:122], v[111:112], v[3:4]
	s_waitcnt vmcnt(1)
	v_fma_f64 v[3:4], v[103:104], v[113:114], v[3:4]
	ds_load_b64 v[103:104], v102 offset:760
	s_waitcnt lgkmcnt(1)
	v_fma_f64 v[3:4], v[105:106], v[115:116], v[3:4]
	s_waitcnt vmcnt(0)
	s_delay_alu instid0(VALU_DEP_1) | instskip(SKIP_1) | instid1(VALU_DEP_1)
	v_fma_f64 v[3:4], v[107:108], v[117:118], v[3:4]
	s_waitcnt lgkmcnt(0)
	v_fma_f64 v[3:4], v[109:110], v[103:104], v[3:4]
	s_delay_alu instid0(VALU_DEP_1)
	v_add_f64 v[1:2], v[1:2], -v[3:4]
	scratch_store_b64 off, v[1:2], off offset:16
	v_cmpx_lt_u32_e32 1, v0
	s_cbranch_execz .LBB111_295
; %bb.294:
	scratch_load_b64 v[1:2], off, off offset:8
	v_mov_b32_e32 v103, v102
	scratch_store_b64 off, v[102:103], off offset:8
	s_waitcnt vmcnt(0)
	ds_store_b64 v5, v[1:2]
.LBB111_295:
	s_or_b32 exec_lo, exec_lo, s0
	s_waitcnt lgkmcnt(0)
	s_waitcnt_vscnt null, 0x0
	s_barrier
	buffer_gl0_inv
	s_clause 0x4
	scratch_load_b128 v[1:4], off, off offset:8
	scratch_load_b128 v[103:106], off, off offset:24
	;; [unrolled: 1-line block ×5, first 2 shown]
	ds_load_b128 v[119:122], v102 offset:400
	ds_load_b128 v[123:126], v102 offset:416
	scratch_load_b128 v[127:130], off, off offset:88
	s_mov_b32 s0, exec_lo
	s_waitcnt vmcnt(5) lgkmcnt(1)
	v_fma_f64 v[3:4], v[3:4], v[119:120], 0
	s_waitcnt vmcnt(4)
	s_delay_alu instid0(VALU_DEP_1) | instskip(SKIP_1) | instid1(VALU_DEP_1)
	v_fma_f64 v[3:4], v[103:104], v[121:122], v[3:4]
	s_waitcnt lgkmcnt(0)
	v_fma_f64 v[3:4], v[105:106], v[123:124], v[3:4]
	scratch_load_b128 v[103:106], off, off offset:104
	s_waitcnt vmcnt(4)
	v_fma_f64 v[3:4], v[107:108], v[125:126], v[3:4]
	ds_load_b128 v[119:122], v102 offset:432
	ds_load_b128 v[123:126], v102 offset:448
	s_waitcnt lgkmcnt(1)
	v_fma_f64 v[3:4], v[109:110], v[119:120], v[3:4]
	scratch_load_b128 v[107:110], off, off offset:120
	s_waitcnt vmcnt(4)
	v_fma_f64 v[3:4], v[111:112], v[121:122], v[3:4]
	s_waitcnt lgkmcnt(0)
	s_delay_alu instid0(VALU_DEP_1)
	v_fma_f64 v[3:4], v[113:114], v[123:124], v[3:4]
	scratch_load_b128 v[111:114], off, off offset:136
	s_waitcnt vmcnt(4)
	v_fma_f64 v[3:4], v[115:116], v[125:126], v[3:4]
	ds_load_b128 v[119:122], v102 offset:464
	ds_load_b128 v[123:126], v102 offset:480
	s_waitcnt lgkmcnt(1)
	v_fma_f64 v[3:4], v[117:118], v[119:120], v[3:4]
	scratch_load_b128 v[115:118], off, off offset:152
	s_waitcnt vmcnt(4)
	v_fma_f64 v[3:4], v[127:128], v[121:122], v[3:4]
	scratch_load_b128 v[119:122], off, off offset:168
	s_waitcnt lgkmcnt(0)
	v_fma_f64 v[3:4], v[129:130], v[123:124], v[3:4]
	s_waitcnt vmcnt(4)
	s_delay_alu instid0(VALU_DEP_1)
	v_fma_f64 v[3:4], v[103:104], v[125:126], v[3:4]
	ds_load_b128 v[123:126], v102 offset:496
	ds_load_b128 v[127:130], v102 offset:512
	s_waitcnt lgkmcnt(1)
	v_fma_f64 v[3:4], v[105:106], v[123:124], v[3:4]
	scratch_load_b128 v[103:106], off, off offset:184
	s_waitcnt vmcnt(4)
	v_fma_f64 v[3:4], v[107:108], v[125:126], v[3:4]
	s_waitcnt lgkmcnt(0)
	s_delay_alu instid0(VALU_DEP_1)
	v_fma_f64 v[3:4], v[109:110], v[127:128], v[3:4]
	scratch_load_b128 v[107:110], off, off offset:200
	s_waitcnt vmcnt(4)
	v_fma_f64 v[3:4], v[111:112], v[129:130], v[3:4]
	ds_load_b128 v[123:126], v102 offset:528
	ds_load_b128 v[127:130], v102 offset:544
	s_waitcnt lgkmcnt(1)
	v_fma_f64 v[3:4], v[113:114], v[123:124], v[3:4]
	scratch_load_b128 v[111:114], off, off offset:216
	s_waitcnt vmcnt(4)
	v_fma_f64 v[3:4], v[115:116], v[125:126], v[3:4]
	s_waitcnt lgkmcnt(0)
	s_delay_alu instid0(VALU_DEP_1)
	v_fma_f64 v[3:4], v[117:118], v[127:128], v[3:4]
	scratch_load_b128 v[115:118], off, off offset:232
	s_waitcnt vmcnt(4)
	v_fma_f64 v[3:4], v[119:120], v[129:130], v[3:4]
	ds_load_b128 v[123:126], v102 offset:560
	ds_load_b128 v[127:130], v102 offset:576
	s_waitcnt lgkmcnt(1)
	v_fma_f64 v[3:4], v[121:122], v[123:124], v[3:4]
	scratch_load_b128 v[119:122], off, off offset:248
	s_waitcnt vmcnt(4)
	v_fma_f64 v[3:4], v[103:104], v[125:126], v[3:4]
	s_waitcnt lgkmcnt(0)
	s_delay_alu instid0(VALU_DEP_1)
	v_fma_f64 v[3:4], v[105:106], v[127:128], v[3:4]
	scratch_load_b128 v[103:106], off, off offset:264
	s_waitcnt vmcnt(4)
	v_fma_f64 v[3:4], v[107:108], v[129:130], v[3:4]
	ds_load_b128 v[123:126], v102 offset:592
	ds_load_b128 v[127:130], v102 offset:608
	s_waitcnt lgkmcnt(1)
	v_fma_f64 v[3:4], v[109:110], v[123:124], v[3:4]
	scratch_load_b128 v[107:110], off, off offset:280
	s_waitcnt vmcnt(4)
	v_fma_f64 v[3:4], v[111:112], v[125:126], v[3:4]
	s_waitcnt lgkmcnt(0)
	s_delay_alu instid0(VALU_DEP_1)
	v_fma_f64 v[3:4], v[113:114], v[127:128], v[3:4]
	scratch_load_b128 v[111:114], off, off offset:296
	s_waitcnt vmcnt(4)
	v_fma_f64 v[3:4], v[115:116], v[129:130], v[3:4]
	ds_load_b128 v[123:126], v102 offset:624
	ds_load_b128 v[127:130], v102 offset:640
	s_waitcnt lgkmcnt(1)
	v_fma_f64 v[3:4], v[117:118], v[123:124], v[3:4]
	scratch_load_b128 v[115:118], off, off offset:312
	s_waitcnt vmcnt(4)
	v_fma_f64 v[3:4], v[119:120], v[125:126], v[3:4]
	s_waitcnt lgkmcnt(0)
	s_delay_alu instid0(VALU_DEP_1)
	v_fma_f64 v[3:4], v[121:122], v[127:128], v[3:4]
	scratch_load_b128 v[119:122], off, off offset:328
	s_waitcnt vmcnt(4)
	v_fma_f64 v[3:4], v[103:104], v[129:130], v[3:4]
	ds_load_b128 v[123:126], v102 offset:656
	ds_load_b128 v[127:130], v102 offset:672
	s_waitcnt lgkmcnt(1)
	v_fma_f64 v[3:4], v[105:106], v[123:124], v[3:4]
	scratch_load_b128 v[103:106], off, off offset:344
	s_waitcnt vmcnt(4)
	v_fma_f64 v[3:4], v[107:108], v[125:126], v[3:4]
	s_waitcnt lgkmcnt(0)
	s_delay_alu instid0(VALU_DEP_1)
	v_fma_f64 v[3:4], v[109:110], v[127:128], v[3:4]
	scratch_load_b128 v[107:110], off, off offset:360
	s_waitcnt vmcnt(4)
	v_fma_f64 v[3:4], v[111:112], v[129:130], v[3:4]
	ds_load_b128 v[123:126], v102 offset:688
	ds_load_b128 v[127:130], v102 offset:704
	s_waitcnt lgkmcnt(1)
	v_fma_f64 v[3:4], v[113:114], v[123:124], v[3:4]
	scratch_load_b64 v[123:124], off, off offset:376
	s_waitcnt vmcnt(4)
	v_fma_f64 v[3:4], v[115:116], v[125:126], v[3:4]
	s_waitcnt lgkmcnt(0)
	s_delay_alu instid0(VALU_DEP_1)
	v_fma_f64 v[3:4], v[117:118], v[127:128], v[3:4]
	ds_load_b128 v[111:114], v102 offset:720
	ds_load_b128 v[115:118], v102 offset:736
	s_waitcnt vmcnt(3)
	v_fma_f64 v[3:4], v[119:120], v[129:130], v[3:4]
	s_waitcnt lgkmcnt(1)
	s_delay_alu instid0(VALU_DEP_1) | instskip(SKIP_1) | instid1(VALU_DEP_1)
	v_fma_f64 v[3:4], v[121:122], v[111:112], v[3:4]
	s_waitcnt vmcnt(2)
	v_fma_f64 v[3:4], v[103:104], v[113:114], v[3:4]
	s_waitcnt lgkmcnt(0)
	s_delay_alu instid0(VALU_DEP_1) | instskip(SKIP_4) | instid1(VALU_DEP_1)
	v_fma_f64 v[3:4], v[105:106], v[115:116], v[3:4]
	ds_load_b128 v[102:105], v102 offset:752
	s_waitcnt vmcnt(1)
	v_fma_f64 v[3:4], v[107:108], v[117:118], v[3:4]
	s_waitcnt lgkmcnt(0)
	v_fma_f64 v[3:4], v[109:110], v[102:103], v[3:4]
	s_waitcnt vmcnt(0)
	s_delay_alu instid0(VALU_DEP_1) | instskip(NEXT) | instid1(VALU_DEP_1)
	v_fma_f64 v[3:4], v[123:124], v[104:105], v[3:4]
	v_add_f64 v[1:2], v[1:2], -v[3:4]
	scratch_store_b64 off, v[1:2], off offset:8
	v_cmpx_ne_u32_e32 0, v0
	s_cbranch_execz .LBB111_297
; %bb.296:
	scratch_load_b64 v[0:1], off, off
	v_mov_b32_e32 v2, 0
	s_delay_alu instid0(VALU_DEP_1)
	v_mov_b32_e32 v3, v2
	scratch_store_b64 off, v[2:3], off
	s_waitcnt vmcnt(0)
	ds_store_b64 v5, v[0:1]
.LBB111_297:
	s_or_b32 exec_lo, exec_lo, s0
	s_waitcnt lgkmcnt(0)
	s_waitcnt_vscnt null, 0x0
	s_barrier
	buffer_gl0_inv
	s_clause 0x4
	scratch_load_b128 v[0:3], off, off
	scratch_load_b128 v[102:105], off, off offset:16
	scratch_load_b128 v[106:109], off, off offset:32
	;; [unrolled: 1-line block ×4, first 2 shown]
	v_mov_b32_e32 v130, 0
	ds_load_2addr_b64 v[118:121], v130 offset0:49 offset1:50
	ds_load_2addr_b64 v[122:125], v130 offset0:51 offset1:52
	s_and_b32 vcc_lo, exec_lo, s12
	s_waitcnt vmcnt(4) lgkmcnt(1)
	v_fma_f64 v[118:119], v[2:3], v[118:119], 0
	scratch_load_b128 v[2:5], off, off offset:80
	s_waitcnt vmcnt(4)
	v_fma_f64 v[102:103], v[102:103], v[120:121], v[118:119]
	s_waitcnt lgkmcnt(0)
	s_delay_alu instid0(VALU_DEP_1)
	v_fma_f64 v[118:119], v[104:105], v[122:123], v[102:103]
	scratch_load_b128 v[102:105], off, off offset:96
	s_waitcnt vmcnt(4)
	v_fma_f64 v[106:107], v[106:107], v[124:125], v[118:119]
	ds_load_2addr_b64 v[118:121], v130 offset0:53 offset1:54
	ds_load_2addr_b64 v[122:125], v130 offset0:55 offset1:56
	s_waitcnt lgkmcnt(1)
	v_fma_f64 v[118:119], v[108:109], v[118:119], v[106:107]
	scratch_load_b128 v[106:109], off, off offset:112
	s_waitcnt vmcnt(4)
	v_fma_f64 v[110:111], v[110:111], v[120:121], v[118:119]
	s_waitcnt lgkmcnt(0)
	s_delay_alu instid0(VALU_DEP_1)
	v_fma_f64 v[118:119], v[112:113], v[122:123], v[110:111]
	scratch_load_b128 v[110:113], off, off offset:128
	s_waitcnt vmcnt(4)
	v_fma_f64 v[114:115], v[114:115], v[124:125], v[118:119]
	ds_load_2addr_b64 v[118:121], v130 offset0:57 offset1:58
	ds_load_2addr_b64 v[122:125], v130 offset0:59 offset1:60
	s_waitcnt lgkmcnt(1)
	;; [unrolled: 13-line block ×7, first 2 shown]
	v_fma_f64 v[118:119], v[116:117], v[118:119], v[114:115]
	scratch_load_b128 v[114:117], off, off offset:304
	s_waitcnt vmcnt(4)
	v_fma_f64 v[2:3], v[2:3], v[120:121], v[118:119]
	scratch_load_b128 v[118:121], off, off offset:320
	s_waitcnt lgkmcnt(0)
	v_fma_f64 v[2:3], v[4:5], v[122:123], v[2:3]
	s_waitcnt vmcnt(4)
	s_delay_alu instid0(VALU_DEP_1)
	v_fma_f64 v[102:103], v[102:103], v[124:125], v[2:3]
	ds_load_2addr_b64 v[2:5], v130 offset0:81 offset1:82
	ds_load_2addr_b64 v[122:125], v130 offset0:83 offset1:84
	s_waitcnt lgkmcnt(1)
	v_fma_f64 v[2:3], v[104:105], v[2:3], v[102:103]
	scratch_load_b128 v[102:105], off, off offset:336
	s_waitcnt vmcnt(4)
	v_fma_f64 v[2:3], v[106:107], v[4:5], v[2:3]
	s_waitcnt lgkmcnt(0)
	s_delay_alu instid0(VALU_DEP_1)
	v_fma_f64 v[2:3], v[108:109], v[122:123], v[2:3]
	scratch_load_b128 v[106:109], off, off offset:352
	s_waitcnt vmcnt(4)
	v_fma_f64 v[2:3], v[110:111], v[124:125], v[2:3]
	ds_load_2addr_b64 v[122:125], v130 offset0:85 offset1:86
	ds_load_2addr_b64 v[126:129], v130 offset0:87 offset1:88
	s_waitcnt lgkmcnt(1)
	v_fma_f64 v[110:111], v[112:113], v[122:123], v[2:3]
	scratch_load_b128 v[2:5], off, off offset:368
	s_waitcnt vmcnt(4)
	v_fma_f64 v[110:111], v[114:115], v[124:125], v[110:111]
	s_waitcnt lgkmcnt(0)
	s_delay_alu instid0(VALU_DEP_1) | instskip(SKIP_1) | instid1(VALU_DEP_1)
	v_fma_f64 v[110:111], v[116:117], v[126:127], v[110:111]
	s_waitcnt vmcnt(3)
	v_fma_f64 v[118:119], v[118:119], v[128:129], v[110:111]
	ds_load_2addr_b64 v[110:113], v130 offset0:89 offset1:90
	ds_load_2addr_b64 v[114:117], v130 offset0:91 offset1:92
	s_waitcnt lgkmcnt(1)
	v_fma_f64 v[110:111], v[120:121], v[110:111], v[118:119]
	s_waitcnt vmcnt(2)
	s_delay_alu instid0(VALU_DEP_1) | instskip(SKIP_1) | instid1(VALU_DEP_1)
	v_fma_f64 v[102:103], v[102:103], v[112:113], v[110:111]
	s_waitcnt lgkmcnt(0)
	v_fma_f64 v[102:103], v[104:105], v[114:115], v[102:103]
	s_waitcnt vmcnt(1)
	s_delay_alu instid0(VALU_DEP_1)
	v_fma_f64 v[106:107], v[106:107], v[116:117], v[102:103]
	ds_load_2addr_b64 v[102:105], v130 offset0:93 offset1:94
	ds_load_b64 v[110:111], v130 offset:760
	s_waitcnt lgkmcnt(1)
	v_fma_f64 v[102:103], v[108:109], v[102:103], v[106:107]
	s_waitcnt vmcnt(0)
	s_delay_alu instid0(VALU_DEP_1) | instskip(SKIP_1) | instid1(VALU_DEP_1)
	v_fma_f64 v[102:103], v[2:3], v[104:105], v[102:103]
	s_waitcnt lgkmcnt(0)
	v_fma_f64 v[4:5], v[4:5], v[110:111], v[102:103]
	s_delay_alu instid0(VALU_DEP_1)
	v_add_f64 v[0:1], v[0:1], -v[4:5]
	scratch_store_b64 off, v[0:1], off
	s_cbranch_vccz .LBB111_393
; %bb.298:
	v_dual_mov_b32 v0, s2 :: v_dual_mov_b32 v1, s3
	s_mov_b32 s0, exec_lo
	flat_load_b32 v0, v[0:1] offset:184
	s_waitcnt vmcnt(0) lgkmcnt(0)
	v_cmpx_ne_u32_e32 47, v0
	s_cbranch_execz .LBB111_300
; %bb.299:
	v_lshl_add_u32 v4, v0, 3, 0
	scratch_load_b64 v[0:1], v4, off offset:-8
	s_waitcnt vmcnt(0)
	scratch_store_b64 off, v[0:1], off offset:368
	scratch_store_b64 v4, v[2:3], off offset:-8
.LBB111_300:
	s_or_b32 exec_lo, exec_lo, s0
	v_dual_mov_b32 v0, s2 :: v_dual_mov_b32 v1, s3
	s_mov_b32 s0, exec_lo
	flat_load_b32 v0, v[0:1] offset:180
	s_waitcnt vmcnt(0) lgkmcnt(0)
	v_cmpx_ne_u32_e32 46, v0
	s_cbranch_execz .LBB111_302
; %bb.301:
	v_lshl_add_u32 v4, v0, 3, 0
	scratch_load_b64 v[0:1], v4, off offset:-8
	scratch_load_b64 v[2:3], off, off offset:360
	s_waitcnt vmcnt(1)
	scratch_store_b64 off, v[0:1], off offset:360
	s_waitcnt vmcnt(0)
	scratch_store_b64 v4, v[2:3], off offset:-8
.LBB111_302:
	s_or_b32 exec_lo, exec_lo, s0
	v_dual_mov_b32 v0, s2 :: v_dual_mov_b32 v1, s3
	s_mov_b32 s0, exec_lo
	flat_load_b32 v0, v[0:1] offset:176
	s_waitcnt vmcnt(0) lgkmcnt(0)
	v_cmpx_ne_u32_e32 45, v0
	s_cbranch_execz .LBB111_304
; %bb.303:
	v_lshl_add_u32 v4, v0, 3, 0
	scratch_load_b64 v[0:1], v4, off offset:-8
	scratch_load_b64 v[2:3], off, off offset:352
	s_waitcnt vmcnt(1)
	scratch_store_b64 off, v[0:1], off offset:352
	s_waitcnt vmcnt(0)
	scratch_store_b64 v4, v[2:3], off offset:-8
.LBB111_304:
	;; [unrolled: 16-line block ×45, first 2 shown]
	s_or_b32 exec_lo, exec_lo, s0
	v_dual_mov_b32 v0, s2 :: v_dual_mov_b32 v1, s3
	s_mov_b32 s0, exec_lo
	flat_load_b32 v2, v[0:1]
	scratch_load_b64 v[0:1], off, off
	s_waitcnt vmcnt(1) lgkmcnt(0)
	v_cmpx_ne_u32_e32 1, v2
	s_cbranch_execz .LBB111_392
; %bb.391:
	v_lshl_add_u32 v4, v2, 3, 0
	scratch_load_b64 v[2:3], v4, off offset:-8
	s_waitcnt vmcnt(0)
	scratch_store_b64 off, v[2:3], off
	scratch_store_b64 v4, v[0:1], off offset:-8
	scratch_load_b64 v[0:1], off, off
.LBB111_392:
	s_or_b32 exec_lo, exec_lo, s0
.LBB111_393:
	s_clause 0x9
	scratch_load_b128 v[2:5], off, off offset:8
	scratch_load_b128 v[102:105], off, off offset:24
	;; [unrolled: 1-line block ×10, first 2 shown]
	s_waitcnt vmcnt(10)
	global_store_b64 v[30:31], v[0:1], off
	s_clause 0x2
	scratch_load_b128 v[138:141], off, off offset:168
	scratch_load_b128 v[142:145], off, off offset:216
	;; [unrolled: 1-line block ×3, first 2 shown]
	s_waitcnt vmcnt(12)
	global_store_b64 v[22:23], v[2:3], off
	scratch_load_b128 v[0:3], off, off offset:184
	global_store_b64 v[20:21], v[4:5], off
	s_waitcnt vmcnt(12)
	s_clause 0x1
	global_store_b64 v[24:25], v[102:103], off
	global_store_b64 v[14:15], v[104:105], off
	s_waitcnt vmcnt(11)
	s_clause 0x1
	global_store_b64 v[8:9], v[106:107], off
	;; [unrolled: 4-line block ×5, first 2 shown]
	global_store_b64 v[28:29], v[120:121], off
	s_clause 0x9
	scratch_load_b128 v[20:23], off, off offset:200
	scratch_load_b128 v[102:105], off, off offset:232
	;; [unrolled: 1-line block ×9, first 2 shown]
	scratch_load_b64 v[12:13], off, off offset:376
	s_waitcnt vmcnt(17)
	s_clause 0x1
	global_store_b64 v[18:19], v[122:123], off
	global_store_b64 v[26:27], v[124:125], off
	s_waitcnt vmcnt(16)
	s_clause 0x1
	global_store_b64 v[34:35], v[126:127], off
	global_store_b64 v[38:39], v[128:129], off
	;; [unrolled: 4-line block ×7, first 2 shown]
	global_store_b64 v[62:63], v[142:143], off
	global_store_b64 v[64:65], v[144:145], off
	s_waitcnt vmcnt(8)
	s_clause 0x3
	global_store_b64 v[66:67], v[102:103], off
	global_store_b64 v[68:69], v[104:105], off
	;; [unrolled: 1-line block ×4, first 2 shown]
	s_waitcnt vmcnt(7)
	s_clause 0x1
	global_store_b64 v[74:75], v[14:15], off
	global_store_b64 v[76:77], v[16:17], off
	s_waitcnt vmcnt(6)
	s_clause 0x1
	global_store_b64 v[78:79], v[8:9], off
	global_store_b64 v[80:81], v[10:11], off
	;; [unrolled: 4-line block ×7, first 2 shown]
	s_waitcnt vmcnt(0)
	global_store_b64 v[40:41], v[12:13], off
	s_endpgm
	.section	.rodata,"a",@progbits
	.p2align	6, 0x0
	.amdhsa_kernel _ZN9rocsolver6v33100L18getri_kernel_smallILi48EdPKPdEEvT1_iilPiilS6_bb
		.amdhsa_group_segment_fixed_size 776
		.amdhsa_private_segment_fixed_size 400
		.amdhsa_kernarg_size 60
		.amdhsa_user_sgpr_count 15
		.amdhsa_user_sgpr_dispatch_ptr 0
		.amdhsa_user_sgpr_queue_ptr 0
		.amdhsa_user_sgpr_kernarg_segment_ptr 1
		.amdhsa_user_sgpr_dispatch_id 0
		.amdhsa_user_sgpr_private_segment_size 0
		.amdhsa_wavefront_size32 1
		.amdhsa_uses_dynamic_stack 0
		.amdhsa_enable_private_segment 1
		.amdhsa_system_sgpr_workgroup_id_x 1
		.amdhsa_system_sgpr_workgroup_id_y 0
		.amdhsa_system_sgpr_workgroup_id_z 0
		.amdhsa_system_sgpr_workgroup_info 0
		.amdhsa_system_vgpr_workitem_id 0
		.amdhsa_next_free_vgpr 150
		.amdhsa_next_free_sgpr 17
		.amdhsa_reserve_vcc 1
		.amdhsa_float_round_mode_32 0
		.amdhsa_float_round_mode_16_64 0
		.amdhsa_float_denorm_mode_32 3
		.amdhsa_float_denorm_mode_16_64 3
		.amdhsa_dx10_clamp 1
		.amdhsa_ieee_mode 1
		.amdhsa_fp16_overflow 0
		.amdhsa_workgroup_processor_mode 1
		.amdhsa_memory_ordered 1
		.amdhsa_forward_progress 0
		.amdhsa_shared_vgpr_count 0
		.amdhsa_exception_fp_ieee_invalid_op 0
		.amdhsa_exception_fp_denorm_src 0
		.amdhsa_exception_fp_ieee_div_zero 0
		.amdhsa_exception_fp_ieee_overflow 0
		.amdhsa_exception_fp_ieee_underflow 0
		.amdhsa_exception_fp_ieee_inexact 0
		.amdhsa_exception_int_div_zero 0
	.end_amdhsa_kernel
	.section	.text._ZN9rocsolver6v33100L18getri_kernel_smallILi48EdPKPdEEvT1_iilPiilS6_bb,"axG",@progbits,_ZN9rocsolver6v33100L18getri_kernel_smallILi48EdPKPdEEvT1_iilPiilS6_bb,comdat
.Lfunc_end111:
	.size	_ZN9rocsolver6v33100L18getri_kernel_smallILi48EdPKPdEEvT1_iilPiilS6_bb, .Lfunc_end111-_ZN9rocsolver6v33100L18getri_kernel_smallILi48EdPKPdEEvT1_iilPiilS6_bb
                                        ; -- End function
	.section	.AMDGPU.csdata,"",@progbits
; Kernel info:
; codeLenInByte = 45300
; NumSgprs: 19
; NumVgprs: 150
; ScratchSize: 400
; MemoryBound: 0
; FloatMode: 240
; IeeeMode: 1
; LDSByteSize: 776 bytes/workgroup (compile time only)
; SGPRBlocks: 2
; VGPRBlocks: 18
; NumSGPRsForWavesPerEU: 19
; NumVGPRsForWavesPerEU: 150
; Occupancy: 9
; WaveLimiterHint : 1
; COMPUTE_PGM_RSRC2:SCRATCH_EN: 1
; COMPUTE_PGM_RSRC2:USER_SGPR: 15
; COMPUTE_PGM_RSRC2:TRAP_HANDLER: 0
; COMPUTE_PGM_RSRC2:TGID_X_EN: 1
; COMPUTE_PGM_RSRC2:TGID_Y_EN: 0
; COMPUTE_PGM_RSRC2:TGID_Z_EN: 0
; COMPUTE_PGM_RSRC2:TIDIG_COMP_CNT: 0
	.section	.text._ZN9rocsolver6v33100L18getri_kernel_smallILi49EdPKPdEEvT1_iilPiilS6_bb,"axG",@progbits,_ZN9rocsolver6v33100L18getri_kernel_smallILi49EdPKPdEEvT1_iilPiilS6_bb,comdat
	.globl	_ZN9rocsolver6v33100L18getri_kernel_smallILi49EdPKPdEEvT1_iilPiilS6_bb ; -- Begin function _ZN9rocsolver6v33100L18getri_kernel_smallILi49EdPKPdEEvT1_iilPiilS6_bb
	.p2align	8
	.type	_ZN9rocsolver6v33100L18getri_kernel_smallILi49EdPKPdEEvT1_iilPiilS6_bb,@function
_ZN9rocsolver6v33100L18getri_kernel_smallILi49EdPKPdEEvT1_iilPiilS6_bb: ; @_ZN9rocsolver6v33100L18getri_kernel_smallILi49EdPKPdEEvT1_iilPiilS6_bb
; %bb.0:
	s_mov_b32 s2, exec_lo
	v_cmpx_gt_u32_e32 49, v0
	s_cbranch_execz .LBB112_206
; %bb.1:
	s_clause 0x1
	s_load_b32 s13, s[0:1], 0x38
	s_load_b64 s[2:3], s[0:1], 0x0
	s_mov_b32 s8, s15
	s_load_b128 s[4:7], s[0:1], 0x28
	s_waitcnt lgkmcnt(0)
	s_bitcmp1_b32 s13, 8
	s_cselect_b32 s12, -1, 0
	s_ashr_i32 s9, s15, 31
	s_delay_alu instid0(SALU_CYCLE_1) | instskip(NEXT) | instid1(SALU_CYCLE_1)
	s_lshl_b64 s[10:11], s[8:9], 3
	s_add_u32 s2, s2, s10
	s_addc_u32 s3, s3, s11
	s_load_b64 s[10:11], s[2:3], 0x0
	s_bfe_u32 s2, s13, 0x10008
	s_delay_alu instid0(SALU_CYCLE_1)
	s_cmp_eq_u32 s2, 0
                                        ; implicit-def: $sgpr2_sgpr3
	s_cbranch_scc1 .LBB112_3
; %bb.2:
	s_clause 0x1
	s_load_b32 s2, s[0:1], 0x20
	s_load_b64 s[14:15], s[0:1], 0x18
	s_mul_i32 s3, s8, s5
	s_mul_hi_u32 s5, s8, s4
	s_mul_i32 s16, s9, s4
	s_add_i32 s3, s5, s3
	s_mul_i32 s4, s8, s4
	s_add_i32 s5, s3, s16
	s_delay_alu instid0(SALU_CYCLE_1)
	s_lshl_b64 s[4:5], s[4:5], 2
	s_waitcnt lgkmcnt(0)
	s_ashr_i32 s3, s2, 31
	s_add_u32 s4, s14, s4
	s_addc_u32 s5, s15, s5
	s_lshl_b64 s[2:3], s[2:3], 2
	s_delay_alu instid0(SALU_CYCLE_1)
	s_add_u32 s2, s4, s2
	s_addc_u32 s3, s5, s3
.LBB112_3:
	s_load_b64 s[0:1], s[0:1], 0x8
	v_lshlrev_b32_e32 v111, 3, v0
	s_waitcnt lgkmcnt(0)
	v_add3_u32 v3, s1, s1, v0
	s_ashr_i32 s5, s0, 31
	s_mov_b32 s4, s0
	s_mov_b32 s14, s1
	s_lshl_b64 s[4:5], s[4:5], 3
	v_add_nc_u32_e32 v5, s1, v3
	v_ashrrev_i32_e32 v4, 31, v3
	s_add_u32 s4, s10, s4
	s_addc_u32 s5, s11, s5
	v_add_co_u32 v13, s0, s4, v111
	v_add_nc_u32_e32 v7, s1, v5
	s_ashr_i32 s15, s1, 31
	v_add_co_ci_u32_e64 v14, null, s5, 0, s0
	v_lshlrev_b64 v[3:4], 3, v[3:4]
	s_lshl_b64 s[10:11], s[14:15], 3
	v_add_nc_u32_e32 v9, s1, v7
	v_add_co_u32 v15, vcc_lo, v13, s10
	v_add_co_ci_u32_e32 v16, vcc_lo, s11, v14, vcc_lo
	v_ashrrev_i32_e32 v6, 31, v5
	v_add_co_u32 v17, vcc_lo, s4, v3
	v_add_nc_u32_e32 v3, s1, v9
	v_ashrrev_i32_e32 v8, 31, v7
	s_delay_alu instid0(VALU_DEP_4)
	v_lshlrev_b64 v[5:6], 3, v[5:6]
	v_ashrrev_i32_e32 v10, 31, v9
	v_add_co_ci_u32_e32 v18, vcc_lo, s5, v4, vcc_lo
	v_add_nc_u32_e32 v11, s1, v3
	v_lshlrev_b64 v[7:8], 3, v[7:8]
	v_add_co_u32 v19, vcc_lo, s4, v5
	v_ashrrev_i32_e32 v4, 31, v3
	s_delay_alu instid0(VALU_DEP_4) | instskip(SKIP_3) | instid1(VALU_DEP_4)
	v_add_nc_u32_e32 v27, s1, v11
	v_add_co_ci_u32_e32 v20, vcc_lo, s5, v6, vcc_lo
	v_lshlrev_b64 v[5:6], 3, v[9:10]
	v_ashrrev_i32_e32 v12, 31, v11
	v_add_nc_u32_e32 v33, s1, v27
	v_add_co_u32 v21, vcc_lo, s4, v7
	v_lshlrev_b64 v[25:26], 3, v[3:4]
	v_ashrrev_i32_e32 v28, 31, v27
	v_add_co_ci_u32_e32 v22, vcc_lo, s5, v8, vcc_lo
	v_add_co_u32 v23, vcc_lo, s4, v5
	v_lshlrev_b64 v[29:30], 3, v[11:12]
	v_ashrrev_i32_e32 v34, 31, v33
	v_add_co_ci_u32_e32 v24, vcc_lo, s5, v6, vcc_lo
	v_add_co_u32 v25, vcc_lo, s4, v25
	v_lshlrev_b64 v[31:32], 3, v[27:28]
	v_add_co_ci_u32_e32 v26, vcc_lo, s5, v26, vcc_lo
	v_add_co_u32 v27, vcc_lo, s4, v29
	v_lshlrev_b64 v[34:35], 3, v[33:34]
	v_add_co_ci_u32_e32 v28, vcc_lo, s5, v30, vcc_lo
	v_add_co_u32 v29, vcc_lo, s4, v31
	v_add_co_ci_u32_e32 v30, vcc_lo, s5, v32, vcc_lo
	s_delay_alu instid0(VALU_DEP_4)
	v_add_co_u32 v31, vcc_lo, s4, v34
	s_clause 0x4
	global_load_b64 v[1:2], v111, s[4:5]
	global_load_b64 v[3:4], v[15:16], off
	global_load_b64 v[5:6], v[17:18], off
	;; [unrolled: 1-line block ×4, first 2 shown]
	v_add_co_ci_u32_e32 v32, vcc_lo, s5, v35, vcc_lo
	s_clause 0x4
	global_load_b64 v[11:12], v[23:24], off
	global_load_b64 v[112:113], v[25:26], off
	;; [unrolled: 1-line block ×5, first 2 shown]
	v_add_nc_u32_e32 v33, s1, v33
	s_bitcmp0_b32 s13, 0
	s_delay_alu instid0(VALU_DEP_1) | instskip(SKIP_1) | instid1(VALU_DEP_2)
	v_add_nc_u32_e32 v35, s1, v33
	v_ashrrev_i32_e32 v34, 31, v33
	v_add_nc_u32_e32 v37, s1, v35
	v_ashrrev_i32_e32 v36, 31, v35
	s_delay_alu instid0(VALU_DEP_3) | instskip(NEXT) | instid1(VALU_DEP_3)
	v_lshlrev_b64 v[33:34], 3, v[33:34]
	v_ashrrev_i32_e32 v38, 31, v37
	v_add_nc_u32_e32 v39, s1, v37
	s_delay_alu instid0(VALU_DEP_4) | instskip(NEXT) | instid1(VALU_DEP_4)
	v_lshlrev_b64 v[35:36], 3, v[35:36]
	v_add_co_u32 v53, vcc_lo, s4, v33
	v_add_co_ci_u32_e32 v54, vcc_lo, s5, v34, vcc_lo
	v_lshlrev_b64 v[33:34], 3, v[37:38]
	v_ashrrev_i32_e32 v40, 31, v39
	v_add_nc_u32_e32 v37, s1, v39
	v_add_co_u32 v47, vcc_lo, s4, v35
	v_add_co_ci_u32_e32 v48, vcc_lo, s5, v36, vcc_lo
	s_delay_alu instid0(VALU_DEP_4) | instskip(NEXT) | instid1(VALU_DEP_4)
	v_lshlrev_b64 v[35:36], 3, v[39:40]
	v_add_nc_u32_e32 v39, s1, v37
	v_add_co_u32 v43, vcc_lo, s4, v33
	v_ashrrev_i32_e32 v38, 31, v37
	v_add_co_ci_u32_e32 v44, vcc_lo, s5, v34, vcc_lo
	s_delay_alu instid0(VALU_DEP_4) | instskip(SKIP_3) | instid1(VALU_DEP_4)
	v_ashrrev_i32_e32 v40, 31, v39
	v_add_nc_u32_e32 v45, s1, v39
	v_add_co_u32 v41, vcc_lo, s4, v35
	v_add_co_ci_u32_e32 v42, vcc_lo, s5, v36, vcc_lo
	v_lshlrev_b64 v[35:36], 3, v[39:40]
	s_delay_alu instid0(VALU_DEP_4)
	v_add_nc_u32_e32 v39, s1, v45
	v_lshlrev_b64 v[33:34], 3, v[37:38]
	v_ashrrev_i32_e32 v46, 31, v45
	s_clause 0x2
	global_load_b64 v[120:121], v[53:54], off
	global_load_b64 v[122:123], v[47:48], off
	;; [unrolled: 1-line block ×3, first 2 shown]
	v_add_nc_u32_e32 v49, s1, v39
	v_ashrrev_i32_e32 v40, 31, v39
	v_add_co_u32 v37, vcc_lo, s4, v33
	v_lshlrev_b64 v[45:46], 3, v[45:46]
	v_add_co_ci_u32_e32 v38, vcc_lo, s5, v34, vcc_lo
	v_add_co_u32 v33, vcc_lo, s4, v35
	v_ashrrev_i32_e32 v50, 31, v49
	v_add_nc_u32_e32 v51, s1, v49
	v_add_co_ci_u32_e32 v34, vcc_lo, s5, v36, vcc_lo
	v_add_co_u32 v35, vcc_lo, s4, v45
	v_add_co_ci_u32_e32 v36, vcc_lo, s5, v46, vcc_lo
	v_lshlrev_b64 v[45:46], 3, v[49:50]
	v_add_nc_u32_e32 v49, s1, v51
	v_lshlrev_b64 v[39:40], 3, v[39:40]
	v_ashrrev_i32_e32 v52, 31, v51
	s_clause 0x3
	global_load_b64 v[126:127], v[41:42], off
	global_load_b64 v[128:129], v[37:38], off
	;; [unrolled: 1-line block ×4, first 2 shown]
	v_add_nc_u32_e32 v55, s1, v49
	v_ashrrev_i32_e32 v50, 31, v49
	v_add_co_u32 v39, vcc_lo, s4, v39
	v_lshlrev_b64 v[51:52], 3, v[51:52]
	s_delay_alu instid0(VALU_DEP_4)
	v_add_nc_u32_e32 v59, s1, v55
	v_add_co_ci_u32_e32 v40, vcc_lo, s5, v40, vcc_lo
	v_add_co_u32 v45, vcc_lo, s4, v45
	v_lshlrev_b64 v[57:58], 3, v[49:50]
	v_add_co_ci_u32_e32 v46, vcc_lo, s5, v46, vcc_lo
	v_add_co_u32 v49, vcc_lo, s4, v51
	v_ashrrev_i32_e32 v60, 31, v59
	v_add_nc_u32_e32 v61, s1, v59
	v_add_co_ci_u32_e32 v50, vcc_lo, s5, v52, vcc_lo
	v_ashrrev_i32_e32 v56, 31, v55
	v_add_co_u32 v51, vcc_lo, s4, v57
	v_add_co_ci_u32_e32 v52, vcc_lo, s5, v58, vcc_lo
	v_lshlrev_b64 v[57:58], 3, v[59:60]
	v_add_nc_u32_e32 v59, s1, v61
	v_lshlrev_b64 v[55:56], 3, v[55:56]
	v_ashrrev_i32_e32 v62, 31, v61
	global_load_b64 v[134:135], v[39:40], off
	v_add_nc_u32_e32 v63, s1, v59
	v_ashrrev_i32_e32 v60, 31, v59
	v_add_co_u32 v55, vcc_lo, s4, v55
	v_lshlrev_b64 v[61:62], 3, v[61:62]
	s_delay_alu instid0(VALU_DEP_4)
	v_add_nc_u32_e32 v67, s1, v63
	v_add_co_ci_u32_e32 v56, vcc_lo, s5, v56, vcc_lo
	v_add_co_u32 v57, vcc_lo, s4, v57
	v_lshlrev_b64 v[65:66], 3, v[59:60]
	v_add_co_ci_u32_e32 v58, vcc_lo, s5, v58, vcc_lo
	v_add_co_u32 v59, vcc_lo, s4, v61
	v_ashrrev_i32_e32 v68, 31, v67
	v_add_nc_u32_e32 v69, s1, v67
	v_add_co_ci_u32_e32 v60, vcc_lo, s5, v62, vcc_lo
	v_ashrrev_i32_e32 v64, 31, v63
	v_add_co_u32 v61, vcc_lo, s4, v65
	v_add_co_ci_u32_e32 v62, vcc_lo, s5, v66, vcc_lo
	v_lshlrev_b64 v[65:66], 3, v[67:68]
	v_add_nc_u32_e32 v67, s1, v69
	v_lshlrev_b64 v[63:64], 3, v[63:64]
	v_ashrrev_i32_e32 v70, 31, v69
	s_delay_alu instid0(VALU_DEP_3) | instskip(SKIP_1) | instid1(VALU_DEP_4)
	v_add_nc_u32_e32 v71, s1, v67
	v_ashrrev_i32_e32 v68, 31, v67
	v_add_co_u32 v63, vcc_lo, s4, v63
	s_delay_alu instid0(VALU_DEP_4) | instskip(NEXT) | instid1(VALU_DEP_4)
	v_lshlrev_b64 v[69:70], 3, v[69:70]
	v_add_nc_u32_e32 v75, s1, v71
	v_add_co_ci_u32_e32 v64, vcc_lo, s5, v64, vcc_lo
	v_add_co_u32 v65, vcc_lo, s4, v65
	v_lshlrev_b64 v[73:74], 3, v[67:68]
	v_add_co_ci_u32_e32 v66, vcc_lo, s5, v66, vcc_lo
	v_add_co_u32 v67, vcc_lo, s4, v69
	v_ashrrev_i32_e32 v76, 31, v75
	v_add_nc_u32_e32 v77, s1, v75
	v_add_co_ci_u32_e32 v68, vcc_lo, s5, v70, vcc_lo
	v_ashrrev_i32_e32 v72, 31, v71
	v_add_co_u32 v69, vcc_lo, s4, v73
	v_add_co_ci_u32_e32 v70, vcc_lo, s5, v74, vcc_lo
	v_lshlrev_b64 v[73:74], 3, v[75:76]
	v_add_nc_u32_e32 v75, s1, v77
	v_lshlrev_b64 v[71:72], 3, v[71:72]
	v_ashrrev_i32_e32 v78, 31, v77
	s_delay_alu instid0(VALU_DEP_3) | instskip(SKIP_1) | instid1(VALU_DEP_4)
	v_add_nc_u32_e32 v79, s1, v75
	v_ashrrev_i32_e32 v76, 31, v75
	v_add_co_u32 v71, vcc_lo, s4, v71
	s_delay_alu instid0(VALU_DEP_4) | instskip(NEXT) | instid1(VALU_DEP_4)
	v_lshlrev_b64 v[77:78], 3, v[77:78]
	;; [unrolled: 22-line block ×4, first 2 shown]
	v_add_nc_u32_e32 v99, s1, v95
	v_add_co_ci_u32_e32 v88, vcc_lo, s5, v88, vcc_lo
	v_add_co_u32 v89, vcc_lo, s4, v89
	v_lshlrev_b64 v[97:98], 3, v[91:92]
	v_add_co_ci_u32_e32 v90, vcc_lo, s5, v90, vcc_lo
	v_add_co_u32 v91, vcc_lo, s4, v93
	v_ashrrev_i32_e32 v100, 31, v99
	v_add_nc_u32_e32 v101, s1, v99
	v_add_co_ci_u32_e32 v92, vcc_lo, s5, v94, vcc_lo
	v_add_co_u32 v93, vcc_lo, s4, v97
	v_add_co_ci_u32_e32 v94, vcc_lo, s5, v98, vcc_lo
	v_lshlrev_b64 v[97:98], 3, v[99:100]
	v_add_nc_u32_e32 v99, s1, v101
	v_ashrrev_i32_e32 v96, 31, v95
	v_ashrrev_i32_e32 v102, 31, v101
	s_delay_alu instid0(VALU_DEP_3) | instskip(NEXT) | instid1(VALU_DEP_3)
	v_add_nc_u32_e32 v103, s1, v99
	v_lshlrev_b64 v[95:96], 3, v[95:96]
	v_ashrrev_i32_e32 v100, 31, v99
	s_delay_alu instid0(VALU_DEP_4) | instskip(NEXT) | instid1(VALU_DEP_4)
	v_lshlrev_b64 v[101:102], 3, v[101:102]
	v_add_nc_u32_e32 v107, s1, v103
	v_ashrrev_i32_e32 v104, 31, v103
	v_add_co_u32 v95, vcc_lo, s4, v95
	v_add_co_ci_u32_e32 v96, vcc_lo, s5, v96, vcc_lo
	s_delay_alu instid0(VALU_DEP_4)
	v_add_nc_u32_e32 v109, s1, v107
	v_add_co_u32 v97, vcc_lo, s4, v97
	v_lshlrev_b64 v[105:106], 3, v[99:100]
	v_ashrrev_i32_e32 v108, 31, v107
	v_add_co_ci_u32_e32 v98, vcc_lo, s5, v98, vcc_lo
	v_add_co_u32 v99, vcc_lo, s4, v101
	v_lshlrev_b64 v[103:104], 3, v[103:104]
	v_add_nc_u32_e32 v136, s1, v109
	v_add_co_ci_u32_e32 v100, vcc_lo, s5, v102, vcc_lo
	v_add_co_u32 v101, vcc_lo, s4, v105
	v_lshlrev_b64 v[107:108], 3, v[107:108]
	v_ashrrev_i32_e32 v110, 31, v109
	v_add_co_ci_u32_e32 v102, vcc_lo, s5, v106, vcc_lo
	v_add_co_u32 v105, vcc_lo, s4, v103
	v_ashrrev_i32_e32 v137, 31, v136
	v_add_co_ci_u32_e32 v106, vcc_lo, s5, v104, vcc_lo
	v_lshlrev_b64 v[103:104], 3, v[109:110]
	v_add_co_u32 v109, vcc_lo, s4, v107
	v_add_co_ci_u32_e32 v110, vcc_lo, s5, v108, vcc_lo
	v_lshlrev_b64 v[107:108], 3, v[136:137]
	s_delay_alu instid0(VALU_DEP_4) | instskip(SKIP_2) | instid1(VALU_DEP_3)
	v_add_co_u32 v103, vcc_lo, s4, v103
	v_add_co_ci_u32_e32 v104, vcc_lo, s5, v104, vcc_lo
	s_mov_b32 s1, -1
	v_add_co_u32 v107, vcc_lo, s4, v107
	s_delay_alu instid0(VALU_DEP_4)
	v_add_co_ci_u32_e32 v108, vcc_lo, s5, v108, vcc_lo
	s_waitcnt vmcnt(16)
	scratch_store_b128 off, v[1:4], off
	s_clause 0x3
	global_load_b64 v[1:2], v[45:46], off
	global_load_b64 v[3:4], v[49:50], off
	;; [unrolled: 1-line block ×4, first 2 shown]
	s_waitcnt vmcnt(18)
	scratch_store_b128 off, v[5:8], off offset:16
	s_waitcnt vmcnt(16)
	scratch_store_b128 off, v[9:12], off offset:32
	s_clause 0x3
	global_load_b64 v[5:6], v[57:58], off
	global_load_b64 v[7:8], v[59:60], off
	;; [unrolled: 1-line block ×4, first 2 shown]
	s_waitcnt vmcnt(18)
	scratch_store_b128 off, v[112:115], off offset:48
	s_clause 0x1
	global_load_b64 v[112:113], v[65:66], off
	global_load_b64 v[114:115], v[67:68], off
	s_waitcnt vmcnt(18)
	scratch_store_b128 off, v[116:119], off offset:64
	s_clause 0x1
	global_load_b64 v[116:117], v[69:70], off
	global_load_b64 v[118:119], v[71:72], off
	s_waitcnt vmcnt(18)
	scratch_store_b128 off, v[120:123], off offset:80
	s_waitcnt vmcnt(16)
	scratch_store_b128 off, v[124:127], off offset:96
	s_clause 0x2
	global_load_b64 v[120:121], v[73:74], off
	global_load_b64 v[122:123], v[75:76], off
	global_load_b64 v[124:125], v[77:78], off
	s_waitcnt vmcnt(17)
	scratch_store_b128 off, v[128:131], off offset:112
	s_waitcnt vmcnt(15)
	scratch_store_b128 off, v[132:135], off offset:128
	s_clause 0x3
	global_load_b64 v[126:127], v[79:80], off
	global_load_b64 v[128:129], v[81:82], off
	global_load_b64 v[130:131], v[83:84], off
	global_load_b64 v[132:133], v[85:86], off
	s_waitcnt vmcnt(17)
	scratch_store_b128 off, v[1:4], off offset:144
	s_waitcnt vmcnt(15)
	scratch_store_b128 off, v[136:139], off offset:160
	s_clause 0x3
	global_load_b64 v[134:135], v[87:88], off
	;; [unrolled: 9-line block ×3, first 2 shown]
	global_load_b64 v[5:6], v[97:98], off
	global_load_b64 v[7:8], v[99:100], off
	;; [unrolled: 1-line block ×3, first 2 shown]
	s_waitcnt vmcnt(17)
	scratch_store_b128 off, v[112:115], off offset:208
	s_clause 0x2
	global_load_b64 v[11:12], v[105:106], off
	global_load_b64 v[112:113], v[109:110], off
	;; [unrolled: 1-line block ×3, first 2 shown]
	s_waitcnt vmcnt(18)
	scratch_store_b128 off, v[116:119], off offset:224
	global_load_b64 v[116:117], v[107:108], off
	s_waitcnt vmcnt(17)
	scratch_store_b128 off, v[120:123], off offset:240
	s_waitcnt vmcnt(15)
	scratch_store_b128 off, v[124:127], off offset:256
	;; [unrolled: 2-line block ×9, first 2 shown]
	s_waitcnt vmcnt(0)
	scratch_store_b64 off, v[116:117], off offset:384
	s_cbranch_scc1 .LBB112_204
; %bb.4:
	v_cmp_eq_u32_e64 s0, 0, v0
	s_delay_alu instid0(VALU_DEP_1)
	s_and_saveexec_b32 s1, s0
	s_cbranch_execz .LBB112_6
; %bb.5:
	v_mov_b32_e32 v1, 0
	ds_store_b32 v1, v1 offset:392
.LBB112_6:
	s_or_b32 exec_lo, exec_lo, s1
	s_waitcnt lgkmcnt(0)
	s_waitcnt_vscnt null, 0x0
	s_barrier
	buffer_gl0_inv
	scratch_load_b64 v[1:2], v111, off
	s_mov_b32 s4, exec_lo
	s_waitcnt vmcnt(0)
	v_cmpx_eq_f64_e32 0, v[1:2]
	s_cbranch_execz .LBB112_10
; %bb.7:
	v_mov_b32_e32 v1, 0
	s_mov_b32 s5, 0
	ds_load_b32 v2, v1 offset:392
	s_waitcnt lgkmcnt(0)
	v_readfirstlane_b32 s1, v2
	v_add_nc_u32_e32 v2, 1, v0
	s_delay_alu instid0(VALU_DEP_2) | instskip(NEXT) | instid1(VALU_DEP_1)
	s_cmp_eq_u32 s1, 0
	v_cmp_gt_i32_e32 vcc_lo, s1, v2
	s_cselect_b32 s10, -1, 0
	s_delay_alu instid0(SALU_CYCLE_1) | instskip(NEXT) | instid1(SALU_CYCLE_1)
	s_or_b32 s10, s10, vcc_lo
	s_and_b32 exec_lo, exec_lo, s10
	s_cbranch_execz .LBB112_10
; %bb.8:
	v_mov_b32_e32 v3, s1
.LBB112_9:                              ; =>This Inner Loop Header: Depth=1
	ds_cmpstore_rtn_b32 v3, v1, v2, v3 offset:392
	s_waitcnt lgkmcnt(0)
	v_cmp_ne_u32_e32 vcc_lo, 0, v3
	v_cmp_le_i32_e64 s1, v3, v2
	s_delay_alu instid0(VALU_DEP_1) | instskip(NEXT) | instid1(SALU_CYCLE_1)
	s_and_b32 s1, vcc_lo, s1
	s_and_b32 s1, exec_lo, s1
	s_delay_alu instid0(SALU_CYCLE_1) | instskip(NEXT) | instid1(SALU_CYCLE_1)
	s_or_b32 s5, s1, s5
	s_and_not1_b32 exec_lo, exec_lo, s5
	s_cbranch_execnz .LBB112_9
.LBB112_10:
	s_or_b32 exec_lo, exec_lo, s4
	v_mov_b32_e32 v1, 0
	s_barrier
	buffer_gl0_inv
	ds_load_b32 v2, v1 offset:392
	s_and_saveexec_b32 s1, s0
	s_cbranch_execz .LBB112_12
; %bb.11:
	s_lshl_b64 s[4:5], s[8:9], 2
	s_delay_alu instid0(SALU_CYCLE_1)
	s_add_u32 s4, s6, s4
	s_addc_u32 s5, s7, s5
	s_waitcnt lgkmcnt(0)
	global_store_b32 v1, v2, s[4:5]
.LBB112_12:
	s_or_b32 exec_lo, exec_lo, s1
	s_waitcnt lgkmcnt(0)
	v_cmp_ne_u32_e32 vcc_lo, 0, v2
	s_mov_b32 s1, 0
	s_cbranch_vccnz .LBB112_204
; %bb.13:
	v_add_nc_u32_e32 v3, 0, v111
	scratch_load_b64 v[1:2], v3, off
	s_waitcnt vmcnt(0)
	v_div_scale_f64 v[4:5], null, v[1:2], v[1:2], 1.0
	v_div_scale_f64 v[10:11], vcc_lo, 1.0, v[1:2], 1.0
	s_delay_alu instid0(VALU_DEP_2) | instskip(SKIP_2) | instid1(VALU_DEP_1)
	v_rcp_f64_e32 v[6:7], v[4:5]
	s_waitcnt_depctr 0xfff
	v_fma_f64 v[8:9], -v[4:5], v[6:7], 1.0
	v_fma_f64 v[6:7], v[6:7], v[8:9], v[6:7]
	s_delay_alu instid0(VALU_DEP_1) | instskip(NEXT) | instid1(VALU_DEP_1)
	v_fma_f64 v[8:9], -v[4:5], v[6:7], 1.0
	v_fma_f64 v[6:7], v[6:7], v[8:9], v[6:7]
	s_delay_alu instid0(VALU_DEP_1) | instskip(NEXT) | instid1(VALU_DEP_1)
	v_mul_f64 v[8:9], v[10:11], v[6:7]
	v_fma_f64 v[4:5], -v[4:5], v[8:9], v[10:11]
	s_delay_alu instid0(VALU_DEP_1) | instskip(NEXT) | instid1(VALU_DEP_1)
	v_div_fmas_f64 v[4:5], v[4:5], v[6:7], v[8:9]
	v_div_fixup_f64 v[1:2], v[4:5], v[1:2], 1.0
	v_add_nc_u32_e32 v4, 0x190, v111
	scratch_store_b64 v3, v[1:2], off
	scratch_load_b64 v[5:6], off, off offset:8
	v_xor_b32_e32 v2, 0x80000000, v2
	s_waitcnt vmcnt(0)
	ds_store_2addr_b64 v111, v[1:2], v[5:6] offset1:50
	s_waitcnt lgkmcnt(0)
	s_waitcnt_vscnt null, 0x0
	s_barrier
	buffer_gl0_inv
	s_and_saveexec_b32 s1, s0
	s_cbranch_execz .LBB112_15
; %bb.14:
	scratch_load_b64 v[1:2], v3, off
	ds_load_b64 v[5:6], v4
	s_waitcnt vmcnt(0) lgkmcnt(0)
	v_fma_f64 v[1:2], v[1:2], v[5:6], 0
	v_mov_b32_e32 v5, 0
	ds_load_b64 v[5:6], v5 offset:8
	s_waitcnt lgkmcnt(0)
	v_mul_f64 v[1:2], v[1:2], v[5:6]
	scratch_store_b64 off, v[1:2], off offset:8
.LBB112_15:
	s_or_b32 exec_lo, exec_lo, s1
	s_waitcnt_vscnt null, 0x0
	s_barrier
	buffer_gl0_inv
	scratch_load_b64 v[1:2], off, off offset:16
	s_mov_b32 s1, exec_lo
	s_waitcnt vmcnt(0)
	ds_store_b64 v4, v[1:2]
	s_waitcnt lgkmcnt(0)
	s_barrier
	buffer_gl0_inv
	v_cmpx_gt_u32_e32 2, v0
	s_cbranch_execz .LBB112_19
; %bb.16:
	scratch_load_b64 v[1:2], v3, off
	ds_load_b64 v[5:6], v4
	s_waitcnt vmcnt(0) lgkmcnt(0)
	v_fma_f64 v[1:2], v[1:2], v[5:6], 0
	s_and_saveexec_b32 s4, s0
	s_cbranch_execz .LBB112_18
; %bb.17:
	scratch_load_b64 v[5:6], off, off offset:8
	v_mov_b32_e32 v7, 0
	ds_load_b64 v[7:8], v7 offset:408
	s_waitcnt vmcnt(0) lgkmcnt(0)
	v_fma_f64 v[1:2], v[5:6], v[7:8], v[1:2]
.LBB112_18:
	s_or_b32 exec_lo, exec_lo, s4
	v_mov_b32_e32 v5, 0
	ds_load_b64 v[5:6], v5 offset:16
	s_waitcnt lgkmcnt(0)
	v_mul_f64 v[1:2], v[1:2], v[5:6]
	scratch_store_b64 off, v[1:2], off offset:16
.LBB112_19:
	s_or_b32 exec_lo, exec_lo, s1
	s_waitcnt_vscnt null, 0x0
	s_barrier
	buffer_gl0_inv
	scratch_load_b64 v[1:2], off, off offset:24
	v_add_nc_u32_e32 v5, -1, v0
	s_mov_b32 s0, exec_lo
	s_waitcnt vmcnt(0)
	ds_store_b64 v4, v[1:2]
	s_waitcnt lgkmcnt(0)
	s_barrier
	buffer_gl0_inv
	v_cmpx_gt_u32_e32 3, v0
	s_cbranch_execz .LBB112_23
; %bb.20:
	v_dual_mov_b32 v1, 0 :: v_dual_add_nc_u32 v6, -1, v0
	v_dual_mov_b32 v2, 0 :: v_dual_add_nc_u32 v7, 0x190, v111
	v_add_nc_u32_e32 v8, 0, v111
	s_mov_b32 s1, 0
.LBB112_21:                             ; =>This Inner Loop Header: Depth=1
	scratch_load_b64 v[9:10], v8, off
	ds_load_b64 v[11:12], v7
	v_add_nc_u32_e32 v6, 1, v6
	v_add_nc_u32_e32 v7, 8, v7
	v_add_nc_u32_e32 v8, 8, v8
	s_delay_alu instid0(VALU_DEP_3)
	v_cmp_lt_u32_e32 vcc_lo, 1, v6
	s_or_b32 s1, vcc_lo, s1
	s_waitcnt vmcnt(0) lgkmcnt(0)
	v_fma_f64 v[1:2], v[9:10], v[11:12], v[1:2]
	s_and_not1_b32 exec_lo, exec_lo, s1
	s_cbranch_execnz .LBB112_21
; %bb.22:
	s_or_b32 exec_lo, exec_lo, s1
	v_mov_b32_e32 v6, 0
	ds_load_b64 v[6:7], v6 offset:24
	s_waitcnt lgkmcnt(0)
	v_mul_f64 v[1:2], v[1:2], v[6:7]
	scratch_store_b64 off, v[1:2], off offset:24
.LBB112_23:
	s_or_b32 exec_lo, exec_lo, s0
	s_waitcnt_vscnt null, 0x0
	s_barrier
	buffer_gl0_inv
	scratch_load_b64 v[1:2], off, off offset:32
	s_mov_b32 s0, exec_lo
	s_waitcnt vmcnt(0)
	ds_store_b64 v4, v[1:2]
	s_waitcnt lgkmcnt(0)
	s_barrier
	buffer_gl0_inv
	v_cmpx_gt_u32_e32 4, v0
	s_cbranch_execz .LBB112_27
; %bb.24:
	v_dual_mov_b32 v1, 0 :: v_dual_add_nc_u32 v6, -1, v0
	v_dual_mov_b32 v2, 0 :: v_dual_add_nc_u32 v7, 0x190, v111
	v_add_nc_u32_e32 v8, 0, v111
	s_mov_b32 s1, 0
.LBB112_25:                             ; =>This Inner Loop Header: Depth=1
	scratch_load_b64 v[9:10], v8, off
	ds_load_b64 v[11:12], v7
	v_add_nc_u32_e32 v6, 1, v6
	v_add_nc_u32_e32 v7, 8, v7
	v_add_nc_u32_e32 v8, 8, v8
	s_delay_alu instid0(VALU_DEP_3)
	v_cmp_lt_u32_e32 vcc_lo, 2, v6
	s_or_b32 s1, vcc_lo, s1
	s_waitcnt vmcnt(0) lgkmcnt(0)
	v_fma_f64 v[1:2], v[9:10], v[11:12], v[1:2]
	s_and_not1_b32 exec_lo, exec_lo, s1
	s_cbranch_execnz .LBB112_25
; %bb.26:
	s_or_b32 exec_lo, exec_lo, s1
	v_mov_b32_e32 v6, 0
	ds_load_b64 v[6:7], v6 offset:32
	s_waitcnt lgkmcnt(0)
	v_mul_f64 v[1:2], v[1:2], v[6:7]
	scratch_store_b64 off, v[1:2], off offset:32
.LBB112_27:
	s_or_b32 exec_lo, exec_lo, s0
	s_waitcnt_vscnt null, 0x0
	s_barrier
	buffer_gl0_inv
	scratch_load_b64 v[1:2], off, off offset:40
	;; [unrolled: 39-line block ×20, first 2 shown]
	s_mov_b32 s0, exec_lo
	s_waitcnt vmcnt(0)
	ds_store_b64 v4, v[1:2]
	s_waitcnt lgkmcnt(0)
	s_barrier
	buffer_gl0_inv
	v_cmpx_gt_u32_e32 23, v0
	s_cbranch_execz .LBB112_103
; %bb.100:
	v_dual_mov_b32 v1, 0 :: v_dual_add_nc_u32 v6, -1, v0
	v_dual_mov_b32 v2, 0 :: v_dual_add_nc_u32 v7, 0x190, v111
	v_add_nc_u32_e32 v8, 0, v111
	s_mov_b32 s1, 0
.LBB112_101:                            ; =>This Inner Loop Header: Depth=1
	scratch_load_b64 v[9:10], v8, off
	ds_load_b64 v[11:12], v7
	v_add_nc_u32_e32 v6, 1, v6
	v_add_nc_u32_e32 v7, 8, v7
	v_add_nc_u32_e32 v8, 8, v8
	s_delay_alu instid0(VALU_DEP_3)
	v_cmp_lt_u32_e32 vcc_lo, 21, v6
	s_or_b32 s1, vcc_lo, s1
	s_waitcnt vmcnt(0) lgkmcnt(0)
	v_fma_f64 v[1:2], v[9:10], v[11:12], v[1:2]
	s_and_not1_b32 exec_lo, exec_lo, s1
	s_cbranch_execnz .LBB112_101
; %bb.102:
	s_or_b32 exec_lo, exec_lo, s1
	v_mov_b32_e32 v6, 0
	ds_load_b64 v[6:7], v6 offset:184
	s_waitcnt lgkmcnt(0)
	v_mul_f64 v[1:2], v[1:2], v[6:7]
	scratch_store_b64 off, v[1:2], off offset:184
.LBB112_103:
	s_or_b32 exec_lo, exec_lo, s0
	s_waitcnt_vscnt null, 0x0
	s_barrier
	buffer_gl0_inv
	scratch_load_b64 v[1:2], off, off offset:192
	s_mov_b32 s0, exec_lo
	s_waitcnt vmcnt(0)
	ds_store_b64 v4, v[1:2]
	s_waitcnt lgkmcnt(0)
	s_barrier
	buffer_gl0_inv
	v_cmpx_gt_u32_e32 24, v0
	s_cbranch_execz .LBB112_107
; %bb.104:
	v_dual_mov_b32 v1, 0 :: v_dual_add_nc_u32 v6, -1, v0
	v_dual_mov_b32 v2, 0 :: v_dual_add_nc_u32 v7, 0x190, v111
	v_add_nc_u32_e32 v8, 0, v111
	s_mov_b32 s1, 0
.LBB112_105:                            ; =>This Inner Loop Header: Depth=1
	scratch_load_b64 v[9:10], v8, off
	ds_load_b64 v[11:12], v7
	v_add_nc_u32_e32 v6, 1, v6
	v_add_nc_u32_e32 v7, 8, v7
	v_add_nc_u32_e32 v8, 8, v8
	s_delay_alu instid0(VALU_DEP_3)
	v_cmp_lt_u32_e32 vcc_lo, 22, v6
	s_or_b32 s1, vcc_lo, s1
	s_waitcnt vmcnt(0) lgkmcnt(0)
	v_fma_f64 v[1:2], v[9:10], v[11:12], v[1:2]
	s_and_not1_b32 exec_lo, exec_lo, s1
	s_cbranch_execnz .LBB112_105
; %bb.106:
	s_or_b32 exec_lo, exec_lo, s1
	v_mov_b32_e32 v6, 0
	ds_load_b64 v[6:7], v6 offset:192
	s_waitcnt lgkmcnt(0)
	v_mul_f64 v[1:2], v[1:2], v[6:7]
	scratch_store_b64 off, v[1:2], off offset:192
.LBB112_107:
	s_or_b32 exec_lo, exec_lo, s0
	s_waitcnt_vscnt null, 0x0
	s_barrier
	buffer_gl0_inv
	scratch_load_b64 v[1:2], off, off offset:200
	;; [unrolled: 39-line block ×25, first 2 shown]
	s_mov_b32 s0, exec_lo
	s_waitcnt vmcnt(0)
	ds_store_b64 v4, v[1:2]
	s_waitcnt lgkmcnt(0)
	s_barrier
	buffer_gl0_inv
	v_cmpx_ne_u32_e32 48, v0
	s_cbranch_execz .LBB112_203
; %bb.200:
	v_mov_b32_e32 v1, 0
	v_mov_b32_e32 v2, 0
	s_mov_b32 s1, 0
.LBB112_201:                            ; =>This Inner Loop Header: Depth=1
	scratch_load_b64 v[6:7], v3, off
	ds_load_b64 v[8:9], v4
	v_add_nc_u32_e32 v5, 1, v5
	v_add_nc_u32_e32 v4, 8, v4
	v_add_nc_u32_e32 v3, 8, v3
	s_delay_alu instid0(VALU_DEP_3)
	v_cmp_lt_u32_e32 vcc_lo, 46, v5
	s_or_b32 s1, vcc_lo, s1
	s_waitcnt vmcnt(0) lgkmcnt(0)
	v_fma_f64 v[1:2], v[6:7], v[8:9], v[1:2]
	s_and_not1_b32 exec_lo, exec_lo, s1
	s_cbranch_execnz .LBB112_201
; %bb.202:
	s_or_b32 exec_lo, exec_lo, s1
	v_mov_b32_e32 v3, 0
	ds_load_b64 v[3:4], v3 offset:384
	s_waitcnt lgkmcnt(0)
	v_mul_f64 v[1:2], v[1:2], v[3:4]
	scratch_store_b64 off, v[1:2], off offset:384
.LBB112_203:
	s_or_b32 exec_lo, exec_lo, s0
	s_mov_b32 s1, -1
	s_waitcnt_vscnt null, 0x0
	s_barrier
	buffer_gl0_inv
.LBB112_204:
	s_and_b32 vcc_lo, exec_lo, s1
	s_cbranch_vccz .LBB112_206
; %bb.205:
	s_lshl_b64 s[0:1], s[8:9], 2
	v_mov_b32_e32 v1, 0
	s_add_u32 s0, s6, s0
	s_addc_u32 s1, s7, s1
	global_load_b32 v1, v1, s[0:1]
	s_waitcnt vmcnt(0)
	v_cmp_ne_u32_e32 vcc_lo, 0, v1
	s_cbranch_vccz .LBB112_207
.LBB112_206:
	s_endpgm
.LBB112_207:
	v_lshl_add_u32 v8, v0, 3, 0x190
	s_mov_b32 s0, exec_lo
	v_cmpx_eq_u32_e32 48, v0
	s_cbranch_execz .LBB112_209
; %bb.208:
	scratch_load_b64 v[1:2], off, off offset:376
	v_mov_b32_e32 v3, 0
	s_delay_alu instid0(VALU_DEP_1)
	v_mov_b32_e32 v4, v3
	scratch_store_b64 off, v[3:4], off offset:376
	s_waitcnt vmcnt(0)
	ds_store_b64 v8, v[1:2]
.LBB112_209:
	s_or_b32 exec_lo, exec_lo, s0
	s_waitcnt lgkmcnt(0)
	s_waitcnt_vscnt null, 0x0
	s_barrier
	buffer_gl0_inv
	scratch_load_b128 v[2:5], off, off offset:376
	v_mov_b32_e32 v1, 0
	s_mov_b32 s0, exec_lo
	ds_load_b64 v[6:7], v1 offset:784
	s_waitcnt vmcnt(0) lgkmcnt(0)
	v_fma_f64 v[4:5], v[4:5], v[6:7], 0
	s_delay_alu instid0(VALU_DEP_1)
	v_add_f64 v[2:3], v[2:3], -v[4:5]
	scratch_store_b64 off, v[2:3], off offset:376
	v_cmpx_lt_u32_e32 46, v0
	s_cbranch_execz .LBB112_211
; %bb.210:
	scratch_load_b64 v[3:4], off, off offset:368
	v_mov_b32_e32 v2, v1
	scratch_store_b64 off, v[1:2], off offset:368
	s_waitcnt vmcnt(0)
	ds_store_b64 v8, v[3:4]
.LBB112_211:
	s_or_b32 exec_lo, exec_lo, s0
	s_waitcnt lgkmcnt(0)
	s_waitcnt_vscnt null, 0x0
	s_barrier
	buffer_gl0_inv
	s_clause 0x1
	scratch_load_b128 v[2:5], off, off offset:368
	scratch_load_b64 v[6:7], off, off offset:384
	ds_load_2addr_b64 v[9:12], v1 offset0:97 offset1:98
	s_mov_b32 s0, exec_lo
	s_waitcnt vmcnt(1) lgkmcnt(0)
	v_fma_f64 v[4:5], v[4:5], v[9:10], 0
	s_waitcnt vmcnt(0)
	s_delay_alu instid0(VALU_DEP_1) | instskip(NEXT) | instid1(VALU_DEP_1)
	v_fma_f64 v[4:5], v[6:7], v[11:12], v[4:5]
	v_add_f64 v[1:2], v[2:3], -v[4:5]
	scratch_store_b64 off, v[1:2], off offset:368
	v_cmpx_lt_u32_e32 45, v0
	s_cbranch_execz .LBB112_213
; %bb.212:
	scratch_load_b64 v[1:2], off, off offset:360
	v_mov_b32_e32 v3, 0
	s_delay_alu instid0(VALU_DEP_1)
	v_mov_b32_e32 v4, v3
	scratch_store_b64 off, v[3:4], off offset:360
	s_waitcnt vmcnt(0)
	ds_store_b64 v8, v[1:2]
.LBB112_213:
	s_or_b32 exec_lo, exec_lo, s0
	s_waitcnt lgkmcnt(0)
	s_waitcnt_vscnt null, 0x0
	s_barrier
	buffer_gl0_inv
	s_clause 0x1
	scratch_load_b128 v[2:5], off, off offset:360
	scratch_load_b128 v[9:12], off, off offset:376
	v_mov_b32_e32 v1, 0
	ds_load_b128 v[111:114], v1 offset:768
	ds_load_b64 v[6:7], v1 offset:784
	s_mov_b32 s0, exec_lo
	s_waitcnt vmcnt(1) lgkmcnt(1)
	v_fma_f64 v[4:5], v[4:5], v[111:112], 0
	s_waitcnt vmcnt(0)
	s_delay_alu instid0(VALU_DEP_1) | instskip(SKIP_1) | instid1(VALU_DEP_1)
	v_fma_f64 v[4:5], v[9:10], v[113:114], v[4:5]
	s_waitcnt lgkmcnt(0)
	v_fma_f64 v[4:5], v[11:12], v[6:7], v[4:5]
	s_delay_alu instid0(VALU_DEP_1)
	v_add_f64 v[2:3], v[2:3], -v[4:5]
	scratch_store_b64 off, v[2:3], off offset:360
	v_cmpx_lt_u32_e32 44, v0
	s_cbranch_execz .LBB112_215
; %bb.214:
	scratch_load_b64 v[3:4], off, off offset:352
	v_mov_b32_e32 v2, v1
	scratch_store_b64 off, v[1:2], off offset:352
	s_waitcnt vmcnt(0)
	ds_store_b64 v8, v[3:4]
.LBB112_215:
	s_or_b32 exec_lo, exec_lo, s0
	s_waitcnt lgkmcnt(0)
	s_waitcnt_vscnt null, 0x0
	s_barrier
	buffer_gl0_inv
	s_clause 0x2
	scratch_load_b128 v[2:5], off, off offset:352
	scratch_load_b128 v[9:12], off, off offset:368
	scratch_load_b64 v[6:7], off, off offset:384
	ds_load_2addr_b64 v[111:114], v1 offset0:95 offset1:96
	ds_load_2addr_b64 v[115:118], v1 offset0:97 offset1:98
	s_mov_b32 s0, exec_lo
	s_waitcnt vmcnt(2) lgkmcnt(1)
	v_fma_f64 v[4:5], v[4:5], v[111:112], 0
	s_waitcnt vmcnt(1)
	s_delay_alu instid0(VALU_DEP_1) | instskip(SKIP_1) | instid1(VALU_DEP_1)
	v_fma_f64 v[4:5], v[9:10], v[113:114], v[4:5]
	s_waitcnt lgkmcnt(0)
	v_fma_f64 v[4:5], v[11:12], v[115:116], v[4:5]
	s_waitcnt vmcnt(0)
	s_delay_alu instid0(VALU_DEP_1) | instskip(NEXT) | instid1(VALU_DEP_1)
	v_fma_f64 v[4:5], v[6:7], v[117:118], v[4:5]
	v_add_f64 v[1:2], v[2:3], -v[4:5]
	scratch_store_b64 off, v[1:2], off offset:352
	v_cmpx_lt_u32_e32 43, v0
	s_cbranch_execz .LBB112_217
; %bb.216:
	scratch_load_b64 v[1:2], off, off offset:344
	v_mov_b32_e32 v3, 0
	s_delay_alu instid0(VALU_DEP_1)
	v_mov_b32_e32 v4, v3
	scratch_store_b64 off, v[3:4], off offset:344
	s_waitcnt vmcnt(0)
	ds_store_b64 v8, v[1:2]
.LBB112_217:
	s_or_b32 exec_lo, exec_lo, s0
	s_waitcnt lgkmcnt(0)
	s_waitcnt_vscnt null, 0x0
	s_barrier
	buffer_gl0_inv
	s_clause 0x2
	scratch_load_b128 v[2:5], off, off offset:344
	scratch_load_b128 v[9:12], off, off offset:360
	;; [unrolled: 1-line block ×3, first 2 shown]
	v_mov_b32_e32 v1, 0
	s_mov_b32 s0, exec_lo
	ds_load_b128 v[115:118], v1 offset:752
	s_waitcnt vmcnt(2) lgkmcnt(0)
	v_fma_f64 v[4:5], v[4:5], v[115:116], 0
	s_waitcnt vmcnt(1)
	s_delay_alu instid0(VALU_DEP_1) | instskip(SKIP_4) | instid1(VALU_DEP_1)
	v_fma_f64 v[9:10], v[9:10], v[117:118], v[4:5]
	ds_load_b128 v[4:7], v1 offset:768
	s_waitcnt lgkmcnt(0)
	v_fma_f64 v[4:5], v[11:12], v[4:5], v[9:10]
	s_waitcnt vmcnt(0)
	v_fma_f64 v[4:5], v[111:112], v[6:7], v[4:5]
	ds_load_b64 v[6:7], v1 offset:784
	s_waitcnt lgkmcnt(0)
	v_fma_f64 v[4:5], v[113:114], v[6:7], v[4:5]
	s_delay_alu instid0(VALU_DEP_1)
	v_add_f64 v[2:3], v[2:3], -v[4:5]
	scratch_store_b64 off, v[2:3], off offset:344
	v_cmpx_lt_u32_e32 42, v0
	s_cbranch_execz .LBB112_219
; %bb.218:
	scratch_load_b64 v[3:4], off, off offset:336
	v_mov_b32_e32 v2, v1
	scratch_store_b64 off, v[1:2], off offset:336
	s_waitcnt vmcnt(0)
	ds_store_b64 v8, v[3:4]
.LBB112_219:
	s_or_b32 exec_lo, exec_lo, s0
	s_waitcnt lgkmcnt(0)
	s_waitcnt_vscnt null, 0x0
	s_barrier
	buffer_gl0_inv
	s_clause 0x3
	scratch_load_b128 v[2:5], off, off offset:336
	scratch_load_b128 v[9:12], off, off offset:352
	;; [unrolled: 1-line block ×3, first 2 shown]
	scratch_load_b64 v[119:120], off, off offset:384
	ds_load_2addr_b64 v[115:118], v1 offset0:93 offset1:94
	s_mov_b32 s0, exec_lo
	s_waitcnt vmcnt(3) lgkmcnt(0)
	v_fma_f64 v[4:5], v[4:5], v[115:116], 0
	s_waitcnt vmcnt(2)
	s_delay_alu instid0(VALU_DEP_1) | instskip(SKIP_4) | instid1(VALU_DEP_1)
	v_fma_f64 v[9:10], v[9:10], v[117:118], v[4:5]
	ds_load_2addr_b64 v[4:7], v1 offset0:95 offset1:96
	s_waitcnt lgkmcnt(0)
	v_fma_f64 v[4:5], v[11:12], v[4:5], v[9:10]
	s_waitcnt vmcnt(1)
	v_fma_f64 v[9:10], v[111:112], v[6:7], v[4:5]
	ds_load_2addr_b64 v[4:7], v1 offset0:97 offset1:98
	s_waitcnt lgkmcnt(0)
	v_fma_f64 v[4:5], v[113:114], v[4:5], v[9:10]
	s_waitcnt vmcnt(0)
	s_delay_alu instid0(VALU_DEP_1) | instskip(NEXT) | instid1(VALU_DEP_1)
	v_fma_f64 v[4:5], v[119:120], v[6:7], v[4:5]
	v_add_f64 v[1:2], v[2:3], -v[4:5]
	scratch_store_b64 off, v[1:2], off offset:336
	v_cmpx_lt_u32_e32 41, v0
	s_cbranch_execz .LBB112_221
; %bb.220:
	scratch_load_b64 v[1:2], off, off offset:328
	v_mov_b32_e32 v3, 0
	s_delay_alu instid0(VALU_DEP_1)
	v_mov_b32_e32 v4, v3
	scratch_store_b64 off, v[3:4], off offset:328
	s_waitcnt vmcnt(0)
	ds_store_b64 v8, v[1:2]
.LBB112_221:
	s_or_b32 exec_lo, exec_lo, s0
	s_waitcnt lgkmcnt(0)
	s_waitcnt_vscnt null, 0x0
	s_barrier
	buffer_gl0_inv
	s_clause 0x3
	scratch_load_b128 v[2:5], off, off offset:328
	scratch_load_b128 v[9:12], off, off offset:344
	;; [unrolled: 1-line block ×4, first 2 shown]
	v_mov_b32_e32 v1, 0
	ds_load_b128 v[119:122], v1 offset:736
	ds_load_b128 v[123:126], v1 offset:752
	s_mov_b32 s0, exec_lo
	s_waitcnt vmcnt(3) lgkmcnt(1)
	v_fma_f64 v[4:5], v[4:5], v[119:120], 0
	s_waitcnt vmcnt(2)
	s_delay_alu instid0(VALU_DEP_1) | instskip(SKIP_1) | instid1(VALU_DEP_1)
	v_fma_f64 v[4:5], v[9:10], v[121:122], v[4:5]
	s_waitcnt lgkmcnt(0)
	v_fma_f64 v[4:5], v[11:12], v[123:124], v[4:5]
	s_waitcnt vmcnt(1)
	s_delay_alu instid0(VALU_DEP_1)
	v_fma_f64 v[9:10], v[111:112], v[125:126], v[4:5]
	ds_load_b128 v[4:7], v1 offset:768
	ds_load_b64 v[11:12], v1 offset:784
	s_waitcnt lgkmcnt(1)
	v_fma_f64 v[4:5], v[113:114], v[4:5], v[9:10]
	s_waitcnt vmcnt(0)
	s_delay_alu instid0(VALU_DEP_1) | instskip(SKIP_1) | instid1(VALU_DEP_1)
	v_fma_f64 v[4:5], v[115:116], v[6:7], v[4:5]
	s_waitcnt lgkmcnt(0)
	v_fma_f64 v[4:5], v[117:118], v[11:12], v[4:5]
	s_delay_alu instid0(VALU_DEP_1)
	v_add_f64 v[2:3], v[2:3], -v[4:5]
	scratch_store_b64 off, v[2:3], off offset:328
	v_cmpx_lt_u32_e32 40, v0
	s_cbranch_execz .LBB112_223
; %bb.222:
	scratch_load_b64 v[3:4], off, off offset:320
	v_mov_b32_e32 v2, v1
	scratch_store_b64 off, v[1:2], off offset:320
	s_waitcnt vmcnt(0)
	ds_store_b64 v8, v[3:4]
.LBB112_223:
	s_or_b32 exec_lo, exec_lo, s0
	s_waitcnt lgkmcnt(0)
	s_waitcnt_vscnt null, 0x0
	s_barrier
	buffer_gl0_inv
	s_clause 0x4
	scratch_load_b128 v[2:5], off, off offset:320
	scratch_load_b128 v[9:12], off, off offset:336
	scratch_load_b128 v[111:114], off, off offset:352
	scratch_load_b128 v[115:118], off, off offset:368
	scratch_load_b64 v[127:128], off, off offset:384
	ds_load_2addr_b64 v[119:122], v1 offset0:91 offset1:92
	ds_load_2addr_b64 v[123:126], v1 offset0:93 offset1:94
	s_mov_b32 s0, exec_lo
	s_waitcnt vmcnt(4) lgkmcnt(1)
	v_fma_f64 v[4:5], v[4:5], v[119:120], 0
	s_waitcnt vmcnt(3)
	s_delay_alu instid0(VALU_DEP_1) | instskip(SKIP_1) | instid1(VALU_DEP_1)
	v_fma_f64 v[4:5], v[9:10], v[121:122], v[4:5]
	s_waitcnt lgkmcnt(0)
	v_fma_f64 v[4:5], v[11:12], v[123:124], v[4:5]
	s_waitcnt vmcnt(2)
	s_delay_alu instid0(VALU_DEP_1)
	v_fma_f64 v[111:112], v[111:112], v[125:126], v[4:5]
	ds_load_2addr_b64 v[4:7], v1 offset0:95 offset1:96
	ds_load_2addr_b64 v[9:12], v1 offset0:97 offset1:98
	s_waitcnt lgkmcnt(1)
	v_fma_f64 v[4:5], v[113:114], v[4:5], v[111:112]
	s_waitcnt vmcnt(1)
	s_delay_alu instid0(VALU_DEP_1) | instskip(SKIP_1) | instid1(VALU_DEP_1)
	v_fma_f64 v[4:5], v[115:116], v[6:7], v[4:5]
	s_waitcnt lgkmcnt(0)
	v_fma_f64 v[4:5], v[117:118], v[9:10], v[4:5]
	s_waitcnt vmcnt(0)
	s_delay_alu instid0(VALU_DEP_1) | instskip(NEXT) | instid1(VALU_DEP_1)
	v_fma_f64 v[4:5], v[127:128], v[11:12], v[4:5]
	v_add_f64 v[1:2], v[2:3], -v[4:5]
	scratch_store_b64 off, v[1:2], off offset:320
	v_cmpx_lt_u32_e32 39, v0
	s_cbranch_execz .LBB112_225
; %bb.224:
	scratch_load_b64 v[1:2], off, off offset:312
	v_mov_b32_e32 v3, 0
	s_delay_alu instid0(VALU_DEP_1)
	v_mov_b32_e32 v4, v3
	scratch_store_b64 off, v[3:4], off offset:312
	s_waitcnt vmcnt(0)
	ds_store_b64 v8, v[1:2]
.LBB112_225:
	s_or_b32 exec_lo, exec_lo, s0
	s_waitcnt lgkmcnt(0)
	s_waitcnt_vscnt null, 0x0
	s_barrier
	buffer_gl0_inv
	s_clause 0x4
	scratch_load_b128 v[2:5], off, off offset:312
	scratch_load_b128 v[9:12], off, off offset:328
	;; [unrolled: 1-line block ×5, first 2 shown]
	v_mov_b32_e32 v1, 0
	ds_load_b128 v[123:126], v1 offset:720
	ds_load_b128 v[127:130], v1 offset:736
	s_mov_b32 s0, exec_lo
	s_waitcnt vmcnt(4) lgkmcnt(1)
	v_fma_f64 v[4:5], v[4:5], v[123:124], 0
	s_waitcnt vmcnt(3)
	s_delay_alu instid0(VALU_DEP_1) | instskip(SKIP_1) | instid1(VALU_DEP_1)
	v_fma_f64 v[4:5], v[9:10], v[125:126], v[4:5]
	s_waitcnt lgkmcnt(0)
	v_fma_f64 v[4:5], v[11:12], v[127:128], v[4:5]
	s_waitcnt vmcnt(2)
	s_delay_alu instid0(VALU_DEP_1)
	v_fma_f64 v[111:112], v[111:112], v[129:130], v[4:5]
	ds_load_b128 v[4:7], v1 offset:752
	ds_load_b128 v[9:12], v1 offset:768
	s_waitcnt lgkmcnt(1)
	v_fma_f64 v[4:5], v[113:114], v[4:5], v[111:112]
	s_waitcnt vmcnt(1)
	s_delay_alu instid0(VALU_DEP_1) | instskip(SKIP_4) | instid1(VALU_DEP_1)
	v_fma_f64 v[4:5], v[115:116], v[6:7], v[4:5]
	ds_load_b64 v[6:7], v1 offset:784
	s_waitcnt lgkmcnt(1)
	v_fma_f64 v[4:5], v[117:118], v[9:10], v[4:5]
	s_waitcnt vmcnt(0)
	v_fma_f64 v[4:5], v[119:120], v[11:12], v[4:5]
	s_waitcnt lgkmcnt(0)
	s_delay_alu instid0(VALU_DEP_1) | instskip(NEXT) | instid1(VALU_DEP_1)
	v_fma_f64 v[4:5], v[121:122], v[6:7], v[4:5]
	v_add_f64 v[2:3], v[2:3], -v[4:5]
	scratch_store_b64 off, v[2:3], off offset:312
	v_cmpx_lt_u32_e32 38, v0
	s_cbranch_execz .LBB112_227
; %bb.226:
	scratch_load_b64 v[3:4], off, off offset:304
	v_mov_b32_e32 v2, v1
	scratch_store_b64 off, v[1:2], off offset:304
	s_waitcnt vmcnt(0)
	ds_store_b64 v8, v[3:4]
.LBB112_227:
	s_or_b32 exec_lo, exec_lo, s0
	s_waitcnt lgkmcnt(0)
	s_waitcnt_vscnt null, 0x0
	s_barrier
	buffer_gl0_inv
	s_clause 0x4
	scratch_load_b128 v[2:5], off, off offset:304
	scratch_load_b128 v[9:12], off, off offset:320
	;; [unrolled: 1-line block ×5, first 2 shown]
	ds_load_2addr_b64 v[123:126], v1 offset0:89 offset1:90
	ds_load_2addr_b64 v[127:130], v1 offset0:91 offset1:92
	s_mov_b32 s0, exec_lo
	s_waitcnt vmcnt(4) lgkmcnt(1)
	v_fma_f64 v[4:5], v[4:5], v[123:124], 0
	scratch_load_b64 v[123:124], off, off offset:384
	s_waitcnt vmcnt(4)
	v_fma_f64 v[4:5], v[9:10], v[125:126], v[4:5]
	s_waitcnt lgkmcnt(0)
	s_delay_alu instid0(VALU_DEP_1) | instskip(SKIP_1) | instid1(VALU_DEP_1)
	v_fma_f64 v[4:5], v[11:12], v[127:128], v[4:5]
	s_waitcnt vmcnt(3)
	v_fma_f64 v[111:112], v[111:112], v[129:130], v[4:5]
	ds_load_2addr_b64 v[4:7], v1 offset0:93 offset1:94
	ds_load_2addr_b64 v[9:12], v1 offset0:95 offset1:96
	s_waitcnt lgkmcnt(1)
	v_fma_f64 v[4:5], v[113:114], v[4:5], v[111:112]
	s_waitcnt vmcnt(2)
	s_delay_alu instid0(VALU_DEP_1) | instskip(SKIP_1) | instid1(VALU_DEP_1)
	v_fma_f64 v[4:5], v[115:116], v[6:7], v[4:5]
	s_waitcnt lgkmcnt(0)
	v_fma_f64 v[4:5], v[117:118], v[9:10], v[4:5]
	s_waitcnt vmcnt(1)
	s_delay_alu instid0(VALU_DEP_1) | instskip(SKIP_4) | instid1(VALU_DEP_1)
	v_fma_f64 v[9:10], v[119:120], v[11:12], v[4:5]
	ds_load_2addr_b64 v[4:7], v1 offset0:97 offset1:98
	s_waitcnt lgkmcnt(0)
	v_fma_f64 v[4:5], v[121:122], v[4:5], v[9:10]
	s_waitcnt vmcnt(0)
	v_fma_f64 v[4:5], v[123:124], v[6:7], v[4:5]
	s_delay_alu instid0(VALU_DEP_1)
	v_add_f64 v[1:2], v[2:3], -v[4:5]
	scratch_store_b64 off, v[1:2], off offset:304
	v_cmpx_lt_u32_e32 37, v0
	s_cbranch_execz .LBB112_229
; %bb.228:
	scratch_load_b64 v[1:2], off, off offset:296
	v_mov_b32_e32 v3, 0
	s_delay_alu instid0(VALU_DEP_1)
	v_mov_b32_e32 v4, v3
	scratch_store_b64 off, v[3:4], off offset:296
	s_waitcnt vmcnt(0)
	ds_store_b64 v8, v[1:2]
.LBB112_229:
	s_or_b32 exec_lo, exec_lo, s0
	s_waitcnt lgkmcnt(0)
	s_waitcnt_vscnt null, 0x0
	s_barrier
	buffer_gl0_inv
	s_clause 0x4
	scratch_load_b128 v[2:5], off, off offset:296
	scratch_load_b128 v[9:12], off, off offset:312
	;; [unrolled: 1-line block ×5, first 2 shown]
	v_mov_b32_e32 v1, 0
	ds_load_b128 v[123:126], v1 offset:704
	ds_load_b128 v[127:130], v1 offset:720
	s_mov_b32 s0, exec_lo
	s_waitcnt vmcnt(4) lgkmcnt(1)
	v_fma_f64 v[123:124], v[4:5], v[123:124], 0
	scratch_load_b128 v[4:7], off, off offset:376
	s_waitcnt vmcnt(4)
	v_fma_f64 v[9:10], v[9:10], v[125:126], v[123:124]
	s_waitcnt lgkmcnt(0)
	s_delay_alu instid0(VALU_DEP_1) | instskip(SKIP_1) | instid1(VALU_DEP_1)
	v_fma_f64 v[9:10], v[11:12], v[127:128], v[9:10]
	s_waitcnt vmcnt(3)
	v_fma_f64 v[111:112], v[111:112], v[129:130], v[9:10]
	ds_load_b128 v[9:12], v1 offset:736
	ds_load_b128 v[123:126], v1 offset:752
	s_waitcnt lgkmcnt(1)
	v_fma_f64 v[9:10], v[113:114], v[9:10], v[111:112]
	s_waitcnt vmcnt(2)
	s_delay_alu instid0(VALU_DEP_1) | instskip(SKIP_1) | instid1(VALU_DEP_1)
	v_fma_f64 v[9:10], v[115:116], v[11:12], v[9:10]
	s_waitcnt lgkmcnt(0)
	v_fma_f64 v[9:10], v[117:118], v[123:124], v[9:10]
	s_waitcnt vmcnt(1)
	s_delay_alu instid0(VALU_DEP_1)
	v_fma_f64 v[111:112], v[119:120], v[125:126], v[9:10]
	ds_load_b128 v[9:12], v1 offset:768
	ds_load_b64 v[113:114], v1 offset:784
	s_waitcnt lgkmcnt(1)
	v_fma_f64 v[9:10], v[121:122], v[9:10], v[111:112]
	s_waitcnt vmcnt(0)
	s_delay_alu instid0(VALU_DEP_1) | instskip(SKIP_1) | instid1(VALU_DEP_1)
	v_fma_f64 v[4:5], v[4:5], v[11:12], v[9:10]
	s_waitcnt lgkmcnt(0)
	v_fma_f64 v[4:5], v[6:7], v[113:114], v[4:5]
	s_delay_alu instid0(VALU_DEP_1)
	v_add_f64 v[2:3], v[2:3], -v[4:5]
	scratch_store_b64 off, v[2:3], off offset:296
	v_cmpx_lt_u32_e32 36, v0
	s_cbranch_execz .LBB112_231
; %bb.230:
	scratch_load_b64 v[3:4], off, off offset:288
	v_mov_b32_e32 v2, v1
	scratch_store_b64 off, v[1:2], off offset:288
	s_waitcnt vmcnt(0)
	ds_store_b64 v8, v[3:4]
.LBB112_231:
	s_or_b32 exec_lo, exec_lo, s0
	s_waitcnt lgkmcnt(0)
	s_waitcnt_vscnt null, 0x0
	s_barrier
	buffer_gl0_inv
	s_clause 0x4
	scratch_load_b128 v[2:5], off, off offset:288
	scratch_load_b128 v[9:12], off, off offset:304
	;; [unrolled: 1-line block ×5, first 2 shown]
	ds_load_2addr_b64 v[123:126], v1 offset0:87 offset1:88
	ds_load_2addr_b64 v[127:130], v1 offset0:89 offset1:90
	s_mov_b32 s0, exec_lo
	s_waitcnt vmcnt(4) lgkmcnt(1)
	v_fma_f64 v[123:124], v[4:5], v[123:124], 0
	scratch_load_b128 v[4:7], off, off offset:368
	s_waitcnt vmcnt(4)
	v_fma_f64 v[9:10], v[9:10], v[125:126], v[123:124]
	s_waitcnt lgkmcnt(0)
	s_delay_alu instid0(VALU_DEP_1)
	v_fma_f64 v[9:10], v[11:12], v[127:128], v[9:10]
	scratch_load_b64 v[127:128], off, off offset:384
	s_waitcnt vmcnt(4)
	v_fma_f64 v[111:112], v[111:112], v[129:130], v[9:10]
	ds_load_2addr_b64 v[9:12], v1 offset0:91 offset1:92
	ds_load_2addr_b64 v[123:126], v1 offset0:93 offset1:94
	s_waitcnt lgkmcnt(1)
	v_fma_f64 v[9:10], v[113:114], v[9:10], v[111:112]
	s_waitcnt vmcnt(3)
	s_delay_alu instid0(VALU_DEP_1) | instskip(SKIP_1) | instid1(VALU_DEP_1)
	v_fma_f64 v[9:10], v[115:116], v[11:12], v[9:10]
	s_waitcnt lgkmcnt(0)
	v_fma_f64 v[9:10], v[117:118], v[123:124], v[9:10]
	s_waitcnt vmcnt(2)
	s_delay_alu instid0(VALU_DEP_1)
	v_fma_f64 v[115:116], v[119:120], v[125:126], v[9:10]
	ds_load_2addr_b64 v[9:12], v1 offset0:95 offset1:96
	ds_load_2addr_b64 v[111:114], v1 offset0:97 offset1:98
	s_waitcnt lgkmcnt(1)
	v_fma_f64 v[9:10], v[121:122], v[9:10], v[115:116]
	s_waitcnt vmcnt(1)
	s_delay_alu instid0(VALU_DEP_1) | instskip(SKIP_1) | instid1(VALU_DEP_1)
	v_fma_f64 v[4:5], v[4:5], v[11:12], v[9:10]
	s_waitcnt lgkmcnt(0)
	v_fma_f64 v[4:5], v[6:7], v[111:112], v[4:5]
	s_waitcnt vmcnt(0)
	s_delay_alu instid0(VALU_DEP_1) | instskip(NEXT) | instid1(VALU_DEP_1)
	v_fma_f64 v[4:5], v[127:128], v[113:114], v[4:5]
	v_add_f64 v[1:2], v[2:3], -v[4:5]
	scratch_store_b64 off, v[1:2], off offset:288
	v_cmpx_lt_u32_e32 35, v0
	s_cbranch_execz .LBB112_233
; %bb.232:
	scratch_load_b64 v[1:2], off, off offset:280
	v_mov_b32_e32 v3, 0
	s_delay_alu instid0(VALU_DEP_1)
	v_mov_b32_e32 v4, v3
	scratch_store_b64 off, v[3:4], off offset:280
	s_waitcnt vmcnt(0)
	ds_store_b64 v8, v[1:2]
.LBB112_233:
	s_or_b32 exec_lo, exec_lo, s0
	s_waitcnt lgkmcnt(0)
	s_waitcnt_vscnt null, 0x0
	s_barrier
	buffer_gl0_inv
	s_clause 0x4
	scratch_load_b128 v[2:5], off, off offset:280
	scratch_load_b128 v[9:12], off, off offset:296
	;; [unrolled: 1-line block ×5, first 2 shown]
	v_mov_b32_e32 v1, 0
	ds_load_b128 v[123:126], v1 offset:688
	ds_load_b128 v[127:130], v1 offset:704
	s_mov_b32 s0, exec_lo
	s_waitcnt vmcnt(4) lgkmcnt(1)
	v_fma_f64 v[123:124], v[4:5], v[123:124], 0
	scratch_load_b128 v[4:7], off, off offset:360
	s_waitcnt vmcnt(4)
	v_fma_f64 v[9:10], v[9:10], v[125:126], v[123:124]
	s_waitcnt lgkmcnt(0)
	s_delay_alu instid0(VALU_DEP_1)
	v_fma_f64 v[123:124], v[11:12], v[127:128], v[9:10]
	scratch_load_b128 v[9:12], off, off offset:376
	s_waitcnt vmcnt(4)
	v_fma_f64 v[111:112], v[111:112], v[129:130], v[123:124]
	ds_load_b128 v[123:126], v1 offset:720
	ds_load_b128 v[127:130], v1 offset:736
	s_waitcnt lgkmcnt(1)
	v_fma_f64 v[111:112], v[113:114], v[123:124], v[111:112]
	s_waitcnt vmcnt(3)
	s_delay_alu instid0(VALU_DEP_1) | instskip(SKIP_1) | instid1(VALU_DEP_1)
	v_fma_f64 v[111:112], v[115:116], v[125:126], v[111:112]
	s_waitcnt lgkmcnt(0)
	v_fma_f64 v[111:112], v[117:118], v[127:128], v[111:112]
	s_waitcnt vmcnt(2)
	s_delay_alu instid0(VALU_DEP_1)
	v_fma_f64 v[119:120], v[119:120], v[129:130], v[111:112]
	ds_load_b128 v[111:114], v1 offset:752
	ds_load_b128 v[115:118], v1 offset:768
	s_waitcnt lgkmcnt(1)
	v_fma_f64 v[111:112], v[121:122], v[111:112], v[119:120]
	s_waitcnt vmcnt(1)
	s_delay_alu instid0(VALU_DEP_1) | instskip(SKIP_1) | instid1(VALU_DEP_1)
	v_fma_f64 v[4:5], v[4:5], v[113:114], v[111:112]
	s_waitcnt lgkmcnt(0)
	v_fma_f64 v[4:5], v[6:7], v[115:116], v[4:5]
	ds_load_b64 v[6:7], v1 offset:784
	s_waitcnt vmcnt(0)
	v_fma_f64 v[4:5], v[9:10], v[117:118], v[4:5]
	s_waitcnt lgkmcnt(0)
	s_delay_alu instid0(VALU_DEP_1) | instskip(NEXT) | instid1(VALU_DEP_1)
	v_fma_f64 v[4:5], v[11:12], v[6:7], v[4:5]
	v_add_f64 v[2:3], v[2:3], -v[4:5]
	scratch_store_b64 off, v[2:3], off offset:280
	v_cmpx_lt_u32_e32 34, v0
	s_cbranch_execz .LBB112_235
; %bb.234:
	scratch_load_b64 v[3:4], off, off offset:272
	v_mov_b32_e32 v2, v1
	scratch_store_b64 off, v[1:2], off offset:272
	s_waitcnt vmcnt(0)
	ds_store_b64 v8, v[3:4]
.LBB112_235:
	s_or_b32 exec_lo, exec_lo, s0
	s_waitcnt lgkmcnt(0)
	s_waitcnt_vscnt null, 0x0
	s_barrier
	buffer_gl0_inv
	s_clause 0x4
	scratch_load_b128 v[2:5], off, off offset:272
	scratch_load_b128 v[9:12], off, off offset:288
	;; [unrolled: 1-line block ×5, first 2 shown]
	ds_load_2addr_b64 v[123:126], v1 offset0:85 offset1:86
	ds_load_2addr_b64 v[127:130], v1 offset0:87 offset1:88
	s_mov_b32 s0, exec_lo
	s_waitcnt vmcnt(4) lgkmcnt(1)
	v_fma_f64 v[123:124], v[4:5], v[123:124], 0
	scratch_load_b128 v[4:7], off, off offset:352
	s_waitcnt vmcnt(4)
	v_fma_f64 v[9:10], v[9:10], v[125:126], v[123:124]
	s_waitcnt lgkmcnt(0)
	s_delay_alu instid0(VALU_DEP_1)
	v_fma_f64 v[123:124], v[11:12], v[127:128], v[9:10]
	scratch_load_b128 v[9:12], off, off offset:368
	s_waitcnt vmcnt(4)
	v_fma_f64 v[111:112], v[111:112], v[129:130], v[123:124]
	ds_load_2addr_b64 v[123:126], v1 offset0:89 offset1:90
	ds_load_2addr_b64 v[127:130], v1 offset0:91 offset1:92
	s_waitcnt lgkmcnt(1)
	v_fma_f64 v[111:112], v[113:114], v[123:124], v[111:112]
	scratch_load_b64 v[123:124], off, off offset:384
	s_waitcnt vmcnt(4)
	v_fma_f64 v[111:112], v[115:116], v[125:126], v[111:112]
	s_waitcnt lgkmcnt(0)
	s_delay_alu instid0(VALU_DEP_1) | instskip(SKIP_1) | instid1(VALU_DEP_1)
	v_fma_f64 v[111:112], v[117:118], v[127:128], v[111:112]
	s_waitcnt vmcnt(3)
	v_fma_f64 v[119:120], v[119:120], v[129:130], v[111:112]
	ds_load_2addr_b64 v[111:114], v1 offset0:93 offset1:94
	ds_load_2addr_b64 v[115:118], v1 offset0:95 offset1:96
	s_waitcnt lgkmcnt(1)
	v_fma_f64 v[111:112], v[121:122], v[111:112], v[119:120]
	s_waitcnt vmcnt(2)
	s_delay_alu instid0(VALU_DEP_1) | instskip(SKIP_1) | instid1(VALU_DEP_1)
	v_fma_f64 v[4:5], v[4:5], v[113:114], v[111:112]
	s_waitcnt lgkmcnt(0)
	v_fma_f64 v[4:5], v[6:7], v[115:116], v[4:5]
	s_waitcnt vmcnt(1)
	s_delay_alu instid0(VALU_DEP_1) | instskip(SKIP_4) | instid1(VALU_DEP_1)
	v_fma_f64 v[9:10], v[9:10], v[117:118], v[4:5]
	ds_load_2addr_b64 v[4:7], v1 offset0:97 offset1:98
	s_waitcnt lgkmcnt(0)
	v_fma_f64 v[4:5], v[11:12], v[4:5], v[9:10]
	s_waitcnt vmcnt(0)
	v_fma_f64 v[4:5], v[123:124], v[6:7], v[4:5]
	s_delay_alu instid0(VALU_DEP_1)
	v_add_f64 v[1:2], v[2:3], -v[4:5]
	scratch_store_b64 off, v[1:2], off offset:272
	v_cmpx_lt_u32_e32 33, v0
	s_cbranch_execz .LBB112_237
; %bb.236:
	scratch_load_b64 v[1:2], off, off offset:264
	v_mov_b32_e32 v3, 0
	s_delay_alu instid0(VALU_DEP_1)
	v_mov_b32_e32 v4, v3
	scratch_store_b64 off, v[3:4], off offset:264
	s_waitcnt vmcnt(0)
	ds_store_b64 v8, v[1:2]
.LBB112_237:
	s_or_b32 exec_lo, exec_lo, s0
	s_waitcnt lgkmcnt(0)
	s_waitcnt_vscnt null, 0x0
	s_barrier
	buffer_gl0_inv
	s_clause 0x4
	scratch_load_b128 v[2:5], off, off offset:264
	scratch_load_b128 v[9:12], off, off offset:280
	;; [unrolled: 1-line block ×5, first 2 shown]
	v_mov_b32_e32 v1, 0
	ds_load_b128 v[123:126], v1 offset:672
	ds_load_b128 v[127:130], v1 offset:688
	s_mov_b32 s0, exec_lo
	s_waitcnt vmcnt(4) lgkmcnt(1)
	v_fma_f64 v[123:124], v[4:5], v[123:124], 0
	scratch_load_b128 v[4:7], off, off offset:344
	s_waitcnt vmcnt(4)
	v_fma_f64 v[9:10], v[9:10], v[125:126], v[123:124]
	s_waitcnt lgkmcnt(0)
	s_delay_alu instid0(VALU_DEP_1)
	v_fma_f64 v[123:124], v[11:12], v[127:128], v[9:10]
	scratch_load_b128 v[9:12], off, off offset:360
	s_waitcnt vmcnt(4)
	v_fma_f64 v[111:112], v[111:112], v[129:130], v[123:124]
	ds_load_b128 v[123:126], v1 offset:704
	ds_load_b128 v[127:130], v1 offset:720
	s_waitcnt lgkmcnt(1)
	v_fma_f64 v[123:124], v[113:114], v[123:124], v[111:112]
	scratch_load_b128 v[111:114], off, off offset:376
	s_waitcnt vmcnt(4)
	v_fma_f64 v[115:116], v[115:116], v[125:126], v[123:124]
	s_waitcnt lgkmcnt(0)
	s_delay_alu instid0(VALU_DEP_1) | instskip(SKIP_1) | instid1(VALU_DEP_1)
	v_fma_f64 v[115:116], v[117:118], v[127:128], v[115:116]
	s_waitcnt vmcnt(3)
	v_fma_f64 v[119:120], v[119:120], v[129:130], v[115:116]
	ds_load_b128 v[115:118], v1 offset:736
	ds_load_b128 v[123:126], v1 offset:752
	s_waitcnt lgkmcnt(1)
	v_fma_f64 v[115:116], v[121:122], v[115:116], v[119:120]
	s_waitcnt vmcnt(2)
	s_delay_alu instid0(VALU_DEP_1) | instskip(SKIP_1) | instid1(VALU_DEP_1)
	v_fma_f64 v[4:5], v[4:5], v[117:118], v[115:116]
	s_waitcnt lgkmcnt(0)
	v_fma_f64 v[4:5], v[6:7], v[123:124], v[4:5]
	s_waitcnt vmcnt(1)
	s_delay_alu instid0(VALU_DEP_1)
	v_fma_f64 v[9:10], v[9:10], v[125:126], v[4:5]
	ds_load_b128 v[4:7], v1 offset:768
	ds_load_b64 v[115:116], v1 offset:784
	s_waitcnt lgkmcnt(1)
	v_fma_f64 v[4:5], v[11:12], v[4:5], v[9:10]
	s_waitcnt vmcnt(0)
	s_delay_alu instid0(VALU_DEP_1) | instskip(SKIP_1) | instid1(VALU_DEP_1)
	v_fma_f64 v[4:5], v[111:112], v[6:7], v[4:5]
	s_waitcnt lgkmcnt(0)
	v_fma_f64 v[4:5], v[113:114], v[115:116], v[4:5]
	s_delay_alu instid0(VALU_DEP_1)
	v_add_f64 v[2:3], v[2:3], -v[4:5]
	scratch_store_b64 off, v[2:3], off offset:264
	v_cmpx_lt_u32_e32 32, v0
	s_cbranch_execz .LBB112_239
; %bb.238:
	scratch_load_b64 v[3:4], off, off offset:256
	v_mov_b32_e32 v2, v1
	scratch_store_b64 off, v[1:2], off offset:256
	s_waitcnt vmcnt(0)
	ds_store_b64 v8, v[3:4]
.LBB112_239:
	s_or_b32 exec_lo, exec_lo, s0
	s_waitcnt lgkmcnt(0)
	s_waitcnt_vscnt null, 0x0
	s_barrier
	buffer_gl0_inv
	s_clause 0x4
	scratch_load_b128 v[2:5], off, off offset:256
	scratch_load_b128 v[9:12], off, off offset:272
	scratch_load_b128 v[111:114], off, off offset:288
	scratch_load_b128 v[115:118], off, off offset:304
	scratch_load_b128 v[119:122], off, off offset:320
	ds_load_2addr_b64 v[123:126], v1 offset0:83 offset1:84
	ds_load_2addr_b64 v[127:130], v1 offset0:85 offset1:86
	s_mov_b32 s0, exec_lo
	s_waitcnt vmcnt(4) lgkmcnt(1)
	v_fma_f64 v[123:124], v[4:5], v[123:124], 0
	scratch_load_b128 v[4:7], off, off offset:336
	s_waitcnt vmcnt(4)
	v_fma_f64 v[9:10], v[9:10], v[125:126], v[123:124]
	s_waitcnt lgkmcnt(0)
	s_delay_alu instid0(VALU_DEP_1)
	v_fma_f64 v[123:124], v[11:12], v[127:128], v[9:10]
	scratch_load_b128 v[9:12], off, off offset:352
	s_waitcnt vmcnt(4)
	v_fma_f64 v[111:112], v[111:112], v[129:130], v[123:124]
	ds_load_2addr_b64 v[123:126], v1 offset0:87 offset1:88
	ds_load_2addr_b64 v[127:130], v1 offset0:89 offset1:90
	s_waitcnt lgkmcnt(1)
	v_fma_f64 v[123:124], v[113:114], v[123:124], v[111:112]
	scratch_load_b128 v[111:114], off, off offset:368
	s_waitcnt vmcnt(4)
	v_fma_f64 v[115:116], v[115:116], v[125:126], v[123:124]
	s_waitcnt lgkmcnt(0)
	s_delay_alu instid0(VALU_DEP_1)
	v_fma_f64 v[115:116], v[117:118], v[127:128], v[115:116]
	scratch_load_b64 v[127:128], off, off offset:384
	s_waitcnt vmcnt(4)
	v_fma_f64 v[119:120], v[119:120], v[129:130], v[115:116]
	ds_load_2addr_b64 v[115:118], v1 offset0:91 offset1:92
	ds_load_2addr_b64 v[123:126], v1 offset0:93 offset1:94
	s_waitcnt lgkmcnt(1)
	v_fma_f64 v[115:116], v[121:122], v[115:116], v[119:120]
	s_waitcnt vmcnt(3)
	s_delay_alu instid0(VALU_DEP_1) | instskip(SKIP_1) | instid1(VALU_DEP_1)
	v_fma_f64 v[4:5], v[4:5], v[117:118], v[115:116]
	s_waitcnt lgkmcnt(0)
	v_fma_f64 v[4:5], v[6:7], v[123:124], v[4:5]
	s_waitcnt vmcnt(2)
	s_delay_alu instid0(VALU_DEP_1)
	v_fma_f64 v[9:10], v[9:10], v[125:126], v[4:5]
	ds_load_2addr_b64 v[4:7], v1 offset0:95 offset1:96
	ds_load_2addr_b64 v[115:118], v1 offset0:97 offset1:98
	s_waitcnt lgkmcnt(1)
	v_fma_f64 v[4:5], v[11:12], v[4:5], v[9:10]
	s_waitcnt vmcnt(1)
	s_delay_alu instid0(VALU_DEP_1) | instskip(SKIP_1) | instid1(VALU_DEP_1)
	v_fma_f64 v[4:5], v[111:112], v[6:7], v[4:5]
	s_waitcnt lgkmcnt(0)
	v_fma_f64 v[4:5], v[113:114], v[115:116], v[4:5]
	s_waitcnt vmcnt(0)
	s_delay_alu instid0(VALU_DEP_1) | instskip(NEXT) | instid1(VALU_DEP_1)
	v_fma_f64 v[4:5], v[127:128], v[117:118], v[4:5]
	v_add_f64 v[1:2], v[2:3], -v[4:5]
	scratch_store_b64 off, v[1:2], off offset:256
	v_cmpx_lt_u32_e32 31, v0
	s_cbranch_execz .LBB112_241
; %bb.240:
	scratch_load_b64 v[1:2], off, off offset:248
	v_mov_b32_e32 v3, 0
	s_delay_alu instid0(VALU_DEP_1)
	v_mov_b32_e32 v4, v3
	scratch_store_b64 off, v[3:4], off offset:248
	s_waitcnt vmcnt(0)
	ds_store_b64 v8, v[1:2]
.LBB112_241:
	s_or_b32 exec_lo, exec_lo, s0
	s_waitcnt lgkmcnt(0)
	s_waitcnt_vscnt null, 0x0
	s_barrier
	buffer_gl0_inv
	s_clause 0x4
	scratch_load_b128 v[2:5], off, off offset:248
	scratch_load_b128 v[9:12], off, off offset:264
	;; [unrolled: 1-line block ×5, first 2 shown]
	v_mov_b32_e32 v1, 0
	ds_load_b128 v[123:126], v1 offset:656
	ds_load_b128 v[127:130], v1 offset:672
	s_mov_b32 s0, exec_lo
	s_waitcnt vmcnt(4) lgkmcnt(1)
	v_fma_f64 v[123:124], v[4:5], v[123:124], 0
	scratch_load_b128 v[4:7], off, off offset:328
	s_waitcnt vmcnt(4)
	v_fma_f64 v[9:10], v[9:10], v[125:126], v[123:124]
	s_waitcnt lgkmcnt(0)
	s_delay_alu instid0(VALU_DEP_1)
	v_fma_f64 v[123:124], v[11:12], v[127:128], v[9:10]
	scratch_load_b128 v[9:12], off, off offset:344
	s_waitcnt vmcnt(4)
	v_fma_f64 v[111:112], v[111:112], v[129:130], v[123:124]
	ds_load_b128 v[123:126], v1 offset:688
	ds_load_b128 v[127:130], v1 offset:704
	s_waitcnt lgkmcnt(1)
	v_fma_f64 v[123:124], v[113:114], v[123:124], v[111:112]
	scratch_load_b128 v[111:114], off, off offset:360
	s_waitcnt vmcnt(4)
	v_fma_f64 v[115:116], v[115:116], v[125:126], v[123:124]
	s_waitcnt lgkmcnt(0)
	s_delay_alu instid0(VALU_DEP_1)
	v_fma_f64 v[123:124], v[117:118], v[127:128], v[115:116]
	scratch_load_b128 v[115:118], off, off offset:376
	s_waitcnt vmcnt(4)
	v_fma_f64 v[119:120], v[119:120], v[129:130], v[123:124]
	ds_load_b128 v[123:126], v1 offset:720
	ds_load_b128 v[127:130], v1 offset:736
	s_waitcnt lgkmcnt(1)
	v_fma_f64 v[119:120], v[121:122], v[123:124], v[119:120]
	s_waitcnt vmcnt(3)
	s_delay_alu instid0(VALU_DEP_1) | instskip(SKIP_1) | instid1(VALU_DEP_1)
	v_fma_f64 v[4:5], v[4:5], v[125:126], v[119:120]
	s_waitcnt lgkmcnt(0)
	v_fma_f64 v[4:5], v[6:7], v[127:128], v[4:5]
	s_waitcnt vmcnt(2)
	s_delay_alu instid0(VALU_DEP_1)
	v_fma_f64 v[9:10], v[9:10], v[129:130], v[4:5]
	ds_load_b128 v[4:7], v1 offset:752
	ds_load_b128 v[119:122], v1 offset:768
	s_waitcnt lgkmcnt(1)
	v_fma_f64 v[4:5], v[11:12], v[4:5], v[9:10]
	s_waitcnt vmcnt(1)
	s_delay_alu instid0(VALU_DEP_1) | instskip(SKIP_4) | instid1(VALU_DEP_1)
	v_fma_f64 v[4:5], v[111:112], v[6:7], v[4:5]
	ds_load_b64 v[6:7], v1 offset:784
	s_waitcnt lgkmcnt(1)
	v_fma_f64 v[4:5], v[113:114], v[119:120], v[4:5]
	s_waitcnt vmcnt(0)
	v_fma_f64 v[4:5], v[115:116], v[121:122], v[4:5]
	s_waitcnt lgkmcnt(0)
	s_delay_alu instid0(VALU_DEP_1) | instskip(NEXT) | instid1(VALU_DEP_1)
	v_fma_f64 v[4:5], v[117:118], v[6:7], v[4:5]
	v_add_f64 v[2:3], v[2:3], -v[4:5]
	scratch_store_b64 off, v[2:3], off offset:248
	v_cmpx_lt_u32_e32 30, v0
	s_cbranch_execz .LBB112_243
; %bb.242:
	scratch_load_b64 v[3:4], off, off offset:240
	v_mov_b32_e32 v2, v1
	scratch_store_b64 off, v[1:2], off offset:240
	s_waitcnt vmcnt(0)
	ds_store_b64 v8, v[3:4]
.LBB112_243:
	s_or_b32 exec_lo, exec_lo, s0
	s_waitcnt lgkmcnt(0)
	s_waitcnt_vscnt null, 0x0
	s_barrier
	buffer_gl0_inv
	s_clause 0x4
	scratch_load_b128 v[2:5], off, off offset:240
	scratch_load_b128 v[9:12], off, off offset:256
	;; [unrolled: 1-line block ×5, first 2 shown]
	ds_load_2addr_b64 v[123:126], v1 offset0:81 offset1:82
	ds_load_2addr_b64 v[127:130], v1 offset0:83 offset1:84
	s_mov_b32 s0, exec_lo
	s_waitcnt vmcnt(4) lgkmcnt(1)
	v_fma_f64 v[123:124], v[4:5], v[123:124], 0
	scratch_load_b128 v[4:7], off, off offset:320
	s_waitcnt vmcnt(4)
	v_fma_f64 v[9:10], v[9:10], v[125:126], v[123:124]
	s_waitcnt lgkmcnt(0)
	s_delay_alu instid0(VALU_DEP_1)
	v_fma_f64 v[123:124], v[11:12], v[127:128], v[9:10]
	scratch_load_b128 v[9:12], off, off offset:336
	s_waitcnt vmcnt(4)
	v_fma_f64 v[111:112], v[111:112], v[129:130], v[123:124]
	ds_load_2addr_b64 v[123:126], v1 offset0:85 offset1:86
	ds_load_2addr_b64 v[127:130], v1 offset0:87 offset1:88
	s_waitcnt lgkmcnt(1)
	v_fma_f64 v[123:124], v[113:114], v[123:124], v[111:112]
	scratch_load_b128 v[111:114], off, off offset:352
	s_waitcnt vmcnt(4)
	v_fma_f64 v[115:116], v[115:116], v[125:126], v[123:124]
	s_waitcnt lgkmcnt(0)
	s_delay_alu instid0(VALU_DEP_1)
	v_fma_f64 v[123:124], v[117:118], v[127:128], v[115:116]
	scratch_load_b128 v[115:118], off, off offset:368
	s_waitcnt vmcnt(4)
	v_fma_f64 v[119:120], v[119:120], v[129:130], v[123:124]
	ds_load_2addr_b64 v[123:126], v1 offset0:89 offset1:90
	ds_load_2addr_b64 v[127:130], v1 offset0:91 offset1:92
	s_waitcnt lgkmcnt(1)
	v_fma_f64 v[119:120], v[121:122], v[123:124], v[119:120]
	scratch_load_b64 v[123:124], off, off offset:384
	s_waitcnt vmcnt(4)
	v_fma_f64 v[4:5], v[4:5], v[125:126], v[119:120]
	s_waitcnt lgkmcnt(0)
	s_delay_alu instid0(VALU_DEP_1) | instskip(SKIP_1) | instid1(VALU_DEP_1)
	v_fma_f64 v[4:5], v[6:7], v[127:128], v[4:5]
	s_waitcnt vmcnt(3)
	v_fma_f64 v[9:10], v[9:10], v[129:130], v[4:5]
	ds_load_2addr_b64 v[4:7], v1 offset0:93 offset1:94
	ds_load_2addr_b64 v[119:122], v1 offset0:95 offset1:96
	s_waitcnt lgkmcnt(1)
	v_fma_f64 v[4:5], v[11:12], v[4:5], v[9:10]
	s_waitcnt vmcnt(2)
	s_delay_alu instid0(VALU_DEP_1) | instskip(SKIP_1) | instid1(VALU_DEP_1)
	v_fma_f64 v[4:5], v[111:112], v[6:7], v[4:5]
	s_waitcnt lgkmcnt(0)
	v_fma_f64 v[4:5], v[113:114], v[119:120], v[4:5]
	s_waitcnt vmcnt(1)
	s_delay_alu instid0(VALU_DEP_1) | instskip(SKIP_4) | instid1(VALU_DEP_1)
	v_fma_f64 v[9:10], v[115:116], v[121:122], v[4:5]
	ds_load_2addr_b64 v[4:7], v1 offset0:97 offset1:98
	s_waitcnt lgkmcnt(0)
	v_fma_f64 v[4:5], v[117:118], v[4:5], v[9:10]
	s_waitcnt vmcnt(0)
	v_fma_f64 v[4:5], v[123:124], v[6:7], v[4:5]
	s_delay_alu instid0(VALU_DEP_1)
	v_add_f64 v[1:2], v[2:3], -v[4:5]
	scratch_store_b64 off, v[1:2], off offset:240
	v_cmpx_lt_u32_e32 29, v0
	s_cbranch_execz .LBB112_245
; %bb.244:
	scratch_load_b64 v[1:2], off, off offset:232
	v_mov_b32_e32 v3, 0
	s_delay_alu instid0(VALU_DEP_1)
	v_mov_b32_e32 v4, v3
	scratch_store_b64 off, v[3:4], off offset:232
	s_waitcnt vmcnt(0)
	ds_store_b64 v8, v[1:2]
.LBB112_245:
	s_or_b32 exec_lo, exec_lo, s0
	s_waitcnt lgkmcnt(0)
	s_waitcnt_vscnt null, 0x0
	s_barrier
	buffer_gl0_inv
	s_clause 0x4
	scratch_load_b128 v[2:5], off, off offset:232
	scratch_load_b128 v[9:12], off, off offset:248
	;; [unrolled: 1-line block ×5, first 2 shown]
	v_mov_b32_e32 v1, 0
	ds_load_b128 v[123:126], v1 offset:640
	ds_load_b128 v[127:130], v1 offset:656
	s_mov_b32 s0, exec_lo
	s_waitcnt vmcnt(4) lgkmcnt(1)
	v_fma_f64 v[123:124], v[4:5], v[123:124], 0
	scratch_load_b128 v[4:7], off, off offset:312
	s_waitcnt vmcnt(4)
	v_fma_f64 v[9:10], v[9:10], v[125:126], v[123:124]
	s_waitcnt lgkmcnt(0)
	s_delay_alu instid0(VALU_DEP_1)
	v_fma_f64 v[123:124], v[11:12], v[127:128], v[9:10]
	scratch_load_b128 v[9:12], off, off offset:328
	s_waitcnt vmcnt(4)
	v_fma_f64 v[111:112], v[111:112], v[129:130], v[123:124]
	ds_load_b128 v[123:126], v1 offset:672
	ds_load_b128 v[127:130], v1 offset:688
	s_waitcnt lgkmcnt(1)
	v_fma_f64 v[123:124], v[113:114], v[123:124], v[111:112]
	scratch_load_b128 v[111:114], off, off offset:344
	s_waitcnt vmcnt(4)
	v_fma_f64 v[115:116], v[115:116], v[125:126], v[123:124]
	s_waitcnt lgkmcnt(0)
	s_delay_alu instid0(VALU_DEP_1)
	v_fma_f64 v[123:124], v[117:118], v[127:128], v[115:116]
	scratch_load_b128 v[115:118], off, off offset:360
	s_waitcnt vmcnt(4)
	v_fma_f64 v[119:120], v[119:120], v[129:130], v[123:124]
	ds_load_b128 v[123:126], v1 offset:704
	ds_load_b128 v[127:130], v1 offset:720
	s_waitcnt lgkmcnt(1)
	v_fma_f64 v[123:124], v[121:122], v[123:124], v[119:120]
	scratch_load_b128 v[119:122], off, off offset:376
	s_waitcnt vmcnt(4)
	v_fma_f64 v[4:5], v[4:5], v[125:126], v[123:124]
	s_waitcnt lgkmcnt(0)
	s_delay_alu instid0(VALU_DEP_1) | instskip(SKIP_1) | instid1(VALU_DEP_1)
	v_fma_f64 v[4:5], v[6:7], v[127:128], v[4:5]
	s_waitcnt vmcnt(3)
	v_fma_f64 v[9:10], v[9:10], v[129:130], v[4:5]
	ds_load_b128 v[4:7], v1 offset:736
	ds_load_b128 v[123:126], v1 offset:752
	s_waitcnt lgkmcnt(1)
	v_fma_f64 v[4:5], v[11:12], v[4:5], v[9:10]
	s_waitcnt vmcnt(2)
	s_delay_alu instid0(VALU_DEP_1) | instskip(SKIP_1) | instid1(VALU_DEP_1)
	v_fma_f64 v[4:5], v[111:112], v[6:7], v[4:5]
	s_waitcnt lgkmcnt(0)
	v_fma_f64 v[4:5], v[113:114], v[123:124], v[4:5]
	s_waitcnt vmcnt(1)
	s_delay_alu instid0(VALU_DEP_1)
	v_fma_f64 v[9:10], v[115:116], v[125:126], v[4:5]
	ds_load_b128 v[4:7], v1 offset:768
	ds_load_b64 v[11:12], v1 offset:784
	s_waitcnt lgkmcnt(1)
	v_fma_f64 v[4:5], v[117:118], v[4:5], v[9:10]
	s_waitcnt vmcnt(0)
	s_delay_alu instid0(VALU_DEP_1) | instskip(SKIP_1) | instid1(VALU_DEP_1)
	v_fma_f64 v[4:5], v[119:120], v[6:7], v[4:5]
	s_waitcnt lgkmcnt(0)
	v_fma_f64 v[4:5], v[121:122], v[11:12], v[4:5]
	s_delay_alu instid0(VALU_DEP_1)
	v_add_f64 v[2:3], v[2:3], -v[4:5]
	scratch_store_b64 off, v[2:3], off offset:232
	v_cmpx_lt_u32_e32 28, v0
	s_cbranch_execz .LBB112_247
; %bb.246:
	scratch_load_b64 v[3:4], off, off offset:224
	v_mov_b32_e32 v2, v1
	scratch_store_b64 off, v[1:2], off offset:224
	s_waitcnt vmcnt(0)
	ds_store_b64 v8, v[3:4]
.LBB112_247:
	s_or_b32 exec_lo, exec_lo, s0
	s_waitcnt lgkmcnt(0)
	s_waitcnt_vscnt null, 0x0
	s_barrier
	buffer_gl0_inv
	s_clause 0x4
	scratch_load_b128 v[2:5], off, off offset:224
	scratch_load_b128 v[9:12], off, off offset:240
	;; [unrolled: 1-line block ×5, first 2 shown]
	ds_load_2addr_b64 v[123:126], v1 offset0:79 offset1:80
	ds_load_2addr_b64 v[127:130], v1 offset0:81 offset1:82
	s_mov_b32 s0, exec_lo
	s_waitcnt vmcnt(4) lgkmcnt(1)
	v_fma_f64 v[123:124], v[4:5], v[123:124], 0
	scratch_load_b128 v[4:7], off, off offset:304
	s_waitcnt vmcnt(4)
	v_fma_f64 v[9:10], v[9:10], v[125:126], v[123:124]
	s_waitcnt lgkmcnt(0)
	s_delay_alu instid0(VALU_DEP_1)
	v_fma_f64 v[123:124], v[11:12], v[127:128], v[9:10]
	scratch_load_b128 v[9:12], off, off offset:320
	s_waitcnt vmcnt(4)
	v_fma_f64 v[111:112], v[111:112], v[129:130], v[123:124]
	ds_load_2addr_b64 v[123:126], v1 offset0:83 offset1:84
	ds_load_2addr_b64 v[127:130], v1 offset0:85 offset1:86
	s_waitcnt lgkmcnt(1)
	v_fma_f64 v[123:124], v[113:114], v[123:124], v[111:112]
	scratch_load_b128 v[111:114], off, off offset:336
	s_waitcnt vmcnt(4)
	v_fma_f64 v[115:116], v[115:116], v[125:126], v[123:124]
	s_waitcnt lgkmcnt(0)
	s_delay_alu instid0(VALU_DEP_1)
	v_fma_f64 v[123:124], v[117:118], v[127:128], v[115:116]
	scratch_load_b128 v[115:118], off, off offset:352
	s_waitcnt vmcnt(4)
	v_fma_f64 v[119:120], v[119:120], v[129:130], v[123:124]
	ds_load_2addr_b64 v[123:126], v1 offset0:87 offset1:88
	ds_load_2addr_b64 v[127:130], v1 offset0:89 offset1:90
	s_waitcnt lgkmcnt(1)
	v_fma_f64 v[123:124], v[121:122], v[123:124], v[119:120]
	scratch_load_b128 v[119:122], off, off offset:368
	s_waitcnt vmcnt(4)
	v_fma_f64 v[4:5], v[4:5], v[125:126], v[123:124]
	s_waitcnt lgkmcnt(0)
	s_delay_alu instid0(VALU_DEP_1)
	v_fma_f64 v[4:5], v[6:7], v[127:128], v[4:5]
	scratch_load_b64 v[127:128], off, off offset:384
	s_waitcnt vmcnt(4)
	v_fma_f64 v[9:10], v[9:10], v[129:130], v[4:5]
	ds_load_2addr_b64 v[4:7], v1 offset0:91 offset1:92
	ds_load_2addr_b64 v[123:126], v1 offset0:93 offset1:94
	s_waitcnt lgkmcnt(1)
	v_fma_f64 v[4:5], v[11:12], v[4:5], v[9:10]
	s_waitcnt vmcnt(3)
	s_delay_alu instid0(VALU_DEP_1) | instskip(SKIP_1) | instid1(VALU_DEP_1)
	v_fma_f64 v[4:5], v[111:112], v[6:7], v[4:5]
	s_waitcnt lgkmcnt(0)
	v_fma_f64 v[4:5], v[113:114], v[123:124], v[4:5]
	s_waitcnt vmcnt(2)
	s_delay_alu instid0(VALU_DEP_1)
	v_fma_f64 v[111:112], v[115:116], v[125:126], v[4:5]
	ds_load_2addr_b64 v[4:7], v1 offset0:95 offset1:96
	ds_load_2addr_b64 v[9:12], v1 offset0:97 offset1:98
	s_waitcnt lgkmcnt(1)
	v_fma_f64 v[4:5], v[117:118], v[4:5], v[111:112]
	s_waitcnt vmcnt(1)
	s_delay_alu instid0(VALU_DEP_1) | instskip(SKIP_1) | instid1(VALU_DEP_1)
	v_fma_f64 v[4:5], v[119:120], v[6:7], v[4:5]
	s_waitcnt lgkmcnt(0)
	v_fma_f64 v[4:5], v[121:122], v[9:10], v[4:5]
	s_waitcnt vmcnt(0)
	s_delay_alu instid0(VALU_DEP_1) | instskip(NEXT) | instid1(VALU_DEP_1)
	v_fma_f64 v[4:5], v[127:128], v[11:12], v[4:5]
	v_add_f64 v[1:2], v[2:3], -v[4:5]
	scratch_store_b64 off, v[1:2], off offset:224
	v_cmpx_lt_u32_e32 27, v0
	s_cbranch_execz .LBB112_249
; %bb.248:
	scratch_load_b64 v[1:2], off, off offset:216
	v_mov_b32_e32 v3, 0
	s_delay_alu instid0(VALU_DEP_1)
	v_mov_b32_e32 v4, v3
	scratch_store_b64 off, v[3:4], off offset:216
	s_waitcnt vmcnt(0)
	ds_store_b64 v8, v[1:2]
.LBB112_249:
	s_or_b32 exec_lo, exec_lo, s0
	s_waitcnt lgkmcnt(0)
	s_waitcnt_vscnt null, 0x0
	s_barrier
	buffer_gl0_inv
	s_clause 0x4
	scratch_load_b128 v[2:5], off, off offset:216
	scratch_load_b128 v[9:12], off, off offset:232
	;; [unrolled: 1-line block ×5, first 2 shown]
	v_mov_b32_e32 v1, 0
	ds_load_b128 v[123:126], v1 offset:624
	ds_load_b128 v[127:130], v1 offset:640
	s_mov_b32 s0, exec_lo
	s_waitcnt vmcnt(4) lgkmcnt(1)
	v_fma_f64 v[123:124], v[4:5], v[123:124], 0
	scratch_load_b128 v[4:7], off, off offset:296
	s_waitcnt vmcnt(4)
	v_fma_f64 v[9:10], v[9:10], v[125:126], v[123:124]
	s_waitcnt lgkmcnt(0)
	s_delay_alu instid0(VALU_DEP_1)
	v_fma_f64 v[123:124], v[11:12], v[127:128], v[9:10]
	scratch_load_b128 v[9:12], off, off offset:312
	s_waitcnt vmcnt(4)
	v_fma_f64 v[111:112], v[111:112], v[129:130], v[123:124]
	ds_load_b128 v[123:126], v1 offset:656
	ds_load_b128 v[127:130], v1 offset:672
	s_waitcnt lgkmcnt(1)
	v_fma_f64 v[123:124], v[113:114], v[123:124], v[111:112]
	scratch_load_b128 v[111:114], off, off offset:328
	s_waitcnt vmcnt(4)
	v_fma_f64 v[115:116], v[115:116], v[125:126], v[123:124]
	s_waitcnt lgkmcnt(0)
	s_delay_alu instid0(VALU_DEP_1)
	v_fma_f64 v[123:124], v[117:118], v[127:128], v[115:116]
	scratch_load_b128 v[115:118], off, off offset:344
	s_waitcnt vmcnt(4)
	v_fma_f64 v[119:120], v[119:120], v[129:130], v[123:124]
	ds_load_b128 v[123:126], v1 offset:688
	ds_load_b128 v[127:130], v1 offset:704
	s_waitcnt lgkmcnt(1)
	;; [unrolled: 13-line block ×3, first 2 shown]
	v_fma_f64 v[9:10], v[11:12], v[123:124], v[9:10]
	s_waitcnt vmcnt(3)
	s_delay_alu instid0(VALU_DEP_1) | instskip(SKIP_1) | instid1(VALU_DEP_1)
	v_fma_f64 v[9:10], v[111:112], v[125:126], v[9:10]
	s_waitcnt lgkmcnt(0)
	v_fma_f64 v[9:10], v[113:114], v[127:128], v[9:10]
	s_waitcnt vmcnt(2)
	s_delay_alu instid0(VALU_DEP_1)
	v_fma_f64 v[115:116], v[115:116], v[129:130], v[9:10]
	ds_load_b128 v[9:12], v1 offset:752
	ds_load_b128 v[111:114], v1 offset:768
	s_waitcnt lgkmcnt(1)
	v_fma_f64 v[9:10], v[117:118], v[9:10], v[115:116]
	s_waitcnt vmcnt(1)
	s_delay_alu instid0(VALU_DEP_1) | instskip(SKIP_1) | instid1(VALU_DEP_1)
	v_fma_f64 v[9:10], v[119:120], v[11:12], v[9:10]
	s_waitcnt lgkmcnt(0)
	v_fma_f64 v[9:10], v[121:122], v[111:112], v[9:10]
	s_waitcnt vmcnt(0)
	s_delay_alu instid0(VALU_DEP_1) | instskip(SKIP_3) | instid1(VALU_DEP_1)
	v_fma_f64 v[4:5], v[4:5], v[113:114], v[9:10]
	ds_load_b64 v[9:10], v1 offset:784
	s_waitcnt lgkmcnt(0)
	v_fma_f64 v[4:5], v[6:7], v[9:10], v[4:5]
	v_add_f64 v[2:3], v[2:3], -v[4:5]
	scratch_store_b64 off, v[2:3], off offset:216
	v_cmpx_lt_u32_e32 26, v0
	s_cbranch_execz .LBB112_251
; %bb.250:
	scratch_load_b64 v[3:4], off, off offset:208
	v_mov_b32_e32 v2, v1
	scratch_store_b64 off, v[1:2], off offset:208
	s_waitcnt vmcnt(0)
	ds_store_b64 v8, v[3:4]
.LBB112_251:
	s_or_b32 exec_lo, exec_lo, s0
	s_waitcnt lgkmcnt(0)
	s_waitcnt_vscnt null, 0x0
	s_barrier
	buffer_gl0_inv
	s_clause 0x4
	scratch_load_b128 v[2:5], off, off offset:208
	scratch_load_b128 v[9:12], off, off offset:224
	;; [unrolled: 1-line block ×5, first 2 shown]
	ds_load_2addr_b64 v[123:126], v1 offset0:77 offset1:78
	ds_load_2addr_b64 v[127:130], v1 offset0:79 offset1:80
	s_mov_b32 s0, exec_lo
	s_waitcnt vmcnt(4) lgkmcnt(1)
	v_fma_f64 v[123:124], v[4:5], v[123:124], 0
	scratch_load_b128 v[4:7], off, off offset:288
	s_waitcnt vmcnt(4)
	v_fma_f64 v[9:10], v[9:10], v[125:126], v[123:124]
	s_waitcnt lgkmcnt(0)
	s_delay_alu instid0(VALU_DEP_1)
	v_fma_f64 v[123:124], v[11:12], v[127:128], v[9:10]
	scratch_load_b128 v[9:12], off, off offset:304
	s_waitcnt vmcnt(4)
	v_fma_f64 v[111:112], v[111:112], v[129:130], v[123:124]
	ds_load_2addr_b64 v[123:126], v1 offset0:81 offset1:82
	ds_load_2addr_b64 v[127:130], v1 offset0:83 offset1:84
	s_waitcnt lgkmcnt(1)
	v_fma_f64 v[123:124], v[113:114], v[123:124], v[111:112]
	scratch_load_b128 v[111:114], off, off offset:320
	s_waitcnt vmcnt(4)
	v_fma_f64 v[115:116], v[115:116], v[125:126], v[123:124]
	s_waitcnt lgkmcnt(0)
	s_delay_alu instid0(VALU_DEP_1)
	v_fma_f64 v[123:124], v[117:118], v[127:128], v[115:116]
	scratch_load_b128 v[115:118], off, off offset:336
	s_waitcnt vmcnt(4)
	v_fma_f64 v[119:120], v[119:120], v[129:130], v[123:124]
	ds_load_2addr_b64 v[123:126], v1 offset0:85 offset1:86
	ds_load_2addr_b64 v[127:130], v1 offset0:87 offset1:88
	s_waitcnt lgkmcnt(1)
	;; [unrolled: 13-line block ×3, first 2 shown]
	v_fma_f64 v[9:10], v[11:12], v[123:124], v[9:10]
	scratch_load_b64 v[123:124], off, off offset:384
	s_waitcnt vmcnt(4)
	v_fma_f64 v[9:10], v[111:112], v[125:126], v[9:10]
	s_waitcnt lgkmcnt(0)
	s_delay_alu instid0(VALU_DEP_1) | instskip(SKIP_1) | instid1(VALU_DEP_1)
	v_fma_f64 v[9:10], v[113:114], v[127:128], v[9:10]
	s_waitcnt vmcnt(3)
	v_fma_f64 v[115:116], v[115:116], v[129:130], v[9:10]
	ds_load_2addr_b64 v[9:12], v1 offset0:93 offset1:94
	ds_load_2addr_b64 v[111:114], v1 offset0:95 offset1:96
	s_waitcnt lgkmcnt(1)
	v_fma_f64 v[9:10], v[117:118], v[9:10], v[115:116]
	s_waitcnt vmcnt(2)
	s_delay_alu instid0(VALU_DEP_1) | instskip(SKIP_1) | instid1(VALU_DEP_1)
	v_fma_f64 v[9:10], v[119:120], v[11:12], v[9:10]
	s_waitcnt lgkmcnt(0)
	v_fma_f64 v[9:10], v[121:122], v[111:112], v[9:10]
	s_waitcnt vmcnt(1)
	s_delay_alu instid0(VALU_DEP_1) | instskip(SKIP_4) | instid1(VALU_DEP_1)
	v_fma_f64 v[4:5], v[4:5], v[113:114], v[9:10]
	ds_load_2addr_b64 v[9:12], v1 offset0:97 offset1:98
	s_waitcnt lgkmcnt(0)
	v_fma_f64 v[4:5], v[6:7], v[9:10], v[4:5]
	s_waitcnt vmcnt(0)
	v_fma_f64 v[4:5], v[123:124], v[11:12], v[4:5]
	s_delay_alu instid0(VALU_DEP_1)
	v_add_f64 v[1:2], v[2:3], -v[4:5]
	scratch_store_b64 off, v[1:2], off offset:208
	v_cmpx_lt_u32_e32 25, v0
	s_cbranch_execz .LBB112_253
; %bb.252:
	scratch_load_b64 v[1:2], off, off offset:200
	v_mov_b32_e32 v3, 0
	s_delay_alu instid0(VALU_DEP_1)
	v_mov_b32_e32 v4, v3
	scratch_store_b64 off, v[3:4], off offset:200
	s_waitcnt vmcnt(0)
	ds_store_b64 v8, v[1:2]
.LBB112_253:
	s_or_b32 exec_lo, exec_lo, s0
	s_waitcnt lgkmcnt(0)
	s_waitcnt_vscnt null, 0x0
	s_barrier
	buffer_gl0_inv
	s_clause 0x4
	scratch_load_b128 v[2:5], off, off offset:200
	scratch_load_b128 v[9:12], off, off offset:216
	;; [unrolled: 1-line block ×5, first 2 shown]
	v_mov_b32_e32 v1, 0
	ds_load_b128 v[123:126], v1 offset:608
	ds_load_b128 v[127:130], v1 offset:624
	s_mov_b32 s0, exec_lo
	s_waitcnt vmcnt(4) lgkmcnt(1)
	v_fma_f64 v[123:124], v[4:5], v[123:124], 0
	scratch_load_b128 v[4:7], off, off offset:280
	s_waitcnt vmcnt(4)
	v_fma_f64 v[9:10], v[9:10], v[125:126], v[123:124]
	s_waitcnt lgkmcnt(0)
	s_delay_alu instid0(VALU_DEP_1)
	v_fma_f64 v[123:124], v[11:12], v[127:128], v[9:10]
	scratch_load_b128 v[9:12], off, off offset:296
	s_waitcnt vmcnt(4)
	v_fma_f64 v[111:112], v[111:112], v[129:130], v[123:124]
	ds_load_b128 v[123:126], v1 offset:640
	ds_load_b128 v[127:130], v1 offset:656
	s_waitcnt lgkmcnt(1)
	v_fma_f64 v[123:124], v[113:114], v[123:124], v[111:112]
	scratch_load_b128 v[111:114], off, off offset:312
	s_waitcnt vmcnt(4)
	v_fma_f64 v[115:116], v[115:116], v[125:126], v[123:124]
	s_waitcnt lgkmcnt(0)
	s_delay_alu instid0(VALU_DEP_1)
	v_fma_f64 v[123:124], v[117:118], v[127:128], v[115:116]
	scratch_load_b128 v[115:118], off, off offset:328
	s_waitcnt vmcnt(4)
	v_fma_f64 v[119:120], v[119:120], v[129:130], v[123:124]
	ds_load_b128 v[123:126], v1 offset:672
	ds_load_b128 v[127:130], v1 offset:688
	s_waitcnt lgkmcnt(1)
	;; [unrolled: 13-line block ×3, first 2 shown]
	v_fma_f64 v[123:124], v[11:12], v[123:124], v[9:10]
	scratch_load_b128 v[9:12], off, off offset:376
	s_waitcnt vmcnt(4)
	v_fma_f64 v[111:112], v[111:112], v[125:126], v[123:124]
	s_waitcnt lgkmcnt(0)
	s_delay_alu instid0(VALU_DEP_1) | instskip(SKIP_1) | instid1(VALU_DEP_1)
	v_fma_f64 v[111:112], v[113:114], v[127:128], v[111:112]
	s_waitcnt vmcnt(3)
	v_fma_f64 v[115:116], v[115:116], v[129:130], v[111:112]
	ds_load_b128 v[111:114], v1 offset:736
	ds_load_b128 v[123:126], v1 offset:752
	s_waitcnt lgkmcnt(1)
	v_fma_f64 v[111:112], v[117:118], v[111:112], v[115:116]
	s_waitcnt vmcnt(2)
	s_delay_alu instid0(VALU_DEP_1) | instskip(SKIP_1) | instid1(VALU_DEP_1)
	v_fma_f64 v[111:112], v[119:120], v[113:114], v[111:112]
	s_waitcnt lgkmcnt(0)
	v_fma_f64 v[111:112], v[121:122], v[123:124], v[111:112]
	s_waitcnt vmcnt(1)
	s_delay_alu instid0(VALU_DEP_1)
	v_fma_f64 v[4:5], v[4:5], v[125:126], v[111:112]
	ds_load_b128 v[111:114], v1 offset:768
	ds_load_b64 v[115:116], v1 offset:784
	s_waitcnt lgkmcnt(1)
	v_fma_f64 v[4:5], v[6:7], v[111:112], v[4:5]
	s_waitcnt vmcnt(0)
	s_delay_alu instid0(VALU_DEP_1) | instskip(SKIP_1) | instid1(VALU_DEP_1)
	v_fma_f64 v[4:5], v[9:10], v[113:114], v[4:5]
	s_waitcnt lgkmcnt(0)
	v_fma_f64 v[4:5], v[11:12], v[115:116], v[4:5]
	s_delay_alu instid0(VALU_DEP_1)
	v_add_f64 v[2:3], v[2:3], -v[4:5]
	scratch_store_b64 off, v[2:3], off offset:200
	v_cmpx_lt_u32_e32 24, v0
	s_cbranch_execz .LBB112_255
; %bb.254:
	scratch_load_b64 v[3:4], off, off offset:192
	v_mov_b32_e32 v2, v1
	scratch_store_b64 off, v[1:2], off offset:192
	s_waitcnt vmcnt(0)
	ds_store_b64 v8, v[3:4]
.LBB112_255:
	s_or_b32 exec_lo, exec_lo, s0
	s_waitcnt lgkmcnt(0)
	s_waitcnt_vscnt null, 0x0
	s_barrier
	buffer_gl0_inv
	s_clause 0x4
	scratch_load_b128 v[2:5], off, off offset:192
	scratch_load_b128 v[9:12], off, off offset:208
	;; [unrolled: 1-line block ×5, first 2 shown]
	ds_load_2addr_b64 v[123:126], v1 offset0:75 offset1:76
	ds_load_2addr_b64 v[127:130], v1 offset0:77 offset1:78
	s_mov_b32 s0, exec_lo
	s_waitcnt vmcnt(4) lgkmcnt(1)
	v_fma_f64 v[123:124], v[4:5], v[123:124], 0
	scratch_load_b128 v[4:7], off, off offset:272
	s_waitcnt vmcnt(4)
	v_fma_f64 v[9:10], v[9:10], v[125:126], v[123:124]
	s_waitcnt lgkmcnt(0)
	s_delay_alu instid0(VALU_DEP_1)
	v_fma_f64 v[123:124], v[11:12], v[127:128], v[9:10]
	scratch_load_b128 v[9:12], off, off offset:288
	s_waitcnt vmcnt(4)
	v_fma_f64 v[111:112], v[111:112], v[129:130], v[123:124]
	ds_load_2addr_b64 v[123:126], v1 offset0:79 offset1:80
	ds_load_2addr_b64 v[127:130], v1 offset0:81 offset1:82
	s_waitcnt lgkmcnt(1)
	v_fma_f64 v[123:124], v[113:114], v[123:124], v[111:112]
	scratch_load_b128 v[111:114], off, off offset:304
	s_waitcnt vmcnt(4)
	v_fma_f64 v[115:116], v[115:116], v[125:126], v[123:124]
	s_waitcnt lgkmcnt(0)
	s_delay_alu instid0(VALU_DEP_1)
	v_fma_f64 v[123:124], v[117:118], v[127:128], v[115:116]
	scratch_load_b128 v[115:118], off, off offset:320
	s_waitcnt vmcnt(4)
	v_fma_f64 v[119:120], v[119:120], v[129:130], v[123:124]
	ds_load_2addr_b64 v[123:126], v1 offset0:83 offset1:84
	ds_load_2addr_b64 v[127:130], v1 offset0:85 offset1:86
	s_waitcnt lgkmcnt(1)
	;; [unrolled: 13-line block ×3, first 2 shown]
	v_fma_f64 v[123:124], v[11:12], v[123:124], v[9:10]
	scratch_load_b128 v[9:12], off, off offset:368
	s_waitcnt vmcnt(4)
	v_fma_f64 v[111:112], v[111:112], v[125:126], v[123:124]
	s_waitcnt lgkmcnt(0)
	s_delay_alu instid0(VALU_DEP_1)
	v_fma_f64 v[111:112], v[113:114], v[127:128], v[111:112]
	scratch_load_b64 v[127:128], off, off offset:384
	s_waitcnt vmcnt(4)
	v_fma_f64 v[115:116], v[115:116], v[129:130], v[111:112]
	ds_load_2addr_b64 v[111:114], v1 offset0:91 offset1:92
	ds_load_2addr_b64 v[123:126], v1 offset0:93 offset1:94
	s_waitcnt lgkmcnt(1)
	v_fma_f64 v[111:112], v[117:118], v[111:112], v[115:116]
	s_waitcnt vmcnt(3)
	s_delay_alu instid0(VALU_DEP_1) | instskip(SKIP_1) | instid1(VALU_DEP_1)
	v_fma_f64 v[111:112], v[119:120], v[113:114], v[111:112]
	s_waitcnt lgkmcnt(0)
	v_fma_f64 v[111:112], v[121:122], v[123:124], v[111:112]
	s_waitcnt vmcnt(2)
	s_delay_alu instid0(VALU_DEP_1)
	v_fma_f64 v[4:5], v[4:5], v[125:126], v[111:112]
	ds_load_2addr_b64 v[111:114], v1 offset0:95 offset1:96
	ds_load_2addr_b64 v[115:118], v1 offset0:97 offset1:98
	s_waitcnt lgkmcnt(1)
	v_fma_f64 v[4:5], v[6:7], v[111:112], v[4:5]
	s_waitcnt vmcnt(1)
	s_delay_alu instid0(VALU_DEP_1) | instskip(SKIP_1) | instid1(VALU_DEP_1)
	v_fma_f64 v[4:5], v[9:10], v[113:114], v[4:5]
	s_waitcnt lgkmcnt(0)
	v_fma_f64 v[4:5], v[11:12], v[115:116], v[4:5]
	s_waitcnt vmcnt(0)
	s_delay_alu instid0(VALU_DEP_1) | instskip(NEXT) | instid1(VALU_DEP_1)
	v_fma_f64 v[4:5], v[127:128], v[117:118], v[4:5]
	v_add_f64 v[1:2], v[2:3], -v[4:5]
	scratch_store_b64 off, v[1:2], off offset:192
	v_cmpx_lt_u32_e32 23, v0
	s_cbranch_execz .LBB112_257
; %bb.256:
	scratch_load_b64 v[1:2], off, off offset:184
	v_mov_b32_e32 v3, 0
	s_delay_alu instid0(VALU_DEP_1)
	v_mov_b32_e32 v4, v3
	scratch_store_b64 off, v[3:4], off offset:184
	s_waitcnt vmcnt(0)
	ds_store_b64 v8, v[1:2]
.LBB112_257:
	s_or_b32 exec_lo, exec_lo, s0
	s_waitcnt lgkmcnt(0)
	s_waitcnt_vscnt null, 0x0
	s_barrier
	buffer_gl0_inv
	s_clause 0x4
	scratch_load_b128 v[2:5], off, off offset:184
	scratch_load_b128 v[9:12], off, off offset:200
	;; [unrolled: 1-line block ×5, first 2 shown]
	v_mov_b32_e32 v1, 0
	ds_load_b128 v[123:126], v1 offset:592
	ds_load_b128 v[127:130], v1 offset:608
	s_mov_b32 s0, exec_lo
	s_waitcnt vmcnt(4) lgkmcnt(1)
	v_fma_f64 v[123:124], v[4:5], v[123:124], 0
	scratch_load_b128 v[4:7], off, off offset:264
	s_waitcnt vmcnt(4)
	v_fma_f64 v[9:10], v[9:10], v[125:126], v[123:124]
	s_waitcnt lgkmcnt(0)
	s_delay_alu instid0(VALU_DEP_1)
	v_fma_f64 v[123:124], v[11:12], v[127:128], v[9:10]
	scratch_load_b128 v[9:12], off, off offset:280
	s_waitcnt vmcnt(4)
	v_fma_f64 v[111:112], v[111:112], v[129:130], v[123:124]
	ds_load_b128 v[123:126], v1 offset:624
	ds_load_b128 v[127:130], v1 offset:640
	s_waitcnt lgkmcnt(1)
	v_fma_f64 v[123:124], v[113:114], v[123:124], v[111:112]
	scratch_load_b128 v[111:114], off, off offset:296
	s_waitcnt vmcnt(4)
	v_fma_f64 v[115:116], v[115:116], v[125:126], v[123:124]
	s_waitcnt lgkmcnt(0)
	s_delay_alu instid0(VALU_DEP_1)
	v_fma_f64 v[123:124], v[117:118], v[127:128], v[115:116]
	scratch_load_b128 v[115:118], off, off offset:312
	s_waitcnt vmcnt(4)
	v_fma_f64 v[119:120], v[119:120], v[129:130], v[123:124]
	ds_load_b128 v[123:126], v1 offset:656
	ds_load_b128 v[127:130], v1 offset:672
	s_waitcnt lgkmcnt(1)
	;; [unrolled: 13-line block ×4, first 2 shown]
	v_fma_f64 v[115:116], v[117:118], v[123:124], v[115:116]
	s_waitcnt vmcnt(3)
	s_delay_alu instid0(VALU_DEP_1) | instskip(SKIP_1) | instid1(VALU_DEP_1)
	v_fma_f64 v[115:116], v[119:120], v[125:126], v[115:116]
	s_waitcnt lgkmcnt(0)
	v_fma_f64 v[115:116], v[121:122], v[127:128], v[115:116]
	s_waitcnt vmcnt(2)
	s_delay_alu instid0(VALU_DEP_1)
	v_fma_f64 v[4:5], v[4:5], v[129:130], v[115:116]
	ds_load_b128 v[115:118], v1 offset:752
	ds_load_b128 v[119:122], v1 offset:768
	s_waitcnt lgkmcnt(1)
	v_fma_f64 v[4:5], v[6:7], v[115:116], v[4:5]
	ds_load_b64 v[6:7], v1 offset:784
	s_waitcnt vmcnt(1)
	v_fma_f64 v[4:5], v[9:10], v[117:118], v[4:5]
	s_waitcnt lgkmcnt(1)
	s_delay_alu instid0(VALU_DEP_1) | instskip(SKIP_1) | instid1(VALU_DEP_1)
	v_fma_f64 v[4:5], v[11:12], v[119:120], v[4:5]
	s_waitcnt vmcnt(0)
	v_fma_f64 v[4:5], v[111:112], v[121:122], v[4:5]
	s_waitcnt lgkmcnt(0)
	s_delay_alu instid0(VALU_DEP_1) | instskip(NEXT) | instid1(VALU_DEP_1)
	v_fma_f64 v[4:5], v[113:114], v[6:7], v[4:5]
	v_add_f64 v[2:3], v[2:3], -v[4:5]
	scratch_store_b64 off, v[2:3], off offset:184
	v_cmpx_lt_u32_e32 22, v0
	s_cbranch_execz .LBB112_259
; %bb.258:
	scratch_load_b64 v[3:4], off, off offset:176
	v_mov_b32_e32 v2, v1
	scratch_store_b64 off, v[1:2], off offset:176
	s_waitcnt vmcnt(0)
	ds_store_b64 v8, v[3:4]
.LBB112_259:
	s_or_b32 exec_lo, exec_lo, s0
	s_waitcnt lgkmcnt(0)
	s_waitcnt_vscnt null, 0x0
	s_barrier
	buffer_gl0_inv
	s_clause 0x4
	scratch_load_b128 v[2:5], off, off offset:176
	scratch_load_b128 v[9:12], off, off offset:192
	;; [unrolled: 1-line block ×5, first 2 shown]
	ds_load_2addr_b64 v[123:126], v1 offset0:73 offset1:74
	ds_load_2addr_b64 v[127:130], v1 offset0:75 offset1:76
	s_mov_b32 s0, exec_lo
	s_waitcnt vmcnt(4) lgkmcnt(1)
	v_fma_f64 v[123:124], v[4:5], v[123:124], 0
	scratch_load_b128 v[4:7], off, off offset:256
	s_waitcnt vmcnt(4)
	v_fma_f64 v[9:10], v[9:10], v[125:126], v[123:124]
	s_waitcnt lgkmcnt(0)
	s_delay_alu instid0(VALU_DEP_1)
	v_fma_f64 v[123:124], v[11:12], v[127:128], v[9:10]
	scratch_load_b128 v[9:12], off, off offset:272
	s_waitcnt vmcnt(4)
	v_fma_f64 v[111:112], v[111:112], v[129:130], v[123:124]
	ds_load_2addr_b64 v[123:126], v1 offset0:77 offset1:78
	ds_load_2addr_b64 v[127:130], v1 offset0:79 offset1:80
	s_waitcnt lgkmcnt(1)
	v_fma_f64 v[123:124], v[113:114], v[123:124], v[111:112]
	scratch_load_b128 v[111:114], off, off offset:288
	s_waitcnt vmcnt(4)
	v_fma_f64 v[115:116], v[115:116], v[125:126], v[123:124]
	s_waitcnt lgkmcnt(0)
	s_delay_alu instid0(VALU_DEP_1)
	v_fma_f64 v[123:124], v[117:118], v[127:128], v[115:116]
	scratch_load_b128 v[115:118], off, off offset:304
	s_waitcnt vmcnt(4)
	v_fma_f64 v[119:120], v[119:120], v[129:130], v[123:124]
	ds_load_2addr_b64 v[123:126], v1 offset0:81 offset1:82
	ds_load_2addr_b64 v[127:130], v1 offset0:83 offset1:84
	s_waitcnt lgkmcnt(1)
	v_fma_f64 v[123:124], v[121:122], v[123:124], v[119:120]
	scratch_load_b128 v[119:122], off, off offset:320
	s_waitcnt vmcnt(4)
	v_fma_f64 v[4:5], v[4:5], v[125:126], v[123:124]
	s_waitcnt lgkmcnt(0)
	s_delay_alu instid0(VALU_DEP_1)
	v_fma_f64 v[123:124], v[6:7], v[127:128], v[4:5]
	scratch_load_b128 v[4:7], off, off offset:336
	s_waitcnt vmcnt(4)
	v_fma_f64 v[9:10], v[9:10], v[129:130], v[123:124]
	ds_load_2addr_b64 v[123:126], v1 offset0:85 offset1:86
	ds_load_2addr_b64 v[127:130], v1 offset0:87 offset1:88
	s_waitcnt lgkmcnt(1)
	v_fma_f64 v[123:124], v[11:12], v[123:124], v[9:10]
	scratch_load_b128 v[9:12], off, off offset:352
	s_waitcnt vmcnt(4)
	v_fma_f64 v[111:112], v[111:112], v[125:126], v[123:124]
	s_waitcnt lgkmcnt(0)
	s_delay_alu instid0(VALU_DEP_1)
	v_fma_f64 v[123:124], v[113:114], v[127:128], v[111:112]
	scratch_load_b128 v[111:114], off, off offset:368
	s_waitcnt vmcnt(4)
	v_fma_f64 v[115:116], v[115:116], v[129:130], v[123:124]
	ds_load_2addr_b64 v[123:126], v1 offset0:89 offset1:90
	ds_load_2addr_b64 v[127:130], v1 offset0:91 offset1:92
	s_waitcnt lgkmcnt(1)
	v_fma_f64 v[115:116], v[117:118], v[123:124], v[115:116]
	scratch_load_b64 v[123:124], off, off offset:384
	s_waitcnt vmcnt(4)
	v_fma_f64 v[115:116], v[119:120], v[125:126], v[115:116]
	s_waitcnt lgkmcnt(0)
	s_delay_alu instid0(VALU_DEP_1) | instskip(SKIP_1) | instid1(VALU_DEP_1)
	v_fma_f64 v[115:116], v[121:122], v[127:128], v[115:116]
	s_waitcnt vmcnt(3)
	v_fma_f64 v[4:5], v[4:5], v[129:130], v[115:116]
	ds_load_2addr_b64 v[115:118], v1 offset0:93 offset1:94
	ds_load_2addr_b64 v[119:122], v1 offset0:95 offset1:96
	s_waitcnt lgkmcnt(1)
	v_fma_f64 v[4:5], v[6:7], v[115:116], v[4:5]
	s_waitcnt vmcnt(2)
	s_delay_alu instid0(VALU_DEP_1) | instskip(SKIP_1) | instid1(VALU_DEP_1)
	v_fma_f64 v[4:5], v[9:10], v[117:118], v[4:5]
	s_waitcnt lgkmcnt(0)
	v_fma_f64 v[4:5], v[11:12], v[119:120], v[4:5]
	s_waitcnt vmcnt(1)
	s_delay_alu instid0(VALU_DEP_1) | instskip(SKIP_4) | instid1(VALU_DEP_1)
	v_fma_f64 v[9:10], v[111:112], v[121:122], v[4:5]
	ds_load_2addr_b64 v[4:7], v1 offset0:97 offset1:98
	s_waitcnt lgkmcnt(0)
	v_fma_f64 v[4:5], v[113:114], v[4:5], v[9:10]
	s_waitcnt vmcnt(0)
	v_fma_f64 v[4:5], v[123:124], v[6:7], v[4:5]
	s_delay_alu instid0(VALU_DEP_1)
	v_add_f64 v[1:2], v[2:3], -v[4:5]
	scratch_store_b64 off, v[1:2], off offset:176
	v_cmpx_lt_u32_e32 21, v0
	s_cbranch_execz .LBB112_261
; %bb.260:
	scratch_load_b64 v[1:2], off, off offset:168
	v_mov_b32_e32 v3, 0
	s_delay_alu instid0(VALU_DEP_1)
	v_mov_b32_e32 v4, v3
	scratch_store_b64 off, v[3:4], off offset:168
	s_waitcnt vmcnt(0)
	ds_store_b64 v8, v[1:2]
.LBB112_261:
	s_or_b32 exec_lo, exec_lo, s0
	s_waitcnt lgkmcnt(0)
	s_waitcnt_vscnt null, 0x0
	s_barrier
	buffer_gl0_inv
	s_clause 0x4
	scratch_load_b128 v[2:5], off, off offset:168
	scratch_load_b128 v[9:12], off, off offset:184
	scratch_load_b128 v[111:114], off, off offset:200
	scratch_load_b128 v[115:118], off, off offset:216
	scratch_load_b128 v[119:122], off, off offset:232
	v_mov_b32_e32 v1, 0
	ds_load_b128 v[123:126], v1 offset:576
	ds_load_b128 v[127:130], v1 offset:592
	s_mov_b32 s0, exec_lo
	s_waitcnt vmcnt(4) lgkmcnt(1)
	v_fma_f64 v[123:124], v[4:5], v[123:124], 0
	scratch_load_b128 v[4:7], off, off offset:248
	s_waitcnt vmcnt(4)
	v_fma_f64 v[9:10], v[9:10], v[125:126], v[123:124]
	s_waitcnt lgkmcnt(0)
	s_delay_alu instid0(VALU_DEP_1)
	v_fma_f64 v[123:124], v[11:12], v[127:128], v[9:10]
	scratch_load_b128 v[9:12], off, off offset:264
	s_waitcnt vmcnt(4)
	v_fma_f64 v[111:112], v[111:112], v[129:130], v[123:124]
	ds_load_b128 v[123:126], v1 offset:608
	ds_load_b128 v[127:130], v1 offset:624
	s_waitcnt lgkmcnt(1)
	v_fma_f64 v[123:124], v[113:114], v[123:124], v[111:112]
	scratch_load_b128 v[111:114], off, off offset:280
	s_waitcnt vmcnt(4)
	v_fma_f64 v[115:116], v[115:116], v[125:126], v[123:124]
	s_waitcnt lgkmcnt(0)
	s_delay_alu instid0(VALU_DEP_1)
	v_fma_f64 v[123:124], v[117:118], v[127:128], v[115:116]
	scratch_load_b128 v[115:118], off, off offset:296
	s_waitcnt vmcnt(4)
	v_fma_f64 v[119:120], v[119:120], v[129:130], v[123:124]
	ds_load_b128 v[123:126], v1 offset:640
	ds_load_b128 v[127:130], v1 offset:656
	s_waitcnt lgkmcnt(1)
	;; [unrolled: 13-line block ×4, first 2 shown]
	v_fma_f64 v[123:124], v[117:118], v[123:124], v[115:116]
	scratch_load_b128 v[115:118], off, off offset:376
	s_waitcnt vmcnt(4)
	v_fma_f64 v[119:120], v[119:120], v[125:126], v[123:124]
	s_waitcnt lgkmcnt(0)
	s_delay_alu instid0(VALU_DEP_1) | instskip(SKIP_1) | instid1(VALU_DEP_1)
	v_fma_f64 v[119:120], v[121:122], v[127:128], v[119:120]
	s_waitcnt vmcnt(3)
	v_fma_f64 v[4:5], v[4:5], v[129:130], v[119:120]
	ds_load_b128 v[119:122], v1 offset:736
	ds_load_b128 v[123:126], v1 offset:752
	s_waitcnt lgkmcnt(1)
	v_fma_f64 v[4:5], v[6:7], v[119:120], v[4:5]
	s_waitcnt vmcnt(2)
	s_delay_alu instid0(VALU_DEP_1) | instskip(SKIP_1) | instid1(VALU_DEP_1)
	v_fma_f64 v[4:5], v[9:10], v[121:122], v[4:5]
	s_waitcnt lgkmcnt(0)
	v_fma_f64 v[4:5], v[11:12], v[123:124], v[4:5]
	s_waitcnt vmcnt(1)
	s_delay_alu instid0(VALU_DEP_1)
	v_fma_f64 v[9:10], v[111:112], v[125:126], v[4:5]
	ds_load_b128 v[4:7], v1 offset:768
	ds_load_b64 v[11:12], v1 offset:784
	s_waitcnt lgkmcnt(1)
	v_fma_f64 v[4:5], v[113:114], v[4:5], v[9:10]
	s_waitcnt vmcnt(0)
	s_delay_alu instid0(VALU_DEP_1) | instskip(SKIP_1) | instid1(VALU_DEP_1)
	v_fma_f64 v[4:5], v[115:116], v[6:7], v[4:5]
	s_waitcnt lgkmcnt(0)
	v_fma_f64 v[4:5], v[117:118], v[11:12], v[4:5]
	s_delay_alu instid0(VALU_DEP_1)
	v_add_f64 v[2:3], v[2:3], -v[4:5]
	scratch_store_b64 off, v[2:3], off offset:168
	v_cmpx_lt_u32_e32 20, v0
	s_cbranch_execz .LBB112_263
; %bb.262:
	scratch_load_b64 v[3:4], off, off offset:160
	v_mov_b32_e32 v2, v1
	scratch_store_b64 off, v[1:2], off offset:160
	s_waitcnt vmcnt(0)
	ds_store_b64 v8, v[3:4]
.LBB112_263:
	s_or_b32 exec_lo, exec_lo, s0
	s_waitcnt lgkmcnt(0)
	s_waitcnt_vscnt null, 0x0
	s_barrier
	buffer_gl0_inv
	s_clause 0x4
	scratch_load_b128 v[2:5], off, off offset:160
	scratch_load_b128 v[9:12], off, off offset:176
	;; [unrolled: 1-line block ×5, first 2 shown]
	ds_load_2addr_b64 v[123:126], v1 offset0:71 offset1:72
	ds_load_2addr_b64 v[127:130], v1 offset0:73 offset1:74
	s_mov_b32 s0, exec_lo
	s_waitcnt vmcnt(4) lgkmcnt(1)
	v_fma_f64 v[123:124], v[4:5], v[123:124], 0
	scratch_load_b128 v[4:7], off, off offset:240
	s_waitcnt vmcnt(4)
	v_fma_f64 v[9:10], v[9:10], v[125:126], v[123:124]
	s_waitcnt lgkmcnt(0)
	s_delay_alu instid0(VALU_DEP_1)
	v_fma_f64 v[123:124], v[11:12], v[127:128], v[9:10]
	scratch_load_b128 v[9:12], off, off offset:256
	s_waitcnt vmcnt(4)
	v_fma_f64 v[111:112], v[111:112], v[129:130], v[123:124]
	ds_load_2addr_b64 v[123:126], v1 offset0:75 offset1:76
	ds_load_2addr_b64 v[127:130], v1 offset0:77 offset1:78
	s_waitcnt lgkmcnt(1)
	v_fma_f64 v[123:124], v[113:114], v[123:124], v[111:112]
	scratch_load_b128 v[111:114], off, off offset:272
	s_waitcnt vmcnt(4)
	v_fma_f64 v[115:116], v[115:116], v[125:126], v[123:124]
	s_waitcnt lgkmcnt(0)
	s_delay_alu instid0(VALU_DEP_1)
	v_fma_f64 v[123:124], v[117:118], v[127:128], v[115:116]
	scratch_load_b128 v[115:118], off, off offset:288
	s_waitcnt vmcnt(4)
	v_fma_f64 v[119:120], v[119:120], v[129:130], v[123:124]
	ds_load_2addr_b64 v[123:126], v1 offset0:79 offset1:80
	ds_load_2addr_b64 v[127:130], v1 offset0:81 offset1:82
	s_waitcnt lgkmcnt(1)
	v_fma_f64 v[123:124], v[121:122], v[123:124], v[119:120]
	scratch_load_b128 v[119:122], off, off offset:304
	s_waitcnt vmcnt(4)
	v_fma_f64 v[4:5], v[4:5], v[125:126], v[123:124]
	s_waitcnt lgkmcnt(0)
	s_delay_alu instid0(VALU_DEP_1)
	v_fma_f64 v[123:124], v[6:7], v[127:128], v[4:5]
	scratch_load_b128 v[4:7], off, off offset:320
	s_waitcnt vmcnt(4)
	v_fma_f64 v[9:10], v[9:10], v[129:130], v[123:124]
	ds_load_2addr_b64 v[123:126], v1 offset0:83 offset1:84
	ds_load_2addr_b64 v[127:130], v1 offset0:85 offset1:86
	s_waitcnt lgkmcnt(1)
	v_fma_f64 v[123:124], v[11:12], v[123:124], v[9:10]
	scratch_load_b128 v[9:12], off, off offset:336
	s_waitcnt vmcnt(4)
	v_fma_f64 v[111:112], v[111:112], v[125:126], v[123:124]
	s_waitcnt lgkmcnt(0)
	s_delay_alu instid0(VALU_DEP_1)
	v_fma_f64 v[123:124], v[113:114], v[127:128], v[111:112]
	scratch_load_b128 v[111:114], off, off offset:352
	s_waitcnt vmcnt(4)
	v_fma_f64 v[115:116], v[115:116], v[129:130], v[123:124]
	ds_load_2addr_b64 v[123:126], v1 offset0:87 offset1:88
	ds_load_2addr_b64 v[127:130], v1 offset0:89 offset1:90
	s_waitcnt lgkmcnt(1)
	v_fma_f64 v[123:124], v[117:118], v[123:124], v[115:116]
	scratch_load_b128 v[115:118], off, off offset:368
	s_waitcnt vmcnt(4)
	v_fma_f64 v[119:120], v[119:120], v[125:126], v[123:124]
	s_waitcnt lgkmcnt(0)
	s_delay_alu instid0(VALU_DEP_1)
	v_fma_f64 v[119:120], v[121:122], v[127:128], v[119:120]
	scratch_load_b64 v[127:128], off, off offset:384
	s_waitcnt vmcnt(4)
	v_fma_f64 v[4:5], v[4:5], v[129:130], v[119:120]
	ds_load_2addr_b64 v[119:122], v1 offset0:91 offset1:92
	ds_load_2addr_b64 v[123:126], v1 offset0:93 offset1:94
	s_waitcnt lgkmcnt(1)
	v_fma_f64 v[4:5], v[6:7], v[119:120], v[4:5]
	s_waitcnt vmcnt(3)
	s_delay_alu instid0(VALU_DEP_1) | instskip(SKIP_1) | instid1(VALU_DEP_1)
	v_fma_f64 v[4:5], v[9:10], v[121:122], v[4:5]
	s_waitcnt lgkmcnt(0)
	v_fma_f64 v[4:5], v[11:12], v[123:124], v[4:5]
	s_waitcnt vmcnt(2)
	s_delay_alu instid0(VALU_DEP_1)
	v_fma_f64 v[111:112], v[111:112], v[125:126], v[4:5]
	ds_load_2addr_b64 v[4:7], v1 offset0:95 offset1:96
	ds_load_2addr_b64 v[9:12], v1 offset0:97 offset1:98
	s_waitcnt lgkmcnt(1)
	v_fma_f64 v[4:5], v[113:114], v[4:5], v[111:112]
	s_waitcnt vmcnt(1)
	s_delay_alu instid0(VALU_DEP_1) | instskip(SKIP_1) | instid1(VALU_DEP_1)
	v_fma_f64 v[4:5], v[115:116], v[6:7], v[4:5]
	s_waitcnt lgkmcnt(0)
	v_fma_f64 v[4:5], v[117:118], v[9:10], v[4:5]
	s_waitcnt vmcnt(0)
	s_delay_alu instid0(VALU_DEP_1) | instskip(NEXT) | instid1(VALU_DEP_1)
	v_fma_f64 v[4:5], v[127:128], v[11:12], v[4:5]
	v_add_f64 v[1:2], v[2:3], -v[4:5]
	scratch_store_b64 off, v[1:2], off offset:160
	v_cmpx_lt_u32_e32 19, v0
	s_cbranch_execz .LBB112_265
; %bb.264:
	scratch_load_b64 v[1:2], off, off offset:152
	v_mov_b32_e32 v3, 0
	s_delay_alu instid0(VALU_DEP_1)
	v_mov_b32_e32 v4, v3
	scratch_store_b64 off, v[3:4], off offset:152
	s_waitcnt vmcnt(0)
	ds_store_b64 v8, v[1:2]
.LBB112_265:
	s_or_b32 exec_lo, exec_lo, s0
	s_waitcnt lgkmcnt(0)
	s_waitcnt_vscnt null, 0x0
	s_barrier
	buffer_gl0_inv
	s_clause 0x4
	scratch_load_b128 v[2:5], off, off offset:152
	scratch_load_b128 v[9:12], off, off offset:168
	;; [unrolled: 1-line block ×5, first 2 shown]
	v_mov_b32_e32 v1, 0
	ds_load_b128 v[123:126], v1 offset:560
	ds_load_b128 v[127:130], v1 offset:576
	s_mov_b32 s0, exec_lo
	s_waitcnt vmcnt(4) lgkmcnt(1)
	v_fma_f64 v[123:124], v[4:5], v[123:124], 0
	scratch_load_b128 v[4:7], off, off offset:232
	s_waitcnt vmcnt(4)
	v_fma_f64 v[9:10], v[9:10], v[125:126], v[123:124]
	s_waitcnt lgkmcnt(0)
	s_delay_alu instid0(VALU_DEP_1)
	v_fma_f64 v[123:124], v[11:12], v[127:128], v[9:10]
	scratch_load_b128 v[9:12], off, off offset:248
	s_waitcnt vmcnt(4)
	v_fma_f64 v[111:112], v[111:112], v[129:130], v[123:124]
	ds_load_b128 v[123:126], v1 offset:592
	ds_load_b128 v[127:130], v1 offset:608
	s_waitcnt lgkmcnt(1)
	v_fma_f64 v[123:124], v[113:114], v[123:124], v[111:112]
	scratch_load_b128 v[111:114], off, off offset:264
	s_waitcnt vmcnt(4)
	v_fma_f64 v[115:116], v[115:116], v[125:126], v[123:124]
	s_waitcnt lgkmcnt(0)
	s_delay_alu instid0(VALU_DEP_1)
	v_fma_f64 v[123:124], v[117:118], v[127:128], v[115:116]
	scratch_load_b128 v[115:118], off, off offset:280
	s_waitcnt vmcnt(4)
	v_fma_f64 v[119:120], v[119:120], v[129:130], v[123:124]
	ds_load_b128 v[123:126], v1 offset:624
	ds_load_b128 v[127:130], v1 offset:640
	s_waitcnt lgkmcnt(1)
	v_fma_f64 v[123:124], v[121:122], v[123:124], v[119:120]
	scratch_load_b128 v[119:122], off, off offset:296
	s_waitcnt vmcnt(4)
	v_fma_f64 v[4:5], v[4:5], v[125:126], v[123:124]
	s_waitcnt lgkmcnt(0)
	s_delay_alu instid0(VALU_DEP_1)
	v_fma_f64 v[123:124], v[6:7], v[127:128], v[4:5]
	scratch_load_b128 v[4:7], off, off offset:312
	s_waitcnt vmcnt(4)
	v_fma_f64 v[9:10], v[9:10], v[129:130], v[123:124]
	ds_load_b128 v[123:126], v1 offset:656
	ds_load_b128 v[127:130], v1 offset:672
	s_waitcnt lgkmcnt(1)
	v_fma_f64 v[123:124], v[11:12], v[123:124], v[9:10]
	scratch_load_b128 v[9:12], off, off offset:328
	s_waitcnt vmcnt(4)
	v_fma_f64 v[111:112], v[111:112], v[125:126], v[123:124]
	s_waitcnt lgkmcnt(0)
	s_delay_alu instid0(VALU_DEP_1)
	v_fma_f64 v[123:124], v[113:114], v[127:128], v[111:112]
	scratch_load_b128 v[111:114], off, off offset:344
	s_waitcnt vmcnt(4)
	v_fma_f64 v[115:116], v[115:116], v[129:130], v[123:124]
	ds_load_b128 v[123:126], v1 offset:688
	ds_load_b128 v[127:130], v1 offset:704
	s_waitcnt lgkmcnt(1)
	v_fma_f64 v[123:124], v[117:118], v[123:124], v[115:116]
	scratch_load_b128 v[115:118], off, off offset:360
	s_waitcnt vmcnt(4)
	v_fma_f64 v[119:120], v[119:120], v[125:126], v[123:124]
	s_waitcnt lgkmcnt(0)
	s_delay_alu instid0(VALU_DEP_1)
	v_fma_f64 v[123:124], v[121:122], v[127:128], v[119:120]
	scratch_load_b128 v[119:122], off, off offset:376
	s_waitcnt vmcnt(4)
	v_fma_f64 v[4:5], v[4:5], v[129:130], v[123:124]
	ds_load_b128 v[123:126], v1 offset:720
	ds_load_b128 v[127:130], v1 offset:736
	s_waitcnt lgkmcnt(1)
	v_fma_f64 v[4:5], v[6:7], v[123:124], v[4:5]
	s_waitcnt vmcnt(3)
	s_delay_alu instid0(VALU_DEP_1) | instskip(SKIP_1) | instid1(VALU_DEP_1)
	v_fma_f64 v[4:5], v[9:10], v[125:126], v[4:5]
	s_waitcnt lgkmcnt(0)
	v_fma_f64 v[4:5], v[11:12], v[127:128], v[4:5]
	s_waitcnt vmcnt(2)
	s_delay_alu instid0(VALU_DEP_1)
	v_fma_f64 v[111:112], v[111:112], v[129:130], v[4:5]
	ds_load_b128 v[4:7], v1 offset:752
	ds_load_b128 v[9:12], v1 offset:768
	s_waitcnt lgkmcnt(1)
	v_fma_f64 v[4:5], v[113:114], v[4:5], v[111:112]
	s_waitcnt vmcnt(1)
	s_delay_alu instid0(VALU_DEP_1) | instskip(SKIP_4) | instid1(VALU_DEP_1)
	v_fma_f64 v[4:5], v[115:116], v[6:7], v[4:5]
	ds_load_b64 v[6:7], v1 offset:784
	s_waitcnt lgkmcnt(1)
	v_fma_f64 v[4:5], v[117:118], v[9:10], v[4:5]
	s_waitcnt vmcnt(0)
	v_fma_f64 v[4:5], v[119:120], v[11:12], v[4:5]
	s_waitcnt lgkmcnt(0)
	s_delay_alu instid0(VALU_DEP_1) | instskip(NEXT) | instid1(VALU_DEP_1)
	v_fma_f64 v[4:5], v[121:122], v[6:7], v[4:5]
	v_add_f64 v[2:3], v[2:3], -v[4:5]
	scratch_store_b64 off, v[2:3], off offset:152
	v_cmpx_lt_u32_e32 18, v0
	s_cbranch_execz .LBB112_267
; %bb.266:
	scratch_load_b64 v[3:4], off, off offset:144
	v_mov_b32_e32 v2, v1
	scratch_store_b64 off, v[1:2], off offset:144
	s_waitcnt vmcnt(0)
	ds_store_b64 v8, v[3:4]
.LBB112_267:
	s_or_b32 exec_lo, exec_lo, s0
	s_waitcnt lgkmcnt(0)
	s_waitcnt_vscnt null, 0x0
	s_barrier
	buffer_gl0_inv
	s_clause 0x4
	scratch_load_b128 v[2:5], off, off offset:144
	scratch_load_b128 v[9:12], off, off offset:160
	;; [unrolled: 1-line block ×5, first 2 shown]
	ds_load_2addr_b64 v[123:126], v1 offset0:69 offset1:70
	ds_load_2addr_b64 v[127:130], v1 offset0:71 offset1:72
	s_mov_b32 s0, exec_lo
	s_waitcnt vmcnt(4) lgkmcnt(1)
	v_fma_f64 v[123:124], v[4:5], v[123:124], 0
	scratch_load_b128 v[4:7], off, off offset:224
	s_waitcnt vmcnt(4)
	v_fma_f64 v[9:10], v[9:10], v[125:126], v[123:124]
	s_waitcnt lgkmcnt(0)
	s_delay_alu instid0(VALU_DEP_1)
	v_fma_f64 v[123:124], v[11:12], v[127:128], v[9:10]
	scratch_load_b128 v[9:12], off, off offset:240
	s_waitcnt vmcnt(4)
	v_fma_f64 v[111:112], v[111:112], v[129:130], v[123:124]
	ds_load_2addr_b64 v[123:126], v1 offset0:73 offset1:74
	ds_load_2addr_b64 v[127:130], v1 offset0:75 offset1:76
	s_waitcnt lgkmcnt(1)
	v_fma_f64 v[123:124], v[113:114], v[123:124], v[111:112]
	scratch_load_b128 v[111:114], off, off offset:256
	s_waitcnt vmcnt(4)
	v_fma_f64 v[115:116], v[115:116], v[125:126], v[123:124]
	s_waitcnt lgkmcnt(0)
	s_delay_alu instid0(VALU_DEP_1)
	v_fma_f64 v[123:124], v[117:118], v[127:128], v[115:116]
	scratch_load_b128 v[115:118], off, off offset:272
	s_waitcnt vmcnt(4)
	v_fma_f64 v[119:120], v[119:120], v[129:130], v[123:124]
	ds_load_2addr_b64 v[123:126], v1 offset0:77 offset1:78
	ds_load_2addr_b64 v[127:130], v1 offset0:79 offset1:80
	s_waitcnt lgkmcnt(1)
	;; [unrolled: 13-line block ×5, first 2 shown]
	v_fma_f64 v[4:5], v[6:7], v[123:124], v[4:5]
	scratch_load_b64 v[123:124], off, off offset:384
	s_waitcnt vmcnt(4)
	v_fma_f64 v[4:5], v[9:10], v[125:126], v[4:5]
	s_waitcnt lgkmcnt(0)
	s_delay_alu instid0(VALU_DEP_1) | instskip(SKIP_1) | instid1(VALU_DEP_1)
	v_fma_f64 v[4:5], v[11:12], v[127:128], v[4:5]
	s_waitcnt vmcnt(3)
	v_fma_f64 v[111:112], v[111:112], v[129:130], v[4:5]
	ds_load_2addr_b64 v[4:7], v1 offset0:93 offset1:94
	ds_load_2addr_b64 v[9:12], v1 offset0:95 offset1:96
	s_waitcnt lgkmcnt(1)
	v_fma_f64 v[4:5], v[113:114], v[4:5], v[111:112]
	s_waitcnt vmcnt(2)
	s_delay_alu instid0(VALU_DEP_1) | instskip(SKIP_1) | instid1(VALU_DEP_1)
	v_fma_f64 v[4:5], v[115:116], v[6:7], v[4:5]
	s_waitcnt lgkmcnt(0)
	v_fma_f64 v[4:5], v[117:118], v[9:10], v[4:5]
	s_waitcnt vmcnt(1)
	s_delay_alu instid0(VALU_DEP_1) | instskip(SKIP_4) | instid1(VALU_DEP_1)
	v_fma_f64 v[9:10], v[119:120], v[11:12], v[4:5]
	ds_load_2addr_b64 v[4:7], v1 offset0:97 offset1:98
	s_waitcnt lgkmcnt(0)
	v_fma_f64 v[4:5], v[121:122], v[4:5], v[9:10]
	s_waitcnt vmcnt(0)
	v_fma_f64 v[4:5], v[123:124], v[6:7], v[4:5]
	s_delay_alu instid0(VALU_DEP_1)
	v_add_f64 v[1:2], v[2:3], -v[4:5]
	scratch_store_b64 off, v[1:2], off offset:144
	v_cmpx_lt_u32_e32 17, v0
	s_cbranch_execz .LBB112_269
; %bb.268:
	scratch_load_b64 v[1:2], off, off offset:136
	v_mov_b32_e32 v3, 0
	s_delay_alu instid0(VALU_DEP_1)
	v_mov_b32_e32 v4, v3
	scratch_store_b64 off, v[3:4], off offset:136
	s_waitcnt vmcnt(0)
	ds_store_b64 v8, v[1:2]
.LBB112_269:
	s_or_b32 exec_lo, exec_lo, s0
	s_waitcnt lgkmcnt(0)
	s_waitcnt_vscnt null, 0x0
	s_barrier
	buffer_gl0_inv
	s_clause 0x4
	scratch_load_b128 v[2:5], off, off offset:136
	scratch_load_b128 v[9:12], off, off offset:152
	;; [unrolled: 1-line block ×5, first 2 shown]
	v_mov_b32_e32 v1, 0
	ds_load_b128 v[123:126], v1 offset:544
	ds_load_b128 v[127:130], v1 offset:560
	s_mov_b32 s0, exec_lo
	s_waitcnt vmcnt(4) lgkmcnt(1)
	v_fma_f64 v[123:124], v[4:5], v[123:124], 0
	scratch_load_b128 v[4:7], off, off offset:216
	s_waitcnt vmcnt(4)
	v_fma_f64 v[9:10], v[9:10], v[125:126], v[123:124]
	s_waitcnt lgkmcnt(0)
	s_delay_alu instid0(VALU_DEP_1)
	v_fma_f64 v[123:124], v[11:12], v[127:128], v[9:10]
	scratch_load_b128 v[9:12], off, off offset:232
	s_waitcnt vmcnt(4)
	v_fma_f64 v[111:112], v[111:112], v[129:130], v[123:124]
	ds_load_b128 v[123:126], v1 offset:576
	ds_load_b128 v[127:130], v1 offset:592
	s_waitcnt lgkmcnt(1)
	v_fma_f64 v[123:124], v[113:114], v[123:124], v[111:112]
	scratch_load_b128 v[111:114], off, off offset:248
	s_waitcnt vmcnt(4)
	v_fma_f64 v[115:116], v[115:116], v[125:126], v[123:124]
	s_waitcnt lgkmcnt(0)
	s_delay_alu instid0(VALU_DEP_1)
	v_fma_f64 v[123:124], v[117:118], v[127:128], v[115:116]
	scratch_load_b128 v[115:118], off, off offset:264
	s_waitcnt vmcnt(4)
	v_fma_f64 v[119:120], v[119:120], v[129:130], v[123:124]
	ds_load_b128 v[123:126], v1 offset:608
	ds_load_b128 v[127:130], v1 offset:624
	s_waitcnt lgkmcnt(1)
	;; [unrolled: 13-line block ×5, first 2 shown]
	v_fma_f64 v[123:124], v[6:7], v[123:124], v[4:5]
	scratch_load_b128 v[4:7], off, off offset:376
	s_waitcnt vmcnt(4)
	v_fma_f64 v[9:10], v[9:10], v[125:126], v[123:124]
	s_waitcnt lgkmcnt(0)
	s_delay_alu instid0(VALU_DEP_1) | instskip(SKIP_1) | instid1(VALU_DEP_1)
	v_fma_f64 v[9:10], v[11:12], v[127:128], v[9:10]
	s_waitcnt vmcnt(3)
	v_fma_f64 v[111:112], v[111:112], v[129:130], v[9:10]
	ds_load_b128 v[9:12], v1 offset:736
	ds_load_b128 v[123:126], v1 offset:752
	s_waitcnt lgkmcnt(1)
	v_fma_f64 v[9:10], v[113:114], v[9:10], v[111:112]
	s_waitcnt vmcnt(2)
	s_delay_alu instid0(VALU_DEP_1) | instskip(SKIP_1) | instid1(VALU_DEP_1)
	v_fma_f64 v[9:10], v[115:116], v[11:12], v[9:10]
	s_waitcnt lgkmcnt(0)
	v_fma_f64 v[9:10], v[117:118], v[123:124], v[9:10]
	s_waitcnt vmcnt(1)
	s_delay_alu instid0(VALU_DEP_1)
	v_fma_f64 v[111:112], v[119:120], v[125:126], v[9:10]
	ds_load_b128 v[9:12], v1 offset:768
	ds_load_b64 v[113:114], v1 offset:784
	s_waitcnt lgkmcnt(1)
	v_fma_f64 v[9:10], v[121:122], v[9:10], v[111:112]
	s_waitcnt vmcnt(0)
	s_delay_alu instid0(VALU_DEP_1) | instskip(SKIP_1) | instid1(VALU_DEP_1)
	v_fma_f64 v[4:5], v[4:5], v[11:12], v[9:10]
	s_waitcnt lgkmcnt(0)
	v_fma_f64 v[4:5], v[6:7], v[113:114], v[4:5]
	s_delay_alu instid0(VALU_DEP_1)
	v_add_f64 v[2:3], v[2:3], -v[4:5]
	scratch_store_b64 off, v[2:3], off offset:136
	v_cmpx_lt_u32_e32 16, v0
	s_cbranch_execz .LBB112_271
; %bb.270:
	scratch_load_b64 v[3:4], off, off offset:128
	v_mov_b32_e32 v2, v1
	scratch_store_b64 off, v[1:2], off offset:128
	s_waitcnt vmcnt(0)
	ds_store_b64 v8, v[3:4]
.LBB112_271:
	s_or_b32 exec_lo, exec_lo, s0
	s_waitcnt lgkmcnt(0)
	s_waitcnt_vscnt null, 0x0
	s_barrier
	buffer_gl0_inv
	s_clause 0x4
	scratch_load_b128 v[2:5], off, off offset:128
	scratch_load_b128 v[9:12], off, off offset:144
	;; [unrolled: 1-line block ×5, first 2 shown]
	ds_load_2addr_b64 v[123:126], v1 offset0:67 offset1:68
	ds_load_2addr_b64 v[127:130], v1 offset0:69 offset1:70
	s_mov_b32 s0, exec_lo
	s_waitcnt vmcnt(4) lgkmcnt(1)
	v_fma_f64 v[123:124], v[4:5], v[123:124], 0
	scratch_load_b128 v[4:7], off, off offset:208
	s_waitcnt vmcnt(4)
	v_fma_f64 v[9:10], v[9:10], v[125:126], v[123:124]
	s_waitcnt lgkmcnt(0)
	s_delay_alu instid0(VALU_DEP_1)
	v_fma_f64 v[123:124], v[11:12], v[127:128], v[9:10]
	scratch_load_b128 v[9:12], off, off offset:224
	s_waitcnt vmcnt(4)
	v_fma_f64 v[111:112], v[111:112], v[129:130], v[123:124]
	ds_load_2addr_b64 v[123:126], v1 offset0:71 offset1:72
	ds_load_2addr_b64 v[127:130], v1 offset0:73 offset1:74
	s_waitcnt lgkmcnt(1)
	v_fma_f64 v[123:124], v[113:114], v[123:124], v[111:112]
	scratch_load_b128 v[111:114], off, off offset:240
	s_waitcnt vmcnt(4)
	v_fma_f64 v[115:116], v[115:116], v[125:126], v[123:124]
	s_waitcnt lgkmcnt(0)
	s_delay_alu instid0(VALU_DEP_1)
	v_fma_f64 v[123:124], v[117:118], v[127:128], v[115:116]
	scratch_load_b128 v[115:118], off, off offset:256
	s_waitcnt vmcnt(4)
	v_fma_f64 v[119:120], v[119:120], v[129:130], v[123:124]
	ds_load_2addr_b64 v[123:126], v1 offset0:75 offset1:76
	ds_load_2addr_b64 v[127:130], v1 offset0:77 offset1:78
	s_waitcnt lgkmcnt(1)
	;; [unrolled: 13-line block ×5, first 2 shown]
	v_fma_f64 v[123:124], v[6:7], v[123:124], v[4:5]
	scratch_load_b128 v[4:7], off, off offset:368
	s_waitcnt vmcnt(4)
	v_fma_f64 v[9:10], v[9:10], v[125:126], v[123:124]
	s_waitcnt lgkmcnt(0)
	s_delay_alu instid0(VALU_DEP_1)
	v_fma_f64 v[9:10], v[11:12], v[127:128], v[9:10]
	scratch_load_b64 v[127:128], off, off offset:384
	s_waitcnt vmcnt(4)
	v_fma_f64 v[111:112], v[111:112], v[129:130], v[9:10]
	ds_load_2addr_b64 v[9:12], v1 offset0:91 offset1:92
	ds_load_2addr_b64 v[123:126], v1 offset0:93 offset1:94
	s_waitcnt lgkmcnt(1)
	v_fma_f64 v[9:10], v[113:114], v[9:10], v[111:112]
	s_waitcnt vmcnt(3)
	s_delay_alu instid0(VALU_DEP_1) | instskip(SKIP_1) | instid1(VALU_DEP_1)
	v_fma_f64 v[9:10], v[115:116], v[11:12], v[9:10]
	s_waitcnt lgkmcnt(0)
	v_fma_f64 v[9:10], v[117:118], v[123:124], v[9:10]
	s_waitcnt vmcnt(2)
	s_delay_alu instid0(VALU_DEP_1)
	v_fma_f64 v[115:116], v[119:120], v[125:126], v[9:10]
	ds_load_2addr_b64 v[9:12], v1 offset0:95 offset1:96
	ds_load_2addr_b64 v[111:114], v1 offset0:97 offset1:98
	s_waitcnt lgkmcnt(1)
	v_fma_f64 v[9:10], v[121:122], v[9:10], v[115:116]
	s_waitcnt vmcnt(1)
	s_delay_alu instid0(VALU_DEP_1) | instskip(SKIP_1) | instid1(VALU_DEP_1)
	v_fma_f64 v[4:5], v[4:5], v[11:12], v[9:10]
	s_waitcnt lgkmcnt(0)
	v_fma_f64 v[4:5], v[6:7], v[111:112], v[4:5]
	s_waitcnt vmcnt(0)
	s_delay_alu instid0(VALU_DEP_1) | instskip(NEXT) | instid1(VALU_DEP_1)
	v_fma_f64 v[4:5], v[127:128], v[113:114], v[4:5]
	v_add_f64 v[1:2], v[2:3], -v[4:5]
	scratch_store_b64 off, v[1:2], off offset:128
	v_cmpx_lt_u32_e32 15, v0
	s_cbranch_execz .LBB112_273
; %bb.272:
	scratch_load_b64 v[1:2], off, off offset:120
	v_mov_b32_e32 v3, 0
	s_delay_alu instid0(VALU_DEP_1)
	v_mov_b32_e32 v4, v3
	scratch_store_b64 off, v[3:4], off offset:120
	s_waitcnt vmcnt(0)
	ds_store_b64 v8, v[1:2]
.LBB112_273:
	s_or_b32 exec_lo, exec_lo, s0
	s_waitcnt lgkmcnt(0)
	s_waitcnt_vscnt null, 0x0
	s_barrier
	buffer_gl0_inv
	s_clause 0x4
	scratch_load_b128 v[2:5], off, off offset:120
	scratch_load_b128 v[9:12], off, off offset:136
	;; [unrolled: 1-line block ×5, first 2 shown]
	v_mov_b32_e32 v1, 0
	ds_load_b128 v[123:126], v1 offset:528
	ds_load_b128 v[127:130], v1 offset:544
	s_mov_b32 s0, exec_lo
	s_waitcnt vmcnt(4) lgkmcnt(1)
	v_fma_f64 v[123:124], v[4:5], v[123:124], 0
	scratch_load_b128 v[4:7], off, off offset:200
	s_waitcnt vmcnt(4)
	v_fma_f64 v[9:10], v[9:10], v[125:126], v[123:124]
	s_waitcnt lgkmcnt(0)
	s_delay_alu instid0(VALU_DEP_1)
	v_fma_f64 v[123:124], v[11:12], v[127:128], v[9:10]
	scratch_load_b128 v[9:12], off, off offset:216
	s_waitcnt vmcnt(4)
	v_fma_f64 v[111:112], v[111:112], v[129:130], v[123:124]
	ds_load_b128 v[123:126], v1 offset:560
	ds_load_b128 v[127:130], v1 offset:576
	s_waitcnt lgkmcnt(1)
	v_fma_f64 v[123:124], v[113:114], v[123:124], v[111:112]
	scratch_load_b128 v[111:114], off, off offset:232
	s_waitcnt vmcnt(4)
	v_fma_f64 v[115:116], v[115:116], v[125:126], v[123:124]
	s_waitcnt lgkmcnt(0)
	s_delay_alu instid0(VALU_DEP_1)
	v_fma_f64 v[123:124], v[117:118], v[127:128], v[115:116]
	scratch_load_b128 v[115:118], off, off offset:248
	s_waitcnt vmcnt(4)
	v_fma_f64 v[119:120], v[119:120], v[129:130], v[123:124]
	ds_load_b128 v[123:126], v1 offset:592
	ds_load_b128 v[127:130], v1 offset:608
	s_waitcnt lgkmcnt(1)
	;; [unrolled: 13-line block ×6, first 2 shown]
	v_fma_f64 v[111:112], v[113:114], v[123:124], v[111:112]
	s_waitcnt vmcnt(3)
	s_delay_alu instid0(VALU_DEP_1) | instskip(SKIP_1) | instid1(VALU_DEP_1)
	v_fma_f64 v[111:112], v[115:116], v[125:126], v[111:112]
	s_waitcnt lgkmcnt(0)
	v_fma_f64 v[111:112], v[117:118], v[127:128], v[111:112]
	s_waitcnt vmcnt(2)
	s_delay_alu instid0(VALU_DEP_1)
	v_fma_f64 v[119:120], v[119:120], v[129:130], v[111:112]
	ds_load_b128 v[111:114], v1 offset:752
	ds_load_b128 v[115:118], v1 offset:768
	s_waitcnt lgkmcnt(1)
	v_fma_f64 v[111:112], v[121:122], v[111:112], v[119:120]
	s_waitcnt vmcnt(1)
	s_delay_alu instid0(VALU_DEP_1) | instskip(SKIP_1) | instid1(VALU_DEP_1)
	v_fma_f64 v[4:5], v[4:5], v[113:114], v[111:112]
	s_waitcnt lgkmcnt(0)
	v_fma_f64 v[4:5], v[6:7], v[115:116], v[4:5]
	ds_load_b64 v[6:7], v1 offset:784
	s_waitcnt vmcnt(0)
	v_fma_f64 v[4:5], v[9:10], v[117:118], v[4:5]
	s_waitcnt lgkmcnt(0)
	s_delay_alu instid0(VALU_DEP_1) | instskip(NEXT) | instid1(VALU_DEP_1)
	v_fma_f64 v[4:5], v[11:12], v[6:7], v[4:5]
	v_add_f64 v[2:3], v[2:3], -v[4:5]
	scratch_store_b64 off, v[2:3], off offset:120
	v_cmpx_lt_u32_e32 14, v0
	s_cbranch_execz .LBB112_275
; %bb.274:
	scratch_load_b64 v[3:4], off, off offset:112
	v_mov_b32_e32 v2, v1
	scratch_store_b64 off, v[1:2], off offset:112
	s_waitcnt vmcnt(0)
	ds_store_b64 v8, v[3:4]
.LBB112_275:
	s_or_b32 exec_lo, exec_lo, s0
	s_waitcnt lgkmcnt(0)
	s_waitcnt_vscnt null, 0x0
	s_barrier
	buffer_gl0_inv
	s_clause 0x4
	scratch_load_b128 v[2:5], off, off offset:112
	scratch_load_b128 v[9:12], off, off offset:128
	;; [unrolled: 1-line block ×5, first 2 shown]
	ds_load_2addr_b64 v[123:126], v1 offset0:65 offset1:66
	ds_load_2addr_b64 v[127:130], v1 offset0:67 offset1:68
	s_mov_b32 s0, exec_lo
	s_waitcnt vmcnt(4) lgkmcnt(1)
	v_fma_f64 v[123:124], v[4:5], v[123:124], 0
	scratch_load_b128 v[4:7], off, off offset:192
	s_waitcnt vmcnt(4)
	v_fma_f64 v[9:10], v[9:10], v[125:126], v[123:124]
	s_waitcnt lgkmcnt(0)
	s_delay_alu instid0(VALU_DEP_1)
	v_fma_f64 v[123:124], v[11:12], v[127:128], v[9:10]
	scratch_load_b128 v[9:12], off, off offset:208
	s_waitcnt vmcnt(4)
	v_fma_f64 v[111:112], v[111:112], v[129:130], v[123:124]
	ds_load_2addr_b64 v[123:126], v1 offset0:69 offset1:70
	ds_load_2addr_b64 v[127:130], v1 offset0:71 offset1:72
	s_waitcnt lgkmcnt(1)
	v_fma_f64 v[123:124], v[113:114], v[123:124], v[111:112]
	scratch_load_b128 v[111:114], off, off offset:224
	s_waitcnt vmcnt(4)
	v_fma_f64 v[115:116], v[115:116], v[125:126], v[123:124]
	s_waitcnt lgkmcnt(0)
	s_delay_alu instid0(VALU_DEP_1)
	v_fma_f64 v[123:124], v[117:118], v[127:128], v[115:116]
	scratch_load_b128 v[115:118], off, off offset:240
	s_waitcnt vmcnt(4)
	v_fma_f64 v[119:120], v[119:120], v[129:130], v[123:124]
	ds_load_2addr_b64 v[123:126], v1 offset0:73 offset1:74
	ds_load_2addr_b64 v[127:130], v1 offset0:75 offset1:76
	s_waitcnt lgkmcnt(1)
	;; [unrolled: 13-line block ×6, first 2 shown]
	v_fma_f64 v[111:112], v[113:114], v[123:124], v[111:112]
	scratch_load_b64 v[123:124], off, off offset:384
	s_waitcnt vmcnt(4)
	v_fma_f64 v[111:112], v[115:116], v[125:126], v[111:112]
	s_waitcnt lgkmcnt(0)
	s_delay_alu instid0(VALU_DEP_1) | instskip(SKIP_1) | instid1(VALU_DEP_1)
	v_fma_f64 v[111:112], v[117:118], v[127:128], v[111:112]
	s_waitcnt vmcnt(3)
	v_fma_f64 v[119:120], v[119:120], v[129:130], v[111:112]
	ds_load_2addr_b64 v[111:114], v1 offset0:93 offset1:94
	ds_load_2addr_b64 v[115:118], v1 offset0:95 offset1:96
	s_waitcnt lgkmcnt(1)
	v_fma_f64 v[111:112], v[121:122], v[111:112], v[119:120]
	s_waitcnt vmcnt(2)
	s_delay_alu instid0(VALU_DEP_1) | instskip(SKIP_1) | instid1(VALU_DEP_1)
	v_fma_f64 v[4:5], v[4:5], v[113:114], v[111:112]
	s_waitcnt lgkmcnt(0)
	v_fma_f64 v[4:5], v[6:7], v[115:116], v[4:5]
	s_waitcnt vmcnt(1)
	s_delay_alu instid0(VALU_DEP_1) | instskip(SKIP_4) | instid1(VALU_DEP_1)
	v_fma_f64 v[9:10], v[9:10], v[117:118], v[4:5]
	ds_load_2addr_b64 v[4:7], v1 offset0:97 offset1:98
	s_waitcnt lgkmcnt(0)
	v_fma_f64 v[4:5], v[11:12], v[4:5], v[9:10]
	s_waitcnt vmcnt(0)
	v_fma_f64 v[4:5], v[123:124], v[6:7], v[4:5]
	s_delay_alu instid0(VALU_DEP_1)
	v_add_f64 v[1:2], v[2:3], -v[4:5]
	scratch_store_b64 off, v[1:2], off offset:112
	v_cmpx_lt_u32_e32 13, v0
	s_cbranch_execz .LBB112_277
; %bb.276:
	scratch_load_b64 v[1:2], off, off offset:104
	v_mov_b32_e32 v3, 0
	s_delay_alu instid0(VALU_DEP_1)
	v_mov_b32_e32 v4, v3
	scratch_store_b64 off, v[3:4], off offset:104
	s_waitcnt vmcnt(0)
	ds_store_b64 v8, v[1:2]
.LBB112_277:
	s_or_b32 exec_lo, exec_lo, s0
	s_waitcnt lgkmcnt(0)
	s_waitcnt_vscnt null, 0x0
	s_barrier
	buffer_gl0_inv
	s_clause 0x4
	scratch_load_b128 v[2:5], off, off offset:104
	scratch_load_b128 v[9:12], off, off offset:120
	;; [unrolled: 1-line block ×5, first 2 shown]
	v_mov_b32_e32 v1, 0
	ds_load_b128 v[123:126], v1 offset:512
	ds_load_b128 v[127:130], v1 offset:528
	s_mov_b32 s0, exec_lo
	s_waitcnt vmcnt(4) lgkmcnt(1)
	v_fma_f64 v[123:124], v[4:5], v[123:124], 0
	scratch_load_b128 v[4:7], off, off offset:184
	s_waitcnt vmcnt(4)
	v_fma_f64 v[9:10], v[9:10], v[125:126], v[123:124]
	s_waitcnt lgkmcnt(0)
	s_delay_alu instid0(VALU_DEP_1)
	v_fma_f64 v[123:124], v[11:12], v[127:128], v[9:10]
	scratch_load_b128 v[9:12], off, off offset:200
	s_waitcnt vmcnt(4)
	v_fma_f64 v[111:112], v[111:112], v[129:130], v[123:124]
	ds_load_b128 v[123:126], v1 offset:544
	ds_load_b128 v[127:130], v1 offset:560
	s_waitcnt lgkmcnt(1)
	v_fma_f64 v[123:124], v[113:114], v[123:124], v[111:112]
	scratch_load_b128 v[111:114], off, off offset:216
	s_waitcnt vmcnt(4)
	v_fma_f64 v[115:116], v[115:116], v[125:126], v[123:124]
	s_waitcnt lgkmcnt(0)
	s_delay_alu instid0(VALU_DEP_1)
	v_fma_f64 v[123:124], v[117:118], v[127:128], v[115:116]
	scratch_load_b128 v[115:118], off, off offset:232
	s_waitcnt vmcnt(4)
	v_fma_f64 v[119:120], v[119:120], v[129:130], v[123:124]
	ds_load_b128 v[123:126], v1 offset:576
	ds_load_b128 v[127:130], v1 offset:592
	s_waitcnt lgkmcnt(1)
	;; [unrolled: 13-line block ×6, first 2 shown]
	v_fma_f64 v[123:124], v[113:114], v[123:124], v[111:112]
	scratch_load_b128 v[111:114], off, off offset:376
	s_waitcnt vmcnt(4)
	v_fma_f64 v[115:116], v[115:116], v[125:126], v[123:124]
	s_waitcnt lgkmcnt(0)
	s_delay_alu instid0(VALU_DEP_1) | instskip(SKIP_1) | instid1(VALU_DEP_1)
	v_fma_f64 v[115:116], v[117:118], v[127:128], v[115:116]
	s_waitcnt vmcnt(3)
	v_fma_f64 v[119:120], v[119:120], v[129:130], v[115:116]
	ds_load_b128 v[115:118], v1 offset:736
	ds_load_b128 v[123:126], v1 offset:752
	s_waitcnt lgkmcnt(1)
	v_fma_f64 v[115:116], v[121:122], v[115:116], v[119:120]
	s_waitcnt vmcnt(2)
	s_delay_alu instid0(VALU_DEP_1) | instskip(SKIP_1) | instid1(VALU_DEP_1)
	v_fma_f64 v[4:5], v[4:5], v[117:118], v[115:116]
	s_waitcnt lgkmcnt(0)
	v_fma_f64 v[4:5], v[6:7], v[123:124], v[4:5]
	s_waitcnt vmcnt(1)
	s_delay_alu instid0(VALU_DEP_1)
	v_fma_f64 v[9:10], v[9:10], v[125:126], v[4:5]
	ds_load_b128 v[4:7], v1 offset:768
	ds_load_b64 v[115:116], v1 offset:784
	s_waitcnt lgkmcnt(1)
	v_fma_f64 v[4:5], v[11:12], v[4:5], v[9:10]
	s_waitcnt vmcnt(0)
	s_delay_alu instid0(VALU_DEP_1) | instskip(SKIP_1) | instid1(VALU_DEP_1)
	v_fma_f64 v[4:5], v[111:112], v[6:7], v[4:5]
	s_waitcnt lgkmcnt(0)
	v_fma_f64 v[4:5], v[113:114], v[115:116], v[4:5]
	s_delay_alu instid0(VALU_DEP_1)
	v_add_f64 v[2:3], v[2:3], -v[4:5]
	scratch_store_b64 off, v[2:3], off offset:104
	v_cmpx_lt_u32_e32 12, v0
	s_cbranch_execz .LBB112_279
; %bb.278:
	scratch_load_b64 v[3:4], off, off offset:96
	v_mov_b32_e32 v2, v1
	scratch_store_b64 off, v[1:2], off offset:96
	s_waitcnt vmcnt(0)
	ds_store_b64 v8, v[3:4]
.LBB112_279:
	s_or_b32 exec_lo, exec_lo, s0
	s_waitcnt lgkmcnt(0)
	s_waitcnt_vscnt null, 0x0
	s_barrier
	buffer_gl0_inv
	s_clause 0x4
	scratch_load_b128 v[2:5], off, off offset:96
	scratch_load_b128 v[9:12], off, off offset:112
	;; [unrolled: 1-line block ×5, first 2 shown]
	ds_load_2addr_b64 v[123:126], v1 offset0:63 offset1:64
	ds_load_2addr_b64 v[127:130], v1 offset0:65 offset1:66
	s_mov_b32 s0, exec_lo
	s_waitcnt vmcnt(4) lgkmcnt(1)
	v_fma_f64 v[123:124], v[4:5], v[123:124], 0
	scratch_load_b128 v[4:7], off, off offset:176
	s_waitcnt vmcnt(4)
	v_fma_f64 v[9:10], v[9:10], v[125:126], v[123:124]
	s_waitcnt lgkmcnt(0)
	s_delay_alu instid0(VALU_DEP_1)
	v_fma_f64 v[123:124], v[11:12], v[127:128], v[9:10]
	scratch_load_b128 v[9:12], off, off offset:192
	s_waitcnt vmcnt(4)
	v_fma_f64 v[111:112], v[111:112], v[129:130], v[123:124]
	ds_load_2addr_b64 v[123:126], v1 offset0:67 offset1:68
	ds_load_2addr_b64 v[127:130], v1 offset0:69 offset1:70
	s_waitcnt lgkmcnt(1)
	v_fma_f64 v[123:124], v[113:114], v[123:124], v[111:112]
	scratch_load_b128 v[111:114], off, off offset:208
	s_waitcnt vmcnt(4)
	v_fma_f64 v[115:116], v[115:116], v[125:126], v[123:124]
	s_waitcnt lgkmcnt(0)
	s_delay_alu instid0(VALU_DEP_1)
	v_fma_f64 v[123:124], v[117:118], v[127:128], v[115:116]
	scratch_load_b128 v[115:118], off, off offset:224
	s_waitcnt vmcnt(4)
	v_fma_f64 v[119:120], v[119:120], v[129:130], v[123:124]
	ds_load_2addr_b64 v[123:126], v1 offset0:71 offset1:72
	ds_load_2addr_b64 v[127:130], v1 offset0:73 offset1:74
	s_waitcnt lgkmcnt(1)
	;; [unrolled: 13-line block ×6, first 2 shown]
	v_fma_f64 v[123:124], v[113:114], v[123:124], v[111:112]
	scratch_load_b128 v[111:114], off, off offset:368
	s_waitcnt vmcnt(4)
	v_fma_f64 v[115:116], v[115:116], v[125:126], v[123:124]
	s_waitcnt lgkmcnt(0)
	s_delay_alu instid0(VALU_DEP_1)
	v_fma_f64 v[115:116], v[117:118], v[127:128], v[115:116]
	scratch_load_b64 v[127:128], off, off offset:384
	s_waitcnt vmcnt(4)
	v_fma_f64 v[119:120], v[119:120], v[129:130], v[115:116]
	ds_load_2addr_b64 v[115:118], v1 offset0:91 offset1:92
	ds_load_2addr_b64 v[123:126], v1 offset0:93 offset1:94
	s_waitcnt lgkmcnt(1)
	v_fma_f64 v[115:116], v[121:122], v[115:116], v[119:120]
	s_waitcnt vmcnt(3)
	s_delay_alu instid0(VALU_DEP_1) | instskip(SKIP_1) | instid1(VALU_DEP_1)
	v_fma_f64 v[4:5], v[4:5], v[117:118], v[115:116]
	s_waitcnt lgkmcnt(0)
	v_fma_f64 v[4:5], v[6:7], v[123:124], v[4:5]
	s_waitcnt vmcnt(2)
	s_delay_alu instid0(VALU_DEP_1)
	v_fma_f64 v[9:10], v[9:10], v[125:126], v[4:5]
	ds_load_2addr_b64 v[4:7], v1 offset0:95 offset1:96
	ds_load_2addr_b64 v[115:118], v1 offset0:97 offset1:98
	s_waitcnt lgkmcnt(1)
	v_fma_f64 v[4:5], v[11:12], v[4:5], v[9:10]
	s_waitcnt vmcnt(1)
	s_delay_alu instid0(VALU_DEP_1) | instskip(SKIP_1) | instid1(VALU_DEP_1)
	v_fma_f64 v[4:5], v[111:112], v[6:7], v[4:5]
	s_waitcnt lgkmcnt(0)
	v_fma_f64 v[4:5], v[113:114], v[115:116], v[4:5]
	s_waitcnt vmcnt(0)
	s_delay_alu instid0(VALU_DEP_1) | instskip(NEXT) | instid1(VALU_DEP_1)
	v_fma_f64 v[4:5], v[127:128], v[117:118], v[4:5]
	v_add_f64 v[1:2], v[2:3], -v[4:5]
	scratch_store_b64 off, v[1:2], off offset:96
	v_cmpx_lt_u32_e32 11, v0
	s_cbranch_execz .LBB112_281
; %bb.280:
	scratch_load_b64 v[1:2], off, off offset:88
	v_mov_b32_e32 v3, 0
	s_delay_alu instid0(VALU_DEP_1)
	v_mov_b32_e32 v4, v3
	scratch_store_b64 off, v[3:4], off offset:88
	s_waitcnt vmcnt(0)
	ds_store_b64 v8, v[1:2]
.LBB112_281:
	s_or_b32 exec_lo, exec_lo, s0
	s_waitcnt lgkmcnt(0)
	s_waitcnt_vscnt null, 0x0
	s_barrier
	buffer_gl0_inv
	s_clause 0x4
	scratch_load_b128 v[2:5], off, off offset:88
	scratch_load_b128 v[9:12], off, off offset:104
	;; [unrolled: 1-line block ×5, first 2 shown]
	v_mov_b32_e32 v1, 0
	ds_load_b128 v[123:126], v1 offset:496
	ds_load_b128 v[127:130], v1 offset:512
	s_mov_b32 s0, exec_lo
	s_waitcnt vmcnt(4) lgkmcnt(1)
	v_fma_f64 v[123:124], v[4:5], v[123:124], 0
	scratch_load_b128 v[4:7], off, off offset:168
	s_waitcnt vmcnt(4)
	v_fma_f64 v[9:10], v[9:10], v[125:126], v[123:124]
	s_waitcnt lgkmcnt(0)
	s_delay_alu instid0(VALU_DEP_1)
	v_fma_f64 v[123:124], v[11:12], v[127:128], v[9:10]
	scratch_load_b128 v[9:12], off, off offset:184
	s_waitcnt vmcnt(4)
	v_fma_f64 v[111:112], v[111:112], v[129:130], v[123:124]
	ds_load_b128 v[123:126], v1 offset:528
	ds_load_b128 v[127:130], v1 offset:544
	s_waitcnt lgkmcnt(1)
	v_fma_f64 v[123:124], v[113:114], v[123:124], v[111:112]
	scratch_load_b128 v[111:114], off, off offset:200
	s_waitcnt vmcnt(4)
	v_fma_f64 v[115:116], v[115:116], v[125:126], v[123:124]
	s_waitcnt lgkmcnt(0)
	s_delay_alu instid0(VALU_DEP_1)
	v_fma_f64 v[123:124], v[117:118], v[127:128], v[115:116]
	scratch_load_b128 v[115:118], off, off offset:216
	s_waitcnt vmcnt(4)
	v_fma_f64 v[119:120], v[119:120], v[129:130], v[123:124]
	ds_load_b128 v[123:126], v1 offset:560
	ds_load_b128 v[127:130], v1 offset:576
	s_waitcnt lgkmcnt(1)
	;; [unrolled: 13-line block ×7, first 2 shown]
	v_fma_f64 v[119:120], v[121:122], v[123:124], v[119:120]
	s_waitcnt vmcnt(3)
	s_delay_alu instid0(VALU_DEP_1) | instskip(SKIP_1) | instid1(VALU_DEP_1)
	v_fma_f64 v[4:5], v[4:5], v[125:126], v[119:120]
	s_waitcnt lgkmcnt(0)
	v_fma_f64 v[4:5], v[6:7], v[127:128], v[4:5]
	s_waitcnt vmcnt(2)
	s_delay_alu instid0(VALU_DEP_1)
	v_fma_f64 v[9:10], v[9:10], v[129:130], v[4:5]
	ds_load_b128 v[4:7], v1 offset:752
	ds_load_b128 v[119:122], v1 offset:768
	s_waitcnt lgkmcnt(1)
	v_fma_f64 v[4:5], v[11:12], v[4:5], v[9:10]
	s_waitcnt vmcnt(1)
	s_delay_alu instid0(VALU_DEP_1) | instskip(SKIP_4) | instid1(VALU_DEP_1)
	v_fma_f64 v[4:5], v[111:112], v[6:7], v[4:5]
	ds_load_b64 v[6:7], v1 offset:784
	s_waitcnt lgkmcnt(1)
	v_fma_f64 v[4:5], v[113:114], v[119:120], v[4:5]
	s_waitcnt vmcnt(0)
	v_fma_f64 v[4:5], v[115:116], v[121:122], v[4:5]
	s_waitcnt lgkmcnt(0)
	s_delay_alu instid0(VALU_DEP_1) | instskip(NEXT) | instid1(VALU_DEP_1)
	v_fma_f64 v[4:5], v[117:118], v[6:7], v[4:5]
	v_add_f64 v[2:3], v[2:3], -v[4:5]
	scratch_store_b64 off, v[2:3], off offset:88
	v_cmpx_lt_u32_e32 10, v0
	s_cbranch_execz .LBB112_283
; %bb.282:
	scratch_load_b64 v[3:4], off, off offset:80
	v_mov_b32_e32 v2, v1
	scratch_store_b64 off, v[1:2], off offset:80
	s_waitcnt vmcnt(0)
	ds_store_b64 v8, v[3:4]
.LBB112_283:
	s_or_b32 exec_lo, exec_lo, s0
	s_waitcnt lgkmcnt(0)
	s_waitcnt_vscnt null, 0x0
	s_barrier
	buffer_gl0_inv
	s_clause 0x4
	scratch_load_b128 v[2:5], off, off offset:80
	scratch_load_b128 v[9:12], off, off offset:96
	scratch_load_b128 v[111:114], off, off offset:112
	scratch_load_b128 v[115:118], off, off offset:128
	scratch_load_b128 v[119:122], off, off offset:144
	ds_load_2addr_b64 v[123:126], v1 offset0:61 offset1:62
	ds_load_2addr_b64 v[127:130], v1 offset0:63 offset1:64
	s_mov_b32 s0, exec_lo
	s_waitcnt vmcnt(4) lgkmcnt(1)
	v_fma_f64 v[123:124], v[4:5], v[123:124], 0
	scratch_load_b128 v[4:7], off, off offset:160
	s_waitcnt vmcnt(4)
	v_fma_f64 v[9:10], v[9:10], v[125:126], v[123:124]
	s_waitcnt lgkmcnt(0)
	s_delay_alu instid0(VALU_DEP_1)
	v_fma_f64 v[123:124], v[11:12], v[127:128], v[9:10]
	scratch_load_b128 v[9:12], off, off offset:176
	s_waitcnt vmcnt(4)
	v_fma_f64 v[111:112], v[111:112], v[129:130], v[123:124]
	ds_load_2addr_b64 v[123:126], v1 offset0:65 offset1:66
	ds_load_2addr_b64 v[127:130], v1 offset0:67 offset1:68
	s_waitcnt lgkmcnt(1)
	v_fma_f64 v[123:124], v[113:114], v[123:124], v[111:112]
	scratch_load_b128 v[111:114], off, off offset:192
	s_waitcnt vmcnt(4)
	v_fma_f64 v[115:116], v[115:116], v[125:126], v[123:124]
	s_waitcnt lgkmcnt(0)
	s_delay_alu instid0(VALU_DEP_1)
	v_fma_f64 v[123:124], v[117:118], v[127:128], v[115:116]
	scratch_load_b128 v[115:118], off, off offset:208
	s_waitcnt vmcnt(4)
	v_fma_f64 v[119:120], v[119:120], v[129:130], v[123:124]
	ds_load_2addr_b64 v[123:126], v1 offset0:69 offset1:70
	ds_load_2addr_b64 v[127:130], v1 offset0:71 offset1:72
	s_waitcnt lgkmcnt(1)
	;; [unrolled: 13-line block ×7, first 2 shown]
	v_fma_f64 v[119:120], v[121:122], v[123:124], v[119:120]
	scratch_load_b64 v[123:124], off, off offset:384
	s_waitcnt vmcnt(4)
	v_fma_f64 v[4:5], v[4:5], v[125:126], v[119:120]
	s_waitcnt lgkmcnt(0)
	s_delay_alu instid0(VALU_DEP_1) | instskip(SKIP_1) | instid1(VALU_DEP_1)
	v_fma_f64 v[4:5], v[6:7], v[127:128], v[4:5]
	s_waitcnt vmcnt(3)
	v_fma_f64 v[9:10], v[9:10], v[129:130], v[4:5]
	ds_load_2addr_b64 v[4:7], v1 offset0:93 offset1:94
	ds_load_2addr_b64 v[119:122], v1 offset0:95 offset1:96
	s_waitcnt lgkmcnt(1)
	v_fma_f64 v[4:5], v[11:12], v[4:5], v[9:10]
	s_waitcnt vmcnt(2)
	s_delay_alu instid0(VALU_DEP_1) | instskip(SKIP_1) | instid1(VALU_DEP_1)
	v_fma_f64 v[4:5], v[111:112], v[6:7], v[4:5]
	s_waitcnt lgkmcnt(0)
	v_fma_f64 v[4:5], v[113:114], v[119:120], v[4:5]
	s_waitcnt vmcnt(1)
	s_delay_alu instid0(VALU_DEP_1) | instskip(SKIP_4) | instid1(VALU_DEP_1)
	v_fma_f64 v[9:10], v[115:116], v[121:122], v[4:5]
	ds_load_2addr_b64 v[4:7], v1 offset0:97 offset1:98
	s_waitcnt lgkmcnt(0)
	v_fma_f64 v[4:5], v[117:118], v[4:5], v[9:10]
	s_waitcnt vmcnt(0)
	v_fma_f64 v[4:5], v[123:124], v[6:7], v[4:5]
	s_delay_alu instid0(VALU_DEP_1)
	v_add_f64 v[1:2], v[2:3], -v[4:5]
	scratch_store_b64 off, v[1:2], off offset:80
	v_cmpx_lt_u32_e32 9, v0
	s_cbranch_execz .LBB112_285
; %bb.284:
	scratch_load_b64 v[1:2], off, off offset:72
	v_mov_b32_e32 v3, 0
	s_delay_alu instid0(VALU_DEP_1)
	v_mov_b32_e32 v4, v3
	scratch_store_b64 off, v[3:4], off offset:72
	s_waitcnt vmcnt(0)
	ds_store_b64 v8, v[1:2]
.LBB112_285:
	s_or_b32 exec_lo, exec_lo, s0
	s_waitcnt lgkmcnt(0)
	s_waitcnt_vscnt null, 0x0
	s_barrier
	buffer_gl0_inv
	s_clause 0x4
	scratch_load_b128 v[2:5], off, off offset:72
	scratch_load_b128 v[9:12], off, off offset:88
	;; [unrolled: 1-line block ×5, first 2 shown]
	v_mov_b32_e32 v1, 0
	ds_load_b128 v[123:126], v1 offset:480
	ds_load_b128 v[127:130], v1 offset:496
	s_mov_b32 s0, exec_lo
	s_waitcnt vmcnt(4) lgkmcnt(1)
	v_fma_f64 v[123:124], v[4:5], v[123:124], 0
	scratch_load_b128 v[4:7], off, off offset:152
	s_waitcnt vmcnt(4)
	v_fma_f64 v[9:10], v[9:10], v[125:126], v[123:124]
	s_waitcnt lgkmcnt(0)
	s_delay_alu instid0(VALU_DEP_1)
	v_fma_f64 v[123:124], v[11:12], v[127:128], v[9:10]
	scratch_load_b128 v[9:12], off, off offset:168
	s_waitcnt vmcnt(4)
	v_fma_f64 v[111:112], v[111:112], v[129:130], v[123:124]
	ds_load_b128 v[123:126], v1 offset:512
	ds_load_b128 v[127:130], v1 offset:528
	s_waitcnt lgkmcnt(1)
	v_fma_f64 v[123:124], v[113:114], v[123:124], v[111:112]
	scratch_load_b128 v[111:114], off, off offset:184
	s_waitcnt vmcnt(4)
	v_fma_f64 v[115:116], v[115:116], v[125:126], v[123:124]
	s_waitcnt lgkmcnt(0)
	s_delay_alu instid0(VALU_DEP_1)
	v_fma_f64 v[123:124], v[117:118], v[127:128], v[115:116]
	scratch_load_b128 v[115:118], off, off offset:200
	s_waitcnt vmcnt(4)
	v_fma_f64 v[119:120], v[119:120], v[129:130], v[123:124]
	ds_load_b128 v[123:126], v1 offset:544
	ds_load_b128 v[127:130], v1 offset:560
	s_waitcnt lgkmcnt(1)
	;; [unrolled: 13-line block ×7, first 2 shown]
	v_fma_f64 v[123:124], v[121:122], v[123:124], v[119:120]
	scratch_load_b128 v[119:122], off, off offset:376
	s_waitcnt vmcnt(4)
	v_fma_f64 v[4:5], v[4:5], v[125:126], v[123:124]
	s_waitcnt lgkmcnt(0)
	s_delay_alu instid0(VALU_DEP_1) | instskip(SKIP_1) | instid1(VALU_DEP_1)
	v_fma_f64 v[4:5], v[6:7], v[127:128], v[4:5]
	s_waitcnt vmcnt(3)
	v_fma_f64 v[9:10], v[9:10], v[129:130], v[4:5]
	ds_load_b128 v[4:7], v1 offset:736
	ds_load_b128 v[123:126], v1 offset:752
	s_waitcnt lgkmcnt(1)
	v_fma_f64 v[4:5], v[11:12], v[4:5], v[9:10]
	s_waitcnt vmcnt(2)
	s_delay_alu instid0(VALU_DEP_1) | instskip(SKIP_1) | instid1(VALU_DEP_1)
	v_fma_f64 v[4:5], v[111:112], v[6:7], v[4:5]
	s_waitcnt lgkmcnt(0)
	v_fma_f64 v[4:5], v[113:114], v[123:124], v[4:5]
	s_waitcnt vmcnt(1)
	s_delay_alu instid0(VALU_DEP_1)
	v_fma_f64 v[9:10], v[115:116], v[125:126], v[4:5]
	ds_load_b128 v[4:7], v1 offset:768
	ds_load_b64 v[11:12], v1 offset:784
	s_waitcnt lgkmcnt(1)
	v_fma_f64 v[4:5], v[117:118], v[4:5], v[9:10]
	s_waitcnt vmcnt(0)
	s_delay_alu instid0(VALU_DEP_1) | instskip(SKIP_1) | instid1(VALU_DEP_1)
	v_fma_f64 v[4:5], v[119:120], v[6:7], v[4:5]
	s_waitcnt lgkmcnt(0)
	v_fma_f64 v[4:5], v[121:122], v[11:12], v[4:5]
	s_delay_alu instid0(VALU_DEP_1)
	v_add_f64 v[2:3], v[2:3], -v[4:5]
	scratch_store_b64 off, v[2:3], off offset:72
	v_cmpx_lt_u32_e32 8, v0
	s_cbranch_execz .LBB112_287
; %bb.286:
	scratch_load_b64 v[3:4], off, off offset:64
	v_mov_b32_e32 v2, v1
	scratch_store_b64 off, v[1:2], off offset:64
	s_waitcnt vmcnt(0)
	ds_store_b64 v8, v[3:4]
.LBB112_287:
	s_or_b32 exec_lo, exec_lo, s0
	s_waitcnt lgkmcnt(0)
	s_waitcnt_vscnt null, 0x0
	s_barrier
	buffer_gl0_inv
	s_clause 0x4
	scratch_load_b128 v[2:5], off, off offset:64
	scratch_load_b128 v[9:12], off, off offset:80
	;; [unrolled: 1-line block ×5, first 2 shown]
	ds_load_2addr_b64 v[123:126], v1 offset0:59 offset1:60
	ds_load_2addr_b64 v[127:130], v1 offset0:61 offset1:62
	s_mov_b32 s0, exec_lo
	s_waitcnt vmcnt(4) lgkmcnt(1)
	v_fma_f64 v[123:124], v[4:5], v[123:124], 0
	scratch_load_b128 v[4:7], off, off offset:144
	s_waitcnt vmcnt(4)
	v_fma_f64 v[9:10], v[9:10], v[125:126], v[123:124]
	s_waitcnt lgkmcnt(0)
	s_delay_alu instid0(VALU_DEP_1)
	v_fma_f64 v[123:124], v[11:12], v[127:128], v[9:10]
	scratch_load_b128 v[9:12], off, off offset:160
	s_waitcnt vmcnt(4)
	v_fma_f64 v[111:112], v[111:112], v[129:130], v[123:124]
	ds_load_2addr_b64 v[123:126], v1 offset0:63 offset1:64
	ds_load_2addr_b64 v[127:130], v1 offset0:65 offset1:66
	s_waitcnt lgkmcnt(1)
	v_fma_f64 v[123:124], v[113:114], v[123:124], v[111:112]
	scratch_load_b128 v[111:114], off, off offset:176
	s_waitcnt vmcnt(4)
	v_fma_f64 v[115:116], v[115:116], v[125:126], v[123:124]
	s_waitcnt lgkmcnt(0)
	s_delay_alu instid0(VALU_DEP_1)
	v_fma_f64 v[123:124], v[117:118], v[127:128], v[115:116]
	scratch_load_b128 v[115:118], off, off offset:192
	s_waitcnt vmcnt(4)
	v_fma_f64 v[119:120], v[119:120], v[129:130], v[123:124]
	ds_load_2addr_b64 v[123:126], v1 offset0:67 offset1:68
	ds_load_2addr_b64 v[127:130], v1 offset0:69 offset1:70
	s_waitcnt lgkmcnt(1)
	v_fma_f64 v[123:124], v[121:122], v[123:124], v[119:120]
	scratch_load_b128 v[119:122], off, off offset:208
	s_waitcnt vmcnt(4)
	v_fma_f64 v[4:5], v[4:5], v[125:126], v[123:124]
	s_waitcnt lgkmcnt(0)
	s_delay_alu instid0(VALU_DEP_1)
	v_fma_f64 v[123:124], v[6:7], v[127:128], v[4:5]
	scratch_load_b128 v[4:7], off, off offset:224
	s_waitcnt vmcnt(4)
	v_fma_f64 v[9:10], v[9:10], v[129:130], v[123:124]
	ds_load_2addr_b64 v[123:126], v1 offset0:71 offset1:72
	ds_load_2addr_b64 v[127:130], v1 offset0:73 offset1:74
	s_waitcnt lgkmcnt(1)
	v_fma_f64 v[123:124], v[11:12], v[123:124], v[9:10]
	scratch_load_b128 v[9:12], off, off offset:240
	s_waitcnt vmcnt(4)
	v_fma_f64 v[111:112], v[111:112], v[125:126], v[123:124]
	s_waitcnt lgkmcnt(0)
	s_delay_alu instid0(VALU_DEP_1)
	v_fma_f64 v[123:124], v[113:114], v[127:128], v[111:112]
	scratch_load_b128 v[111:114], off, off offset:256
	s_waitcnt vmcnt(4)
	v_fma_f64 v[115:116], v[115:116], v[129:130], v[123:124]
	ds_load_2addr_b64 v[123:126], v1 offset0:75 offset1:76
	ds_load_2addr_b64 v[127:130], v1 offset0:77 offset1:78
	s_waitcnt lgkmcnt(1)
	v_fma_f64 v[123:124], v[117:118], v[123:124], v[115:116]
	scratch_load_b128 v[115:118], off, off offset:272
	s_waitcnt vmcnt(4)
	v_fma_f64 v[119:120], v[119:120], v[125:126], v[123:124]
	s_waitcnt lgkmcnt(0)
	s_delay_alu instid0(VALU_DEP_1)
	v_fma_f64 v[123:124], v[121:122], v[127:128], v[119:120]
	scratch_load_b128 v[119:122], off, off offset:288
	s_waitcnt vmcnt(4)
	v_fma_f64 v[4:5], v[4:5], v[129:130], v[123:124]
	ds_load_2addr_b64 v[123:126], v1 offset0:79 offset1:80
	ds_load_2addr_b64 v[127:130], v1 offset0:81 offset1:82
	s_waitcnt lgkmcnt(1)
	v_fma_f64 v[123:124], v[6:7], v[123:124], v[4:5]
	scratch_load_b128 v[4:7], off, off offset:304
	s_waitcnt vmcnt(4)
	v_fma_f64 v[9:10], v[9:10], v[125:126], v[123:124]
	s_waitcnt lgkmcnt(0)
	s_delay_alu instid0(VALU_DEP_1)
	v_fma_f64 v[123:124], v[11:12], v[127:128], v[9:10]
	scratch_load_b128 v[9:12], off, off offset:320
	s_waitcnt vmcnt(4)
	v_fma_f64 v[111:112], v[111:112], v[129:130], v[123:124]
	ds_load_2addr_b64 v[123:126], v1 offset0:83 offset1:84
	ds_load_2addr_b64 v[127:130], v1 offset0:85 offset1:86
	s_waitcnt lgkmcnt(1)
	v_fma_f64 v[123:124], v[113:114], v[123:124], v[111:112]
	scratch_load_b128 v[111:114], off, off offset:336
	s_waitcnt vmcnt(4)
	v_fma_f64 v[115:116], v[115:116], v[125:126], v[123:124]
	s_waitcnt lgkmcnt(0)
	s_delay_alu instid0(VALU_DEP_1)
	v_fma_f64 v[123:124], v[117:118], v[127:128], v[115:116]
	scratch_load_b128 v[115:118], off, off offset:352
	s_waitcnt vmcnt(4)
	v_fma_f64 v[119:120], v[119:120], v[129:130], v[123:124]
	ds_load_2addr_b64 v[123:126], v1 offset0:87 offset1:88
	ds_load_2addr_b64 v[127:130], v1 offset0:89 offset1:90
	s_waitcnt lgkmcnt(1)
	v_fma_f64 v[123:124], v[121:122], v[123:124], v[119:120]
	scratch_load_b128 v[119:122], off, off offset:368
	s_waitcnt vmcnt(4)
	v_fma_f64 v[4:5], v[4:5], v[125:126], v[123:124]
	s_waitcnt lgkmcnt(0)
	s_delay_alu instid0(VALU_DEP_1)
	v_fma_f64 v[4:5], v[6:7], v[127:128], v[4:5]
	scratch_load_b64 v[127:128], off, off offset:384
	s_waitcnt vmcnt(4)
	v_fma_f64 v[9:10], v[9:10], v[129:130], v[4:5]
	ds_load_2addr_b64 v[4:7], v1 offset0:91 offset1:92
	ds_load_2addr_b64 v[123:126], v1 offset0:93 offset1:94
	s_waitcnt lgkmcnt(1)
	v_fma_f64 v[4:5], v[11:12], v[4:5], v[9:10]
	s_waitcnt vmcnt(3)
	s_delay_alu instid0(VALU_DEP_1) | instskip(SKIP_1) | instid1(VALU_DEP_1)
	v_fma_f64 v[4:5], v[111:112], v[6:7], v[4:5]
	s_waitcnt lgkmcnt(0)
	v_fma_f64 v[4:5], v[113:114], v[123:124], v[4:5]
	s_waitcnt vmcnt(2)
	s_delay_alu instid0(VALU_DEP_1)
	v_fma_f64 v[111:112], v[115:116], v[125:126], v[4:5]
	ds_load_2addr_b64 v[4:7], v1 offset0:95 offset1:96
	ds_load_2addr_b64 v[9:12], v1 offset0:97 offset1:98
	s_waitcnt lgkmcnt(1)
	v_fma_f64 v[4:5], v[117:118], v[4:5], v[111:112]
	s_waitcnt vmcnt(1)
	s_delay_alu instid0(VALU_DEP_1) | instskip(SKIP_1) | instid1(VALU_DEP_1)
	v_fma_f64 v[4:5], v[119:120], v[6:7], v[4:5]
	s_waitcnt lgkmcnt(0)
	v_fma_f64 v[4:5], v[121:122], v[9:10], v[4:5]
	s_waitcnt vmcnt(0)
	s_delay_alu instid0(VALU_DEP_1) | instskip(NEXT) | instid1(VALU_DEP_1)
	v_fma_f64 v[4:5], v[127:128], v[11:12], v[4:5]
	v_add_f64 v[1:2], v[2:3], -v[4:5]
	scratch_store_b64 off, v[1:2], off offset:64
	v_cmpx_lt_u32_e32 7, v0
	s_cbranch_execz .LBB112_289
; %bb.288:
	scratch_load_b64 v[1:2], off, off offset:56
	v_mov_b32_e32 v3, 0
	s_delay_alu instid0(VALU_DEP_1)
	v_mov_b32_e32 v4, v3
	scratch_store_b64 off, v[3:4], off offset:56
	s_waitcnt vmcnt(0)
	ds_store_b64 v8, v[1:2]
.LBB112_289:
	s_or_b32 exec_lo, exec_lo, s0
	s_waitcnt lgkmcnt(0)
	s_waitcnt_vscnt null, 0x0
	s_barrier
	buffer_gl0_inv
	s_clause 0x4
	scratch_load_b128 v[2:5], off, off offset:56
	scratch_load_b128 v[9:12], off, off offset:72
	;; [unrolled: 1-line block ×5, first 2 shown]
	v_mov_b32_e32 v1, 0
	ds_load_b128 v[123:126], v1 offset:464
	ds_load_b128 v[127:130], v1 offset:480
	s_mov_b32 s0, exec_lo
	s_waitcnt vmcnt(4) lgkmcnt(1)
	v_fma_f64 v[123:124], v[4:5], v[123:124], 0
	scratch_load_b128 v[4:7], off, off offset:136
	s_waitcnt vmcnt(4)
	v_fma_f64 v[9:10], v[9:10], v[125:126], v[123:124]
	s_waitcnt lgkmcnt(0)
	s_delay_alu instid0(VALU_DEP_1)
	v_fma_f64 v[123:124], v[11:12], v[127:128], v[9:10]
	scratch_load_b128 v[9:12], off, off offset:152
	s_waitcnt vmcnt(4)
	v_fma_f64 v[111:112], v[111:112], v[129:130], v[123:124]
	ds_load_b128 v[123:126], v1 offset:496
	ds_load_b128 v[127:130], v1 offset:512
	s_waitcnt lgkmcnt(1)
	v_fma_f64 v[123:124], v[113:114], v[123:124], v[111:112]
	scratch_load_b128 v[111:114], off, off offset:168
	s_waitcnt vmcnt(4)
	v_fma_f64 v[115:116], v[115:116], v[125:126], v[123:124]
	s_waitcnt lgkmcnt(0)
	s_delay_alu instid0(VALU_DEP_1)
	v_fma_f64 v[123:124], v[117:118], v[127:128], v[115:116]
	scratch_load_b128 v[115:118], off, off offset:184
	s_waitcnt vmcnt(4)
	v_fma_f64 v[119:120], v[119:120], v[129:130], v[123:124]
	ds_load_b128 v[123:126], v1 offset:528
	ds_load_b128 v[127:130], v1 offset:544
	s_waitcnt lgkmcnt(1)
	;; [unrolled: 13-line block ×8, first 2 shown]
	v_fma_f64 v[9:10], v[11:12], v[123:124], v[9:10]
	s_waitcnt vmcnt(3)
	s_delay_alu instid0(VALU_DEP_1) | instskip(SKIP_1) | instid1(VALU_DEP_1)
	v_fma_f64 v[9:10], v[111:112], v[125:126], v[9:10]
	s_waitcnt lgkmcnt(0)
	v_fma_f64 v[9:10], v[113:114], v[127:128], v[9:10]
	s_waitcnt vmcnt(2)
	s_delay_alu instid0(VALU_DEP_1)
	v_fma_f64 v[115:116], v[115:116], v[129:130], v[9:10]
	ds_load_b128 v[9:12], v1 offset:752
	ds_load_b128 v[111:114], v1 offset:768
	s_waitcnt lgkmcnt(1)
	v_fma_f64 v[9:10], v[117:118], v[9:10], v[115:116]
	s_waitcnt vmcnt(1)
	s_delay_alu instid0(VALU_DEP_1) | instskip(SKIP_1) | instid1(VALU_DEP_1)
	v_fma_f64 v[9:10], v[119:120], v[11:12], v[9:10]
	s_waitcnt lgkmcnt(0)
	v_fma_f64 v[9:10], v[121:122], v[111:112], v[9:10]
	s_waitcnt vmcnt(0)
	s_delay_alu instid0(VALU_DEP_1) | instskip(SKIP_3) | instid1(VALU_DEP_1)
	v_fma_f64 v[4:5], v[4:5], v[113:114], v[9:10]
	ds_load_b64 v[9:10], v1 offset:784
	s_waitcnt lgkmcnt(0)
	v_fma_f64 v[4:5], v[6:7], v[9:10], v[4:5]
	v_add_f64 v[2:3], v[2:3], -v[4:5]
	scratch_store_b64 off, v[2:3], off offset:56
	v_cmpx_lt_u32_e32 6, v0
	s_cbranch_execz .LBB112_291
; %bb.290:
	scratch_load_b64 v[3:4], off, off offset:48
	v_mov_b32_e32 v2, v1
	scratch_store_b64 off, v[1:2], off offset:48
	s_waitcnt vmcnt(0)
	ds_store_b64 v8, v[3:4]
.LBB112_291:
	s_or_b32 exec_lo, exec_lo, s0
	s_waitcnt lgkmcnt(0)
	s_waitcnt_vscnt null, 0x0
	s_barrier
	buffer_gl0_inv
	s_clause 0x4
	scratch_load_b128 v[2:5], off, off offset:48
	scratch_load_b128 v[9:12], off, off offset:64
	scratch_load_b128 v[111:114], off, off offset:80
	scratch_load_b128 v[115:118], off, off offset:96
	scratch_load_b128 v[119:122], off, off offset:112
	ds_load_2addr_b64 v[123:126], v1 offset0:57 offset1:58
	ds_load_2addr_b64 v[127:130], v1 offset0:59 offset1:60
	s_mov_b32 s0, exec_lo
	s_waitcnt vmcnt(4) lgkmcnt(1)
	v_fma_f64 v[123:124], v[4:5], v[123:124], 0
	scratch_load_b128 v[4:7], off, off offset:128
	s_waitcnt vmcnt(4)
	v_fma_f64 v[9:10], v[9:10], v[125:126], v[123:124]
	s_waitcnt lgkmcnt(0)
	s_delay_alu instid0(VALU_DEP_1)
	v_fma_f64 v[123:124], v[11:12], v[127:128], v[9:10]
	scratch_load_b128 v[9:12], off, off offset:144
	s_waitcnt vmcnt(4)
	v_fma_f64 v[111:112], v[111:112], v[129:130], v[123:124]
	ds_load_2addr_b64 v[123:126], v1 offset0:61 offset1:62
	ds_load_2addr_b64 v[127:130], v1 offset0:63 offset1:64
	s_waitcnt lgkmcnt(1)
	v_fma_f64 v[123:124], v[113:114], v[123:124], v[111:112]
	scratch_load_b128 v[111:114], off, off offset:160
	s_waitcnt vmcnt(4)
	v_fma_f64 v[115:116], v[115:116], v[125:126], v[123:124]
	s_waitcnt lgkmcnt(0)
	s_delay_alu instid0(VALU_DEP_1)
	v_fma_f64 v[123:124], v[117:118], v[127:128], v[115:116]
	scratch_load_b128 v[115:118], off, off offset:176
	s_waitcnt vmcnt(4)
	v_fma_f64 v[119:120], v[119:120], v[129:130], v[123:124]
	ds_load_2addr_b64 v[123:126], v1 offset0:65 offset1:66
	ds_load_2addr_b64 v[127:130], v1 offset0:67 offset1:68
	s_waitcnt lgkmcnt(1)
	;; [unrolled: 13-line block ×8, first 2 shown]
	v_fma_f64 v[9:10], v[11:12], v[123:124], v[9:10]
	scratch_load_b64 v[123:124], off, off offset:384
	s_waitcnt vmcnt(4)
	v_fma_f64 v[9:10], v[111:112], v[125:126], v[9:10]
	s_waitcnt lgkmcnt(0)
	s_delay_alu instid0(VALU_DEP_1) | instskip(SKIP_1) | instid1(VALU_DEP_1)
	v_fma_f64 v[9:10], v[113:114], v[127:128], v[9:10]
	s_waitcnt vmcnt(3)
	v_fma_f64 v[115:116], v[115:116], v[129:130], v[9:10]
	ds_load_2addr_b64 v[9:12], v1 offset0:93 offset1:94
	ds_load_2addr_b64 v[111:114], v1 offset0:95 offset1:96
	s_waitcnt lgkmcnt(1)
	v_fma_f64 v[9:10], v[117:118], v[9:10], v[115:116]
	s_waitcnt vmcnt(2)
	s_delay_alu instid0(VALU_DEP_1) | instskip(SKIP_1) | instid1(VALU_DEP_1)
	v_fma_f64 v[9:10], v[119:120], v[11:12], v[9:10]
	s_waitcnt lgkmcnt(0)
	v_fma_f64 v[9:10], v[121:122], v[111:112], v[9:10]
	s_waitcnt vmcnt(1)
	s_delay_alu instid0(VALU_DEP_1) | instskip(SKIP_4) | instid1(VALU_DEP_1)
	v_fma_f64 v[4:5], v[4:5], v[113:114], v[9:10]
	ds_load_2addr_b64 v[9:12], v1 offset0:97 offset1:98
	s_waitcnt lgkmcnt(0)
	v_fma_f64 v[4:5], v[6:7], v[9:10], v[4:5]
	s_waitcnt vmcnt(0)
	v_fma_f64 v[4:5], v[123:124], v[11:12], v[4:5]
	s_delay_alu instid0(VALU_DEP_1)
	v_add_f64 v[1:2], v[2:3], -v[4:5]
	scratch_store_b64 off, v[1:2], off offset:48
	v_cmpx_lt_u32_e32 5, v0
	s_cbranch_execz .LBB112_293
; %bb.292:
	scratch_load_b64 v[1:2], off, off offset:40
	v_mov_b32_e32 v3, 0
	s_delay_alu instid0(VALU_DEP_1)
	v_mov_b32_e32 v4, v3
	scratch_store_b64 off, v[3:4], off offset:40
	s_waitcnt vmcnt(0)
	ds_store_b64 v8, v[1:2]
.LBB112_293:
	s_or_b32 exec_lo, exec_lo, s0
	s_waitcnt lgkmcnt(0)
	s_waitcnt_vscnt null, 0x0
	s_barrier
	buffer_gl0_inv
	s_clause 0x4
	scratch_load_b128 v[2:5], off, off offset:40
	scratch_load_b128 v[9:12], off, off offset:56
	;; [unrolled: 1-line block ×5, first 2 shown]
	v_mov_b32_e32 v1, 0
	ds_load_b128 v[123:126], v1 offset:448
	ds_load_b128 v[127:130], v1 offset:464
	s_mov_b32 s0, exec_lo
	s_waitcnt vmcnt(4) lgkmcnt(1)
	v_fma_f64 v[123:124], v[4:5], v[123:124], 0
	scratch_load_b128 v[4:7], off, off offset:120
	s_waitcnt vmcnt(4)
	v_fma_f64 v[9:10], v[9:10], v[125:126], v[123:124]
	s_waitcnt lgkmcnt(0)
	s_delay_alu instid0(VALU_DEP_1)
	v_fma_f64 v[123:124], v[11:12], v[127:128], v[9:10]
	scratch_load_b128 v[9:12], off, off offset:136
	s_waitcnt vmcnt(4)
	v_fma_f64 v[111:112], v[111:112], v[129:130], v[123:124]
	ds_load_b128 v[123:126], v1 offset:480
	ds_load_b128 v[127:130], v1 offset:496
	s_waitcnt lgkmcnt(1)
	v_fma_f64 v[123:124], v[113:114], v[123:124], v[111:112]
	scratch_load_b128 v[111:114], off, off offset:152
	s_waitcnt vmcnt(4)
	v_fma_f64 v[115:116], v[115:116], v[125:126], v[123:124]
	s_waitcnt lgkmcnt(0)
	s_delay_alu instid0(VALU_DEP_1)
	v_fma_f64 v[123:124], v[117:118], v[127:128], v[115:116]
	scratch_load_b128 v[115:118], off, off offset:168
	s_waitcnt vmcnt(4)
	v_fma_f64 v[119:120], v[119:120], v[129:130], v[123:124]
	ds_load_b128 v[123:126], v1 offset:512
	ds_load_b128 v[127:130], v1 offset:528
	s_waitcnt lgkmcnt(1)
	;; [unrolled: 13-line block ×8, first 2 shown]
	v_fma_f64 v[123:124], v[11:12], v[123:124], v[9:10]
	scratch_load_b128 v[9:12], off, off offset:376
	s_waitcnt vmcnt(4)
	v_fma_f64 v[111:112], v[111:112], v[125:126], v[123:124]
	s_waitcnt lgkmcnt(0)
	s_delay_alu instid0(VALU_DEP_1) | instskip(SKIP_1) | instid1(VALU_DEP_1)
	v_fma_f64 v[111:112], v[113:114], v[127:128], v[111:112]
	s_waitcnt vmcnt(3)
	v_fma_f64 v[115:116], v[115:116], v[129:130], v[111:112]
	ds_load_b128 v[111:114], v1 offset:736
	ds_load_b128 v[123:126], v1 offset:752
	s_waitcnt lgkmcnt(1)
	v_fma_f64 v[111:112], v[117:118], v[111:112], v[115:116]
	s_waitcnt vmcnt(2)
	s_delay_alu instid0(VALU_DEP_1) | instskip(SKIP_1) | instid1(VALU_DEP_1)
	v_fma_f64 v[111:112], v[119:120], v[113:114], v[111:112]
	s_waitcnt lgkmcnt(0)
	v_fma_f64 v[111:112], v[121:122], v[123:124], v[111:112]
	s_waitcnt vmcnt(1)
	s_delay_alu instid0(VALU_DEP_1)
	v_fma_f64 v[4:5], v[4:5], v[125:126], v[111:112]
	ds_load_b128 v[111:114], v1 offset:768
	ds_load_b64 v[115:116], v1 offset:784
	s_waitcnt lgkmcnt(1)
	v_fma_f64 v[4:5], v[6:7], v[111:112], v[4:5]
	s_waitcnt vmcnt(0)
	s_delay_alu instid0(VALU_DEP_1) | instskip(SKIP_1) | instid1(VALU_DEP_1)
	v_fma_f64 v[4:5], v[9:10], v[113:114], v[4:5]
	s_waitcnt lgkmcnt(0)
	v_fma_f64 v[4:5], v[11:12], v[115:116], v[4:5]
	s_delay_alu instid0(VALU_DEP_1)
	v_add_f64 v[2:3], v[2:3], -v[4:5]
	scratch_store_b64 off, v[2:3], off offset:40
	v_cmpx_lt_u32_e32 4, v0
	s_cbranch_execz .LBB112_295
; %bb.294:
	scratch_load_b64 v[3:4], off, off offset:32
	v_mov_b32_e32 v2, v1
	scratch_store_b64 off, v[1:2], off offset:32
	s_waitcnt vmcnt(0)
	ds_store_b64 v8, v[3:4]
.LBB112_295:
	s_or_b32 exec_lo, exec_lo, s0
	s_waitcnt lgkmcnt(0)
	s_waitcnt_vscnt null, 0x0
	s_barrier
	buffer_gl0_inv
	s_clause 0x4
	scratch_load_b128 v[2:5], off, off offset:32
	scratch_load_b128 v[9:12], off, off offset:48
	scratch_load_b128 v[111:114], off, off offset:64
	scratch_load_b128 v[115:118], off, off offset:80
	scratch_load_b128 v[119:122], off, off offset:96
	ds_load_2addr_b64 v[123:126], v1 offset0:55 offset1:56
	ds_load_2addr_b64 v[127:130], v1 offset0:57 offset1:58
	s_mov_b32 s0, exec_lo
	s_waitcnt vmcnt(4) lgkmcnt(1)
	v_fma_f64 v[123:124], v[4:5], v[123:124], 0
	scratch_load_b128 v[4:7], off, off offset:112
	s_waitcnt vmcnt(4)
	v_fma_f64 v[9:10], v[9:10], v[125:126], v[123:124]
	s_waitcnt lgkmcnt(0)
	s_delay_alu instid0(VALU_DEP_1)
	v_fma_f64 v[123:124], v[11:12], v[127:128], v[9:10]
	scratch_load_b128 v[9:12], off, off offset:128
	s_waitcnt vmcnt(4)
	v_fma_f64 v[111:112], v[111:112], v[129:130], v[123:124]
	ds_load_2addr_b64 v[123:126], v1 offset0:59 offset1:60
	ds_load_2addr_b64 v[127:130], v1 offset0:61 offset1:62
	s_waitcnt lgkmcnt(1)
	v_fma_f64 v[123:124], v[113:114], v[123:124], v[111:112]
	scratch_load_b128 v[111:114], off, off offset:144
	s_waitcnt vmcnt(4)
	v_fma_f64 v[115:116], v[115:116], v[125:126], v[123:124]
	s_waitcnt lgkmcnt(0)
	s_delay_alu instid0(VALU_DEP_1)
	v_fma_f64 v[123:124], v[117:118], v[127:128], v[115:116]
	scratch_load_b128 v[115:118], off, off offset:160
	s_waitcnt vmcnt(4)
	v_fma_f64 v[119:120], v[119:120], v[129:130], v[123:124]
	ds_load_2addr_b64 v[123:126], v1 offset0:63 offset1:64
	ds_load_2addr_b64 v[127:130], v1 offset0:65 offset1:66
	s_waitcnt lgkmcnt(1)
	;; [unrolled: 13-line block ×8, first 2 shown]
	v_fma_f64 v[123:124], v[11:12], v[123:124], v[9:10]
	scratch_load_b128 v[9:12], off, off offset:368
	s_waitcnt vmcnt(4)
	v_fma_f64 v[111:112], v[111:112], v[125:126], v[123:124]
	s_waitcnt lgkmcnt(0)
	s_delay_alu instid0(VALU_DEP_1)
	v_fma_f64 v[111:112], v[113:114], v[127:128], v[111:112]
	scratch_load_b64 v[127:128], off, off offset:384
	s_waitcnt vmcnt(4)
	v_fma_f64 v[115:116], v[115:116], v[129:130], v[111:112]
	ds_load_2addr_b64 v[111:114], v1 offset0:91 offset1:92
	ds_load_2addr_b64 v[123:126], v1 offset0:93 offset1:94
	s_waitcnt lgkmcnt(1)
	v_fma_f64 v[111:112], v[117:118], v[111:112], v[115:116]
	s_waitcnt vmcnt(3)
	s_delay_alu instid0(VALU_DEP_1) | instskip(SKIP_1) | instid1(VALU_DEP_1)
	v_fma_f64 v[111:112], v[119:120], v[113:114], v[111:112]
	s_waitcnt lgkmcnt(0)
	v_fma_f64 v[111:112], v[121:122], v[123:124], v[111:112]
	s_waitcnt vmcnt(2)
	s_delay_alu instid0(VALU_DEP_1)
	v_fma_f64 v[4:5], v[4:5], v[125:126], v[111:112]
	ds_load_2addr_b64 v[111:114], v1 offset0:95 offset1:96
	ds_load_2addr_b64 v[115:118], v1 offset0:97 offset1:98
	s_waitcnt lgkmcnt(1)
	v_fma_f64 v[4:5], v[6:7], v[111:112], v[4:5]
	s_waitcnt vmcnt(1)
	s_delay_alu instid0(VALU_DEP_1) | instskip(SKIP_1) | instid1(VALU_DEP_1)
	v_fma_f64 v[4:5], v[9:10], v[113:114], v[4:5]
	s_waitcnt lgkmcnt(0)
	v_fma_f64 v[4:5], v[11:12], v[115:116], v[4:5]
	s_waitcnt vmcnt(0)
	s_delay_alu instid0(VALU_DEP_1) | instskip(NEXT) | instid1(VALU_DEP_1)
	v_fma_f64 v[4:5], v[127:128], v[117:118], v[4:5]
	v_add_f64 v[1:2], v[2:3], -v[4:5]
	scratch_store_b64 off, v[1:2], off offset:32
	v_cmpx_lt_u32_e32 3, v0
	s_cbranch_execz .LBB112_297
; %bb.296:
	scratch_load_b64 v[1:2], off, off offset:24
	v_mov_b32_e32 v3, 0
	s_delay_alu instid0(VALU_DEP_1)
	v_mov_b32_e32 v4, v3
	scratch_store_b64 off, v[3:4], off offset:24
	s_waitcnt vmcnt(0)
	ds_store_b64 v8, v[1:2]
.LBB112_297:
	s_or_b32 exec_lo, exec_lo, s0
	s_waitcnt lgkmcnt(0)
	s_waitcnt_vscnt null, 0x0
	s_barrier
	buffer_gl0_inv
	s_clause 0x4
	scratch_load_b128 v[1:4], off, off offset:24
	scratch_load_b128 v[9:12], off, off offset:40
	;; [unrolled: 1-line block ×5, first 2 shown]
	v_mov_b32_e32 v5, 0
	ds_load_b128 v[123:126], v5 offset:432
	ds_load_b128 v[127:130], v5 offset:448
	scratch_load_b128 v[131:134], off, off offset:104
	s_mov_b32 s0, exec_lo
	s_waitcnt vmcnt(5) lgkmcnt(1)
	v_fma_f64 v[3:4], v[3:4], v[123:124], 0
	s_waitcnt vmcnt(4)
	s_delay_alu instid0(VALU_DEP_1) | instskip(SKIP_1) | instid1(VALU_DEP_1)
	v_fma_f64 v[3:4], v[9:10], v[125:126], v[3:4]
	s_waitcnt lgkmcnt(0)
	v_fma_f64 v[3:4], v[11:12], v[127:128], v[3:4]
	scratch_load_b128 v[9:12], off, off offset:120
	s_waitcnt vmcnt(4)
	v_fma_f64 v[3:4], v[111:112], v[129:130], v[3:4]
	ds_load_b128 v[123:126], v5 offset:464
	ds_load_b128 v[127:130], v5 offset:480
	s_waitcnt lgkmcnt(1)
	v_fma_f64 v[3:4], v[113:114], v[123:124], v[3:4]
	scratch_load_b128 v[111:114], off, off offset:136
	s_waitcnt vmcnt(4)
	v_fma_f64 v[3:4], v[115:116], v[125:126], v[3:4]
	s_waitcnt lgkmcnt(0)
	s_delay_alu instid0(VALU_DEP_1)
	v_fma_f64 v[3:4], v[117:118], v[127:128], v[3:4]
	scratch_load_b128 v[115:118], off, off offset:152
	s_waitcnt vmcnt(4)
	v_fma_f64 v[3:4], v[119:120], v[129:130], v[3:4]
	ds_load_b128 v[123:126], v5 offset:496
	ds_load_b128 v[127:130], v5 offset:512
	s_waitcnt lgkmcnt(1)
	v_fma_f64 v[3:4], v[121:122], v[123:124], v[3:4]
	scratch_load_b128 v[119:122], off, off offset:168
	s_waitcnt vmcnt(4)
	v_fma_f64 v[3:4], v[131:132], v[125:126], v[3:4]
	scratch_load_b128 v[123:126], off, off offset:184
	s_waitcnt lgkmcnt(0)
	v_fma_f64 v[3:4], v[133:134], v[127:128], v[3:4]
	s_waitcnt vmcnt(4)
	s_delay_alu instid0(VALU_DEP_1)
	v_fma_f64 v[3:4], v[9:10], v[129:130], v[3:4]
	ds_load_b128 v[127:130], v5 offset:528
	ds_load_b128 v[131:134], v5 offset:544
	s_waitcnt lgkmcnt(1)
	v_fma_f64 v[3:4], v[11:12], v[127:128], v[3:4]
	scratch_load_b128 v[9:12], off, off offset:200
	s_waitcnt vmcnt(4)
	v_fma_f64 v[3:4], v[111:112], v[129:130], v[3:4]
	s_waitcnt lgkmcnt(0)
	s_delay_alu instid0(VALU_DEP_1)
	v_fma_f64 v[3:4], v[113:114], v[131:132], v[3:4]
	scratch_load_b128 v[111:114], off, off offset:216
	s_waitcnt vmcnt(4)
	v_fma_f64 v[3:4], v[115:116], v[133:134], v[3:4]
	ds_load_b128 v[127:130], v5 offset:560
	ds_load_b128 v[131:134], v5 offset:576
	s_waitcnt lgkmcnt(1)
	v_fma_f64 v[3:4], v[117:118], v[127:128], v[3:4]
	scratch_load_b128 v[115:118], off, off offset:232
	s_waitcnt vmcnt(4)
	v_fma_f64 v[3:4], v[119:120], v[129:130], v[3:4]
	s_waitcnt lgkmcnt(0)
	s_delay_alu instid0(VALU_DEP_1)
	v_fma_f64 v[3:4], v[121:122], v[131:132], v[3:4]
	scratch_load_b128 v[119:122], off, off offset:248
	s_waitcnt vmcnt(4)
	;; [unrolled: 13-line block ×6, first 2 shown]
	v_fma_f64 v[3:4], v[115:116], v[133:134], v[3:4]
	ds_load_b128 v[127:130], v5 offset:720
	ds_load_b128 v[131:134], v5 offset:736
	s_waitcnt lgkmcnt(1)
	v_fma_f64 v[3:4], v[117:118], v[127:128], v[3:4]
	s_waitcnt vmcnt(3)
	s_delay_alu instid0(VALU_DEP_1) | instskip(SKIP_1) | instid1(VALU_DEP_1)
	v_fma_f64 v[3:4], v[119:120], v[129:130], v[3:4]
	s_waitcnt lgkmcnt(0)
	v_fma_f64 v[3:4], v[121:122], v[131:132], v[3:4]
	ds_load_b128 v[115:118], v5 offset:752
	ds_load_b128 v[119:122], v5 offset:768
	ds_load_b64 v[6:7], v5 offset:784
	s_waitcnt vmcnt(2)
	v_fma_f64 v[3:4], v[123:124], v[133:134], v[3:4]
	s_waitcnt lgkmcnt(2)
	s_delay_alu instid0(VALU_DEP_1) | instskip(SKIP_1) | instid1(VALU_DEP_1)
	v_fma_f64 v[3:4], v[125:126], v[115:116], v[3:4]
	s_waitcnt vmcnt(1)
	v_fma_f64 v[3:4], v[9:10], v[117:118], v[3:4]
	s_waitcnt lgkmcnt(1)
	s_delay_alu instid0(VALU_DEP_1) | instskip(SKIP_1) | instid1(VALU_DEP_1)
	v_fma_f64 v[3:4], v[11:12], v[119:120], v[3:4]
	s_waitcnt vmcnt(0)
	v_fma_f64 v[3:4], v[111:112], v[121:122], v[3:4]
	s_waitcnt lgkmcnt(0)
	s_delay_alu instid0(VALU_DEP_1) | instskip(NEXT) | instid1(VALU_DEP_1)
	v_fma_f64 v[3:4], v[113:114], v[6:7], v[3:4]
	v_add_f64 v[1:2], v[1:2], -v[3:4]
	scratch_store_b64 off, v[1:2], off offset:24
	v_cmpx_lt_u32_e32 2, v0
	s_cbranch_execz .LBB112_299
; %bb.298:
	scratch_load_b64 v[1:2], off, off offset:16
	v_mov_b32_e32 v6, v5
	scratch_store_b64 off, v[5:6], off offset:16
	s_waitcnt vmcnt(0)
	ds_store_b64 v8, v[1:2]
.LBB112_299:
	s_or_b32 exec_lo, exec_lo, s0
	s_waitcnt lgkmcnt(0)
	s_waitcnt_vscnt null, 0x0
	s_barrier
	buffer_gl0_inv
	s_clause 0x4
	scratch_load_b128 v[1:4], off, off offset:16
	scratch_load_b128 v[9:12], off, off offset:32
	;; [unrolled: 1-line block ×5, first 2 shown]
	ds_load_2addr_b64 v[123:126], v5 offset0:53 offset1:54
	ds_load_2addr_b64 v[127:130], v5 offset0:55 offset1:56
	scratch_load_b128 v[131:134], off, off offset:96
	s_mov_b32 s0, exec_lo
	s_waitcnt vmcnt(5) lgkmcnt(1)
	v_fma_f64 v[3:4], v[3:4], v[123:124], 0
	s_waitcnt vmcnt(4)
	s_delay_alu instid0(VALU_DEP_1) | instskip(SKIP_1) | instid1(VALU_DEP_1)
	v_fma_f64 v[3:4], v[9:10], v[125:126], v[3:4]
	s_waitcnt lgkmcnt(0)
	v_fma_f64 v[3:4], v[11:12], v[127:128], v[3:4]
	scratch_load_b128 v[9:12], off, off offset:112
	s_waitcnt vmcnt(4)
	v_fma_f64 v[3:4], v[111:112], v[129:130], v[3:4]
	ds_load_2addr_b64 v[123:126], v5 offset0:57 offset1:58
	ds_load_2addr_b64 v[127:130], v5 offset0:59 offset1:60
	s_waitcnt lgkmcnt(1)
	v_fma_f64 v[3:4], v[113:114], v[123:124], v[3:4]
	scratch_load_b128 v[111:114], off, off offset:128
	s_waitcnt vmcnt(4)
	v_fma_f64 v[3:4], v[115:116], v[125:126], v[3:4]
	s_waitcnt lgkmcnt(0)
	s_delay_alu instid0(VALU_DEP_1)
	v_fma_f64 v[3:4], v[117:118], v[127:128], v[3:4]
	scratch_load_b128 v[115:118], off, off offset:144
	s_waitcnt vmcnt(4)
	v_fma_f64 v[3:4], v[119:120], v[129:130], v[3:4]
	ds_load_2addr_b64 v[123:126], v5 offset0:61 offset1:62
	ds_load_2addr_b64 v[127:130], v5 offset0:63 offset1:64
	s_waitcnt lgkmcnt(1)
	v_fma_f64 v[3:4], v[121:122], v[123:124], v[3:4]
	scratch_load_b128 v[119:122], off, off offset:160
	s_waitcnt vmcnt(4)
	v_fma_f64 v[3:4], v[131:132], v[125:126], v[3:4]
	scratch_load_b128 v[123:126], off, off offset:176
	s_waitcnt lgkmcnt(0)
	v_fma_f64 v[3:4], v[133:134], v[127:128], v[3:4]
	s_waitcnt vmcnt(4)
	s_delay_alu instid0(VALU_DEP_1)
	v_fma_f64 v[3:4], v[9:10], v[129:130], v[3:4]
	ds_load_2addr_b64 v[127:130], v5 offset0:65 offset1:66
	ds_load_2addr_b64 v[131:134], v5 offset0:67 offset1:68
	s_waitcnt lgkmcnt(1)
	v_fma_f64 v[3:4], v[11:12], v[127:128], v[3:4]
	scratch_load_b128 v[9:12], off, off offset:192
	s_waitcnt vmcnt(4)
	v_fma_f64 v[3:4], v[111:112], v[129:130], v[3:4]
	s_waitcnt lgkmcnt(0)
	s_delay_alu instid0(VALU_DEP_1)
	v_fma_f64 v[3:4], v[113:114], v[131:132], v[3:4]
	scratch_load_b128 v[111:114], off, off offset:208
	s_waitcnt vmcnt(4)
	v_fma_f64 v[3:4], v[115:116], v[133:134], v[3:4]
	ds_load_2addr_b64 v[127:130], v5 offset0:69 offset1:70
	ds_load_2addr_b64 v[131:134], v5 offset0:71 offset1:72
	s_waitcnt lgkmcnt(1)
	v_fma_f64 v[3:4], v[117:118], v[127:128], v[3:4]
	scratch_load_b128 v[115:118], off, off offset:224
	s_waitcnt vmcnt(4)
	v_fma_f64 v[3:4], v[119:120], v[129:130], v[3:4]
	s_waitcnt lgkmcnt(0)
	s_delay_alu instid0(VALU_DEP_1)
	v_fma_f64 v[3:4], v[121:122], v[131:132], v[3:4]
	scratch_load_b128 v[119:122], off, off offset:240
	s_waitcnt vmcnt(4)
	;; [unrolled: 13-line block ×6, first 2 shown]
	v_fma_f64 v[3:4], v[115:116], v[133:134], v[3:4]
	ds_load_2addr_b64 v[127:130], v5 offset0:89 offset1:90
	ds_load_2addr_b64 v[131:134], v5 offset0:91 offset1:92
	s_waitcnt lgkmcnt(1)
	v_fma_f64 v[3:4], v[117:118], v[127:128], v[3:4]
	scratch_load_b64 v[127:128], off, off offset:384
	s_waitcnt vmcnt(4)
	v_fma_f64 v[3:4], v[119:120], v[129:130], v[3:4]
	s_waitcnt lgkmcnt(0)
	s_delay_alu instid0(VALU_DEP_1)
	v_fma_f64 v[3:4], v[121:122], v[131:132], v[3:4]
	ds_load_2addr_b64 v[115:118], v5 offset0:93 offset1:94
	ds_load_2addr_b64 v[119:122], v5 offset0:95 offset1:96
	s_waitcnt vmcnt(3)
	v_fma_f64 v[3:4], v[123:124], v[133:134], v[3:4]
	s_waitcnt lgkmcnt(1)
	s_delay_alu instid0(VALU_DEP_1) | instskip(SKIP_1) | instid1(VALU_DEP_1)
	v_fma_f64 v[3:4], v[125:126], v[115:116], v[3:4]
	s_waitcnt vmcnt(2)
	v_fma_f64 v[3:4], v[9:10], v[117:118], v[3:4]
	s_waitcnt lgkmcnt(0)
	s_delay_alu instid0(VALU_DEP_1) | instskip(SKIP_1) | instid1(VALU_DEP_1)
	v_fma_f64 v[3:4], v[11:12], v[119:120], v[3:4]
	s_waitcnt vmcnt(1)
	v_fma_f64 v[9:10], v[111:112], v[121:122], v[3:4]
	ds_load_2addr_b64 v[3:6], v5 offset0:97 offset1:98
	s_waitcnt lgkmcnt(0)
	v_fma_f64 v[3:4], v[113:114], v[3:4], v[9:10]
	s_waitcnt vmcnt(0)
	s_delay_alu instid0(VALU_DEP_1) | instskip(NEXT) | instid1(VALU_DEP_1)
	v_fma_f64 v[3:4], v[127:128], v[5:6], v[3:4]
	v_add_f64 v[1:2], v[1:2], -v[3:4]
	scratch_store_b64 off, v[1:2], off offset:16
	v_cmpx_lt_u32_e32 1, v0
	s_cbranch_execz .LBB112_301
; %bb.300:
	scratch_load_b64 v[1:2], off, off offset:8
	v_mov_b32_e32 v3, 0
	s_delay_alu instid0(VALU_DEP_1)
	v_mov_b32_e32 v4, v3
	scratch_store_b64 off, v[3:4], off offset:8
	s_waitcnt vmcnt(0)
	ds_store_b64 v8, v[1:2]
.LBB112_301:
	s_or_b32 exec_lo, exec_lo, s0
	s_waitcnt lgkmcnt(0)
	s_waitcnt_vscnt null, 0x0
	s_barrier
	buffer_gl0_inv
	s_clause 0x4
	scratch_load_b128 v[1:4], off, off offset:8
	scratch_load_b128 v[9:12], off, off offset:24
	;; [unrolled: 1-line block ×5, first 2 shown]
	v_mov_b32_e32 v6, 0
	ds_load_b128 v[123:126], v6 offset:416
	ds_load_b128 v[127:130], v6 offset:432
	scratch_load_b128 v[131:134], off, off offset:88
	s_mov_b32 s0, exec_lo
	s_waitcnt vmcnt(5) lgkmcnt(1)
	v_fma_f64 v[3:4], v[3:4], v[123:124], 0
	s_waitcnt vmcnt(4)
	s_delay_alu instid0(VALU_DEP_1) | instskip(SKIP_1) | instid1(VALU_DEP_1)
	v_fma_f64 v[3:4], v[9:10], v[125:126], v[3:4]
	s_waitcnt lgkmcnt(0)
	v_fma_f64 v[3:4], v[11:12], v[127:128], v[3:4]
	scratch_load_b128 v[9:12], off, off offset:104
	s_waitcnt vmcnt(4)
	v_fma_f64 v[3:4], v[111:112], v[129:130], v[3:4]
	ds_load_b128 v[123:126], v6 offset:448
	ds_load_b128 v[127:130], v6 offset:464
	s_waitcnt lgkmcnt(1)
	v_fma_f64 v[3:4], v[113:114], v[123:124], v[3:4]
	scratch_load_b128 v[111:114], off, off offset:120
	s_waitcnt vmcnt(4)
	v_fma_f64 v[3:4], v[115:116], v[125:126], v[3:4]
	s_waitcnt lgkmcnt(0)
	s_delay_alu instid0(VALU_DEP_1)
	v_fma_f64 v[3:4], v[117:118], v[127:128], v[3:4]
	scratch_load_b128 v[115:118], off, off offset:136
	s_waitcnt vmcnt(4)
	v_fma_f64 v[3:4], v[119:120], v[129:130], v[3:4]
	ds_load_b128 v[123:126], v6 offset:480
	ds_load_b128 v[127:130], v6 offset:496
	s_waitcnt lgkmcnt(1)
	v_fma_f64 v[3:4], v[121:122], v[123:124], v[3:4]
	scratch_load_b128 v[119:122], off, off offset:152
	s_waitcnt vmcnt(4)
	v_fma_f64 v[3:4], v[131:132], v[125:126], v[3:4]
	scratch_load_b128 v[123:126], off, off offset:168
	s_waitcnt lgkmcnt(0)
	v_fma_f64 v[3:4], v[133:134], v[127:128], v[3:4]
	s_waitcnt vmcnt(4)
	s_delay_alu instid0(VALU_DEP_1)
	v_fma_f64 v[3:4], v[9:10], v[129:130], v[3:4]
	ds_load_b128 v[127:130], v6 offset:512
	ds_load_b128 v[131:134], v6 offset:528
	s_waitcnt lgkmcnt(1)
	v_fma_f64 v[3:4], v[11:12], v[127:128], v[3:4]
	scratch_load_b128 v[9:12], off, off offset:184
	s_waitcnt vmcnt(4)
	v_fma_f64 v[3:4], v[111:112], v[129:130], v[3:4]
	s_waitcnt lgkmcnt(0)
	s_delay_alu instid0(VALU_DEP_1)
	v_fma_f64 v[3:4], v[113:114], v[131:132], v[3:4]
	scratch_load_b128 v[111:114], off, off offset:200
	s_waitcnt vmcnt(4)
	v_fma_f64 v[3:4], v[115:116], v[133:134], v[3:4]
	ds_load_b128 v[127:130], v6 offset:544
	ds_load_b128 v[131:134], v6 offset:560
	s_waitcnt lgkmcnt(1)
	v_fma_f64 v[3:4], v[117:118], v[127:128], v[3:4]
	scratch_load_b128 v[115:118], off, off offset:216
	s_waitcnt vmcnt(4)
	v_fma_f64 v[3:4], v[119:120], v[129:130], v[3:4]
	s_waitcnt lgkmcnt(0)
	s_delay_alu instid0(VALU_DEP_1)
	v_fma_f64 v[3:4], v[121:122], v[131:132], v[3:4]
	scratch_load_b128 v[119:122], off, off offset:232
	s_waitcnt vmcnt(4)
	;; [unrolled: 13-line block ×6, first 2 shown]
	v_fma_f64 v[3:4], v[115:116], v[133:134], v[3:4]
	ds_load_b128 v[127:130], v6 offset:704
	ds_load_b128 v[131:134], v6 offset:720
	s_waitcnt lgkmcnt(1)
	v_fma_f64 v[3:4], v[117:118], v[127:128], v[3:4]
	scratch_load_b128 v[115:118], off, off offset:376
	s_waitcnt vmcnt(4)
	v_fma_f64 v[3:4], v[119:120], v[129:130], v[3:4]
	s_waitcnt lgkmcnt(0)
	s_delay_alu instid0(VALU_DEP_1)
	v_fma_f64 v[3:4], v[121:122], v[131:132], v[3:4]
	ds_load_b128 v[119:122], v6 offset:736
	ds_load_b128 v[127:130], v6 offset:752
	s_waitcnt vmcnt(3)
	v_fma_f64 v[3:4], v[123:124], v[133:134], v[3:4]
	s_waitcnt lgkmcnt(1)
	s_delay_alu instid0(VALU_DEP_1) | instskip(SKIP_1) | instid1(VALU_DEP_1)
	v_fma_f64 v[3:4], v[125:126], v[119:120], v[3:4]
	s_waitcnt vmcnt(2)
	v_fma_f64 v[3:4], v[9:10], v[121:122], v[3:4]
	s_waitcnt lgkmcnt(0)
	s_delay_alu instid0(VALU_DEP_1) | instskip(SKIP_1) | instid1(VALU_DEP_1)
	v_fma_f64 v[3:4], v[11:12], v[127:128], v[3:4]
	s_waitcnt vmcnt(1)
	v_fma_f64 v[3:4], v[111:112], v[129:130], v[3:4]
	ds_load_b128 v[9:12], v6 offset:768
	ds_load_b64 v[111:112], v6 offset:784
	s_waitcnt lgkmcnt(1)
	v_fma_f64 v[3:4], v[113:114], v[9:10], v[3:4]
	s_waitcnt vmcnt(0)
	s_delay_alu instid0(VALU_DEP_1) | instskip(SKIP_1) | instid1(VALU_DEP_1)
	v_fma_f64 v[3:4], v[115:116], v[11:12], v[3:4]
	s_waitcnt lgkmcnt(0)
	v_fma_f64 v[3:4], v[117:118], v[111:112], v[3:4]
	s_delay_alu instid0(VALU_DEP_1)
	v_add_f64 v[1:2], v[1:2], -v[3:4]
	scratch_store_b64 off, v[1:2], off offset:8
	v_cmpx_ne_u32_e32 0, v0
	s_cbranch_execz .LBB112_303
; %bb.302:
	scratch_load_b64 v[0:1], off, off
	v_mov_b32_e32 v7, v6
	scratch_store_b64 off, v[6:7], off
	s_waitcnt vmcnt(0)
	ds_store_b64 v8, v[0:1]
.LBB112_303:
	s_or_b32 exec_lo, exec_lo, s0
	s_waitcnt lgkmcnt(0)
	s_waitcnt_vscnt null, 0x0
	s_barrier
	buffer_gl0_inv
	s_clause 0x4
	scratch_load_b128 v[0:3], off, off
	scratch_load_b128 v[7:10], off, off offset:16
	scratch_load_b128 v[111:114], off, off offset:32
	;; [unrolled: 1-line block ×4, first 2 shown]
	ds_load_2addr_b64 v[123:126], v6 offset0:51 offset1:52
	ds_load_2addr_b64 v[127:130], v6 offset0:53 offset1:54
	s_and_b32 vcc_lo, exec_lo, s12
	s_waitcnt vmcnt(4) lgkmcnt(1)
	v_fma_f64 v[11:12], v[2:3], v[123:124], 0
	scratch_load_b128 v[2:5], off, off offset:80
	s_waitcnt vmcnt(4)
	v_fma_f64 v[7:8], v[7:8], v[125:126], v[11:12]
	s_waitcnt lgkmcnt(0)
	s_delay_alu instid0(VALU_DEP_1)
	v_fma_f64 v[11:12], v[9:10], v[127:128], v[7:8]
	scratch_load_b128 v[7:10], off, off offset:96
	s_waitcnt vmcnt(4)
	v_fma_f64 v[11:12], v[111:112], v[129:130], v[11:12]
	ds_load_2addr_b64 v[123:126], v6 offset0:55 offset1:56
	ds_load_2addr_b64 v[127:130], v6 offset0:57 offset1:58
	s_waitcnt lgkmcnt(1)
	v_fma_f64 v[11:12], v[113:114], v[123:124], v[11:12]
	scratch_load_b128 v[111:114], off, off offset:112
	s_waitcnt vmcnt(4)
	v_fma_f64 v[11:12], v[115:116], v[125:126], v[11:12]
	s_waitcnt lgkmcnt(0)
	s_delay_alu instid0(VALU_DEP_1)
	v_fma_f64 v[11:12], v[117:118], v[127:128], v[11:12]
	scratch_load_b128 v[115:118], off, off offset:128
	s_waitcnt vmcnt(4)
	v_fma_f64 v[11:12], v[119:120], v[129:130], v[11:12]
	ds_load_2addr_b64 v[123:126], v6 offset0:59 offset1:60
	ds_load_2addr_b64 v[127:130], v6 offset0:61 offset1:62
	s_waitcnt lgkmcnt(1)
	;; [unrolled: 13-line block ×7, first 2 shown]
	v_fma_f64 v[11:12], v[121:122], v[123:124], v[11:12]
	scratch_load_b128 v[119:122], off, off offset:304
	s_waitcnt vmcnt(4)
	v_fma_f64 v[2:3], v[2:3], v[125:126], v[11:12]
	scratch_load_b128 v[123:126], off, off offset:320
	s_waitcnt lgkmcnt(0)
	v_fma_f64 v[2:3], v[4:5], v[127:128], v[2:3]
	s_waitcnt vmcnt(4)
	s_delay_alu instid0(VALU_DEP_1)
	v_fma_f64 v[7:8], v[7:8], v[129:130], v[2:3]
	ds_load_2addr_b64 v[2:5], v6 offset0:83 offset1:84
	ds_load_2addr_b64 v[127:130], v6 offset0:85 offset1:86
	s_waitcnt lgkmcnt(1)
	v_fma_f64 v[2:3], v[9:10], v[2:3], v[7:8]
	scratch_load_b128 v[7:10], off, off offset:336
	s_waitcnt vmcnt(4)
	v_fma_f64 v[2:3], v[111:112], v[4:5], v[2:3]
	s_waitcnt lgkmcnt(0)
	s_delay_alu instid0(VALU_DEP_1)
	v_fma_f64 v[2:3], v[113:114], v[127:128], v[2:3]
	scratch_load_b128 v[111:114], off, off offset:352
	s_waitcnt vmcnt(4)
	v_fma_f64 v[2:3], v[115:116], v[129:130], v[2:3]
	ds_load_2addr_b64 v[127:130], v6 offset0:87 offset1:88
	ds_load_2addr_b64 v[131:134], v6 offset0:89 offset1:90
	s_waitcnt lgkmcnt(1)
	v_fma_f64 v[11:12], v[117:118], v[127:128], v[2:3]
	s_clause 0x1
	scratch_load_b128 v[2:5], off, off offset:368
	scratch_load_b64 v[127:128], off, off offset:384
	s_waitcnt vmcnt(5)
	v_fma_f64 v[11:12], v[119:120], v[129:130], v[11:12]
	s_waitcnt lgkmcnt(0)
	s_delay_alu instid0(VALU_DEP_1)
	v_fma_f64 v[11:12], v[121:122], v[131:132], v[11:12]
	ds_load_2addr_b64 v[115:118], v6 offset0:91 offset1:92
	ds_load_2addr_b64 v[119:122], v6 offset0:93 offset1:94
	s_waitcnt vmcnt(4)
	v_fma_f64 v[11:12], v[123:124], v[133:134], v[11:12]
	s_waitcnt lgkmcnt(1)
	s_delay_alu instid0(VALU_DEP_1) | instskip(SKIP_1) | instid1(VALU_DEP_1)
	v_fma_f64 v[11:12], v[125:126], v[115:116], v[11:12]
	s_waitcnt vmcnt(3)
	v_fma_f64 v[7:8], v[7:8], v[117:118], v[11:12]
	s_waitcnt lgkmcnt(0)
	s_delay_alu instid0(VALU_DEP_1) | instskip(SKIP_1) | instid1(VALU_DEP_1)
	v_fma_f64 v[7:8], v[9:10], v[119:120], v[7:8]
	s_waitcnt vmcnt(2)
	v_fma_f64 v[11:12], v[111:112], v[121:122], v[7:8]
	ds_load_2addr_b64 v[7:10], v6 offset0:95 offset1:96
	ds_load_2addr_b64 v[115:118], v6 offset0:97 offset1:98
	s_waitcnt lgkmcnt(1)
	v_fma_f64 v[6:7], v[113:114], v[7:8], v[11:12]
	s_waitcnt vmcnt(1)
	s_delay_alu instid0(VALU_DEP_1) | instskip(SKIP_1) | instid1(VALU_DEP_1)
	v_fma_f64 v[2:3], v[2:3], v[9:10], v[6:7]
	s_waitcnt lgkmcnt(0)
	v_fma_f64 v[2:3], v[4:5], v[115:116], v[2:3]
	s_waitcnt vmcnt(0)
	s_delay_alu instid0(VALU_DEP_1) | instskip(NEXT) | instid1(VALU_DEP_1)
	v_fma_f64 v[2:3], v[127:128], v[117:118], v[2:3]
	v_add_f64 v[0:1], v[0:1], -v[2:3]
	scratch_store_b64 off, v[0:1], off
	s_cbranch_vccz .LBB112_401
; %bb.304:
	v_dual_mov_b32 v0, s2 :: v_dual_mov_b32 v1, s3
	s_mov_b32 s0, exec_lo
	flat_load_b32 v0, v[0:1] offset:188
	s_waitcnt vmcnt(0) lgkmcnt(0)
	v_cmpx_ne_u32_e32 48, v0
	s_cbranch_execz .LBB112_306
; %bb.305:
	v_lshl_add_u32 v2, v0, 3, 0
	scratch_load_b64 v[0:1], v2, off offset:-8
	s_waitcnt vmcnt(0)
	scratch_store_b64 off, v[0:1], off offset:376
	scratch_store_b64 v2, v[4:5], off offset:-8
.LBB112_306:
	s_or_b32 exec_lo, exec_lo, s0
	v_dual_mov_b32 v0, s2 :: v_dual_mov_b32 v1, s3
	s_mov_b32 s0, exec_lo
	flat_load_b32 v0, v[0:1] offset:184
	s_waitcnt vmcnt(0) lgkmcnt(0)
	v_cmpx_ne_u32_e32 47, v0
	s_cbranch_execz .LBB112_308
; %bb.307:
	v_lshl_add_u32 v4, v0, 3, 0
	scratch_load_b64 v[0:1], v4, off offset:-8
	scratch_load_b64 v[2:3], off, off offset:368
	s_waitcnt vmcnt(1)
	scratch_store_b64 off, v[0:1], off offset:368
	s_waitcnt vmcnt(0)
	scratch_store_b64 v4, v[2:3], off offset:-8
.LBB112_308:
	s_or_b32 exec_lo, exec_lo, s0
	v_dual_mov_b32 v0, s2 :: v_dual_mov_b32 v1, s3
	s_mov_b32 s0, exec_lo
	flat_load_b32 v0, v[0:1] offset:180
	s_waitcnt vmcnt(0) lgkmcnt(0)
	v_cmpx_ne_u32_e32 46, v0
	s_cbranch_execz .LBB112_310
; %bb.309:
	v_lshl_add_u32 v4, v0, 3, 0
	scratch_load_b64 v[0:1], v4, off offset:-8
	scratch_load_b64 v[2:3], off, off offset:360
	s_waitcnt vmcnt(1)
	scratch_store_b64 off, v[0:1], off offset:360
	s_waitcnt vmcnt(0)
	scratch_store_b64 v4, v[2:3], off offset:-8
.LBB112_310:
	;; [unrolled: 16-line block ×46, first 2 shown]
	s_or_b32 exec_lo, exec_lo, s0
	v_dual_mov_b32 v0, s2 :: v_dual_mov_b32 v1, s3
	s_mov_b32 s0, exec_lo
	flat_load_b32 v2, v[0:1]
	scratch_load_b64 v[0:1], off, off
	s_waitcnt vmcnt(1) lgkmcnt(0)
	v_cmpx_ne_u32_e32 1, v2
	s_cbranch_execz .LBB112_400
; %bb.399:
	v_lshl_add_u32 v4, v2, 3, 0
	scratch_load_b64 v[2:3], v4, off offset:-8
	s_waitcnt vmcnt(0)
	scratch_store_b64 off, v[2:3], off
	scratch_store_b64 v4, v[0:1], off offset:-8
	scratch_load_b64 v[0:1], off, off
.LBB112_400:
	s_or_b32 exec_lo, exec_lo, s0
.LBB112_401:
	s_clause 0x8
	scratch_load_b128 v[2:5], off, off offset:8
	scratch_load_b128 v[6:9], off, off offset:24
	;; [unrolled: 1-line block ×9, first 2 shown]
	s_waitcnt vmcnt(9)
	global_store_b64 v[13:14], v[0:1], off
	s_clause 0x2
	scratch_load_b128 v[10:13], off, off offset:152
	scratch_load_b128 v[139:142], off, off offset:232
	;; [unrolled: 1-line block ×3, first 2 shown]
	s_waitcnt vmcnt(11)
	global_store_b64 v[15:16], v[2:3], off
	scratch_load_b128 v[0:3], off, off offset:168
	global_store_b64 v[17:18], v[4:5], off
	scratch_load_b128 v[14:17], off, off offset:184
	s_waitcnt vmcnt(12)
	global_store_b64 v[19:20], v[6:7], off
	scratch_load_b128 v[4:7], off, off offset:200
	global_store_b64 v[21:22], v[8:9], off
	scratch_load_b128 v[18:21], off, off offset:216
	s_waitcnt vmcnt(13)
	s_clause 0x1
	global_store_b64 v[23:24], v[111:112], off
	global_store_b64 v[25:26], v[113:114], off
	s_clause 0x1
	scratch_load_b128 v[22:25], off, off offset:248
	scratch_load_b128 v[111:114], off, off offset:264
	s_waitcnt vmcnt(14)
	s_clause 0x1
	global_store_b64 v[27:28], v[115:116], off
	global_store_b64 v[29:30], v[117:118], off
	s_clause 0x1
	scratch_load_b128 v[26:29], off, off offset:280
	scratch_load_b128 v[115:118], off, off offset:296
	s_waitcnt vmcnt(15)
	s_clause 0x1
	global_store_b64 v[31:32], v[119:120], off
	global_store_b64 v[53:54], v[121:122], off
	scratch_load_b128 v[119:122], off, off offset:312
	s_waitcnt vmcnt(15)
	s_clause 0x1
	global_store_b64 v[47:48], v[123:124], off
	global_store_b64 v[43:44], v[125:126], off
	scratch_load_b128 v[123:126], off, off offset:344
	s_waitcnt vmcnt(15)
	global_store_b64 v[41:42], v[127:128], off
	scratch_load_b128 v[41:44], off, off offset:360
	global_store_b64 v[37:38], v[129:130], off
	scratch_load_b128 v[127:130], off, off offset:376
	s_waitcnt vmcnt(16)
	s_clause 0x1
	global_store_b64 v[33:34], v[131:132], off
	global_store_b64 v[35:36], v[133:134], off
	s_waitcnt vmcnt(15)
	s_clause 0x1
	global_store_b64 v[39:40], v[135:136], off
	global_store_b64 v[45:46], v[137:138], off
	;; [unrolled: 4-line block ×7, first 2 shown]
	global_store_b64 v[71:72], v[139:140], off
	global_store_b64 v[73:74], v[141:142], off
	s_waitcnt vmcnt(7)
	s_clause 0x1
	global_store_b64 v[75:76], v[22:23], off
	global_store_b64 v[77:78], v[24:25], off
	s_waitcnt vmcnt(6)
	s_clause 0x1
	;; [unrolled: 4-line block ×5, first 2 shown]
	global_store_b64 v[91:92], v[119:120], off
	global_store_b64 v[93:94], v[121:122], off
	;; [unrolled: 1-line block ×4, first 2 shown]
	s_waitcnt vmcnt(2)
	s_clause 0x1
	global_store_b64 v[99:100], v[123:124], off
	global_store_b64 v[101:102], v[125:126], off
	s_waitcnt vmcnt(1)
	s_clause 0x1
	global_store_b64 v[105:106], v[41:42], off
	global_store_b64 v[109:110], v[43:44], off
	s_waitcnt vmcnt(0)
	s_clause 0x1
	global_store_b64 v[103:104], v[127:128], off
	global_store_b64 v[107:108], v[129:130], off
	s_endpgm
	.section	.rodata,"a",@progbits
	.p2align	6, 0x0
	.amdhsa_kernel _ZN9rocsolver6v33100L18getri_kernel_smallILi49EdPKPdEEvT1_iilPiilS6_bb
		.amdhsa_group_segment_fixed_size 792
		.amdhsa_private_segment_fixed_size 400
		.amdhsa_kernarg_size 60
		.amdhsa_user_sgpr_count 15
		.amdhsa_user_sgpr_dispatch_ptr 0
		.amdhsa_user_sgpr_queue_ptr 0
		.amdhsa_user_sgpr_kernarg_segment_ptr 1
		.amdhsa_user_sgpr_dispatch_id 0
		.amdhsa_user_sgpr_private_segment_size 0
		.amdhsa_wavefront_size32 1
		.amdhsa_uses_dynamic_stack 0
		.amdhsa_enable_private_segment 1
		.amdhsa_system_sgpr_workgroup_id_x 1
		.amdhsa_system_sgpr_workgroup_id_y 0
		.amdhsa_system_sgpr_workgroup_id_z 0
		.amdhsa_system_sgpr_workgroup_info 0
		.amdhsa_system_vgpr_workitem_id 0
		.amdhsa_next_free_vgpr 147
		.amdhsa_next_free_sgpr 17
		.amdhsa_reserve_vcc 1
		.amdhsa_float_round_mode_32 0
		.amdhsa_float_round_mode_16_64 0
		.amdhsa_float_denorm_mode_32 3
		.amdhsa_float_denorm_mode_16_64 3
		.amdhsa_dx10_clamp 1
		.amdhsa_ieee_mode 1
		.amdhsa_fp16_overflow 0
		.amdhsa_workgroup_processor_mode 1
		.amdhsa_memory_ordered 1
		.amdhsa_forward_progress 0
		.amdhsa_shared_vgpr_count 0
		.amdhsa_exception_fp_ieee_invalid_op 0
		.amdhsa_exception_fp_denorm_src 0
		.amdhsa_exception_fp_ieee_div_zero 0
		.amdhsa_exception_fp_ieee_overflow 0
		.amdhsa_exception_fp_ieee_underflow 0
		.amdhsa_exception_fp_ieee_inexact 0
		.amdhsa_exception_int_div_zero 0
	.end_amdhsa_kernel
	.section	.text._ZN9rocsolver6v33100L18getri_kernel_smallILi49EdPKPdEEvT1_iilPiilS6_bb,"axG",@progbits,_ZN9rocsolver6v33100L18getri_kernel_smallILi49EdPKPdEEvT1_iilPiilS6_bb,comdat
.Lfunc_end112:
	.size	_ZN9rocsolver6v33100L18getri_kernel_smallILi49EdPKPdEEvT1_iilPiilS6_bb, .Lfunc_end112-_ZN9rocsolver6v33100L18getri_kernel_smallILi49EdPKPdEEvT1_iilPiilS6_bb
                                        ; -- End function
	.section	.AMDGPU.csdata,"",@progbits
; Kernel info:
; codeLenInByte = 46776
; NumSgprs: 19
; NumVgprs: 147
; ScratchSize: 400
; MemoryBound: 0
; FloatMode: 240
; IeeeMode: 1
; LDSByteSize: 792 bytes/workgroup (compile time only)
; SGPRBlocks: 2
; VGPRBlocks: 18
; NumSGPRsForWavesPerEU: 19
; NumVGPRsForWavesPerEU: 147
; Occupancy: 9
; WaveLimiterHint : 1
; COMPUTE_PGM_RSRC2:SCRATCH_EN: 1
; COMPUTE_PGM_RSRC2:USER_SGPR: 15
; COMPUTE_PGM_RSRC2:TRAP_HANDLER: 0
; COMPUTE_PGM_RSRC2:TGID_X_EN: 1
; COMPUTE_PGM_RSRC2:TGID_Y_EN: 0
; COMPUTE_PGM_RSRC2:TGID_Z_EN: 0
; COMPUTE_PGM_RSRC2:TIDIG_COMP_CNT: 0
	.section	.text._ZN9rocsolver6v33100L18getri_kernel_smallILi50EdPKPdEEvT1_iilPiilS6_bb,"axG",@progbits,_ZN9rocsolver6v33100L18getri_kernel_smallILi50EdPKPdEEvT1_iilPiilS6_bb,comdat
	.globl	_ZN9rocsolver6v33100L18getri_kernel_smallILi50EdPKPdEEvT1_iilPiilS6_bb ; -- Begin function _ZN9rocsolver6v33100L18getri_kernel_smallILi50EdPKPdEEvT1_iilPiilS6_bb
	.p2align	8
	.type	_ZN9rocsolver6v33100L18getri_kernel_smallILi50EdPKPdEEvT1_iilPiilS6_bb,@function
_ZN9rocsolver6v33100L18getri_kernel_smallILi50EdPKPdEEvT1_iilPiilS6_bb: ; @_ZN9rocsolver6v33100L18getri_kernel_smallILi50EdPKPdEEvT1_iilPiilS6_bb
; %bb.0:
	s_mov_b32 s2, exec_lo
	v_cmpx_gt_u32_e32 50, v0
	s_cbranch_execz .LBB113_210
; %bb.1:
	s_clause 0x1
	s_load_b32 s13, s[0:1], 0x38
	s_load_b64 s[2:3], s[0:1], 0x0
	s_mov_b32 s8, s15
	s_load_b128 s[4:7], s[0:1], 0x28
	s_waitcnt lgkmcnt(0)
	s_bitcmp1_b32 s13, 8
	s_cselect_b32 s12, -1, 0
	s_ashr_i32 s9, s15, 31
	s_delay_alu instid0(SALU_CYCLE_1) | instskip(NEXT) | instid1(SALU_CYCLE_1)
	s_lshl_b64 s[10:11], s[8:9], 3
	s_add_u32 s2, s2, s10
	s_addc_u32 s3, s3, s11
	s_load_b64 s[10:11], s[2:3], 0x0
	s_bfe_u32 s2, s13, 0x10008
	s_delay_alu instid0(SALU_CYCLE_1)
	s_cmp_eq_u32 s2, 0
                                        ; implicit-def: $sgpr2_sgpr3
	s_cbranch_scc1 .LBB113_3
; %bb.2:
	s_clause 0x1
	s_load_b32 s2, s[0:1], 0x20
	s_load_b64 s[14:15], s[0:1], 0x18
	s_mul_i32 s3, s8, s5
	s_mul_hi_u32 s5, s8, s4
	s_mul_i32 s16, s9, s4
	s_add_i32 s3, s5, s3
	s_mul_i32 s4, s8, s4
	s_add_i32 s5, s3, s16
	s_delay_alu instid0(SALU_CYCLE_1)
	s_lshl_b64 s[4:5], s[4:5], 2
	s_waitcnt lgkmcnt(0)
	s_ashr_i32 s3, s2, 31
	s_add_u32 s4, s14, s4
	s_addc_u32 s5, s15, s5
	s_lshl_b64 s[2:3], s[2:3], 2
	s_delay_alu instid0(SALU_CYCLE_1)
	s_add_u32 s2, s4, s2
	s_addc_u32 s3, s5, s3
.LBB113_3:
	s_load_b64 s[0:1], s[0:1], 0x8
	v_lshlrev_b32_e32 v3, 3, v0
	s_waitcnt lgkmcnt(0)
	v_add3_u32 v1, s1, s1, v0
	s_ashr_i32 s5, s0, 31
	s_mov_b32 s4, s0
	s_mov_b32 s14, s1
	s_lshl_b64 s[4:5], s[4:5], 3
	v_add_nc_u32_e32 v4, s1, v1
	v_ashrrev_i32_e32 v2, 31, v1
	s_add_u32 s4, s10, s4
	s_addc_u32 s5, s11, s5
	v_add_co_u32 v40, s0, s4, v3
	v_add_nc_u32_e32 v6, s1, v4
	s_ashr_i32 s15, s1, 31
	v_add_co_ci_u32_e64 v41, null, s5, 0, s0
	v_ashrrev_i32_e32 v5, 31, v4
	v_lshlrev_b64 v[1:2], 3, v[1:2]
	s_lshl_b64 s[10:11], s[14:15], 3
	v_add_nc_u32_e32 v8, s1, v6
	v_add_co_u32 v36, vcc_lo, v40, s10
	v_add_co_ci_u32_e32 v37, vcc_lo, s11, v41, vcc_lo
	v_lshlrev_b64 v[4:5], 3, v[4:5]
	v_ashrrev_i32_e32 v7, 31, v6
	v_add_co_u32 v32, vcc_lo, s4, v1
	v_add_nc_u32_e32 v1, s1, v8
	v_add_co_ci_u32_e32 v33, vcc_lo, s5, v2, vcc_lo
	s_delay_alu instid0(VALU_DEP_4) | instskip(SKIP_4) | instid1(VALU_DEP_4)
	v_lshlrev_b64 v[6:7], 3, v[6:7]
	v_ashrrev_i32_e32 v9, 31, v8
	v_add_co_u32 v34, vcc_lo, s4, v4
	v_add_nc_u32_e32 v4, s1, v1
	v_add_co_ci_u32_e32 v35, vcc_lo, s5, v5, vcc_lo
	v_lshlrev_b64 v[8:9], 3, v[8:9]
	v_ashrrev_i32_e32 v2, 31, v1
	v_add_co_u32 v30, vcc_lo, s4, v6
	v_add_nc_u32_e32 v6, s1, v4
	v_add_co_ci_u32_e32 v31, vcc_lo, s5, v7, vcc_lo
	s_delay_alu instid0(VALU_DEP_4)
	v_lshlrev_b64 v[1:2], 3, v[1:2]
	v_ashrrev_i32_e32 v5, 31, v4
	v_add_co_u32 v24, vcc_lo, s4, v8
	v_add_nc_u32_e32 v8, s1, v6
	s_clause 0x1
	global_load_b64 v[44:45], v3, s[4:5]
	global_load_b64 v[46:47], v[36:37], off
	v_add_co_ci_u32_e32 v25, vcc_lo, s5, v9, vcc_lo
	v_lshlrev_b64 v[4:5], 3, v[4:5]
	v_ashrrev_i32_e32 v7, 31, v6
	v_add_co_u32 v28, vcc_lo, s4, v1
	v_add_nc_u32_e32 v1, s1, v8
	v_add_co_ci_u32_e32 v29, vcc_lo, s5, v2, vcc_lo
	s_delay_alu instid0(VALU_DEP_4)
	v_lshlrev_b64 v[6:7], 3, v[6:7]
	v_ashrrev_i32_e32 v9, 31, v8
	v_add_co_u32 v26, vcc_lo, s4, v4
	v_add_nc_u32_e32 v4, s1, v1
	v_ashrrev_i32_e32 v2, 31, v1
	v_add_co_ci_u32_e32 v27, vcc_lo, s5, v5, vcc_lo
	v_lshlrev_b64 v[8:9], 3, v[8:9]
	s_clause 0x2
	global_load_b64 v[52:53], v[32:33], off
	global_load_b64 v[54:55], v[34:35], off
	global_load_b64 v[56:57], v[30:31], off
	v_add_co_u32 v20, vcc_lo, s4, v6
	v_add_nc_u32_e32 v6, s1, v4
	global_load_b64 v[58:59], v[24:25], off
	v_ashrrev_i32_e32 v5, 31, v4
	v_lshlrev_b64 v[1:2], 3, v[1:2]
	v_add_co_ci_u32_e32 v21, vcc_lo, s5, v7, vcc_lo
	v_add_co_u32 v14, vcc_lo, s4, v8
	v_add_nc_u32_e32 v12, s1, v6
	v_ashrrev_i32_e32 v7, 31, v6
	v_add_co_ci_u32_e32 v15, vcc_lo, s5, v9, vcc_lo
	v_lshlrev_b64 v[4:5], 3, v[4:5]
	v_add_co_u32 v22, vcc_lo, s4, v1
	v_add_co_ci_u32_e32 v23, vcc_lo, s5, v2, vcc_lo
	v_lshlrev_b64 v[1:2], 3, v[6:7]
	v_ashrrev_i32_e32 v13, 31, v12
	v_add_co_u32 v18, vcc_lo, s4, v4
	v_add_co_ci_u32_e32 v19, vcc_lo, s5, v5, vcc_lo
	s_delay_alu instid0(VALU_DEP_3)
	v_lshlrev_b64 v[4:5], 3, v[12:13]
	s_clause 0x3
	global_load_b64 v[60:61], v[28:29], off
	global_load_b64 v[62:63], v[26:27], off
	;; [unrolled: 1-line block ×4, first 2 shown]
	v_add_co_u32 v10, vcc_lo, s4, v1
	v_add_nc_u32_e32 v1, s1, v12
	v_add_co_ci_u32_e32 v11, vcc_lo, s5, v2, vcc_lo
	v_add_co_u32 v8, vcc_lo, s4, v4
	s_delay_alu instid0(VALU_DEP_3)
	v_add_nc_u32_e32 v4, s1, v1
	v_ashrrev_i32_e32 v2, 31, v1
	v_add_co_ci_u32_e32 v9, vcc_lo, s5, v5, vcc_lo
	s_clause 0x3
	global_load_b64 v[68:69], v[22:23], off
	global_load_b64 v[70:71], v[18:19], off
	;; [unrolled: 1-line block ×4, first 2 shown]
	v_ashrrev_i32_e32 v5, 31, v4
	v_lshlrev_b64 v[1:2], 3, v[1:2]
	s_bitcmp0_b32 s13, 0
	s_delay_alu instid0(VALU_DEP_2) | instskip(NEXT) | instid1(VALU_DEP_2)
	v_lshlrev_b64 v[6:7], 3, v[4:5]
	v_add_co_u32 v12, vcc_lo, s4, v1
	s_delay_alu instid0(VALU_DEP_3) | instskip(NEXT) | instid1(VALU_DEP_3)
	v_add_co_ci_u32_e32 v13, vcc_lo, s5, v2, vcc_lo
	v_add_co_u32 v6, vcc_lo, s4, v6
	s_delay_alu instid0(VALU_DEP_4) | instskip(SKIP_4) | instid1(VALU_DEP_1)
	v_add_co_ci_u32_e32 v7, vcc_lo, s5, v7, vcc_lo
	s_clause 0x1
	global_load_b64 v[76:77], v[12:13], off
	global_load_b64 v[78:79], v[6:7], off
	v_add_nc_u32_e32 v1, s1, v4
	v_add_nc_u32_e32 v4, s1, v1
	v_ashrrev_i32_e32 v2, 31, v1
	s_delay_alu instid0(VALU_DEP_2) | instskip(NEXT) | instid1(VALU_DEP_2)
	v_add_nc_u32_e32 v16, s1, v4
	v_lshlrev_b64 v[1:2], 3, v[1:2]
	v_ashrrev_i32_e32 v5, 31, v4
	s_delay_alu instid0(VALU_DEP_3) | instskip(SKIP_1) | instid1(VALU_DEP_3)
	v_add_nc_u32_e32 v48, s1, v16
	v_ashrrev_i32_e32 v17, 31, v16
	v_lshlrev_b64 v[4:5], 3, v[4:5]
	s_delay_alu instid0(VALU_DEP_3) | instskip(SKIP_1) | instid1(VALU_DEP_2)
	v_add_nc_u32_e32 v50, s1, v48
	v_ashrrev_i32_e32 v49, 31, v48
	v_add_nc_u32_e32 v84, s1, v50
	v_ashrrev_i32_e32 v51, 31, v50
	s_delay_alu instid0(VALU_DEP_2) | instskip(SKIP_1) | instid1(VALU_DEP_2)
	v_add_nc_u32_e32 v86, s1, v84
	v_ashrrev_i32_e32 v85, 31, v84
	v_add_nc_u32_e32 v92, s1, v86
	v_ashrrev_i32_e32 v87, 31, v86
	s_delay_alu instid0(VALU_DEP_2) | instskip(SKIP_1) | instid1(VALU_DEP_2)
	;; [unrolled: 5-line block ×14, first 2 shown]
	v_add_nc_u32_e32 v146, s1, v144
	v_ashrrev_i32_e32 v145, 31, v144
	v_add_nc_u32_e32 v38, s1, v146
	v_ashrrev_i32_e32 v147, 31, v146
	s_mov_b32 s1, -1
	s_delay_alu instid0(VALU_DEP_2) | instskip(NEXT) | instid1(VALU_DEP_1)
	v_ashrrev_i32_e32 v39, 31, v38
	v_lshlrev_b64 v[42:43], 3, v[38:39]
	v_add_co_u32 v38, vcc_lo, s4, v1
	v_add_co_ci_u32_e32 v39, vcc_lo, s5, v2, vcc_lo
	v_lshlrev_b64 v[1:2], 3, v[16:17]
	s_delay_alu instid0(VALU_DEP_4)
	v_add_co_u32 v16, vcc_lo, s4, v42
	v_add_co_ci_u32_e32 v17, vcc_lo, s5, v43, vcc_lo
	v_add_co_u32 v42, vcc_lo, s4, v4
	v_add_co_ci_u32_e32 v43, vcc_lo, s5, v5, vcc_lo
	v_lshlrev_b64 v[4:5], 3, v[48:49]
	s_clause 0x2
	global_load_b64 v[108:109], v[16:17], off
	global_load_b64 v[80:81], v[38:39], off
	;; [unrolled: 1-line block ×3, first 2 shown]
	s_waitcnt vmcnt(17)
	scratch_store_b128 off, v[44:47], off
	v_add_co_u32 v44, vcc_lo, s4, v1
	v_add_co_ci_u32_e32 v45, vcc_lo, s5, v2, vcc_lo
	v_lshlrev_b64 v[1:2], 3, v[50:51]
	v_add_co_u32 v46, vcc_lo, s4, v4
	v_add_co_ci_u32_e32 v47, vcc_lo, s5, v5, vcc_lo
	v_lshlrev_b64 v[4:5], 3, v[84:85]
	s_delay_alu instid0(VALU_DEP_4) | instskip(SKIP_2) | instid1(VALU_DEP_4)
	v_add_co_u32 v48, vcc_lo, s4, v1
	v_add_co_ci_u32_e32 v49, vcc_lo, s5, v2, vcc_lo
	v_lshlrev_b64 v[1:2], 3, v[86:87]
	v_add_co_u32 v50, vcc_lo, s4, v4
	v_add_co_ci_u32_e32 v51, vcc_lo, s5, v5, vcc_lo
	v_lshlrev_b64 v[4:5], 3, v[92:93]
	s_waitcnt vmcnt(15)
	scratch_store_b128 off, v[52:55], off offset:16
	s_waitcnt vmcnt(13)
	scratch_store_b128 off, v[56:59], off offset:32
	s_clause 0x3
	global_load_b64 v[84:85], v[44:45], off
	global_load_b64 v[86:87], v[46:47], off
	;; [unrolled: 1-line block ×4, first 2 shown]
	v_add_co_u32 v52, vcc_lo, s4, v1
	v_add_co_ci_u32_e32 v53, vcc_lo, s5, v2, vcc_lo
	v_lshlrev_b64 v[1:2], 3, v[94:95]
	v_add_co_u32 v54, vcc_lo, s4, v4
	v_add_co_ci_u32_e32 v55, vcc_lo, s5, v5, vcc_lo
	v_lshlrev_b64 v[4:5], 3, v[96:97]
	s_delay_alu instid0(VALU_DEP_4) | instskip(SKIP_2) | instid1(VALU_DEP_4)
	v_add_co_u32 v56, vcc_lo, s4, v1
	v_add_co_ci_u32_e32 v57, vcc_lo, s5, v2, vcc_lo
	v_lshlrev_b64 v[1:2], 3, v[100:101]
	v_add_co_u32 v58, vcc_lo, s4, v4
	v_add_co_ci_u32_e32 v59, vcc_lo, s5, v5, vcc_lo
	v_lshlrev_b64 v[4:5], 3, v[102:103]
	s_waitcnt vmcnt(15)
	scratch_store_b128 off, v[60:63], off offset:48
	s_waitcnt vmcnt(13)
	scratch_store_b128 off, v[64:67], off offset:64
	s_clause 0x3
	global_load_b64 v[92:93], v[52:53], off
	global_load_b64 v[94:95], v[54:55], off
	;; [unrolled: 1-line block ×4, first 2 shown]
	v_add_co_u32 v60, vcc_lo, s4, v1
	v_add_co_ci_u32_e32 v61, vcc_lo, s5, v2, vcc_lo
	v_lshlrev_b64 v[1:2], 3, v[104:105]
	v_add_co_u32 v62, vcc_lo, s4, v4
	v_add_co_ci_u32_e32 v63, vcc_lo, s5, v5, vcc_lo
	v_lshlrev_b64 v[4:5], 3, v[106:107]
	s_delay_alu instid0(VALU_DEP_4) | instskip(SKIP_2) | instid1(VALU_DEP_4)
	v_add_co_u32 v64, vcc_lo, s4, v1
	v_add_co_ci_u32_e32 v65, vcc_lo, s5, v2, vcc_lo
	v_lshlrev_b64 v[1:2], 3, v[110:111]
	v_add_co_u32 v66, vcc_lo, s4, v4
	v_add_co_ci_u32_e32 v67, vcc_lo, s5, v5, vcc_lo
	s_waitcnt vmcnt(15)
	scratch_store_b128 off, v[68:71], off offset:80
	s_waitcnt vmcnt(13)
	scratch_store_b128 off, v[72:75], off offset:96
	v_lshlrev_b64 v[4:5], 3, v[112:113]
	s_clause 0x3
	global_load_b64 v[100:101], v[60:61], off
	global_load_b64 v[102:103], v[62:63], off
	;; [unrolled: 1-line block ×4, first 2 shown]
	v_add_co_u32 v68, vcc_lo, s4, v1
	v_add_co_ci_u32_e32 v69, vcc_lo, s5, v2, vcc_lo
	v_add_co_u32 v70, vcc_lo, s4, v4
	v_add_co_ci_u32_e32 v71, vcc_lo, s5, v5, vcc_lo
	s_waitcnt vmcnt(15)
	scratch_store_b128 off, v[76:79], off offset:112
	s_clause 0x1
	global_load_b64 v[110:111], v[68:69], off
	global_load_b64 v[112:113], v[70:71], off
	v_lshlrev_b64 v[1:2], 3, v[114:115]
	v_lshlrev_b64 v[4:5], 3, v[118:119]
	s_delay_alu instid0(VALU_DEP_2) | instskip(NEXT) | instid1(VALU_DEP_3)
	v_add_co_u32 v72, vcc_lo, s4, v1
	v_add_co_ci_u32_e32 v73, vcc_lo, s5, v2, vcc_lo
	v_lshlrev_b64 v[1:2], 3, v[116:117]
	global_load_b64 v[114:115], v[72:73], off
	v_add_co_u32 v74, vcc_lo, s4, v1
	v_add_co_ci_u32_e32 v75, vcc_lo, s5, v2, vcc_lo
	v_lshlrev_b64 v[1:2], 3, v[120:121]
	v_add_co_u32 v76, vcc_lo, s4, v4
	v_add_co_ci_u32_e32 v77, vcc_lo, s5, v5, vcc_lo
	v_lshlrev_b64 v[4:5], 3, v[122:123]
	s_delay_alu instid0(VALU_DEP_4)
	v_add_co_u32 v78, vcc_lo, s4, v1
	v_add_co_ci_u32_e32 v79, vcc_lo, s5, v2, vcc_lo
	v_lshlrev_b64 v[1:2], 3, v[124:125]
	s_waitcnt vmcnt(15)
	scratch_store_b128 off, v[80:83], off offset:128
	v_add_co_u32 v80, vcc_lo, s4, v4
	v_add_co_ci_u32_e32 v81, vcc_lo, s5, v5, vcc_lo
	v_lshlrev_b64 v[4:5], 3, v[126:127]
	v_add_co_u32 v82, vcc_lo, s4, v1
	v_add_co_ci_u32_e32 v83, vcc_lo, s5, v2, vcc_lo
	v_lshlrev_b64 v[1:2], 3, v[128:129]
	s_waitcnt vmcnt(13)
	scratch_store_b128 off, v[84:87], off offset:144
	s_waitcnt vmcnt(11)
	scratch_store_b128 off, v[88:91], off offset:160
	v_add_co_u32 v84, vcc_lo, s4, v4
	v_add_co_ci_u32_e32 v85, vcc_lo, s5, v5, vcc_lo
	v_lshlrev_b64 v[4:5], 3, v[130:131]
	v_add_co_u32 v86, vcc_lo, s4, v1
	v_add_co_ci_u32_e32 v87, vcc_lo, s5, v2, vcc_lo
	v_lshlrev_b64 v[1:2], 3, v[132:133]
	s_delay_alu instid0(VALU_DEP_4) | instskip(SKIP_2) | instid1(VALU_DEP_4)
	v_add_co_u32 v88, vcc_lo, s4, v4
	v_add_co_ci_u32_e32 v89, vcc_lo, s5, v5, vcc_lo
	v_lshlrev_b64 v[4:5], 3, v[134:135]
	v_add_co_u32 v90, vcc_lo, s4, v1
	v_add_co_ci_u32_e32 v91, vcc_lo, s5, v2, vcc_lo
	v_lshlrev_b64 v[1:2], 3, v[136:137]
	s_clause 0x3
	global_load_b64 v[116:117], v[74:75], off
	global_load_b64 v[118:119], v[76:77], off
	;; [unrolled: 1-line block ×4, first 2 shown]
	s_waitcnt vmcnt(13)
	scratch_store_b128 off, v[92:95], off offset:176
	s_waitcnt vmcnt(11)
	scratch_store_b128 off, v[96:99], off offset:192
	v_add_co_u32 v92, vcc_lo, s4, v4
	v_add_co_ci_u32_e32 v93, vcc_lo, s5, v5, vcc_lo
	v_lshlrev_b64 v[4:5], 3, v[138:139]
	v_add_co_u32 v94, vcc_lo, s4, v1
	v_add_co_ci_u32_e32 v95, vcc_lo, s5, v2, vcc_lo
	v_lshlrev_b64 v[1:2], 3, v[140:141]
	s_delay_alu instid0(VALU_DEP_4) | instskip(SKIP_2) | instid1(VALU_DEP_4)
	v_add_co_u32 v96, vcc_lo, s4, v4
	v_add_co_ci_u32_e32 v97, vcc_lo, s5, v5, vcc_lo
	v_lshlrev_b64 v[4:5], 3, v[142:143]
	v_add_co_u32 v98, vcc_lo, s4, v1
	v_add_co_ci_u32_e32 v99, vcc_lo, s5, v2, vcc_lo
	v_lshlrev_b64 v[1:2], 3, v[144:145]
	s_clause 0x3
	global_load_b64 v[124:125], v[82:83], off
	global_load_b64 v[126:127], v[84:85], off
	;; [unrolled: 1-line block ×4, first 2 shown]
	s_waitcnt vmcnt(13)
	scratch_store_b128 off, v[100:103], off offset:208
	s_waitcnt vmcnt(11)
	scratch_store_b128 off, v[104:107], off offset:224
	v_add_co_u32 v100, vcc_lo, s4, v4
	v_add_co_ci_u32_e32 v101, vcc_lo, s5, v5, vcc_lo
	v_lshlrev_b64 v[4:5], 3, v[146:147]
	v_add_co_u32 v102, vcc_lo, s4, v1
	v_add_co_ci_u32_e32 v103, vcc_lo, s5, v2, vcc_lo
	s_clause 0x3
	global_load_b64 v[132:133], v[90:91], off
	global_load_b64 v[134:135], v[92:93], off
	;; [unrolled: 1-line block ×4, first 2 shown]
	v_add_co_u32 v104, vcc_lo, s4, v4
	v_add_co_ci_u32_e32 v105, vcc_lo, s5, v5, vcc_lo
	s_waitcnt vmcnt(13)
	scratch_store_b128 off, v[110:113], off offset:240
	s_clause 0x3
	global_load_b64 v[140:141], v[98:99], off
	global_load_b64 v[110:111], v[100:101], off
	;; [unrolled: 1-line block ×4, first 2 shown]
	s_waitcnt vmcnt(15)
	scratch_store_b128 off, v[114:117], off offset:256
	s_waitcnt vmcnt(13)
	scratch_store_b128 off, v[118:121], off offset:272
	;; [unrolled: 2-line block ×9, first 2 shown]
	s_cbranch_scc1 .LBB113_208
; %bb.4:
	v_cmp_eq_u32_e64 s0, 0, v0
	s_delay_alu instid0(VALU_DEP_1)
	s_and_saveexec_b32 s1, s0
	s_cbranch_execz .LBB113_6
; %bb.5:
	v_mov_b32_e32 v1, 0
	ds_store_b32 v1, v1 offset:800
.LBB113_6:
	s_or_b32 exec_lo, exec_lo, s1
	s_waitcnt lgkmcnt(0)
	s_waitcnt_vscnt null, 0x0
	s_barrier
	buffer_gl0_inv
	scratch_load_b64 v[1:2], v3, off
	s_mov_b32 s4, exec_lo
	s_waitcnt vmcnt(0)
	v_cmpx_eq_f64_e32 0, v[1:2]
	s_cbranch_execz .LBB113_10
; %bb.7:
	v_mov_b32_e32 v1, 0
	s_mov_b32 s5, 0
	ds_load_b32 v2, v1 offset:800
	s_waitcnt lgkmcnt(0)
	v_readfirstlane_b32 s1, v2
	v_add_nc_u32_e32 v2, 1, v0
	s_delay_alu instid0(VALU_DEP_2) | instskip(NEXT) | instid1(VALU_DEP_1)
	s_cmp_eq_u32 s1, 0
	v_cmp_gt_i32_e32 vcc_lo, s1, v2
	s_cselect_b32 s10, -1, 0
	s_delay_alu instid0(SALU_CYCLE_1) | instskip(NEXT) | instid1(SALU_CYCLE_1)
	s_or_b32 s10, s10, vcc_lo
	s_and_b32 exec_lo, exec_lo, s10
	s_cbranch_execz .LBB113_10
; %bb.8:
	v_mov_b32_e32 v4, s1
.LBB113_9:                              ; =>This Inner Loop Header: Depth=1
	ds_cmpstore_rtn_b32 v4, v1, v2, v4 offset:800
	s_waitcnt lgkmcnt(0)
	v_cmp_ne_u32_e32 vcc_lo, 0, v4
	v_cmp_le_i32_e64 s1, v4, v2
	s_delay_alu instid0(VALU_DEP_1) | instskip(NEXT) | instid1(SALU_CYCLE_1)
	s_and_b32 s1, vcc_lo, s1
	s_and_b32 s1, exec_lo, s1
	s_delay_alu instid0(SALU_CYCLE_1) | instskip(NEXT) | instid1(SALU_CYCLE_1)
	s_or_b32 s5, s1, s5
	s_and_not1_b32 exec_lo, exec_lo, s5
	s_cbranch_execnz .LBB113_9
.LBB113_10:
	s_or_b32 exec_lo, exec_lo, s4
	v_mov_b32_e32 v1, 0
	s_barrier
	buffer_gl0_inv
	ds_load_b32 v2, v1 offset:800
	s_and_saveexec_b32 s1, s0
	s_cbranch_execz .LBB113_12
; %bb.11:
	s_lshl_b64 s[4:5], s[8:9], 2
	s_delay_alu instid0(SALU_CYCLE_1)
	s_add_u32 s4, s6, s4
	s_addc_u32 s5, s7, s5
	s_waitcnt lgkmcnt(0)
	global_store_b32 v1, v2, s[4:5]
.LBB113_12:
	s_or_b32 exec_lo, exec_lo, s1
	s_waitcnt lgkmcnt(0)
	v_cmp_ne_u32_e32 vcc_lo, 0, v2
	s_mov_b32 s1, 0
	s_cbranch_vccnz .LBB113_208
; %bb.13:
	v_add_nc_u32_e32 v4, 0, v3
	v_add_nc_u32_e32 v5, 0x190, v3
	scratch_load_b64 v[1:2], v4, off
	s_waitcnt vmcnt(0)
	v_div_scale_f64 v[106:107], null, v[1:2], v[1:2], 1.0
	v_div_scale_f64 v[112:113], vcc_lo, 1.0, v[1:2], 1.0
	s_delay_alu instid0(VALU_DEP_2) | instskip(SKIP_2) | instid1(VALU_DEP_1)
	v_rcp_f64_e32 v[108:109], v[106:107]
	s_waitcnt_depctr 0xfff
	v_fma_f64 v[110:111], -v[106:107], v[108:109], 1.0
	v_fma_f64 v[108:109], v[108:109], v[110:111], v[108:109]
	s_delay_alu instid0(VALU_DEP_1) | instskip(NEXT) | instid1(VALU_DEP_1)
	v_fma_f64 v[110:111], -v[106:107], v[108:109], 1.0
	v_fma_f64 v[108:109], v[108:109], v[110:111], v[108:109]
	s_delay_alu instid0(VALU_DEP_1) | instskip(NEXT) | instid1(VALU_DEP_1)
	v_mul_f64 v[110:111], v[112:113], v[108:109]
	v_fma_f64 v[106:107], -v[106:107], v[110:111], v[112:113]
	s_delay_alu instid0(VALU_DEP_1) | instskip(NEXT) | instid1(VALU_DEP_1)
	v_div_fmas_f64 v[106:107], v[106:107], v[108:109], v[110:111]
	v_div_fixup_f64 v[1:2], v[106:107], v[1:2], 1.0
	scratch_store_b64 v4, v[1:2], off
	scratch_load_b64 v[106:107], off, off offset:8
	v_xor_b32_e32 v2, 0x80000000, v2
	s_waitcnt vmcnt(0)
	ds_store_2addr_b64 v3, v[1:2], v[106:107] offset1:50
	s_waitcnt lgkmcnt(0)
	s_waitcnt_vscnt null, 0x0
	s_barrier
	buffer_gl0_inv
	s_and_saveexec_b32 s1, s0
	s_cbranch_execz .LBB113_15
; %bb.14:
	scratch_load_b64 v[1:2], v4, off
	ds_load_b64 v[106:107], v5
	s_waitcnt vmcnt(0) lgkmcnt(0)
	v_fma_f64 v[1:2], v[1:2], v[106:107], 0
	v_mov_b32_e32 v106, 0
	ds_load_b64 v[106:107], v106 offset:8
	s_waitcnt lgkmcnt(0)
	v_mul_f64 v[1:2], v[1:2], v[106:107]
	scratch_store_b64 off, v[1:2], off offset:8
.LBB113_15:
	s_or_b32 exec_lo, exec_lo, s1
	s_waitcnt_vscnt null, 0x0
	s_barrier
	buffer_gl0_inv
	scratch_load_b64 v[1:2], off, off offset:16
	s_mov_b32 s1, exec_lo
	s_waitcnt vmcnt(0)
	ds_store_b64 v5, v[1:2]
	s_waitcnt lgkmcnt(0)
	s_barrier
	buffer_gl0_inv
	v_cmpx_gt_u32_e32 2, v0
	s_cbranch_execz .LBB113_19
; %bb.16:
	scratch_load_b64 v[1:2], v4, off
	ds_load_b64 v[106:107], v5
	s_waitcnt vmcnt(0) lgkmcnt(0)
	v_fma_f64 v[1:2], v[1:2], v[106:107], 0
	s_and_saveexec_b32 s4, s0
	s_cbranch_execz .LBB113_18
; %bb.17:
	scratch_load_b64 v[106:107], off, off offset:8
	v_mov_b32_e32 v108, 0
	ds_load_b64 v[108:109], v108 offset:408
	s_waitcnt vmcnt(0) lgkmcnt(0)
	v_fma_f64 v[1:2], v[106:107], v[108:109], v[1:2]
.LBB113_18:
	s_or_b32 exec_lo, exec_lo, s4
	v_mov_b32_e32 v106, 0
	ds_load_b64 v[106:107], v106 offset:16
	s_waitcnt lgkmcnt(0)
	v_mul_f64 v[1:2], v[1:2], v[106:107]
	scratch_store_b64 off, v[1:2], off offset:16
.LBB113_19:
	s_or_b32 exec_lo, exec_lo, s1
	s_waitcnt_vscnt null, 0x0
	s_barrier
	buffer_gl0_inv
	scratch_load_b64 v[1:2], off, off offset:24
	v_add_nc_u32_e32 v106, -1, v0
	s_mov_b32 s0, exec_lo
	s_waitcnt vmcnt(0)
	ds_store_b64 v5, v[1:2]
	s_waitcnt lgkmcnt(0)
	s_barrier
	buffer_gl0_inv
	v_cmpx_gt_u32_e32 3, v0
	s_cbranch_execz .LBB113_23
; %bb.20:
	v_dual_mov_b32 v1, 0 :: v_dual_add_nc_u32 v108, 0x190, v3
	v_dual_mov_b32 v2, 0 :: v_dual_add_nc_u32 v107, -1, v0
	v_add_nc_u32_e32 v109, 0, v3
	s_mov_b32 s1, 0
.LBB113_21:                             ; =>This Inner Loop Header: Depth=1
	scratch_load_b64 v[110:111], v109, off
	ds_load_b64 v[112:113], v108
	v_add_nc_u32_e32 v107, 1, v107
	v_add_nc_u32_e32 v108, 8, v108
	v_add_nc_u32_e32 v109, 8, v109
	s_delay_alu instid0(VALU_DEP_3)
	v_cmp_lt_u32_e32 vcc_lo, 1, v107
	s_or_b32 s1, vcc_lo, s1
	s_waitcnt vmcnt(0) lgkmcnt(0)
	v_fma_f64 v[1:2], v[110:111], v[112:113], v[1:2]
	s_and_not1_b32 exec_lo, exec_lo, s1
	s_cbranch_execnz .LBB113_21
; %bb.22:
	s_or_b32 exec_lo, exec_lo, s1
	v_mov_b32_e32 v107, 0
	ds_load_b64 v[107:108], v107 offset:24
	s_waitcnt lgkmcnt(0)
	v_mul_f64 v[1:2], v[1:2], v[107:108]
	scratch_store_b64 off, v[1:2], off offset:24
.LBB113_23:
	s_or_b32 exec_lo, exec_lo, s0
	s_waitcnt_vscnt null, 0x0
	s_barrier
	buffer_gl0_inv
	scratch_load_b64 v[1:2], off, off offset:32
	s_mov_b32 s0, exec_lo
	s_waitcnt vmcnt(0)
	ds_store_b64 v5, v[1:2]
	s_waitcnt lgkmcnt(0)
	s_barrier
	buffer_gl0_inv
	v_cmpx_gt_u32_e32 4, v0
	s_cbranch_execz .LBB113_27
; %bb.24:
	v_dual_mov_b32 v1, 0 :: v_dual_add_nc_u32 v108, 0x190, v3
	v_dual_mov_b32 v2, 0 :: v_dual_add_nc_u32 v107, -1, v0
	v_add_nc_u32_e32 v109, 0, v3
	s_mov_b32 s1, 0
.LBB113_25:                             ; =>This Inner Loop Header: Depth=1
	scratch_load_b64 v[110:111], v109, off
	ds_load_b64 v[112:113], v108
	v_add_nc_u32_e32 v107, 1, v107
	v_add_nc_u32_e32 v108, 8, v108
	v_add_nc_u32_e32 v109, 8, v109
	s_delay_alu instid0(VALU_DEP_3)
	v_cmp_lt_u32_e32 vcc_lo, 2, v107
	s_or_b32 s1, vcc_lo, s1
	s_waitcnt vmcnt(0) lgkmcnt(0)
	v_fma_f64 v[1:2], v[110:111], v[112:113], v[1:2]
	s_and_not1_b32 exec_lo, exec_lo, s1
	s_cbranch_execnz .LBB113_25
; %bb.26:
	s_or_b32 exec_lo, exec_lo, s1
	v_mov_b32_e32 v107, 0
	ds_load_b64 v[107:108], v107 offset:32
	s_waitcnt lgkmcnt(0)
	v_mul_f64 v[1:2], v[1:2], v[107:108]
	scratch_store_b64 off, v[1:2], off offset:32
.LBB113_27:
	s_or_b32 exec_lo, exec_lo, s0
	s_waitcnt_vscnt null, 0x0
	s_barrier
	buffer_gl0_inv
	scratch_load_b64 v[1:2], off, off offset:40
	;; [unrolled: 39-line block ×20, first 2 shown]
	s_mov_b32 s0, exec_lo
	s_waitcnt vmcnt(0)
	ds_store_b64 v5, v[1:2]
	s_waitcnt lgkmcnt(0)
	s_barrier
	buffer_gl0_inv
	v_cmpx_gt_u32_e32 23, v0
	s_cbranch_execz .LBB113_103
; %bb.100:
	v_dual_mov_b32 v1, 0 :: v_dual_add_nc_u32 v108, 0x190, v3
	v_dual_mov_b32 v2, 0 :: v_dual_add_nc_u32 v107, -1, v0
	v_add_nc_u32_e32 v109, 0, v3
	s_mov_b32 s1, 0
.LBB113_101:                            ; =>This Inner Loop Header: Depth=1
	scratch_load_b64 v[110:111], v109, off
	ds_load_b64 v[112:113], v108
	v_add_nc_u32_e32 v107, 1, v107
	v_add_nc_u32_e32 v108, 8, v108
	v_add_nc_u32_e32 v109, 8, v109
	s_delay_alu instid0(VALU_DEP_3)
	v_cmp_lt_u32_e32 vcc_lo, 21, v107
	s_or_b32 s1, vcc_lo, s1
	s_waitcnt vmcnt(0) lgkmcnt(0)
	v_fma_f64 v[1:2], v[110:111], v[112:113], v[1:2]
	s_and_not1_b32 exec_lo, exec_lo, s1
	s_cbranch_execnz .LBB113_101
; %bb.102:
	s_or_b32 exec_lo, exec_lo, s1
	v_mov_b32_e32 v107, 0
	ds_load_b64 v[107:108], v107 offset:184
	s_waitcnt lgkmcnt(0)
	v_mul_f64 v[1:2], v[1:2], v[107:108]
	scratch_store_b64 off, v[1:2], off offset:184
.LBB113_103:
	s_or_b32 exec_lo, exec_lo, s0
	s_waitcnt_vscnt null, 0x0
	s_barrier
	buffer_gl0_inv
	scratch_load_b64 v[1:2], off, off offset:192
	s_mov_b32 s0, exec_lo
	s_waitcnt vmcnt(0)
	ds_store_b64 v5, v[1:2]
	s_waitcnt lgkmcnt(0)
	s_barrier
	buffer_gl0_inv
	v_cmpx_gt_u32_e32 24, v0
	s_cbranch_execz .LBB113_107
; %bb.104:
	v_dual_mov_b32 v1, 0 :: v_dual_add_nc_u32 v108, 0x190, v3
	v_dual_mov_b32 v2, 0 :: v_dual_add_nc_u32 v107, -1, v0
	v_add_nc_u32_e32 v109, 0, v3
	s_mov_b32 s1, 0
.LBB113_105:                            ; =>This Inner Loop Header: Depth=1
	scratch_load_b64 v[110:111], v109, off
	ds_load_b64 v[112:113], v108
	v_add_nc_u32_e32 v107, 1, v107
	v_add_nc_u32_e32 v108, 8, v108
	v_add_nc_u32_e32 v109, 8, v109
	s_delay_alu instid0(VALU_DEP_3)
	v_cmp_lt_u32_e32 vcc_lo, 22, v107
	s_or_b32 s1, vcc_lo, s1
	s_waitcnt vmcnt(0) lgkmcnt(0)
	v_fma_f64 v[1:2], v[110:111], v[112:113], v[1:2]
	s_and_not1_b32 exec_lo, exec_lo, s1
	s_cbranch_execnz .LBB113_105
; %bb.106:
	s_or_b32 exec_lo, exec_lo, s1
	v_mov_b32_e32 v107, 0
	ds_load_b64 v[107:108], v107 offset:192
	s_waitcnt lgkmcnt(0)
	v_mul_f64 v[1:2], v[1:2], v[107:108]
	scratch_store_b64 off, v[1:2], off offset:192
.LBB113_107:
	s_or_b32 exec_lo, exec_lo, s0
	s_waitcnt_vscnt null, 0x0
	s_barrier
	buffer_gl0_inv
	scratch_load_b64 v[1:2], off, off offset:200
	;; [unrolled: 39-line block ×26, first 2 shown]
	s_mov_b32 s0, exec_lo
	s_waitcnt vmcnt(0)
	ds_store_b64 v5, v[1:2]
	s_waitcnt lgkmcnt(0)
	s_barrier
	buffer_gl0_inv
	v_cmpx_ne_u32_e32 49, v0
	s_cbranch_execz .LBB113_207
; %bb.204:
	v_mov_b32_e32 v1, 0
	v_mov_b32_e32 v2, 0
	s_mov_b32 s1, 0
.LBB113_205:                            ; =>This Inner Loop Header: Depth=1
	scratch_load_b64 v[107:108], v4, off
	ds_load_b64 v[109:110], v5
	v_add_nc_u32_e32 v106, 1, v106
	v_add_nc_u32_e32 v5, 8, v5
	;; [unrolled: 1-line block ×3, first 2 shown]
	s_delay_alu instid0(VALU_DEP_3)
	v_cmp_lt_u32_e32 vcc_lo, 47, v106
	s_or_b32 s1, vcc_lo, s1
	s_waitcnt vmcnt(0) lgkmcnt(0)
	v_fma_f64 v[1:2], v[107:108], v[109:110], v[1:2]
	s_and_not1_b32 exec_lo, exec_lo, s1
	s_cbranch_execnz .LBB113_205
; %bb.206:
	s_or_b32 exec_lo, exec_lo, s1
	v_mov_b32_e32 v3, 0
	ds_load_b64 v[3:4], v3 offset:392
	s_waitcnt lgkmcnt(0)
	v_mul_f64 v[1:2], v[1:2], v[3:4]
	scratch_store_b64 off, v[1:2], off offset:392
.LBB113_207:
	s_or_b32 exec_lo, exec_lo, s0
	s_mov_b32 s1, -1
	s_waitcnt_vscnt null, 0x0
	s_barrier
	buffer_gl0_inv
.LBB113_208:
	s_and_b32 vcc_lo, exec_lo, s1
	s_cbranch_vccz .LBB113_210
; %bb.209:
	s_lshl_b64 s[0:1], s[8:9], 2
	v_mov_b32_e32 v1, 0
	s_add_u32 s0, s6, s0
	s_addc_u32 s1, s7, s1
	global_load_b32 v1, v1, s[0:1]
	s_waitcnt vmcnt(0)
	v_cmp_ne_u32_e32 vcc_lo, 0, v1
	s_cbranch_vccz .LBB113_211
.LBB113_210:
	s_endpgm
.LBB113_211:
	v_lshl_add_u32 v5, v0, 3, 0x190
	s_mov_b32 s0, exec_lo
	v_cmpx_eq_u32_e32 49, v0
	s_cbranch_execz .LBB113_213
; %bb.212:
	scratch_load_b64 v[1:2], off, off offset:384
	v_mov_b32_e32 v3, 0
	s_delay_alu instid0(VALU_DEP_1)
	v_mov_b32_e32 v4, v3
	scratch_store_b64 off, v[3:4], off offset:384
	s_waitcnt vmcnt(0)
	ds_store_b64 v5, v[1:2]
.LBB113_213:
	s_or_b32 exec_lo, exec_lo, s0
	s_waitcnt lgkmcnt(0)
	s_waitcnt_vscnt null, 0x0
	s_barrier
	buffer_gl0_inv
	scratch_load_b128 v[106:109], off, off offset:384
	v_mov_b32_e32 v1, 0
	s_mov_b32 s0, exec_lo
	ds_load_b64 v[2:3], v1 offset:792
	s_waitcnt vmcnt(0) lgkmcnt(0)
	v_fma_f64 v[2:3], v[108:109], v[2:3], 0
	s_delay_alu instid0(VALU_DEP_1)
	v_add_f64 v[2:3], v[106:107], -v[2:3]
	scratch_store_b64 off, v[2:3], off offset:384
	v_cmpx_lt_u32_e32 47, v0
	s_cbranch_execz .LBB113_215
; %bb.214:
	scratch_load_b64 v[3:4], off, off offset:376
	v_mov_b32_e32 v2, v1
	scratch_store_b64 off, v[1:2], off offset:376
	s_waitcnt vmcnt(0)
	ds_store_b64 v5, v[3:4]
.LBB113_215:
	s_or_b32 exec_lo, exec_lo, s0
	s_waitcnt lgkmcnt(0)
	s_waitcnt_vscnt null, 0x0
	s_barrier
	buffer_gl0_inv
	s_clause 0x1
	scratch_load_b128 v[106:109], off, off offset:376
	scratch_load_b64 v[110:111], off, off offset:392
	ds_load_b128 v[1:4], v1 offset:784
	s_mov_b32 s0, exec_lo
	s_waitcnt vmcnt(1) lgkmcnt(0)
	v_fma_f64 v[1:2], v[108:109], v[1:2], 0
	s_waitcnt vmcnt(0)
	s_delay_alu instid0(VALU_DEP_1) | instskip(NEXT) | instid1(VALU_DEP_1)
	v_fma_f64 v[1:2], v[110:111], v[3:4], v[1:2]
	v_add_f64 v[1:2], v[106:107], -v[1:2]
	scratch_store_b64 off, v[1:2], off offset:376
	v_cmpx_lt_u32_e32 46, v0
	s_cbranch_execz .LBB113_217
; %bb.216:
	scratch_load_b64 v[1:2], off, off offset:368
	v_mov_b32_e32 v3, 0
	s_delay_alu instid0(VALU_DEP_1)
	v_mov_b32_e32 v4, v3
	scratch_store_b64 off, v[3:4], off offset:368
	s_waitcnt vmcnt(0)
	ds_store_b64 v5, v[1:2]
.LBB113_217:
	s_or_b32 exec_lo, exec_lo, s0
	s_waitcnt lgkmcnt(0)
	s_waitcnt_vscnt null, 0x0
	s_barrier
	buffer_gl0_inv
	s_clause 0x1
	scratch_load_b128 v[106:109], off, off offset:368
	scratch_load_b128 v[110:113], off, off offset:384
	v_mov_b32_e32 v1, 0
	ds_load_2addr_b64 v[114:117], v1 offset0:97 offset1:98
	ds_load_b64 v[2:3], v1 offset:792
	s_mov_b32 s0, exec_lo
	s_waitcnt vmcnt(1) lgkmcnt(1)
	v_fma_f64 v[108:109], v[108:109], v[114:115], 0
	s_waitcnt vmcnt(0)
	s_delay_alu instid0(VALU_DEP_1) | instskip(SKIP_1) | instid1(VALU_DEP_1)
	v_fma_f64 v[108:109], v[110:111], v[116:117], v[108:109]
	s_waitcnt lgkmcnt(0)
	v_fma_f64 v[2:3], v[112:113], v[2:3], v[108:109]
	s_delay_alu instid0(VALU_DEP_1)
	v_add_f64 v[2:3], v[106:107], -v[2:3]
	scratch_store_b64 off, v[2:3], off offset:368
	v_cmpx_lt_u32_e32 45, v0
	s_cbranch_execz .LBB113_219
; %bb.218:
	scratch_load_b64 v[3:4], off, off offset:360
	v_mov_b32_e32 v2, v1
	scratch_store_b64 off, v[1:2], off offset:360
	s_waitcnt vmcnt(0)
	ds_store_b64 v5, v[3:4]
.LBB113_219:
	s_or_b32 exec_lo, exec_lo, s0
	s_waitcnt lgkmcnt(0)
	s_waitcnt_vscnt null, 0x0
	s_barrier
	buffer_gl0_inv
	s_clause 0x2
	scratch_load_b128 v[106:109], off, off offset:360
	scratch_load_b128 v[110:113], off, off offset:376
	scratch_load_b64 v[118:119], off, off offset:392
	ds_load_b128 v[114:117], v1 offset:768
	s_mov_b32 s0, exec_lo
	s_waitcnt vmcnt(2) lgkmcnt(0)
	v_fma_f64 v[2:3], v[108:109], v[114:115], 0
	s_waitcnt vmcnt(1)
	s_delay_alu instid0(VALU_DEP_1) | instskip(SKIP_4) | instid1(VALU_DEP_1)
	v_fma_f64 v[108:109], v[110:111], v[116:117], v[2:3]
	ds_load_b128 v[1:4], v1 offset:784
	s_waitcnt lgkmcnt(0)
	v_fma_f64 v[1:2], v[112:113], v[1:2], v[108:109]
	s_waitcnt vmcnt(0)
	v_fma_f64 v[1:2], v[118:119], v[3:4], v[1:2]
	s_delay_alu instid0(VALU_DEP_1)
	v_add_f64 v[1:2], v[106:107], -v[1:2]
	scratch_store_b64 off, v[1:2], off offset:360
	v_cmpx_lt_u32_e32 44, v0
	s_cbranch_execz .LBB113_221
; %bb.220:
	scratch_load_b64 v[1:2], off, off offset:352
	v_mov_b32_e32 v3, 0
	s_delay_alu instid0(VALU_DEP_1)
	v_mov_b32_e32 v4, v3
	scratch_store_b64 off, v[3:4], off offset:352
	s_waitcnt vmcnt(0)
	ds_store_b64 v5, v[1:2]
.LBB113_221:
	s_or_b32 exec_lo, exec_lo, s0
	s_waitcnt lgkmcnt(0)
	s_waitcnt_vscnt null, 0x0
	s_barrier
	buffer_gl0_inv
	s_clause 0x2
	scratch_load_b128 v[106:109], off, off offset:352
	scratch_load_b128 v[110:113], off, off offset:368
	;; [unrolled: 1-line block ×3, first 2 shown]
	v_mov_b32_e32 v1, 0
	s_mov_b32 s0, exec_lo
	ds_load_2addr_b64 v[118:121], v1 offset0:95 offset1:96
	s_waitcnt vmcnt(2) lgkmcnt(0)
	v_fma_f64 v[2:3], v[108:109], v[118:119], 0
	s_waitcnt vmcnt(1)
	s_delay_alu instid0(VALU_DEP_1)
	v_fma_f64 v[2:3], v[110:111], v[120:121], v[2:3]
	ds_load_2addr_b64 v[108:111], v1 offset0:97 offset1:98
	s_waitcnt lgkmcnt(0)
	v_fma_f64 v[2:3], v[112:113], v[108:109], v[2:3]
	ds_load_b64 v[108:109], v1 offset:792
	s_waitcnt vmcnt(0)
	v_fma_f64 v[2:3], v[114:115], v[110:111], v[2:3]
	s_waitcnt lgkmcnt(0)
	s_delay_alu instid0(VALU_DEP_1) | instskip(NEXT) | instid1(VALU_DEP_1)
	v_fma_f64 v[2:3], v[116:117], v[108:109], v[2:3]
	v_add_f64 v[2:3], v[106:107], -v[2:3]
	scratch_store_b64 off, v[2:3], off offset:352
	v_cmpx_lt_u32_e32 43, v0
	s_cbranch_execz .LBB113_223
; %bb.222:
	scratch_load_b64 v[3:4], off, off offset:344
	v_mov_b32_e32 v2, v1
	scratch_store_b64 off, v[1:2], off offset:344
	s_waitcnt vmcnt(0)
	ds_store_b64 v5, v[3:4]
.LBB113_223:
	s_or_b32 exec_lo, exec_lo, s0
	s_waitcnt lgkmcnt(0)
	s_waitcnt_vscnt null, 0x0
	s_barrier
	buffer_gl0_inv
	s_clause 0x3
	scratch_load_b128 v[106:109], off, off offset:344
	scratch_load_b128 v[110:113], off, off offset:360
	;; [unrolled: 1-line block ×3, first 2 shown]
	scratch_load_b64 v[126:127], off, off offset:392
	ds_load_b128 v[118:121], v1 offset:752
	ds_load_b128 v[122:125], v1 offset:768
	s_mov_b32 s0, exec_lo
	s_waitcnt vmcnt(3) lgkmcnt(1)
	v_fma_f64 v[2:3], v[108:109], v[118:119], 0
	s_waitcnt vmcnt(2)
	s_delay_alu instid0(VALU_DEP_1) | instskip(SKIP_1) | instid1(VALU_DEP_1)
	v_fma_f64 v[2:3], v[110:111], v[120:121], v[2:3]
	s_waitcnt lgkmcnt(0)
	v_fma_f64 v[2:3], v[112:113], v[122:123], v[2:3]
	s_waitcnt vmcnt(1)
	s_delay_alu instid0(VALU_DEP_1) | instskip(SKIP_4) | instid1(VALU_DEP_1)
	v_fma_f64 v[108:109], v[114:115], v[124:125], v[2:3]
	ds_load_b128 v[1:4], v1 offset:784
	s_waitcnt lgkmcnt(0)
	v_fma_f64 v[1:2], v[116:117], v[1:2], v[108:109]
	s_waitcnt vmcnt(0)
	v_fma_f64 v[1:2], v[126:127], v[3:4], v[1:2]
	s_delay_alu instid0(VALU_DEP_1)
	v_add_f64 v[1:2], v[106:107], -v[1:2]
	scratch_store_b64 off, v[1:2], off offset:344
	v_cmpx_lt_u32_e32 42, v0
	s_cbranch_execz .LBB113_225
; %bb.224:
	scratch_load_b64 v[1:2], off, off offset:336
	v_mov_b32_e32 v3, 0
	s_delay_alu instid0(VALU_DEP_1)
	v_mov_b32_e32 v4, v3
	scratch_store_b64 off, v[3:4], off offset:336
	s_waitcnt vmcnt(0)
	ds_store_b64 v5, v[1:2]
.LBB113_225:
	s_or_b32 exec_lo, exec_lo, s0
	s_waitcnt lgkmcnt(0)
	s_waitcnt_vscnt null, 0x0
	s_barrier
	buffer_gl0_inv
	s_clause 0x3
	scratch_load_b128 v[106:109], off, off offset:336
	scratch_load_b128 v[110:113], off, off offset:352
	;; [unrolled: 1-line block ×4, first 2 shown]
	v_mov_b32_e32 v1, 0
	ds_load_2addr_b64 v[122:125], v1 offset0:93 offset1:94
	ds_load_2addr_b64 v[126:129], v1 offset0:95 offset1:96
	s_mov_b32 s0, exec_lo
	s_waitcnt vmcnt(3) lgkmcnt(1)
	v_fma_f64 v[2:3], v[108:109], v[122:123], 0
	s_waitcnt vmcnt(2)
	s_delay_alu instid0(VALU_DEP_1) | instskip(SKIP_1) | instid1(VALU_DEP_1)
	v_fma_f64 v[2:3], v[110:111], v[124:125], v[2:3]
	s_waitcnt lgkmcnt(0)
	v_fma_f64 v[2:3], v[112:113], v[126:127], v[2:3]
	ds_load_2addr_b64 v[108:111], v1 offset0:97 offset1:98
	ds_load_b64 v[112:113], v1 offset:792
	s_waitcnt vmcnt(1)
	v_fma_f64 v[2:3], v[114:115], v[128:129], v[2:3]
	s_waitcnt lgkmcnt(1)
	s_delay_alu instid0(VALU_DEP_1) | instskip(SKIP_1) | instid1(VALU_DEP_1)
	v_fma_f64 v[2:3], v[116:117], v[108:109], v[2:3]
	s_waitcnt vmcnt(0)
	v_fma_f64 v[2:3], v[118:119], v[110:111], v[2:3]
	s_waitcnt lgkmcnt(0)
	s_delay_alu instid0(VALU_DEP_1) | instskip(NEXT) | instid1(VALU_DEP_1)
	v_fma_f64 v[2:3], v[120:121], v[112:113], v[2:3]
	v_add_f64 v[2:3], v[106:107], -v[2:3]
	scratch_store_b64 off, v[2:3], off offset:336
	v_cmpx_lt_u32_e32 41, v0
	s_cbranch_execz .LBB113_227
; %bb.226:
	scratch_load_b64 v[3:4], off, off offset:328
	v_mov_b32_e32 v2, v1
	scratch_store_b64 off, v[1:2], off offset:328
	s_waitcnt vmcnt(0)
	ds_store_b64 v5, v[3:4]
.LBB113_227:
	s_or_b32 exec_lo, exec_lo, s0
	s_waitcnt lgkmcnt(0)
	s_waitcnt_vscnt null, 0x0
	s_barrier
	buffer_gl0_inv
	s_clause 0x4
	scratch_load_b128 v[106:109], off, off offset:328
	scratch_load_b128 v[110:113], off, off offset:344
	;; [unrolled: 1-line block ×4, first 2 shown]
	scratch_load_b64 v[130:131], off, off offset:392
	ds_load_b128 v[122:125], v1 offset:736
	ds_load_b128 v[126:129], v1 offset:752
	s_mov_b32 s0, exec_lo
	s_waitcnt vmcnt(4) lgkmcnt(1)
	v_fma_f64 v[2:3], v[108:109], v[122:123], 0
	s_waitcnt vmcnt(3)
	s_delay_alu instid0(VALU_DEP_1) | instskip(SKIP_1) | instid1(VALU_DEP_1)
	v_fma_f64 v[2:3], v[110:111], v[124:125], v[2:3]
	s_waitcnt lgkmcnt(0)
	v_fma_f64 v[2:3], v[112:113], v[126:127], v[2:3]
	s_waitcnt vmcnt(2)
	s_delay_alu instid0(VALU_DEP_1)
	v_fma_f64 v[112:113], v[114:115], v[128:129], v[2:3]
	ds_load_b128 v[108:111], v1 offset:768
	ds_load_b128 v[1:4], v1 offset:784
	s_waitcnt lgkmcnt(1)
	v_fma_f64 v[108:109], v[116:117], v[108:109], v[112:113]
	s_waitcnt vmcnt(1)
	s_delay_alu instid0(VALU_DEP_1) | instskip(SKIP_1) | instid1(VALU_DEP_1)
	v_fma_f64 v[108:109], v[118:119], v[110:111], v[108:109]
	s_waitcnt lgkmcnt(0)
	v_fma_f64 v[1:2], v[120:121], v[1:2], v[108:109]
	s_waitcnt vmcnt(0)
	s_delay_alu instid0(VALU_DEP_1) | instskip(NEXT) | instid1(VALU_DEP_1)
	v_fma_f64 v[1:2], v[130:131], v[3:4], v[1:2]
	v_add_f64 v[1:2], v[106:107], -v[1:2]
	scratch_store_b64 off, v[1:2], off offset:328
	v_cmpx_lt_u32_e32 40, v0
	s_cbranch_execz .LBB113_229
; %bb.228:
	scratch_load_b64 v[1:2], off, off offset:320
	v_mov_b32_e32 v3, 0
	s_delay_alu instid0(VALU_DEP_1)
	v_mov_b32_e32 v4, v3
	scratch_store_b64 off, v[3:4], off offset:320
	s_waitcnt vmcnt(0)
	ds_store_b64 v5, v[1:2]
.LBB113_229:
	s_or_b32 exec_lo, exec_lo, s0
	s_waitcnt lgkmcnt(0)
	s_waitcnt_vscnt null, 0x0
	s_barrier
	buffer_gl0_inv
	s_clause 0x4
	scratch_load_b128 v[106:109], off, off offset:320
	scratch_load_b128 v[110:113], off, off offset:336
	;; [unrolled: 1-line block ×5, first 2 shown]
	v_mov_b32_e32 v1, 0
	ds_load_2addr_b64 v[126:129], v1 offset0:91 offset1:92
	ds_load_2addr_b64 v[130:133], v1 offset0:93 offset1:94
	s_mov_b32 s0, exec_lo
	s_waitcnt vmcnt(4) lgkmcnt(1)
	v_fma_f64 v[2:3], v[108:109], v[126:127], 0
	s_waitcnt vmcnt(3)
	s_delay_alu instid0(VALU_DEP_1) | instskip(SKIP_1) | instid1(VALU_DEP_1)
	v_fma_f64 v[2:3], v[110:111], v[128:129], v[2:3]
	s_waitcnt lgkmcnt(0)
	v_fma_f64 v[2:3], v[112:113], v[130:131], v[2:3]
	s_waitcnt vmcnt(2)
	s_delay_alu instid0(VALU_DEP_1)
	v_fma_f64 v[2:3], v[114:115], v[132:133], v[2:3]
	ds_load_2addr_b64 v[108:111], v1 offset0:95 offset1:96
	ds_load_2addr_b64 v[112:115], v1 offset0:97 offset1:98
	s_waitcnt lgkmcnt(1)
	v_fma_f64 v[2:3], v[116:117], v[108:109], v[2:3]
	ds_load_b64 v[108:109], v1 offset:792
	s_waitcnt vmcnt(1)
	v_fma_f64 v[2:3], v[118:119], v[110:111], v[2:3]
	s_waitcnt lgkmcnt(1)
	s_delay_alu instid0(VALU_DEP_1) | instskip(SKIP_1) | instid1(VALU_DEP_1)
	v_fma_f64 v[2:3], v[120:121], v[112:113], v[2:3]
	s_waitcnt vmcnt(0)
	v_fma_f64 v[2:3], v[122:123], v[114:115], v[2:3]
	s_waitcnt lgkmcnt(0)
	s_delay_alu instid0(VALU_DEP_1) | instskip(NEXT) | instid1(VALU_DEP_1)
	v_fma_f64 v[2:3], v[124:125], v[108:109], v[2:3]
	v_add_f64 v[2:3], v[106:107], -v[2:3]
	scratch_store_b64 off, v[2:3], off offset:320
	v_cmpx_lt_u32_e32 39, v0
	s_cbranch_execz .LBB113_231
; %bb.230:
	scratch_load_b64 v[3:4], off, off offset:312
	v_mov_b32_e32 v2, v1
	scratch_store_b64 off, v[1:2], off offset:312
	s_waitcnt vmcnt(0)
	ds_store_b64 v5, v[3:4]
.LBB113_231:
	s_or_b32 exec_lo, exec_lo, s0
	s_waitcnt lgkmcnt(0)
	s_waitcnt_vscnt null, 0x0
	s_barrier
	buffer_gl0_inv
	s_clause 0x4
	scratch_load_b128 v[106:109], off, off offset:312
	scratch_load_b128 v[110:113], off, off offset:328
	;; [unrolled: 1-line block ×5, first 2 shown]
	ds_load_b128 v[126:129], v1 offset:720
	ds_load_b128 v[130:133], v1 offset:736
	s_mov_b32 s0, exec_lo
	s_waitcnt vmcnt(4) lgkmcnt(1)
	v_fma_f64 v[2:3], v[108:109], v[126:127], 0
	scratch_load_b64 v[126:127], off, off offset:392
	s_waitcnt vmcnt(4)
	v_fma_f64 v[2:3], v[110:111], v[128:129], v[2:3]
	s_waitcnt lgkmcnt(0)
	s_delay_alu instid0(VALU_DEP_1) | instskip(SKIP_1) | instid1(VALU_DEP_1)
	v_fma_f64 v[2:3], v[112:113], v[130:131], v[2:3]
	s_waitcnt vmcnt(3)
	v_fma_f64 v[2:3], v[114:115], v[132:133], v[2:3]
	ds_load_b128 v[108:111], v1 offset:752
	ds_load_b128 v[112:115], v1 offset:768
	s_waitcnt lgkmcnt(1)
	v_fma_f64 v[2:3], v[116:117], v[108:109], v[2:3]
	s_waitcnt vmcnt(2)
	s_delay_alu instid0(VALU_DEP_1) | instskip(SKIP_1) | instid1(VALU_DEP_1)
	v_fma_f64 v[2:3], v[118:119], v[110:111], v[2:3]
	s_waitcnt lgkmcnt(0)
	v_fma_f64 v[2:3], v[120:121], v[112:113], v[2:3]
	s_waitcnt vmcnt(1)
	s_delay_alu instid0(VALU_DEP_1) | instskip(SKIP_4) | instid1(VALU_DEP_1)
	v_fma_f64 v[108:109], v[122:123], v[114:115], v[2:3]
	ds_load_b128 v[1:4], v1 offset:784
	s_waitcnt lgkmcnt(0)
	v_fma_f64 v[1:2], v[124:125], v[1:2], v[108:109]
	s_waitcnt vmcnt(0)
	v_fma_f64 v[1:2], v[126:127], v[3:4], v[1:2]
	s_delay_alu instid0(VALU_DEP_1)
	v_add_f64 v[1:2], v[106:107], -v[1:2]
	scratch_store_b64 off, v[1:2], off offset:312
	v_cmpx_lt_u32_e32 38, v0
	s_cbranch_execz .LBB113_233
; %bb.232:
	scratch_load_b64 v[1:2], off, off offset:304
	v_mov_b32_e32 v3, 0
	s_delay_alu instid0(VALU_DEP_1)
	v_mov_b32_e32 v4, v3
	scratch_store_b64 off, v[3:4], off offset:304
	s_waitcnt vmcnt(0)
	ds_store_b64 v5, v[1:2]
.LBB113_233:
	s_or_b32 exec_lo, exec_lo, s0
	s_waitcnt lgkmcnt(0)
	s_waitcnt_vscnt null, 0x0
	s_barrier
	buffer_gl0_inv
	s_clause 0x4
	scratch_load_b128 v[106:109], off, off offset:304
	scratch_load_b128 v[110:113], off, off offset:320
	scratch_load_b128 v[114:117], off, off offset:336
	scratch_load_b128 v[118:121], off, off offset:352
	scratch_load_b128 v[122:125], off, off offset:368
	v_mov_b32_e32 v1, 0
	ds_load_2addr_b64 v[126:129], v1 offset0:89 offset1:90
	ds_load_2addr_b64 v[130:133], v1 offset0:91 offset1:92
	scratch_load_b128 v[134:137], off, off offset:384
	s_mov_b32 s0, exec_lo
	s_waitcnt vmcnt(5) lgkmcnt(1)
	v_fma_f64 v[2:3], v[108:109], v[126:127], 0
	s_waitcnt vmcnt(4)
	s_delay_alu instid0(VALU_DEP_1) | instskip(SKIP_1) | instid1(VALU_DEP_1)
	v_fma_f64 v[2:3], v[110:111], v[128:129], v[2:3]
	s_waitcnt lgkmcnt(0)
	v_fma_f64 v[2:3], v[112:113], v[130:131], v[2:3]
	s_waitcnt vmcnt(3)
	s_delay_alu instid0(VALU_DEP_1)
	v_fma_f64 v[2:3], v[114:115], v[132:133], v[2:3]
	ds_load_2addr_b64 v[108:111], v1 offset0:93 offset1:94
	ds_load_2addr_b64 v[112:115], v1 offset0:95 offset1:96
	s_waitcnt lgkmcnt(1)
	v_fma_f64 v[2:3], v[116:117], v[108:109], v[2:3]
	s_waitcnt vmcnt(2)
	s_delay_alu instid0(VALU_DEP_1) | instskip(SKIP_1) | instid1(VALU_DEP_1)
	v_fma_f64 v[2:3], v[118:119], v[110:111], v[2:3]
	s_waitcnt lgkmcnt(0)
	v_fma_f64 v[2:3], v[120:121], v[112:113], v[2:3]
	ds_load_2addr_b64 v[108:111], v1 offset0:97 offset1:98
	ds_load_b64 v[112:113], v1 offset:792
	s_waitcnt vmcnt(1)
	v_fma_f64 v[2:3], v[122:123], v[114:115], v[2:3]
	s_waitcnt lgkmcnt(1)
	s_delay_alu instid0(VALU_DEP_1) | instskip(SKIP_1) | instid1(VALU_DEP_1)
	v_fma_f64 v[2:3], v[124:125], v[108:109], v[2:3]
	s_waitcnt vmcnt(0)
	v_fma_f64 v[2:3], v[134:135], v[110:111], v[2:3]
	s_waitcnt lgkmcnt(0)
	s_delay_alu instid0(VALU_DEP_1) | instskip(NEXT) | instid1(VALU_DEP_1)
	v_fma_f64 v[2:3], v[136:137], v[112:113], v[2:3]
	v_add_f64 v[2:3], v[106:107], -v[2:3]
	scratch_store_b64 off, v[2:3], off offset:304
	v_cmpx_lt_u32_e32 37, v0
	s_cbranch_execz .LBB113_235
; %bb.234:
	scratch_load_b64 v[3:4], off, off offset:296
	v_mov_b32_e32 v2, v1
	scratch_store_b64 off, v[1:2], off offset:296
	s_waitcnt vmcnt(0)
	ds_store_b64 v5, v[3:4]
.LBB113_235:
	s_or_b32 exec_lo, exec_lo, s0
	s_waitcnt lgkmcnt(0)
	s_waitcnt_vscnt null, 0x0
	s_barrier
	buffer_gl0_inv
	s_clause 0x4
	scratch_load_b128 v[106:109], off, off offset:296
	scratch_load_b128 v[110:113], off, off offset:312
	;; [unrolled: 1-line block ×5, first 2 shown]
	ds_load_b128 v[126:129], v1 offset:704
	ds_load_b128 v[130:133], v1 offset:720
	scratch_load_b128 v[134:137], off, off offset:376
	s_mov_b32 s0, exec_lo
	s_waitcnt vmcnt(5) lgkmcnt(1)
	v_fma_f64 v[2:3], v[108:109], v[126:127], 0
	scratch_load_b64 v[126:127], off, off offset:392
	s_waitcnt vmcnt(5)
	v_fma_f64 v[2:3], v[110:111], v[128:129], v[2:3]
	s_waitcnt lgkmcnt(0)
	s_delay_alu instid0(VALU_DEP_1) | instskip(SKIP_1) | instid1(VALU_DEP_1)
	v_fma_f64 v[2:3], v[112:113], v[130:131], v[2:3]
	s_waitcnt vmcnt(4)
	v_fma_f64 v[2:3], v[114:115], v[132:133], v[2:3]
	ds_load_b128 v[108:111], v1 offset:736
	ds_load_b128 v[112:115], v1 offset:752
	s_waitcnt lgkmcnt(1)
	v_fma_f64 v[2:3], v[116:117], v[108:109], v[2:3]
	s_waitcnt vmcnt(3)
	s_delay_alu instid0(VALU_DEP_1) | instskip(SKIP_1) | instid1(VALU_DEP_1)
	v_fma_f64 v[2:3], v[118:119], v[110:111], v[2:3]
	s_waitcnt lgkmcnt(0)
	v_fma_f64 v[2:3], v[120:121], v[112:113], v[2:3]
	s_waitcnt vmcnt(2)
	s_delay_alu instid0(VALU_DEP_1)
	v_fma_f64 v[112:113], v[122:123], v[114:115], v[2:3]
	ds_load_b128 v[108:111], v1 offset:768
	ds_load_b128 v[1:4], v1 offset:784
	s_waitcnt lgkmcnt(1)
	v_fma_f64 v[108:109], v[124:125], v[108:109], v[112:113]
	s_waitcnt vmcnt(1)
	s_delay_alu instid0(VALU_DEP_1) | instskip(SKIP_1) | instid1(VALU_DEP_1)
	v_fma_f64 v[108:109], v[134:135], v[110:111], v[108:109]
	s_waitcnt lgkmcnt(0)
	v_fma_f64 v[1:2], v[136:137], v[1:2], v[108:109]
	s_waitcnt vmcnt(0)
	s_delay_alu instid0(VALU_DEP_1) | instskip(NEXT) | instid1(VALU_DEP_1)
	v_fma_f64 v[1:2], v[126:127], v[3:4], v[1:2]
	v_add_f64 v[1:2], v[106:107], -v[1:2]
	scratch_store_b64 off, v[1:2], off offset:296
	v_cmpx_lt_u32_e32 36, v0
	s_cbranch_execz .LBB113_237
; %bb.236:
	scratch_load_b64 v[1:2], off, off offset:288
	v_mov_b32_e32 v3, 0
	s_delay_alu instid0(VALU_DEP_1)
	v_mov_b32_e32 v4, v3
	scratch_store_b64 off, v[3:4], off offset:288
	s_waitcnt vmcnt(0)
	ds_store_b64 v5, v[1:2]
.LBB113_237:
	s_or_b32 exec_lo, exec_lo, s0
	s_waitcnt lgkmcnt(0)
	s_waitcnt_vscnt null, 0x0
	s_barrier
	buffer_gl0_inv
	s_clause 0x4
	scratch_load_b128 v[106:109], off, off offset:288
	scratch_load_b128 v[110:113], off, off offset:304
	;; [unrolled: 1-line block ×5, first 2 shown]
	v_mov_b32_e32 v1, 0
	ds_load_2addr_b64 v[126:129], v1 offset0:87 offset1:88
	ds_load_2addr_b64 v[130:133], v1 offset0:89 offset1:90
	scratch_load_b128 v[134:137], off, off offset:368
	s_mov_b32 s0, exec_lo
	s_waitcnt vmcnt(5) lgkmcnt(1)
	v_fma_f64 v[2:3], v[108:109], v[126:127], 0
	s_waitcnt vmcnt(4)
	s_delay_alu instid0(VALU_DEP_1) | instskip(SKIP_4) | instid1(VALU_DEP_1)
	v_fma_f64 v[2:3], v[110:111], v[128:129], v[2:3]
	scratch_load_b128 v[108:111], off, off offset:384
	s_waitcnt lgkmcnt(0)
	v_fma_f64 v[2:3], v[112:113], v[130:131], v[2:3]
	s_waitcnt vmcnt(4)
	v_fma_f64 v[2:3], v[114:115], v[132:133], v[2:3]
	ds_load_2addr_b64 v[112:115], v1 offset0:91 offset1:92
	ds_load_2addr_b64 v[126:129], v1 offset0:93 offset1:94
	s_waitcnt lgkmcnt(1)
	v_fma_f64 v[2:3], v[116:117], v[112:113], v[2:3]
	s_waitcnt vmcnt(3)
	s_delay_alu instid0(VALU_DEP_1)
	v_fma_f64 v[2:3], v[118:119], v[114:115], v[2:3]
	ds_load_2addr_b64 v[112:115], v1 offset0:95 offset1:96
	ds_load_2addr_b64 v[116:119], v1 offset0:97 offset1:98
	s_waitcnt lgkmcnt(2)
	v_fma_f64 v[2:3], v[120:121], v[126:127], v[2:3]
	s_waitcnt vmcnt(2)
	s_delay_alu instid0(VALU_DEP_1) | instskip(SKIP_1) | instid1(VALU_DEP_1)
	v_fma_f64 v[2:3], v[122:123], v[128:129], v[2:3]
	s_waitcnt lgkmcnt(1)
	v_fma_f64 v[2:3], v[124:125], v[112:113], v[2:3]
	s_waitcnt vmcnt(1)
	s_delay_alu instid0(VALU_DEP_1) | instskip(SKIP_1) | instid1(VALU_DEP_1)
	v_fma_f64 v[2:3], v[134:135], v[114:115], v[2:3]
	s_waitcnt lgkmcnt(0)
	v_fma_f64 v[2:3], v[136:137], v[116:117], v[2:3]
	s_waitcnt vmcnt(0)
	s_delay_alu instid0(VALU_DEP_1) | instskip(SKIP_3) | instid1(VALU_DEP_1)
	v_fma_f64 v[2:3], v[108:109], v[118:119], v[2:3]
	ds_load_b64 v[108:109], v1 offset:792
	s_waitcnt lgkmcnt(0)
	v_fma_f64 v[2:3], v[110:111], v[108:109], v[2:3]
	v_add_f64 v[2:3], v[106:107], -v[2:3]
	scratch_store_b64 off, v[2:3], off offset:288
	v_cmpx_lt_u32_e32 35, v0
	s_cbranch_execz .LBB113_239
; %bb.238:
	scratch_load_b64 v[3:4], off, off offset:280
	v_mov_b32_e32 v2, v1
	scratch_store_b64 off, v[1:2], off offset:280
	s_waitcnt vmcnt(0)
	ds_store_b64 v5, v[3:4]
.LBB113_239:
	s_or_b32 exec_lo, exec_lo, s0
	s_waitcnt lgkmcnt(0)
	s_waitcnt_vscnt null, 0x0
	s_barrier
	buffer_gl0_inv
	s_clause 0x4
	scratch_load_b128 v[106:109], off, off offset:280
	scratch_load_b128 v[110:113], off, off offset:296
	;; [unrolled: 1-line block ×5, first 2 shown]
	ds_load_b128 v[126:129], v1 offset:688
	ds_load_b128 v[130:133], v1 offset:704
	scratch_load_b128 v[134:137], off, off offset:360
	s_mov_b32 s0, exec_lo
	s_waitcnt vmcnt(5) lgkmcnt(1)
	v_fma_f64 v[2:3], v[108:109], v[126:127], 0
	s_waitcnt vmcnt(4)
	s_delay_alu instid0(VALU_DEP_1) | instskip(SKIP_4) | instid1(VALU_DEP_1)
	v_fma_f64 v[2:3], v[110:111], v[128:129], v[2:3]
	scratch_load_b128 v[108:111], off, off offset:376
	s_waitcnt lgkmcnt(0)
	v_fma_f64 v[2:3], v[112:113], v[130:131], v[2:3]
	s_waitcnt vmcnt(4)
	v_fma_f64 v[2:3], v[114:115], v[132:133], v[2:3]
	ds_load_b128 v[112:115], v1 offset:720
	ds_load_b128 v[126:129], v1 offset:736
	scratch_load_b64 v[130:131], off, off offset:392
	s_waitcnt lgkmcnt(1)
	v_fma_f64 v[2:3], v[116:117], v[112:113], v[2:3]
	s_waitcnt vmcnt(4)
	s_delay_alu instid0(VALU_DEP_1)
	v_fma_f64 v[2:3], v[118:119], v[114:115], v[2:3]
	ds_load_b128 v[112:115], v1 offset:752
	ds_load_b128 v[116:119], v1 offset:768
	s_waitcnt lgkmcnt(2)
	v_fma_f64 v[2:3], v[120:121], v[126:127], v[2:3]
	s_waitcnt vmcnt(3)
	s_delay_alu instid0(VALU_DEP_1) | instskip(SKIP_1) | instid1(VALU_DEP_1)
	v_fma_f64 v[2:3], v[122:123], v[128:129], v[2:3]
	s_waitcnt lgkmcnt(1)
	v_fma_f64 v[2:3], v[124:125], v[112:113], v[2:3]
	s_waitcnt vmcnt(2)
	s_delay_alu instid0(VALU_DEP_1) | instskip(SKIP_1) | instid1(VALU_DEP_1)
	v_fma_f64 v[2:3], v[134:135], v[114:115], v[2:3]
	s_waitcnt lgkmcnt(0)
	v_fma_f64 v[2:3], v[136:137], v[116:117], v[2:3]
	s_waitcnt vmcnt(1)
	s_delay_alu instid0(VALU_DEP_1) | instskip(SKIP_4) | instid1(VALU_DEP_1)
	v_fma_f64 v[108:109], v[108:109], v[118:119], v[2:3]
	ds_load_b128 v[1:4], v1 offset:784
	s_waitcnt lgkmcnt(0)
	v_fma_f64 v[1:2], v[110:111], v[1:2], v[108:109]
	s_waitcnt vmcnt(0)
	v_fma_f64 v[1:2], v[130:131], v[3:4], v[1:2]
	s_delay_alu instid0(VALU_DEP_1)
	v_add_f64 v[1:2], v[106:107], -v[1:2]
	scratch_store_b64 off, v[1:2], off offset:280
	v_cmpx_lt_u32_e32 34, v0
	s_cbranch_execz .LBB113_241
; %bb.240:
	scratch_load_b64 v[1:2], off, off offset:272
	v_mov_b32_e32 v3, 0
	s_delay_alu instid0(VALU_DEP_1)
	v_mov_b32_e32 v4, v3
	scratch_store_b64 off, v[3:4], off offset:272
	s_waitcnt vmcnt(0)
	ds_store_b64 v5, v[1:2]
.LBB113_241:
	s_or_b32 exec_lo, exec_lo, s0
	s_waitcnt lgkmcnt(0)
	s_waitcnt_vscnt null, 0x0
	s_barrier
	buffer_gl0_inv
	s_clause 0x4
	scratch_load_b128 v[106:109], off, off offset:272
	scratch_load_b128 v[110:113], off, off offset:288
	;; [unrolled: 1-line block ×5, first 2 shown]
	v_mov_b32_e32 v1, 0
	ds_load_2addr_b64 v[126:129], v1 offset0:85 offset1:86
	ds_load_2addr_b64 v[130:133], v1 offset0:87 offset1:88
	scratch_load_b128 v[134:137], off, off offset:352
	s_mov_b32 s0, exec_lo
	s_waitcnt vmcnt(5) lgkmcnt(1)
	v_fma_f64 v[2:3], v[108:109], v[126:127], 0
	s_waitcnt vmcnt(4)
	s_delay_alu instid0(VALU_DEP_1) | instskip(SKIP_4) | instid1(VALU_DEP_1)
	v_fma_f64 v[2:3], v[110:111], v[128:129], v[2:3]
	scratch_load_b128 v[108:111], off, off offset:368
	s_waitcnt lgkmcnt(0)
	v_fma_f64 v[2:3], v[112:113], v[130:131], v[2:3]
	s_waitcnt vmcnt(4)
	v_fma_f64 v[2:3], v[114:115], v[132:133], v[2:3]
	ds_load_2addr_b64 v[112:115], v1 offset0:89 offset1:90
	ds_load_2addr_b64 v[126:129], v1 offset0:91 offset1:92
	scratch_load_b128 v[130:133], off, off offset:384
	s_waitcnt lgkmcnt(1)
	v_fma_f64 v[2:3], v[116:117], v[112:113], v[2:3]
	s_waitcnt vmcnt(4)
	s_delay_alu instid0(VALU_DEP_1)
	v_fma_f64 v[2:3], v[118:119], v[114:115], v[2:3]
	ds_load_2addr_b64 v[112:115], v1 offset0:93 offset1:94
	ds_load_2addr_b64 v[116:119], v1 offset0:95 offset1:96
	s_waitcnt lgkmcnt(2)
	v_fma_f64 v[2:3], v[120:121], v[126:127], v[2:3]
	s_waitcnt vmcnt(3)
	s_delay_alu instid0(VALU_DEP_1) | instskip(SKIP_1) | instid1(VALU_DEP_1)
	v_fma_f64 v[2:3], v[122:123], v[128:129], v[2:3]
	s_waitcnt lgkmcnt(1)
	v_fma_f64 v[2:3], v[124:125], v[112:113], v[2:3]
	s_waitcnt vmcnt(2)
	s_delay_alu instid0(VALU_DEP_1) | instskip(SKIP_1) | instid1(VALU_DEP_1)
	v_fma_f64 v[2:3], v[134:135], v[114:115], v[2:3]
	s_waitcnt lgkmcnt(0)
	v_fma_f64 v[2:3], v[136:137], v[116:117], v[2:3]
	s_waitcnt vmcnt(1)
	s_delay_alu instid0(VALU_DEP_1)
	v_fma_f64 v[2:3], v[108:109], v[118:119], v[2:3]
	ds_load_2addr_b64 v[112:115], v1 offset0:97 offset1:98
	ds_load_b64 v[108:109], v1 offset:792
	s_waitcnt lgkmcnt(1)
	v_fma_f64 v[2:3], v[110:111], v[112:113], v[2:3]
	s_waitcnt vmcnt(0)
	s_delay_alu instid0(VALU_DEP_1) | instskip(SKIP_1) | instid1(VALU_DEP_1)
	v_fma_f64 v[2:3], v[130:131], v[114:115], v[2:3]
	s_waitcnt lgkmcnt(0)
	v_fma_f64 v[2:3], v[132:133], v[108:109], v[2:3]
	s_delay_alu instid0(VALU_DEP_1)
	v_add_f64 v[2:3], v[106:107], -v[2:3]
	scratch_store_b64 off, v[2:3], off offset:272
	v_cmpx_lt_u32_e32 33, v0
	s_cbranch_execz .LBB113_243
; %bb.242:
	scratch_load_b64 v[3:4], off, off offset:264
	v_mov_b32_e32 v2, v1
	scratch_store_b64 off, v[1:2], off offset:264
	s_waitcnt vmcnt(0)
	ds_store_b64 v5, v[3:4]
.LBB113_243:
	s_or_b32 exec_lo, exec_lo, s0
	s_waitcnt lgkmcnt(0)
	s_waitcnt_vscnt null, 0x0
	s_barrier
	buffer_gl0_inv
	s_clause 0x4
	scratch_load_b128 v[106:109], off, off offset:264
	scratch_load_b128 v[110:113], off, off offset:280
	;; [unrolled: 1-line block ×5, first 2 shown]
	ds_load_b128 v[126:129], v1 offset:672
	ds_load_b128 v[130:133], v1 offset:688
	scratch_load_b128 v[134:137], off, off offset:344
	s_mov_b32 s0, exec_lo
	s_waitcnt vmcnt(5) lgkmcnt(1)
	v_fma_f64 v[2:3], v[108:109], v[126:127], 0
	s_waitcnt vmcnt(4)
	s_delay_alu instid0(VALU_DEP_1) | instskip(SKIP_4) | instid1(VALU_DEP_1)
	v_fma_f64 v[2:3], v[110:111], v[128:129], v[2:3]
	scratch_load_b128 v[108:111], off, off offset:360
	s_waitcnt lgkmcnt(0)
	v_fma_f64 v[2:3], v[112:113], v[130:131], v[2:3]
	s_waitcnt vmcnt(4)
	v_fma_f64 v[2:3], v[114:115], v[132:133], v[2:3]
	ds_load_b128 v[112:115], v1 offset:704
	ds_load_b128 v[126:129], v1 offset:720
	scratch_load_b128 v[130:133], off, off offset:376
	s_waitcnt lgkmcnt(1)
	v_fma_f64 v[2:3], v[116:117], v[112:113], v[2:3]
	s_waitcnt vmcnt(4)
	s_delay_alu instid0(VALU_DEP_1) | instskip(SKIP_1) | instid1(VALU_DEP_1)
	v_fma_f64 v[2:3], v[118:119], v[114:115], v[2:3]
	s_waitcnt lgkmcnt(0)
	v_fma_f64 v[2:3], v[120:121], v[126:127], v[2:3]
	scratch_load_b64 v[120:121], off, off offset:392
	ds_load_b128 v[112:115], v1 offset:736
	ds_load_b128 v[116:119], v1 offset:752
	s_waitcnt vmcnt(4)
	v_fma_f64 v[2:3], v[122:123], v[128:129], v[2:3]
	s_waitcnt lgkmcnt(1)
	s_delay_alu instid0(VALU_DEP_1) | instskip(SKIP_1) | instid1(VALU_DEP_1)
	v_fma_f64 v[2:3], v[124:125], v[112:113], v[2:3]
	s_waitcnt vmcnt(3)
	v_fma_f64 v[2:3], v[134:135], v[114:115], v[2:3]
	s_waitcnt lgkmcnt(0)
	s_delay_alu instid0(VALU_DEP_1) | instskip(SKIP_1) | instid1(VALU_DEP_1)
	v_fma_f64 v[2:3], v[136:137], v[116:117], v[2:3]
	s_waitcnt vmcnt(2)
	v_fma_f64 v[108:109], v[108:109], v[118:119], v[2:3]
	ds_load_b128 v[112:115], v1 offset:768
	ds_load_b128 v[1:4], v1 offset:784
	s_waitcnt lgkmcnt(1)
	v_fma_f64 v[108:109], v[110:111], v[112:113], v[108:109]
	s_waitcnt vmcnt(1)
	s_delay_alu instid0(VALU_DEP_1) | instskip(SKIP_1) | instid1(VALU_DEP_1)
	v_fma_f64 v[108:109], v[130:131], v[114:115], v[108:109]
	s_waitcnt lgkmcnt(0)
	v_fma_f64 v[1:2], v[132:133], v[1:2], v[108:109]
	s_waitcnt vmcnt(0)
	s_delay_alu instid0(VALU_DEP_1) | instskip(NEXT) | instid1(VALU_DEP_1)
	v_fma_f64 v[1:2], v[120:121], v[3:4], v[1:2]
	v_add_f64 v[1:2], v[106:107], -v[1:2]
	scratch_store_b64 off, v[1:2], off offset:264
	v_cmpx_lt_u32_e32 32, v0
	s_cbranch_execz .LBB113_245
; %bb.244:
	scratch_load_b64 v[1:2], off, off offset:256
	v_mov_b32_e32 v3, 0
	s_delay_alu instid0(VALU_DEP_1)
	v_mov_b32_e32 v4, v3
	scratch_store_b64 off, v[3:4], off offset:256
	s_waitcnt vmcnt(0)
	ds_store_b64 v5, v[1:2]
.LBB113_245:
	s_or_b32 exec_lo, exec_lo, s0
	s_waitcnt lgkmcnt(0)
	s_waitcnt_vscnt null, 0x0
	s_barrier
	buffer_gl0_inv
	s_clause 0x4
	scratch_load_b128 v[106:109], off, off offset:256
	scratch_load_b128 v[110:113], off, off offset:272
	;; [unrolled: 1-line block ×5, first 2 shown]
	v_mov_b32_e32 v1, 0
	ds_load_2addr_b64 v[126:129], v1 offset0:83 offset1:84
	ds_load_2addr_b64 v[130:133], v1 offset0:85 offset1:86
	scratch_load_b128 v[134:137], off, off offset:336
	s_mov_b32 s0, exec_lo
	s_waitcnt vmcnt(5) lgkmcnt(1)
	v_fma_f64 v[2:3], v[108:109], v[126:127], 0
	s_waitcnt vmcnt(4)
	s_delay_alu instid0(VALU_DEP_1) | instskip(SKIP_4) | instid1(VALU_DEP_1)
	v_fma_f64 v[2:3], v[110:111], v[128:129], v[2:3]
	scratch_load_b128 v[108:111], off, off offset:352
	s_waitcnt lgkmcnt(0)
	v_fma_f64 v[2:3], v[112:113], v[130:131], v[2:3]
	s_waitcnt vmcnt(4)
	v_fma_f64 v[2:3], v[114:115], v[132:133], v[2:3]
	ds_load_2addr_b64 v[112:115], v1 offset0:87 offset1:88
	ds_load_2addr_b64 v[126:129], v1 offset0:89 offset1:90
	scratch_load_b128 v[130:133], off, off offset:368
	s_waitcnt lgkmcnt(1)
	v_fma_f64 v[2:3], v[116:117], v[112:113], v[2:3]
	s_waitcnt vmcnt(4)
	s_delay_alu instid0(VALU_DEP_1) | instskip(SKIP_4) | instid1(VALU_DEP_1)
	v_fma_f64 v[2:3], v[118:119], v[114:115], v[2:3]
	scratch_load_b128 v[112:115], off, off offset:384
	s_waitcnt lgkmcnt(0)
	v_fma_f64 v[2:3], v[120:121], v[126:127], v[2:3]
	s_waitcnt vmcnt(4)
	v_fma_f64 v[2:3], v[122:123], v[128:129], v[2:3]
	ds_load_2addr_b64 v[116:119], v1 offset0:91 offset1:92
	ds_load_2addr_b64 v[120:123], v1 offset0:93 offset1:94
	s_waitcnt lgkmcnt(1)
	v_fma_f64 v[2:3], v[124:125], v[116:117], v[2:3]
	s_waitcnt vmcnt(3)
	s_delay_alu instid0(VALU_DEP_1) | instskip(SKIP_1) | instid1(VALU_DEP_1)
	v_fma_f64 v[2:3], v[134:135], v[118:119], v[2:3]
	s_waitcnt lgkmcnt(0)
	v_fma_f64 v[2:3], v[136:137], v[120:121], v[2:3]
	s_waitcnt vmcnt(2)
	s_delay_alu instid0(VALU_DEP_1)
	v_fma_f64 v[2:3], v[108:109], v[122:123], v[2:3]
	ds_load_2addr_b64 v[116:119], v1 offset0:95 offset1:96
	ds_load_2addr_b64 v[120:123], v1 offset0:97 offset1:98
	ds_load_b64 v[108:109], v1 offset:792
	s_waitcnt lgkmcnt(2)
	v_fma_f64 v[2:3], v[110:111], v[116:117], v[2:3]
	s_waitcnt vmcnt(1)
	s_delay_alu instid0(VALU_DEP_1) | instskip(SKIP_1) | instid1(VALU_DEP_1)
	v_fma_f64 v[2:3], v[130:131], v[118:119], v[2:3]
	s_waitcnt lgkmcnt(1)
	v_fma_f64 v[2:3], v[132:133], v[120:121], v[2:3]
	s_waitcnt vmcnt(0)
	s_delay_alu instid0(VALU_DEP_1) | instskip(SKIP_1) | instid1(VALU_DEP_1)
	v_fma_f64 v[2:3], v[112:113], v[122:123], v[2:3]
	s_waitcnt lgkmcnt(0)
	v_fma_f64 v[2:3], v[114:115], v[108:109], v[2:3]
	s_delay_alu instid0(VALU_DEP_1)
	v_add_f64 v[2:3], v[106:107], -v[2:3]
	scratch_store_b64 off, v[2:3], off offset:256
	v_cmpx_lt_u32_e32 31, v0
	s_cbranch_execz .LBB113_247
; %bb.246:
	scratch_load_b64 v[3:4], off, off offset:248
	v_mov_b32_e32 v2, v1
	scratch_store_b64 off, v[1:2], off offset:248
	s_waitcnt vmcnt(0)
	ds_store_b64 v5, v[3:4]
.LBB113_247:
	s_or_b32 exec_lo, exec_lo, s0
	s_waitcnt lgkmcnt(0)
	s_waitcnt_vscnt null, 0x0
	s_barrier
	buffer_gl0_inv
	s_clause 0x4
	scratch_load_b128 v[106:109], off, off offset:248
	scratch_load_b128 v[110:113], off, off offset:264
	;; [unrolled: 1-line block ×5, first 2 shown]
	ds_load_b128 v[126:129], v1 offset:656
	ds_load_b128 v[130:133], v1 offset:672
	scratch_load_b128 v[134:137], off, off offset:328
	s_mov_b32 s0, exec_lo
	s_waitcnt vmcnt(5) lgkmcnt(1)
	v_fma_f64 v[2:3], v[108:109], v[126:127], 0
	s_waitcnt vmcnt(4)
	s_delay_alu instid0(VALU_DEP_1) | instskip(SKIP_4) | instid1(VALU_DEP_1)
	v_fma_f64 v[2:3], v[110:111], v[128:129], v[2:3]
	scratch_load_b128 v[108:111], off, off offset:344
	s_waitcnt lgkmcnt(0)
	v_fma_f64 v[2:3], v[112:113], v[130:131], v[2:3]
	s_waitcnt vmcnt(4)
	v_fma_f64 v[2:3], v[114:115], v[132:133], v[2:3]
	ds_load_b128 v[112:115], v1 offset:688
	ds_load_b128 v[126:129], v1 offset:704
	scratch_load_b128 v[130:133], off, off offset:360
	s_waitcnt lgkmcnt(1)
	v_fma_f64 v[2:3], v[116:117], v[112:113], v[2:3]
	s_waitcnt vmcnt(4)
	s_delay_alu instid0(VALU_DEP_1) | instskip(SKIP_4) | instid1(VALU_DEP_1)
	v_fma_f64 v[2:3], v[118:119], v[114:115], v[2:3]
	scratch_load_b128 v[112:115], off, off offset:376
	s_waitcnt lgkmcnt(0)
	v_fma_f64 v[2:3], v[120:121], v[126:127], v[2:3]
	s_waitcnt vmcnt(4)
	v_fma_f64 v[2:3], v[122:123], v[128:129], v[2:3]
	ds_load_b128 v[116:119], v1 offset:720
	ds_load_b128 v[120:123], v1 offset:736
	s_waitcnt lgkmcnt(1)
	v_fma_f64 v[2:3], v[124:125], v[116:117], v[2:3]
	scratch_load_b64 v[124:125], off, off offset:392
	s_waitcnt vmcnt(4)
	v_fma_f64 v[2:3], v[134:135], v[118:119], v[2:3]
	s_waitcnt lgkmcnt(0)
	s_delay_alu instid0(VALU_DEP_1) | instskip(SKIP_1) | instid1(VALU_DEP_1)
	v_fma_f64 v[2:3], v[136:137], v[120:121], v[2:3]
	s_waitcnt vmcnt(3)
	v_fma_f64 v[2:3], v[108:109], v[122:123], v[2:3]
	ds_load_b128 v[116:119], v1 offset:752
	ds_load_b128 v[120:123], v1 offset:768
	s_waitcnt lgkmcnt(1)
	v_fma_f64 v[2:3], v[110:111], v[116:117], v[2:3]
	s_waitcnt vmcnt(2)
	s_delay_alu instid0(VALU_DEP_1) | instskip(SKIP_1) | instid1(VALU_DEP_1)
	v_fma_f64 v[2:3], v[130:131], v[118:119], v[2:3]
	s_waitcnt lgkmcnt(0)
	v_fma_f64 v[2:3], v[132:133], v[120:121], v[2:3]
	s_waitcnt vmcnt(1)
	s_delay_alu instid0(VALU_DEP_1) | instskip(SKIP_4) | instid1(VALU_DEP_1)
	v_fma_f64 v[108:109], v[112:113], v[122:123], v[2:3]
	ds_load_b128 v[1:4], v1 offset:784
	s_waitcnt lgkmcnt(0)
	v_fma_f64 v[1:2], v[114:115], v[1:2], v[108:109]
	s_waitcnt vmcnt(0)
	v_fma_f64 v[1:2], v[124:125], v[3:4], v[1:2]
	s_delay_alu instid0(VALU_DEP_1)
	v_add_f64 v[1:2], v[106:107], -v[1:2]
	scratch_store_b64 off, v[1:2], off offset:248
	v_cmpx_lt_u32_e32 30, v0
	s_cbranch_execz .LBB113_249
; %bb.248:
	scratch_load_b64 v[1:2], off, off offset:240
	v_mov_b32_e32 v3, 0
	s_delay_alu instid0(VALU_DEP_1)
	v_mov_b32_e32 v4, v3
	scratch_store_b64 off, v[3:4], off offset:240
	s_waitcnt vmcnt(0)
	ds_store_b64 v5, v[1:2]
.LBB113_249:
	s_or_b32 exec_lo, exec_lo, s0
	s_waitcnt lgkmcnt(0)
	s_waitcnt_vscnt null, 0x0
	s_barrier
	buffer_gl0_inv
	s_clause 0x4
	scratch_load_b128 v[106:109], off, off offset:240
	scratch_load_b128 v[110:113], off, off offset:256
	;; [unrolled: 1-line block ×5, first 2 shown]
	v_mov_b32_e32 v1, 0
	ds_load_2addr_b64 v[126:129], v1 offset0:81 offset1:82
	ds_load_2addr_b64 v[130:133], v1 offset0:83 offset1:84
	scratch_load_b128 v[134:137], off, off offset:320
	s_mov_b32 s0, exec_lo
	s_waitcnt vmcnt(5) lgkmcnt(1)
	v_fma_f64 v[2:3], v[108:109], v[126:127], 0
	s_waitcnt vmcnt(4)
	s_delay_alu instid0(VALU_DEP_1) | instskip(SKIP_4) | instid1(VALU_DEP_1)
	v_fma_f64 v[2:3], v[110:111], v[128:129], v[2:3]
	scratch_load_b128 v[108:111], off, off offset:336
	s_waitcnt lgkmcnt(0)
	v_fma_f64 v[2:3], v[112:113], v[130:131], v[2:3]
	s_waitcnt vmcnt(4)
	v_fma_f64 v[2:3], v[114:115], v[132:133], v[2:3]
	ds_load_2addr_b64 v[112:115], v1 offset0:85 offset1:86
	ds_load_2addr_b64 v[126:129], v1 offset0:87 offset1:88
	scratch_load_b128 v[130:133], off, off offset:352
	s_waitcnt lgkmcnt(1)
	v_fma_f64 v[2:3], v[116:117], v[112:113], v[2:3]
	s_waitcnt vmcnt(4)
	s_delay_alu instid0(VALU_DEP_1) | instskip(SKIP_4) | instid1(VALU_DEP_1)
	v_fma_f64 v[2:3], v[118:119], v[114:115], v[2:3]
	scratch_load_b128 v[112:115], off, off offset:368
	s_waitcnt lgkmcnt(0)
	v_fma_f64 v[2:3], v[120:121], v[126:127], v[2:3]
	s_waitcnt vmcnt(4)
	v_fma_f64 v[2:3], v[122:123], v[128:129], v[2:3]
	ds_load_2addr_b64 v[116:119], v1 offset0:89 offset1:90
	ds_load_2addr_b64 v[120:123], v1 offset0:91 offset1:92
	s_waitcnt lgkmcnt(1)
	v_fma_f64 v[2:3], v[124:125], v[116:117], v[2:3]
	scratch_load_b128 v[124:127], off, off offset:384
	s_waitcnt vmcnt(4)
	v_fma_f64 v[2:3], v[134:135], v[118:119], v[2:3]
	s_waitcnt lgkmcnt(0)
	s_delay_alu instid0(VALU_DEP_1) | instskip(SKIP_1) | instid1(VALU_DEP_1)
	v_fma_f64 v[2:3], v[136:137], v[120:121], v[2:3]
	s_waitcnt vmcnt(3)
	v_fma_f64 v[2:3], v[108:109], v[122:123], v[2:3]
	ds_load_2addr_b64 v[116:119], v1 offset0:93 offset1:94
	ds_load_2addr_b64 v[120:123], v1 offset0:95 offset1:96
	s_waitcnt lgkmcnt(1)
	v_fma_f64 v[2:3], v[110:111], v[116:117], v[2:3]
	s_waitcnt vmcnt(2)
	s_delay_alu instid0(VALU_DEP_1) | instskip(SKIP_1) | instid1(VALU_DEP_1)
	v_fma_f64 v[2:3], v[130:131], v[118:119], v[2:3]
	s_waitcnt lgkmcnt(0)
	v_fma_f64 v[2:3], v[132:133], v[120:121], v[2:3]
	s_waitcnt vmcnt(1)
	s_delay_alu instid0(VALU_DEP_1)
	v_fma_f64 v[2:3], v[112:113], v[122:123], v[2:3]
	ds_load_2addr_b64 v[108:111], v1 offset0:97 offset1:98
	ds_load_b64 v[112:113], v1 offset:792
	s_waitcnt lgkmcnt(1)
	v_fma_f64 v[2:3], v[114:115], v[108:109], v[2:3]
	s_waitcnt vmcnt(0)
	s_delay_alu instid0(VALU_DEP_1) | instskip(SKIP_1) | instid1(VALU_DEP_1)
	v_fma_f64 v[2:3], v[124:125], v[110:111], v[2:3]
	s_waitcnt lgkmcnt(0)
	v_fma_f64 v[2:3], v[126:127], v[112:113], v[2:3]
	s_delay_alu instid0(VALU_DEP_1)
	v_add_f64 v[2:3], v[106:107], -v[2:3]
	scratch_store_b64 off, v[2:3], off offset:240
	v_cmpx_lt_u32_e32 29, v0
	s_cbranch_execz .LBB113_251
; %bb.250:
	scratch_load_b64 v[3:4], off, off offset:232
	v_mov_b32_e32 v2, v1
	scratch_store_b64 off, v[1:2], off offset:232
	s_waitcnt vmcnt(0)
	ds_store_b64 v5, v[3:4]
.LBB113_251:
	s_or_b32 exec_lo, exec_lo, s0
	s_waitcnt lgkmcnt(0)
	s_waitcnt_vscnt null, 0x0
	s_barrier
	buffer_gl0_inv
	s_clause 0x4
	scratch_load_b128 v[106:109], off, off offset:232
	scratch_load_b128 v[110:113], off, off offset:248
	scratch_load_b128 v[114:117], off, off offset:264
	scratch_load_b128 v[118:121], off, off offset:280
	scratch_load_b128 v[122:125], off, off offset:296
	ds_load_b128 v[126:129], v1 offset:640
	ds_load_b128 v[130:133], v1 offset:656
	scratch_load_b128 v[134:137], off, off offset:312
	s_mov_b32 s0, exec_lo
	s_waitcnt vmcnt(5) lgkmcnt(1)
	v_fma_f64 v[2:3], v[108:109], v[126:127], 0
	s_waitcnt vmcnt(4)
	s_delay_alu instid0(VALU_DEP_1) | instskip(SKIP_4) | instid1(VALU_DEP_1)
	v_fma_f64 v[2:3], v[110:111], v[128:129], v[2:3]
	scratch_load_b128 v[108:111], off, off offset:328
	s_waitcnt lgkmcnt(0)
	v_fma_f64 v[2:3], v[112:113], v[130:131], v[2:3]
	s_waitcnt vmcnt(4)
	v_fma_f64 v[2:3], v[114:115], v[132:133], v[2:3]
	ds_load_b128 v[112:115], v1 offset:672
	ds_load_b128 v[126:129], v1 offset:688
	scratch_load_b128 v[130:133], off, off offset:344
	s_waitcnt lgkmcnt(1)
	v_fma_f64 v[2:3], v[116:117], v[112:113], v[2:3]
	s_waitcnt vmcnt(4)
	s_delay_alu instid0(VALU_DEP_1) | instskip(SKIP_4) | instid1(VALU_DEP_1)
	v_fma_f64 v[2:3], v[118:119], v[114:115], v[2:3]
	scratch_load_b128 v[112:115], off, off offset:360
	s_waitcnt lgkmcnt(0)
	v_fma_f64 v[2:3], v[120:121], v[126:127], v[2:3]
	s_waitcnt vmcnt(4)
	v_fma_f64 v[2:3], v[122:123], v[128:129], v[2:3]
	ds_load_b128 v[116:119], v1 offset:704
	ds_load_b128 v[120:123], v1 offset:720
	scratch_load_b64 v[128:129], off, off offset:392
	s_waitcnt lgkmcnt(1)
	v_fma_f64 v[2:3], v[124:125], v[116:117], v[2:3]
	scratch_load_b128 v[124:127], off, off offset:376
	s_waitcnt vmcnt(5)
	v_fma_f64 v[2:3], v[134:135], v[118:119], v[2:3]
	s_waitcnt lgkmcnt(0)
	s_delay_alu instid0(VALU_DEP_1) | instskip(SKIP_1) | instid1(VALU_DEP_1)
	v_fma_f64 v[2:3], v[136:137], v[120:121], v[2:3]
	s_waitcnt vmcnt(4)
	v_fma_f64 v[2:3], v[108:109], v[122:123], v[2:3]
	ds_load_b128 v[116:119], v1 offset:736
	ds_load_b128 v[120:123], v1 offset:752
	s_waitcnt lgkmcnt(1)
	v_fma_f64 v[2:3], v[110:111], v[116:117], v[2:3]
	s_waitcnt vmcnt(3)
	s_delay_alu instid0(VALU_DEP_1) | instskip(SKIP_1) | instid1(VALU_DEP_1)
	v_fma_f64 v[2:3], v[130:131], v[118:119], v[2:3]
	s_waitcnt lgkmcnt(0)
	v_fma_f64 v[2:3], v[132:133], v[120:121], v[2:3]
	s_waitcnt vmcnt(2)
	s_delay_alu instid0(VALU_DEP_1)
	v_fma_f64 v[112:113], v[112:113], v[122:123], v[2:3]
	ds_load_b128 v[108:111], v1 offset:768
	ds_load_b128 v[1:4], v1 offset:784
	s_waitcnt lgkmcnt(1)
	v_fma_f64 v[108:109], v[114:115], v[108:109], v[112:113]
	s_waitcnt vmcnt(0)
	s_delay_alu instid0(VALU_DEP_1) | instskip(SKIP_1) | instid1(VALU_DEP_1)
	v_fma_f64 v[108:109], v[124:125], v[110:111], v[108:109]
	s_waitcnt lgkmcnt(0)
	v_fma_f64 v[1:2], v[126:127], v[1:2], v[108:109]
	s_delay_alu instid0(VALU_DEP_1) | instskip(NEXT) | instid1(VALU_DEP_1)
	v_fma_f64 v[1:2], v[128:129], v[3:4], v[1:2]
	v_add_f64 v[1:2], v[106:107], -v[1:2]
	scratch_store_b64 off, v[1:2], off offset:232
	v_cmpx_lt_u32_e32 28, v0
	s_cbranch_execz .LBB113_253
; %bb.252:
	scratch_load_b64 v[1:2], off, off offset:224
	v_mov_b32_e32 v3, 0
	s_delay_alu instid0(VALU_DEP_1)
	v_mov_b32_e32 v4, v3
	scratch_store_b64 off, v[3:4], off offset:224
	s_waitcnt vmcnt(0)
	ds_store_b64 v5, v[1:2]
.LBB113_253:
	s_or_b32 exec_lo, exec_lo, s0
	s_waitcnt lgkmcnt(0)
	s_waitcnt_vscnt null, 0x0
	s_barrier
	buffer_gl0_inv
	s_clause 0x4
	scratch_load_b128 v[106:109], off, off offset:224
	scratch_load_b128 v[110:113], off, off offset:240
	;; [unrolled: 1-line block ×5, first 2 shown]
	v_mov_b32_e32 v1, 0
	ds_load_2addr_b64 v[126:129], v1 offset0:79 offset1:80
	ds_load_2addr_b64 v[130:133], v1 offset0:81 offset1:82
	scratch_load_b128 v[134:137], off, off offset:304
	s_mov_b32 s0, exec_lo
	s_waitcnt vmcnt(5) lgkmcnt(1)
	v_fma_f64 v[2:3], v[108:109], v[126:127], 0
	s_waitcnt vmcnt(4)
	s_delay_alu instid0(VALU_DEP_1) | instskip(SKIP_4) | instid1(VALU_DEP_1)
	v_fma_f64 v[2:3], v[110:111], v[128:129], v[2:3]
	scratch_load_b128 v[108:111], off, off offset:320
	s_waitcnt lgkmcnt(0)
	v_fma_f64 v[2:3], v[112:113], v[130:131], v[2:3]
	s_waitcnt vmcnt(4)
	v_fma_f64 v[2:3], v[114:115], v[132:133], v[2:3]
	ds_load_2addr_b64 v[112:115], v1 offset0:83 offset1:84
	ds_load_2addr_b64 v[126:129], v1 offset0:85 offset1:86
	scratch_load_b128 v[130:133], off, off offset:336
	s_waitcnt lgkmcnt(1)
	v_fma_f64 v[2:3], v[116:117], v[112:113], v[2:3]
	s_waitcnt vmcnt(4)
	s_delay_alu instid0(VALU_DEP_1) | instskip(SKIP_4) | instid1(VALU_DEP_1)
	v_fma_f64 v[2:3], v[118:119], v[114:115], v[2:3]
	scratch_load_b128 v[112:115], off, off offset:352
	s_waitcnt lgkmcnt(0)
	v_fma_f64 v[2:3], v[120:121], v[126:127], v[2:3]
	s_waitcnt vmcnt(4)
	v_fma_f64 v[2:3], v[122:123], v[128:129], v[2:3]
	ds_load_2addr_b64 v[116:119], v1 offset0:87 offset1:88
	ds_load_2addr_b64 v[120:123], v1 offset0:89 offset1:90
	s_waitcnt lgkmcnt(1)
	v_fma_f64 v[2:3], v[124:125], v[116:117], v[2:3]
	scratch_load_b128 v[124:127], off, off offset:368
	s_waitcnt vmcnt(4)
	v_fma_f64 v[2:3], v[134:135], v[118:119], v[2:3]
	scratch_load_b128 v[116:119], off, off offset:384
	s_waitcnt lgkmcnt(0)
	v_fma_f64 v[2:3], v[136:137], v[120:121], v[2:3]
	s_waitcnt vmcnt(4)
	s_delay_alu instid0(VALU_DEP_1)
	v_fma_f64 v[2:3], v[108:109], v[122:123], v[2:3]
	ds_load_2addr_b64 v[120:123], v1 offset0:91 offset1:92
	ds_load_2addr_b64 v[134:137], v1 offset0:93 offset1:94
	s_waitcnt lgkmcnt(1)
	v_fma_f64 v[2:3], v[110:111], v[120:121], v[2:3]
	s_waitcnt vmcnt(3)
	s_delay_alu instid0(VALU_DEP_1)
	v_fma_f64 v[2:3], v[130:131], v[122:123], v[2:3]
	ds_load_2addr_b64 v[108:111], v1 offset0:95 offset1:96
	ds_load_2addr_b64 v[120:123], v1 offset0:97 offset1:98
	s_waitcnt lgkmcnt(2)
	v_fma_f64 v[2:3], v[132:133], v[134:135], v[2:3]
	s_waitcnt vmcnt(2)
	s_delay_alu instid0(VALU_DEP_1) | instskip(SKIP_1) | instid1(VALU_DEP_1)
	v_fma_f64 v[2:3], v[112:113], v[136:137], v[2:3]
	s_waitcnt lgkmcnt(1)
	v_fma_f64 v[2:3], v[114:115], v[108:109], v[2:3]
	ds_load_b64 v[108:109], v1 offset:792
	s_waitcnt vmcnt(1)
	v_fma_f64 v[2:3], v[124:125], v[110:111], v[2:3]
	s_waitcnt lgkmcnt(1)
	s_delay_alu instid0(VALU_DEP_1) | instskip(SKIP_1) | instid1(VALU_DEP_1)
	v_fma_f64 v[2:3], v[126:127], v[120:121], v[2:3]
	s_waitcnt vmcnt(0)
	v_fma_f64 v[2:3], v[116:117], v[122:123], v[2:3]
	s_waitcnt lgkmcnt(0)
	s_delay_alu instid0(VALU_DEP_1) | instskip(NEXT) | instid1(VALU_DEP_1)
	v_fma_f64 v[2:3], v[118:119], v[108:109], v[2:3]
	v_add_f64 v[2:3], v[106:107], -v[2:3]
	scratch_store_b64 off, v[2:3], off offset:224
	v_cmpx_lt_u32_e32 27, v0
	s_cbranch_execz .LBB113_255
; %bb.254:
	scratch_load_b64 v[3:4], off, off offset:216
	v_mov_b32_e32 v2, v1
	scratch_store_b64 off, v[1:2], off offset:216
	s_waitcnt vmcnt(0)
	ds_store_b64 v5, v[3:4]
.LBB113_255:
	s_or_b32 exec_lo, exec_lo, s0
	s_waitcnt lgkmcnt(0)
	s_waitcnt_vscnt null, 0x0
	s_barrier
	buffer_gl0_inv
	s_clause 0x4
	scratch_load_b128 v[106:109], off, off offset:216
	scratch_load_b128 v[110:113], off, off offset:232
	;; [unrolled: 1-line block ×5, first 2 shown]
	ds_load_b128 v[126:129], v1 offset:624
	ds_load_b128 v[130:133], v1 offset:640
	scratch_load_b128 v[134:137], off, off offset:296
	s_mov_b32 s0, exec_lo
	s_waitcnt vmcnt(5) lgkmcnt(1)
	v_fma_f64 v[2:3], v[108:109], v[126:127], 0
	s_waitcnt vmcnt(4)
	s_delay_alu instid0(VALU_DEP_1) | instskip(SKIP_4) | instid1(VALU_DEP_1)
	v_fma_f64 v[2:3], v[110:111], v[128:129], v[2:3]
	scratch_load_b128 v[108:111], off, off offset:312
	s_waitcnt lgkmcnt(0)
	v_fma_f64 v[2:3], v[112:113], v[130:131], v[2:3]
	s_waitcnt vmcnt(4)
	v_fma_f64 v[2:3], v[114:115], v[132:133], v[2:3]
	ds_load_b128 v[112:115], v1 offset:656
	ds_load_b128 v[126:129], v1 offset:672
	scratch_load_b128 v[130:133], off, off offset:328
	s_waitcnt lgkmcnt(1)
	v_fma_f64 v[2:3], v[116:117], v[112:113], v[2:3]
	s_waitcnt vmcnt(4)
	s_delay_alu instid0(VALU_DEP_1) | instskip(SKIP_4) | instid1(VALU_DEP_1)
	v_fma_f64 v[2:3], v[118:119], v[114:115], v[2:3]
	scratch_load_b128 v[112:115], off, off offset:344
	s_waitcnt lgkmcnt(0)
	v_fma_f64 v[2:3], v[120:121], v[126:127], v[2:3]
	s_waitcnt vmcnt(4)
	v_fma_f64 v[2:3], v[122:123], v[128:129], v[2:3]
	ds_load_b128 v[116:119], v1 offset:688
	ds_load_b128 v[120:123], v1 offset:704
	s_waitcnt lgkmcnt(1)
	v_fma_f64 v[2:3], v[124:125], v[116:117], v[2:3]
	scratch_load_b128 v[124:127], off, off offset:360
	s_waitcnt vmcnt(4)
	v_fma_f64 v[2:3], v[134:135], v[118:119], v[2:3]
	scratch_load_b128 v[116:119], off, off offset:376
	s_waitcnt lgkmcnt(0)
	v_fma_f64 v[2:3], v[136:137], v[120:121], v[2:3]
	s_waitcnt vmcnt(4)
	s_delay_alu instid0(VALU_DEP_1)
	v_fma_f64 v[2:3], v[108:109], v[122:123], v[2:3]
	ds_load_b128 v[120:123], v1 offset:720
	ds_load_b128 v[134:137], v1 offset:736
	scratch_load_b64 v[128:129], off, off offset:392
	s_waitcnt lgkmcnt(1)
	v_fma_f64 v[2:3], v[110:111], v[120:121], v[2:3]
	s_waitcnt vmcnt(4)
	s_delay_alu instid0(VALU_DEP_1)
	v_fma_f64 v[2:3], v[130:131], v[122:123], v[2:3]
	ds_load_b128 v[108:111], v1 offset:752
	ds_load_b128 v[120:123], v1 offset:768
	s_waitcnt lgkmcnt(2)
	v_fma_f64 v[2:3], v[132:133], v[134:135], v[2:3]
	s_waitcnt vmcnt(3)
	s_delay_alu instid0(VALU_DEP_1) | instskip(SKIP_1) | instid1(VALU_DEP_1)
	v_fma_f64 v[2:3], v[112:113], v[136:137], v[2:3]
	s_waitcnt lgkmcnt(1)
	v_fma_f64 v[2:3], v[114:115], v[108:109], v[2:3]
	s_waitcnt vmcnt(2)
	s_delay_alu instid0(VALU_DEP_1) | instskip(SKIP_1) | instid1(VALU_DEP_1)
	v_fma_f64 v[2:3], v[124:125], v[110:111], v[2:3]
	s_waitcnt lgkmcnt(0)
	v_fma_f64 v[2:3], v[126:127], v[120:121], v[2:3]
	s_waitcnt vmcnt(1)
	s_delay_alu instid0(VALU_DEP_1) | instskip(SKIP_4) | instid1(VALU_DEP_1)
	v_fma_f64 v[108:109], v[116:117], v[122:123], v[2:3]
	ds_load_b128 v[1:4], v1 offset:784
	s_waitcnt lgkmcnt(0)
	v_fma_f64 v[1:2], v[118:119], v[1:2], v[108:109]
	s_waitcnt vmcnt(0)
	v_fma_f64 v[1:2], v[128:129], v[3:4], v[1:2]
	s_delay_alu instid0(VALU_DEP_1)
	v_add_f64 v[1:2], v[106:107], -v[1:2]
	scratch_store_b64 off, v[1:2], off offset:216
	v_cmpx_lt_u32_e32 26, v0
	s_cbranch_execz .LBB113_257
; %bb.256:
	scratch_load_b64 v[1:2], off, off offset:208
	v_mov_b32_e32 v3, 0
	s_delay_alu instid0(VALU_DEP_1)
	v_mov_b32_e32 v4, v3
	scratch_store_b64 off, v[3:4], off offset:208
	s_waitcnt vmcnt(0)
	ds_store_b64 v5, v[1:2]
.LBB113_257:
	s_or_b32 exec_lo, exec_lo, s0
	s_waitcnt lgkmcnt(0)
	s_waitcnt_vscnt null, 0x0
	s_barrier
	buffer_gl0_inv
	s_clause 0x4
	scratch_load_b128 v[106:109], off, off offset:208
	scratch_load_b128 v[110:113], off, off offset:224
	;; [unrolled: 1-line block ×5, first 2 shown]
	v_mov_b32_e32 v1, 0
	ds_load_2addr_b64 v[126:129], v1 offset0:77 offset1:78
	ds_load_2addr_b64 v[130:133], v1 offset0:79 offset1:80
	scratch_load_b128 v[134:137], off, off offset:288
	s_mov_b32 s0, exec_lo
	s_waitcnt vmcnt(5) lgkmcnt(1)
	v_fma_f64 v[2:3], v[108:109], v[126:127], 0
	s_waitcnt vmcnt(4)
	s_delay_alu instid0(VALU_DEP_1) | instskip(SKIP_4) | instid1(VALU_DEP_1)
	v_fma_f64 v[2:3], v[110:111], v[128:129], v[2:3]
	scratch_load_b128 v[108:111], off, off offset:304
	s_waitcnt lgkmcnt(0)
	v_fma_f64 v[2:3], v[112:113], v[130:131], v[2:3]
	s_waitcnt vmcnt(4)
	v_fma_f64 v[2:3], v[114:115], v[132:133], v[2:3]
	ds_load_2addr_b64 v[112:115], v1 offset0:81 offset1:82
	ds_load_2addr_b64 v[126:129], v1 offset0:83 offset1:84
	scratch_load_b128 v[130:133], off, off offset:320
	s_waitcnt lgkmcnt(1)
	v_fma_f64 v[2:3], v[116:117], v[112:113], v[2:3]
	s_waitcnt vmcnt(4)
	s_delay_alu instid0(VALU_DEP_1) | instskip(SKIP_4) | instid1(VALU_DEP_1)
	v_fma_f64 v[2:3], v[118:119], v[114:115], v[2:3]
	scratch_load_b128 v[112:115], off, off offset:336
	s_waitcnt lgkmcnt(0)
	v_fma_f64 v[2:3], v[120:121], v[126:127], v[2:3]
	s_waitcnt vmcnt(4)
	v_fma_f64 v[2:3], v[122:123], v[128:129], v[2:3]
	ds_load_2addr_b64 v[116:119], v1 offset0:85 offset1:86
	ds_load_2addr_b64 v[120:123], v1 offset0:87 offset1:88
	s_waitcnt lgkmcnt(1)
	v_fma_f64 v[2:3], v[124:125], v[116:117], v[2:3]
	scratch_load_b128 v[124:127], off, off offset:352
	s_waitcnt vmcnt(4)
	v_fma_f64 v[2:3], v[134:135], v[118:119], v[2:3]
	scratch_load_b128 v[116:119], off, off offset:368
	s_waitcnt lgkmcnt(0)
	v_fma_f64 v[2:3], v[136:137], v[120:121], v[2:3]
	s_waitcnt vmcnt(4)
	s_delay_alu instid0(VALU_DEP_1)
	v_fma_f64 v[2:3], v[108:109], v[122:123], v[2:3]
	ds_load_2addr_b64 v[120:123], v1 offset0:89 offset1:90
	ds_load_2addr_b64 v[134:137], v1 offset0:91 offset1:92
	s_waitcnt lgkmcnt(1)
	v_fma_f64 v[2:3], v[110:111], v[120:121], v[2:3]
	scratch_load_b128 v[108:111], off, off offset:384
	s_waitcnt vmcnt(4)
	v_fma_f64 v[2:3], v[130:131], v[122:123], v[2:3]
	ds_load_2addr_b64 v[120:123], v1 offset0:93 offset1:94
	ds_load_2addr_b64 v[128:131], v1 offset0:95 offset1:96
	s_waitcnt lgkmcnt(2)
	v_fma_f64 v[2:3], v[132:133], v[134:135], v[2:3]
	s_waitcnt vmcnt(3)
	s_delay_alu instid0(VALU_DEP_1) | instskip(SKIP_1) | instid1(VALU_DEP_1)
	v_fma_f64 v[2:3], v[112:113], v[136:137], v[2:3]
	s_waitcnt lgkmcnt(1)
	v_fma_f64 v[2:3], v[114:115], v[120:121], v[2:3]
	s_waitcnt vmcnt(2)
	s_delay_alu instid0(VALU_DEP_1) | instskip(SKIP_1) | instid1(VALU_DEP_1)
	v_fma_f64 v[2:3], v[124:125], v[122:123], v[2:3]
	s_waitcnt lgkmcnt(0)
	v_fma_f64 v[2:3], v[126:127], v[128:129], v[2:3]
	s_waitcnt vmcnt(1)
	s_delay_alu instid0(VALU_DEP_1)
	v_fma_f64 v[2:3], v[116:117], v[130:131], v[2:3]
	ds_load_2addr_b64 v[112:115], v1 offset0:97 offset1:98
	ds_load_b64 v[116:117], v1 offset:792
	s_waitcnt lgkmcnt(1)
	v_fma_f64 v[2:3], v[118:119], v[112:113], v[2:3]
	s_waitcnt vmcnt(0)
	s_delay_alu instid0(VALU_DEP_1) | instskip(SKIP_1) | instid1(VALU_DEP_1)
	v_fma_f64 v[2:3], v[108:109], v[114:115], v[2:3]
	s_waitcnt lgkmcnt(0)
	v_fma_f64 v[2:3], v[110:111], v[116:117], v[2:3]
	s_delay_alu instid0(VALU_DEP_1)
	v_add_f64 v[2:3], v[106:107], -v[2:3]
	scratch_store_b64 off, v[2:3], off offset:208
	v_cmpx_lt_u32_e32 25, v0
	s_cbranch_execz .LBB113_259
; %bb.258:
	scratch_load_b64 v[3:4], off, off offset:200
	v_mov_b32_e32 v2, v1
	scratch_store_b64 off, v[1:2], off offset:200
	s_waitcnt vmcnt(0)
	ds_store_b64 v5, v[3:4]
.LBB113_259:
	s_or_b32 exec_lo, exec_lo, s0
	s_waitcnt lgkmcnt(0)
	s_waitcnt_vscnt null, 0x0
	s_barrier
	buffer_gl0_inv
	s_clause 0x4
	scratch_load_b128 v[106:109], off, off offset:200
	scratch_load_b128 v[110:113], off, off offset:216
	;; [unrolled: 1-line block ×5, first 2 shown]
	ds_load_b128 v[126:129], v1 offset:608
	ds_load_b128 v[130:133], v1 offset:624
	scratch_load_b128 v[134:137], off, off offset:280
	s_mov_b32 s0, exec_lo
	s_waitcnt vmcnt(5) lgkmcnt(1)
	v_fma_f64 v[2:3], v[108:109], v[126:127], 0
	s_waitcnt vmcnt(4)
	s_delay_alu instid0(VALU_DEP_1) | instskip(SKIP_4) | instid1(VALU_DEP_1)
	v_fma_f64 v[2:3], v[110:111], v[128:129], v[2:3]
	scratch_load_b128 v[108:111], off, off offset:296
	s_waitcnt lgkmcnt(0)
	v_fma_f64 v[2:3], v[112:113], v[130:131], v[2:3]
	s_waitcnt vmcnt(4)
	v_fma_f64 v[2:3], v[114:115], v[132:133], v[2:3]
	ds_load_b128 v[112:115], v1 offset:640
	ds_load_b128 v[126:129], v1 offset:656
	scratch_load_b128 v[130:133], off, off offset:312
	s_waitcnt lgkmcnt(1)
	v_fma_f64 v[2:3], v[116:117], v[112:113], v[2:3]
	s_waitcnt vmcnt(4)
	s_delay_alu instid0(VALU_DEP_1) | instskip(SKIP_4) | instid1(VALU_DEP_1)
	v_fma_f64 v[2:3], v[118:119], v[114:115], v[2:3]
	scratch_load_b128 v[112:115], off, off offset:328
	s_waitcnt lgkmcnt(0)
	v_fma_f64 v[2:3], v[120:121], v[126:127], v[2:3]
	s_waitcnt vmcnt(4)
	v_fma_f64 v[2:3], v[122:123], v[128:129], v[2:3]
	ds_load_b128 v[116:119], v1 offset:672
	ds_load_b128 v[120:123], v1 offset:688
	s_waitcnt lgkmcnt(1)
	v_fma_f64 v[2:3], v[124:125], v[116:117], v[2:3]
	scratch_load_b128 v[124:127], off, off offset:344
	s_waitcnt vmcnt(4)
	v_fma_f64 v[2:3], v[134:135], v[118:119], v[2:3]
	scratch_load_b128 v[116:119], off, off offset:360
	s_waitcnt lgkmcnt(0)
	v_fma_f64 v[2:3], v[136:137], v[120:121], v[2:3]
	s_waitcnt vmcnt(4)
	s_delay_alu instid0(VALU_DEP_1)
	v_fma_f64 v[2:3], v[108:109], v[122:123], v[2:3]
	ds_load_b128 v[120:123], v1 offset:704
	ds_load_b128 v[134:137], v1 offset:720
	s_waitcnt lgkmcnt(1)
	v_fma_f64 v[2:3], v[110:111], v[120:121], v[2:3]
	scratch_load_b128 v[108:111], off, off offset:376
	s_waitcnt vmcnt(4)
	v_fma_f64 v[2:3], v[130:131], v[122:123], v[2:3]
	s_waitcnt lgkmcnt(0)
	s_delay_alu instid0(VALU_DEP_1)
	v_fma_f64 v[2:3], v[132:133], v[134:135], v[2:3]
	scratch_load_b64 v[132:133], off, off offset:392
	ds_load_b128 v[120:123], v1 offset:736
	ds_load_b128 v[128:131], v1 offset:752
	s_waitcnt vmcnt(4)
	v_fma_f64 v[2:3], v[112:113], v[136:137], v[2:3]
	s_waitcnt lgkmcnt(1)
	s_delay_alu instid0(VALU_DEP_1) | instskip(SKIP_1) | instid1(VALU_DEP_1)
	v_fma_f64 v[2:3], v[114:115], v[120:121], v[2:3]
	s_waitcnt vmcnt(3)
	v_fma_f64 v[2:3], v[124:125], v[122:123], v[2:3]
	s_waitcnt lgkmcnt(0)
	s_delay_alu instid0(VALU_DEP_1) | instskip(SKIP_1) | instid1(VALU_DEP_1)
	v_fma_f64 v[2:3], v[126:127], v[128:129], v[2:3]
	s_waitcnt vmcnt(2)
	v_fma_f64 v[116:117], v[116:117], v[130:131], v[2:3]
	ds_load_b128 v[112:115], v1 offset:768
	ds_load_b128 v[1:4], v1 offset:784
	s_waitcnt lgkmcnt(1)
	v_fma_f64 v[112:113], v[118:119], v[112:113], v[116:117]
	s_waitcnt vmcnt(1)
	s_delay_alu instid0(VALU_DEP_1) | instskip(SKIP_1) | instid1(VALU_DEP_1)
	v_fma_f64 v[108:109], v[108:109], v[114:115], v[112:113]
	s_waitcnt lgkmcnt(0)
	v_fma_f64 v[1:2], v[110:111], v[1:2], v[108:109]
	s_waitcnt vmcnt(0)
	s_delay_alu instid0(VALU_DEP_1) | instskip(NEXT) | instid1(VALU_DEP_1)
	v_fma_f64 v[1:2], v[132:133], v[3:4], v[1:2]
	v_add_f64 v[1:2], v[106:107], -v[1:2]
	scratch_store_b64 off, v[1:2], off offset:200
	v_cmpx_lt_u32_e32 24, v0
	s_cbranch_execz .LBB113_261
; %bb.260:
	scratch_load_b64 v[1:2], off, off offset:192
	v_mov_b32_e32 v3, 0
	s_delay_alu instid0(VALU_DEP_1)
	v_mov_b32_e32 v4, v3
	scratch_store_b64 off, v[3:4], off offset:192
	s_waitcnt vmcnt(0)
	ds_store_b64 v5, v[1:2]
.LBB113_261:
	s_or_b32 exec_lo, exec_lo, s0
	s_waitcnt lgkmcnt(0)
	s_waitcnt_vscnt null, 0x0
	s_barrier
	buffer_gl0_inv
	s_clause 0x4
	scratch_load_b128 v[106:109], off, off offset:192
	scratch_load_b128 v[110:113], off, off offset:208
	;; [unrolled: 1-line block ×5, first 2 shown]
	v_mov_b32_e32 v1, 0
	ds_load_2addr_b64 v[126:129], v1 offset0:75 offset1:76
	ds_load_2addr_b64 v[130:133], v1 offset0:77 offset1:78
	scratch_load_b128 v[134:137], off, off offset:272
	s_mov_b32 s0, exec_lo
	s_waitcnt vmcnt(5) lgkmcnt(1)
	v_fma_f64 v[2:3], v[108:109], v[126:127], 0
	s_waitcnt vmcnt(4)
	s_delay_alu instid0(VALU_DEP_1) | instskip(SKIP_4) | instid1(VALU_DEP_1)
	v_fma_f64 v[2:3], v[110:111], v[128:129], v[2:3]
	scratch_load_b128 v[108:111], off, off offset:288
	s_waitcnt lgkmcnt(0)
	v_fma_f64 v[2:3], v[112:113], v[130:131], v[2:3]
	s_waitcnt vmcnt(4)
	v_fma_f64 v[2:3], v[114:115], v[132:133], v[2:3]
	ds_load_2addr_b64 v[112:115], v1 offset0:79 offset1:80
	ds_load_2addr_b64 v[126:129], v1 offset0:81 offset1:82
	scratch_load_b128 v[130:133], off, off offset:304
	s_waitcnt lgkmcnt(1)
	v_fma_f64 v[2:3], v[116:117], v[112:113], v[2:3]
	s_waitcnt vmcnt(4)
	s_delay_alu instid0(VALU_DEP_1) | instskip(SKIP_4) | instid1(VALU_DEP_1)
	v_fma_f64 v[2:3], v[118:119], v[114:115], v[2:3]
	scratch_load_b128 v[112:115], off, off offset:320
	s_waitcnt lgkmcnt(0)
	v_fma_f64 v[2:3], v[120:121], v[126:127], v[2:3]
	s_waitcnt vmcnt(4)
	v_fma_f64 v[2:3], v[122:123], v[128:129], v[2:3]
	ds_load_2addr_b64 v[116:119], v1 offset0:83 offset1:84
	ds_load_2addr_b64 v[120:123], v1 offset0:85 offset1:86
	s_waitcnt lgkmcnt(1)
	v_fma_f64 v[2:3], v[124:125], v[116:117], v[2:3]
	scratch_load_b128 v[124:127], off, off offset:336
	s_waitcnt vmcnt(4)
	v_fma_f64 v[2:3], v[134:135], v[118:119], v[2:3]
	scratch_load_b128 v[116:119], off, off offset:352
	s_waitcnt lgkmcnt(0)
	v_fma_f64 v[2:3], v[136:137], v[120:121], v[2:3]
	s_waitcnt vmcnt(4)
	s_delay_alu instid0(VALU_DEP_1)
	v_fma_f64 v[2:3], v[108:109], v[122:123], v[2:3]
	ds_load_2addr_b64 v[120:123], v1 offset0:87 offset1:88
	ds_load_2addr_b64 v[134:137], v1 offset0:89 offset1:90
	s_waitcnt lgkmcnt(1)
	v_fma_f64 v[2:3], v[110:111], v[120:121], v[2:3]
	scratch_load_b128 v[108:111], off, off offset:368
	s_waitcnt vmcnt(4)
	v_fma_f64 v[2:3], v[130:131], v[122:123], v[2:3]
	scratch_load_b128 v[120:123], off, off offset:384
	s_waitcnt lgkmcnt(0)
	v_fma_f64 v[2:3], v[132:133], v[134:135], v[2:3]
	ds_load_2addr_b64 v[128:131], v1 offset0:91 offset1:92
	ds_load_2addr_b64 v[132:135], v1 offset0:93 offset1:94
	s_waitcnt vmcnt(4)
	v_fma_f64 v[2:3], v[112:113], v[136:137], v[2:3]
	s_waitcnt lgkmcnt(1)
	s_delay_alu instid0(VALU_DEP_1) | instskip(SKIP_1) | instid1(VALU_DEP_1)
	v_fma_f64 v[2:3], v[114:115], v[128:129], v[2:3]
	s_waitcnt vmcnt(3)
	v_fma_f64 v[2:3], v[124:125], v[130:131], v[2:3]
	s_waitcnt lgkmcnt(0)
	s_delay_alu instid0(VALU_DEP_1)
	v_fma_f64 v[2:3], v[126:127], v[132:133], v[2:3]
	ds_load_2addr_b64 v[112:115], v1 offset0:95 offset1:96
	ds_load_2addr_b64 v[124:127], v1 offset0:97 offset1:98
	s_waitcnt vmcnt(2)
	v_fma_f64 v[2:3], v[116:117], v[134:135], v[2:3]
	s_waitcnt lgkmcnt(1)
	s_delay_alu instid0(VALU_DEP_1) | instskip(SKIP_1) | instid1(VALU_DEP_1)
	v_fma_f64 v[2:3], v[118:119], v[112:113], v[2:3]
	s_waitcnt vmcnt(1)
	v_fma_f64 v[2:3], v[108:109], v[114:115], v[2:3]
	ds_load_b64 v[108:109], v1 offset:792
	s_waitcnt lgkmcnt(1)
	v_fma_f64 v[2:3], v[110:111], v[124:125], v[2:3]
	s_waitcnt vmcnt(0)
	s_delay_alu instid0(VALU_DEP_1) | instskip(SKIP_1) | instid1(VALU_DEP_1)
	v_fma_f64 v[2:3], v[120:121], v[126:127], v[2:3]
	s_waitcnt lgkmcnt(0)
	v_fma_f64 v[2:3], v[122:123], v[108:109], v[2:3]
	s_delay_alu instid0(VALU_DEP_1)
	v_add_f64 v[2:3], v[106:107], -v[2:3]
	scratch_store_b64 off, v[2:3], off offset:192
	v_cmpx_lt_u32_e32 23, v0
	s_cbranch_execz .LBB113_263
; %bb.262:
	scratch_load_b64 v[3:4], off, off offset:184
	v_mov_b32_e32 v2, v1
	scratch_store_b64 off, v[1:2], off offset:184
	s_waitcnt vmcnt(0)
	ds_store_b64 v5, v[3:4]
.LBB113_263:
	s_or_b32 exec_lo, exec_lo, s0
	s_waitcnt lgkmcnt(0)
	s_waitcnt_vscnt null, 0x0
	s_barrier
	buffer_gl0_inv
	s_clause 0x4
	scratch_load_b128 v[106:109], off, off offset:184
	scratch_load_b128 v[110:113], off, off offset:200
	;; [unrolled: 1-line block ×5, first 2 shown]
	ds_load_b128 v[126:129], v1 offset:592
	ds_load_b128 v[130:133], v1 offset:608
	scratch_load_b128 v[134:137], off, off offset:264
	s_mov_b32 s0, exec_lo
	s_waitcnt vmcnt(5) lgkmcnt(1)
	v_fma_f64 v[2:3], v[108:109], v[126:127], 0
	s_waitcnt vmcnt(4)
	s_delay_alu instid0(VALU_DEP_1) | instskip(SKIP_4) | instid1(VALU_DEP_1)
	v_fma_f64 v[2:3], v[110:111], v[128:129], v[2:3]
	scratch_load_b128 v[108:111], off, off offset:280
	s_waitcnt lgkmcnt(0)
	v_fma_f64 v[2:3], v[112:113], v[130:131], v[2:3]
	s_waitcnt vmcnt(4)
	v_fma_f64 v[2:3], v[114:115], v[132:133], v[2:3]
	ds_load_b128 v[112:115], v1 offset:624
	ds_load_b128 v[126:129], v1 offset:640
	scratch_load_b128 v[130:133], off, off offset:296
	s_waitcnt lgkmcnt(1)
	v_fma_f64 v[2:3], v[116:117], v[112:113], v[2:3]
	s_waitcnt vmcnt(4)
	s_delay_alu instid0(VALU_DEP_1) | instskip(SKIP_4) | instid1(VALU_DEP_1)
	v_fma_f64 v[2:3], v[118:119], v[114:115], v[2:3]
	scratch_load_b128 v[112:115], off, off offset:312
	s_waitcnt lgkmcnt(0)
	v_fma_f64 v[2:3], v[120:121], v[126:127], v[2:3]
	s_waitcnt vmcnt(4)
	v_fma_f64 v[2:3], v[122:123], v[128:129], v[2:3]
	ds_load_b128 v[116:119], v1 offset:656
	ds_load_b128 v[120:123], v1 offset:672
	s_waitcnt lgkmcnt(1)
	v_fma_f64 v[2:3], v[124:125], v[116:117], v[2:3]
	scratch_load_b128 v[124:127], off, off offset:328
	s_waitcnt vmcnt(4)
	v_fma_f64 v[2:3], v[134:135], v[118:119], v[2:3]
	scratch_load_b128 v[116:119], off, off offset:344
	s_waitcnt lgkmcnt(0)
	v_fma_f64 v[2:3], v[136:137], v[120:121], v[2:3]
	s_waitcnt vmcnt(4)
	s_delay_alu instid0(VALU_DEP_1)
	v_fma_f64 v[2:3], v[108:109], v[122:123], v[2:3]
	ds_load_b128 v[120:123], v1 offset:688
	ds_load_b128 v[134:137], v1 offset:704
	s_waitcnt lgkmcnt(1)
	v_fma_f64 v[2:3], v[110:111], v[120:121], v[2:3]
	scratch_load_b128 v[108:111], off, off offset:360
	s_waitcnt vmcnt(4)
	v_fma_f64 v[2:3], v[130:131], v[122:123], v[2:3]
	scratch_load_b128 v[120:123], off, off offset:376
	s_waitcnt lgkmcnt(0)
	v_fma_f64 v[2:3], v[132:133], v[134:135], v[2:3]
	ds_load_b128 v[128:131], v1 offset:720
	ds_load_b128 v[132:135], v1 offset:736
	s_waitcnt vmcnt(4)
	v_fma_f64 v[2:3], v[112:113], v[136:137], v[2:3]
	s_waitcnt lgkmcnt(1)
	s_delay_alu instid0(VALU_DEP_1) | instskip(SKIP_4) | instid1(VALU_DEP_1)
	v_fma_f64 v[2:3], v[114:115], v[128:129], v[2:3]
	scratch_load_b64 v[128:129], off, off offset:392
	s_waitcnt vmcnt(4)
	v_fma_f64 v[2:3], v[124:125], v[130:131], v[2:3]
	s_waitcnt lgkmcnt(0)
	v_fma_f64 v[2:3], v[126:127], v[132:133], v[2:3]
	ds_load_b128 v[112:115], v1 offset:752
	ds_load_b128 v[124:127], v1 offset:768
	s_waitcnt vmcnt(3)
	v_fma_f64 v[2:3], v[116:117], v[134:135], v[2:3]
	s_waitcnt lgkmcnt(1)
	s_delay_alu instid0(VALU_DEP_1) | instskip(SKIP_1) | instid1(VALU_DEP_1)
	v_fma_f64 v[2:3], v[118:119], v[112:113], v[2:3]
	s_waitcnt vmcnt(2)
	v_fma_f64 v[2:3], v[108:109], v[114:115], v[2:3]
	s_waitcnt lgkmcnt(0)
	s_delay_alu instid0(VALU_DEP_1) | instskip(SKIP_1) | instid1(VALU_DEP_1)
	v_fma_f64 v[2:3], v[110:111], v[124:125], v[2:3]
	s_waitcnt vmcnt(1)
	v_fma_f64 v[108:109], v[120:121], v[126:127], v[2:3]
	ds_load_b128 v[1:4], v1 offset:784
	s_waitcnt lgkmcnt(0)
	v_fma_f64 v[1:2], v[122:123], v[1:2], v[108:109]
	s_waitcnt vmcnt(0)
	s_delay_alu instid0(VALU_DEP_1) | instskip(NEXT) | instid1(VALU_DEP_1)
	v_fma_f64 v[1:2], v[128:129], v[3:4], v[1:2]
	v_add_f64 v[1:2], v[106:107], -v[1:2]
	scratch_store_b64 off, v[1:2], off offset:184
	v_cmpx_lt_u32_e32 22, v0
	s_cbranch_execz .LBB113_265
; %bb.264:
	scratch_load_b64 v[1:2], off, off offset:176
	v_mov_b32_e32 v3, 0
	s_delay_alu instid0(VALU_DEP_1)
	v_mov_b32_e32 v4, v3
	scratch_store_b64 off, v[3:4], off offset:176
	s_waitcnt vmcnt(0)
	ds_store_b64 v5, v[1:2]
.LBB113_265:
	s_or_b32 exec_lo, exec_lo, s0
	s_waitcnt lgkmcnt(0)
	s_waitcnt_vscnt null, 0x0
	s_barrier
	buffer_gl0_inv
	s_clause 0x4
	scratch_load_b128 v[106:109], off, off offset:176
	scratch_load_b128 v[110:113], off, off offset:192
	;; [unrolled: 1-line block ×5, first 2 shown]
	v_mov_b32_e32 v1, 0
	ds_load_2addr_b64 v[126:129], v1 offset0:73 offset1:74
	ds_load_2addr_b64 v[130:133], v1 offset0:75 offset1:76
	scratch_load_b128 v[134:137], off, off offset:256
	s_mov_b32 s0, exec_lo
	s_waitcnt vmcnt(5) lgkmcnt(1)
	v_fma_f64 v[2:3], v[108:109], v[126:127], 0
	s_waitcnt vmcnt(4)
	s_delay_alu instid0(VALU_DEP_1) | instskip(SKIP_4) | instid1(VALU_DEP_1)
	v_fma_f64 v[2:3], v[110:111], v[128:129], v[2:3]
	scratch_load_b128 v[108:111], off, off offset:272
	s_waitcnt lgkmcnt(0)
	v_fma_f64 v[2:3], v[112:113], v[130:131], v[2:3]
	s_waitcnt vmcnt(4)
	v_fma_f64 v[2:3], v[114:115], v[132:133], v[2:3]
	ds_load_2addr_b64 v[112:115], v1 offset0:77 offset1:78
	ds_load_2addr_b64 v[126:129], v1 offset0:79 offset1:80
	scratch_load_b128 v[130:133], off, off offset:288
	s_waitcnt lgkmcnt(1)
	v_fma_f64 v[2:3], v[116:117], v[112:113], v[2:3]
	s_waitcnt vmcnt(4)
	s_delay_alu instid0(VALU_DEP_1) | instskip(SKIP_4) | instid1(VALU_DEP_1)
	v_fma_f64 v[2:3], v[118:119], v[114:115], v[2:3]
	scratch_load_b128 v[112:115], off, off offset:304
	s_waitcnt lgkmcnt(0)
	v_fma_f64 v[2:3], v[120:121], v[126:127], v[2:3]
	s_waitcnt vmcnt(4)
	v_fma_f64 v[2:3], v[122:123], v[128:129], v[2:3]
	ds_load_2addr_b64 v[116:119], v1 offset0:81 offset1:82
	ds_load_2addr_b64 v[120:123], v1 offset0:83 offset1:84
	s_waitcnt lgkmcnt(1)
	v_fma_f64 v[2:3], v[124:125], v[116:117], v[2:3]
	scratch_load_b128 v[124:127], off, off offset:320
	s_waitcnt vmcnt(4)
	v_fma_f64 v[2:3], v[134:135], v[118:119], v[2:3]
	scratch_load_b128 v[116:119], off, off offset:336
	s_waitcnt lgkmcnt(0)
	v_fma_f64 v[2:3], v[136:137], v[120:121], v[2:3]
	s_waitcnt vmcnt(4)
	s_delay_alu instid0(VALU_DEP_1)
	v_fma_f64 v[2:3], v[108:109], v[122:123], v[2:3]
	ds_load_2addr_b64 v[120:123], v1 offset0:85 offset1:86
	ds_load_2addr_b64 v[134:137], v1 offset0:87 offset1:88
	s_waitcnt lgkmcnt(1)
	v_fma_f64 v[2:3], v[110:111], v[120:121], v[2:3]
	scratch_load_b128 v[108:111], off, off offset:352
	s_waitcnt vmcnt(4)
	v_fma_f64 v[2:3], v[130:131], v[122:123], v[2:3]
	scratch_load_b128 v[120:123], off, off offset:368
	s_waitcnt lgkmcnt(0)
	v_fma_f64 v[2:3], v[132:133], v[134:135], v[2:3]
	ds_load_2addr_b64 v[128:131], v1 offset0:89 offset1:90
	ds_load_2addr_b64 v[132:135], v1 offset0:91 offset1:92
	s_waitcnt vmcnt(4)
	v_fma_f64 v[2:3], v[112:113], v[136:137], v[2:3]
	s_waitcnt lgkmcnt(1)
	s_delay_alu instid0(VALU_DEP_1) | instskip(SKIP_4) | instid1(VALU_DEP_1)
	v_fma_f64 v[2:3], v[114:115], v[128:129], v[2:3]
	scratch_load_b128 v[112:115], off, off offset:384
	s_waitcnt vmcnt(4)
	v_fma_f64 v[2:3], v[124:125], v[130:131], v[2:3]
	s_waitcnt lgkmcnt(0)
	v_fma_f64 v[2:3], v[126:127], v[132:133], v[2:3]
	ds_load_2addr_b64 v[124:127], v1 offset0:93 offset1:94
	ds_load_2addr_b64 v[128:131], v1 offset0:95 offset1:96
	s_waitcnt vmcnt(3)
	v_fma_f64 v[2:3], v[116:117], v[134:135], v[2:3]
	s_waitcnt lgkmcnt(1)
	s_delay_alu instid0(VALU_DEP_1) | instskip(SKIP_1) | instid1(VALU_DEP_1)
	v_fma_f64 v[2:3], v[118:119], v[124:125], v[2:3]
	s_waitcnt vmcnt(2)
	v_fma_f64 v[2:3], v[108:109], v[126:127], v[2:3]
	s_waitcnt lgkmcnt(0)
	s_delay_alu instid0(VALU_DEP_1)
	v_fma_f64 v[2:3], v[110:111], v[128:129], v[2:3]
	ds_load_2addr_b64 v[108:111], v1 offset0:97 offset1:98
	ds_load_b64 v[116:117], v1 offset:792
	s_waitcnt vmcnt(1)
	v_fma_f64 v[2:3], v[120:121], v[130:131], v[2:3]
	s_waitcnt lgkmcnt(1)
	s_delay_alu instid0(VALU_DEP_1) | instskip(SKIP_1) | instid1(VALU_DEP_1)
	v_fma_f64 v[2:3], v[122:123], v[108:109], v[2:3]
	s_waitcnt vmcnt(0)
	v_fma_f64 v[2:3], v[112:113], v[110:111], v[2:3]
	s_waitcnt lgkmcnt(0)
	s_delay_alu instid0(VALU_DEP_1) | instskip(NEXT) | instid1(VALU_DEP_1)
	v_fma_f64 v[2:3], v[114:115], v[116:117], v[2:3]
	v_add_f64 v[2:3], v[106:107], -v[2:3]
	scratch_store_b64 off, v[2:3], off offset:176
	v_cmpx_lt_u32_e32 21, v0
	s_cbranch_execz .LBB113_267
; %bb.266:
	scratch_load_b64 v[3:4], off, off offset:168
	v_mov_b32_e32 v2, v1
	scratch_store_b64 off, v[1:2], off offset:168
	s_waitcnt vmcnt(0)
	ds_store_b64 v5, v[3:4]
.LBB113_267:
	s_or_b32 exec_lo, exec_lo, s0
	s_waitcnt lgkmcnt(0)
	s_waitcnt_vscnt null, 0x0
	s_barrier
	buffer_gl0_inv
	s_clause 0x4
	scratch_load_b128 v[106:109], off, off offset:168
	scratch_load_b128 v[110:113], off, off offset:184
	;; [unrolled: 1-line block ×5, first 2 shown]
	ds_load_b128 v[126:129], v1 offset:576
	ds_load_b128 v[130:133], v1 offset:592
	scratch_load_b128 v[134:137], off, off offset:248
	s_mov_b32 s0, exec_lo
	s_waitcnt vmcnt(5) lgkmcnt(1)
	v_fma_f64 v[2:3], v[108:109], v[126:127], 0
	s_waitcnt vmcnt(4)
	s_delay_alu instid0(VALU_DEP_1) | instskip(SKIP_4) | instid1(VALU_DEP_1)
	v_fma_f64 v[2:3], v[110:111], v[128:129], v[2:3]
	scratch_load_b128 v[108:111], off, off offset:264
	s_waitcnt lgkmcnt(0)
	v_fma_f64 v[2:3], v[112:113], v[130:131], v[2:3]
	s_waitcnt vmcnt(4)
	v_fma_f64 v[2:3], v[114:115], v[132:133], v[2:3]
	ds_load_b128 v[112:115], v1 offset:608
	ds_load_b128 v[126:129], v1 offset:624
	scratch_load_b128 v[130:133], off, off offset:280
	s_waitcnt lgkmcnt(1)
	v_fma_f64 v[2:3], v[116:117], v[112:113], v[2:3]
	s_waitcnt vmcnt(4)
	s_delay_alu instid0(VALU_DEP_1) | instskip(SKIP_4) | instid1(VALU_DEP_1)
	v_fma_f64 v[2:3], v[118:119], v[114:115], v[2:3]
	scratch_load_b128 v[112:115], off, off offset:296
	s_waitcnt lgkmcnt(0)
	v_fma_f64 v[2:3], v[120:121], v[126:127], v[2:3]
	s_waitcnt vmcnt(4)
	v_fma_f64 v[2:3], v[122:123], v[128:129], v[2:3]
	ds_load_b128 v[116:119], v1 offset:640
	ds_load_b128 v[120:123], v1 offset:656
	s_waitcnt lgkmcnt(1)
	v_fma_f64 v[2:3], v[124:125], v[116:117], v[2:3]
	scratch_load_b128 v[124:127], off, off offset:312
	s_waitcnt vmcnt(4)
	v_fma_f64 v[2:3], v[134:135], v[118:119], v[2:3]
	scratch_load_b128 v[116:119], off, off offset:328
	s_waitcnt lgkmcnt(0)
	v_fma_f64 v[2:3], v[136:137], v[120:121], v[2:3]
	s_waitcnt vmcnt(4)
	s_delay_alu instid0(VALU_DEP_1)
	v_fma_f64 v[2:3], v[108:109], v[122:123], v[2:3]
	ds_load_b128 v[120:123], v1 offset:672
	ds_load_b128 v[134:137], v1 offset:688
	s_waitcnt lgkmcnt(1)
	v_fma_f64 v[2:3], v[110:111], v[120:121], v[2:3]
	scratch_load_b128 v[108:111], off, off offset:344
	s_waitcnt vmcnt(4)
	v_fma_f64 v[2:3], v[130:131], v[122:123], v[2:3]
	scratch_load_b128 v[120:123], off, off offset:360
	s_waitcnt lgkmcnt(0)
	v_fma_f64 v[2:3], v[132:133], v[134:135], v[2:3]
	ds_load_b128 v[128:131], v1 offset:704
	ds_load_b128 v[132:135], v1 offset:720
	s_waitcnt vmcnt(4)
	v_fma_f64 v[2:3], v[112:113], v[136:137], v[2:3]
	s_waitcnt lgkmcnt(1)
	s_delay_alu instid0(VALU_DEP_1) | instskip(SKIP_4) | instid1(VALU_DEP_1)
	v_fma_f64 v[2:3], v[114:115], v[128:129], v[2:3]
	scratch_load_b128 v[112:115], off, off offset:376
	s_waitcnt vmcnt(4)
	v_fma_f64 v[2:3], v[124:125], v[130:131], v[2:3]
	s_waitcnt lgkmcnt(0)
	v_fma_f64 v[2:3], v[126:127], v[132:133], v[2:3]
	scratch_load_b64 v[132:133], off, off offset:392
	ds_load_b128 v[124:127], v1 offset:736
	ds_load_b128 v[128:131], v1 offset:752
	s_waitcnt vmcnt(4)
	v_fma_f64 v[2:3], v[116:117], v[134:135], v[2:3]
	s_waitcnt lgkmcnt(1)
	s_delay_alu instid0(VALU_DEP_1) | instskip(SKIP_1) | instid1(VALU_DEP_1)
	v_fma_f64 v[2:3], v[118:119], v[124:125], v[2:3]
	s_waitcnt vmcnt(3)
	v_fma_f64 v[2:3], v[108:109], v[126:127], v[2:3]
	s_waitcnt lgkmcnt(0)
	s_delay_alu instid0(VALU_DEP_1) | instskip(SKIP_1) | instid1(VALU_DEP_1)
	v_fma_f64 v[2:3], v[110:111], v[128:129], v[2:3]
	s_waitcnt vmcnt(2)
	v_fma_f64 v[116:117], v[120:121], v[130:131], v[2:3]
	ds_load_b128 v[108:111], v1 offset:768
	ds_load_b128 v[1:4], v1 offset:784
	s_waitcnt lgkmcnt(1)
	v_fma_f64 v[108:109], v[122:123], v[108:109], v[116:117]
	s_waitcnt vmcnt(1)
	s_delay_alu instid0(VALU_DEP_1) | instskip(SKIP_1) | instid1(VALU_DEP_1)
	v_fma_f64 v[108:109], v[112:113], v[110:111], v[108:109]
	s_waitcnt lgkmcnt(0)
	v_fma_f64 v[1:2], v[114:115], v[1:2], v[108:109]
	s_waitcnt vmcnt(0)
	s_delay_alu instid0(VALU_DEP_1) | instskip(NEXT) | instid1(VALU_DEP_1)
	v_fma_f64 v[1:2], v[132:133], v[3:4], v[1:2]
	v_add_f64 v[1:2], v[106:107], -v[1:2]
	scratch_store_b64 off, v[1:2], off offset:168
	v_cmpx_lt_u32_e32 20, v0
	s_cbranch_execz .LBB113_269
; %bb.268:
	scratch_load_b64 v[1:2], off, off offset:160
	v_mov_b32_e32 v3, 0
	s_delay_alu instid0(VALU_DEP_1)
	v_mov_b32_e32 v4, v3
	scratch_store_b64 off, v[3:4], off offset:160
	s_waitcnt vmcnt(0)
	ds_store_b64 v5, v[1:2]
.LBB113_269:
	s_or_b32 exec_lo, exec_lo, s0
	s_waitcnt lgkmcnt(0)
	s_waitcnt_vscnt null, 0x0
	s_barrier
	buffer_gl0_inv
	s_clause 0x4
	scratch_load_b128 v[106:109], off, off offset:160
	scratch_load_b128 v[110:113], off, off offset:176
	;; [unrolled: 1-line block ×5, first 2 shown]
	v_mov_b32_e32 v1, 0
	ds_load_2addr_b64 v[126:129], v1 offset0:71 offset1:72
	ds_load_2addr_b64 v[130:133], v1 offset0:73 offset1:74
	scratch_load_b128 v[134:137], off, off offset:240
	s_mov_b32 s0, exec_lo
	s_waitcnt vmcnt(5) lgkmcnt(1)
	v_fma_f64 v[2:3], v[108:109], v[126:127], 0
	s_waitcnt vmcnt(4)
	s_delay_alu instid0(VALU_DEP_1) | instskip(SKIP_4) | instid1(VALU_DEP_1)
	v_fma_f64 v[2:3], v[110:111], v[128:129], v[2:3]
	scratch_load_b128 v[108:111], off, off offset:256
	s_waitcnt lgkmcnt(0)
	v_fma_f64 v[2:3], v[112:113], v[130:131], v[2:3]
	s_waitcnt vmcnt(4)
	v_fma_f64 v[2:3], v[114:115], v[132:133], v[2:3]
	ds_load_2addr_b64 v[112:115], v1 offset0:75 offset1:76
	ds_load_2addr_b64 v[126:129], v1 offset0:77 offset1:78
	scratch_load_b128 v[130:133], off, off offset:272
	s_waitcnt lgkmcnt(1)
	v_fma_f64 v[2:3], v[116:117], v[112:113], v[2:3]
	s_waitcnt vmcnt(4)
	s_delay_alu instid0(VALU_DEP_1) | instskip(SKIP_4) | instid1(VALU_DEP_1)
	v_fma_f64 v[2:3], v[118:119], v[114:115], v[2:3]
	scratch_load_b128 v[112:115], off, off offset:288
	s_waitcnt lgkmcnt(0)
	v_fma_f64 v[2:3], v[120:121], v[126:127], v[2:3]
	s_waitcnt vmcnt(4)
	v_fma_f64 v[2:3], v[122:123], v[128:129], v[2:3]
	ds_load_2addr_b64 v[116:119], v1 offset0:79 offset1:80
	ds_load_2addr_b64 v[120:123], v1 offset0:81 offset1:82
	s_waitcnt lgkmcnt(1)
	v_fma_f64 v[2:3], v[124:125], v[116:117], v[2:3]
	scratch_load_b128 v[124:127], off, off offset:304
	s_waitcnt vmcnt(4)
	v_fma_f64 v[2:3], v[134:135], v[118:119], v[2:3]
	scratch_load_b128 v[116:119], off, off offset:320
	s_waitcnt lgkmcnt(0)
	v_fma_f64 v[2:3], v[136:137], v[120:121], v[2:3]
	s_waitcnt vmcnt(4)
	s_delay_alu instid0(VALU_DEP_1)
	v_fma_f64 v[2:3], v[108:109], v[122:123], v[2:3]
	ds_load_2addr_b64 v[120:123], v1 offset0:83 offset1:84
	ds_load_2addr_b64 v[134:137], v1 offset0:85 offset1:86
	s_waitcnt lgkmcnt(1)
	v_fma_f64 v[2:3], v[110:111], v[120:121], v[2:3]
	scratch_load_b128 v[108:111], off, off offset:336
	s_waitcnt vmcnt(4)
	v_fma_f64 v[2:3], v[130:131], v[122:123], v[2:3]
	scratch_load_b128 v[120:123], off, off offset:352
	s_waitcnt lgkmcnt(0)
	v_fma_f64 v[2:3], v[132:133], v[134:135], v[2:3]
	ds_load_2addr_b64 v[128:131], v1 offset0:87 offset1:88
	ds_load_2addr_b64 v[132:135], v1 offset0:89 offset1:90
	s_waitcnt vmcnt(4)
	v_fma_f64 v[2:3], v[112:113], v[136:137], v[2:3]
	s_waitcnt lgkmcnt(1)
	s_delay_alu instid0(VALU_DEP_1) | instskip(SKIP_4) | instid1(VALU_DEP_1)
	v_fma_f64 v[2:3], v[114:115], v[128:129], v[2:3]
	scratch_load_b128 v[112:115], off, off offset:368
	s_waitcnt vmcnt(4)
	v_fma_f64 v[2:3], v[124:125], v[130:131], v[2:3]
	s_waitcnt lgkmcnt(0)
	v_fma_f64 v[2:3], v[126:127], v[132:133], v[2:3]
	scratch_load_b128 v[124:127], off, off offset:384
	s_waitcnt vmcnt(4)
	v_fma_f64 v[2:3], v[116:117], v[134:135], v[2:3]
	ds_load_2addr_b64 v[128:131], v1 offset0:91 offset1:92
	ds_load_2addr_b64 v[132:135], v1 offset0:93 offset1:94
	s_waitcnt lgkmcnt(1)
	v_fma_f64 v[2:3], v[118:119], v[128:129], v[2:3]
	s_waitcnt vmcnt(3)
	s_delay_alu instid0(VALU_DEP_1) | instskip(SKIP_1) | instid1(VALU_DEP_1)
	v_fma_f64 v[2:3], v[108:109], v[130:131], v[2:3]
	s_waitcnt lgkmcnt(0)
	v_fma_f64 v[2:3], v[110:111], v[132:133], v[2:3]
	ds_load_2addr_b64 v[108:111], v1 offset0:95 offset1:96
	ds_load_2addr_b64 v[116:119], v1 offset0:97 offset1:98
	s_waitcnt vmcnt(2)
	v_fma_f64 v[2:3], v[120:121], v[134:135], v[2:3]
	s_waitcnt lgkmcnt(1)
	s_delay_alu instid0(VALU_DEP_1) | instskip(SKIP_4) | instid1(VALU_DEP_1)
	v_fma_f64 v[2:3], v[122:123], v[108:109], v[2:3]
	ds_load_b64 v[108:109], v1 offset:792
	s_waitcnt vmcnt(1)
	v_fma_f64 v[2:3], v[112:113], v[110:111], v[2:3]
	s_waitcnt lgkmcnt(1)
	v_fma_f64 v[2:3], v[114:115], v[116:117], v[2:3]
	s_waitcnt vmcnt(0)
	s_delay_alu instid0(VALU_DEP_1) | instskip(SKIP_1) | instid1(VALU_DEP_1)
	v_fma_f64 v[2:3], v[124:125], v[118:119], v[2:3]
	s_waitcnt lgkmcnt(0)
	v_fma_f64 v[2:3], v[126:127], v[108:109], v[2:3]
	s_delay_alu instid0(VALU_DEP_1)
	v_add_f64 v[2:3], v[106:107], -v[2:3]
	scratch_store_b64 off, v[2:3], off offset:160
	v_cmpx_lt_u32_e32 19, v0
	s_cbranch_execz .LBB113_271
; %bb.270:
	scratch_load_b64 v[3:4], off, off offset:152
	v_mov_b32_e32 v2, v1
	scratch_store_b64 off, v[1:2], off offset:152
	s_waitcnt vmcnt(0)
	ds_store_b64 v5, v[3:4]
.LBB113_271:
	s_or_b32 exec_lo, exec_lo, s0
	s_waitcnt lgkmcnt(0)
	s_waitcnt_vscnt null, 0x0
	s_barrier
	buffer_gl0_inv
	s_clause 0x4
	scratch_load_b128 v[106:109], off, off offset:152
	scratch_load_b128 v[110:113], off, off offset:168
	scratch_load_b128 v[114:117], off, off offset:184
	scratch_load_b128 v[118:121], off, off offset:200
	scratch_load_b128 v[122:125], off, off offset:216
	ds_load_b128 v[126:129], v1 offset:560
	ds_load_b128 v[130:133], v1 offset:576
	scratch_load_b128 v[134:137], off, off offset:232
	s_mov_b32 s0, exec_lo
	s_waitcnt vmcnt(5) lgkmcnt(1)
	v_fma_f64 v[2:3], v[108:109], v[126:127], 0
	s_waitcnt vmcnt(4)
	s_delay_alu instid0(VALU_DEP_1) | instskip(SKIP_4) | instid1(VALU_DEP_1)
	v_fma_f64 v[2:3], v[110:111], v[128:129], v[2:3]
	scratch_load_b128 v[108:111], off, off offset:248
	s_waitcnt lgkmcnt(0)
	v_fma_f64 v[2:3], v[112:113], v[130:131], v[2:3]
	s_waitcnt vmcnt(4)
	v_fma_f64 v[2:3], v[114:115], v[132:133], v[2:3]
	ds_load_b128 v[112:115], v1 offset:592
	ds_load_b128 v[126:129], v1 offset:608
	scratch_load_b128 v[130:133], off, off offset:264
	s_waitcnt lgkmcnt(1)
	v_fma_f64 v[2:3], v[116:117], v[112:113], v[2:3]
	s_waitcnt vmcnt(4)
	s_delay_alu instid0(VALU_DEP_1) | instskip(SKIP_4) | instid1(VALU_DEP_1)
	v_fma_f64 v[2:3], v[118:119], v[114:115], v[2:3]
	scratch_load_b128 v[112:115], off, off offset:280
	s_waitcnt lgkmcnt(0)
	v_fma_f64 v[2:3], v[120:121], v[126:127], v[2:3]
	s_waitcnt vmcnt(4)
	v_fma_f64 v[2:3], v[122:123], v[128:129], v[2:3]
	ds_load_b128 v[116:119], v1 offset:624
	ds_load_b128 v[120:123], v1 offset:640
	s_waitcnt lgkmcnt(1)
	v_fma_f64 v[2:3], v[124:125], v[116:117], v[2:3]
	scratch_load_b128 v[124:127], off, off offset:296
	s_waitcnt vmcnt(4)
	v_fma_f64 v[2:3], v[134:135], v[118:119], v[2:3]
	scratch_load_b128 v[116:119], off, off offset:312
	s_waitcnt lgkmcnt(0)
	v_fma_f64 v[2:3], v[136:137], v[120:121], v[2:3]
	s_waitcnt vmcnt(4)
	s_delay_alu instid0(VALU_DEP_1)
	v_fma_f64 v[2:3], v[108:109], v[122:123], v[2:3]
	ds_load_b128 v[120:123], v1 offset:656
	ds_load_b128 v[134:137], v1 offset:672
	s_waitcnt lgkmcnt(1)
	v_fma_f64 v[2:3], v[110:111], v[120:121], v[2:3]
	scratch_load_b128 v[108:111], off, off offset:328
	s_waitcnt vmcnt(4)
	v_fma_f64 v[2:3], v[130:131], v[122:123], v[2:3]
	scratch_load_b128 v[120:123], off, off offset:344
	s_waitcnt lgkmcnt(0)
	v_fma_f64 v[2:3], v[132:133], v[134:135], v[2:3]
	ds_load_b128 v[128:131], v1 offset:688
	ds_load_b128 v[132:135], v1 offset:704
	s_waitcnt vmcnt(4)
	v_fma_f64 v[2:3], v[112:113], v[136:137], v[2:3]
	s_waitcnt lgkmcnt(1)
	s_delay_alu instid0(VALU_DEP_1) | instskip(SKIP_4) | instid1(VALU_DEP_1)
	v_fma_f64 v[2:3], v[114:115], v[128:129], v[2:3]
	scratch_load_b128 v[112:115], off, off offset:360
	s_waitcnt vmcnt(4)
	v_fma_f64 v[2:3], v[124:125], v[130:131], v[2:3]
	s_waitcnt lgkmcnt(0)
	v_fma_f64 v[2:3], v[126:127], v[132:133], v[2:3]
	scratch_load_b128 v[124:127], off, off offset:376
	s_waitcnt vmcnt(4)
	v_fma_f64 v[2:3], v[116:117], v[134:135], v[2:3]
	ds_load_b128 v[128:131], v1 offset:720
	ds_load_b128 v[132:135], v1 offset:736
	s_waitcnt lgkmcnt(1)
	v_fma_f64 v[2:3], v[118:119], v[128:129], v[2:3]
	scratch_load_b64 v[128:129], off, off offset:392
	s_waitcnt vmcnt(4)
	v_fma_f64 v[2:3], v[108:109], v[130:131], v[2:3]
	s_waitcnt lgkmcnt(0)
	s_delay_alu instid0(VALU_DEP_1)
	v_fma_f64 v[2:3], v[110:111], v[132:133], v[2:3]
	ds_load_b128 v[108:111], v1 offset:752
	ds_load_b128 v[116:119], v1 offset:768
	s_waitcnt vmcnt(3)
	v_fma_f64 v[2:3], v[120:121], v[134:135], v[2:3]
	s_waitcnt lgkmcnt(1)
	s_delay_alu instid0(VALU_DEP_1) | instskip(SKIP_1) | instid1(VALU_DEP_1)
	v_fma_f64 v[2:3], v[122:123], v[108:109], v[2:3]
	s_waitcnt vmcnt(2)
	v_fma_f64 v[2:3], v[112:113], v[110:111], v[2:3]
	s_waitcnt lgkmcnt(0)
	s_delay_alu instid0(VALU_DEP_1) | instskip(SKIP_1) | instid1(VALU_DEP_1)
	v_fma_f64 v[2:3], v[114:115], v[116:117], v[2:3]
	s_waitcnt vmcnt(1)
	v_fma_f64 v[108:109], v[124:125], v[118:119], v[2:3]
	ds_load_b128 v[1:4], v1 offset:784
	s_waitcnt lgkmcnt(0)
	v_fma_f64 v[1:2], v[126:127], v[1:2], v[108:109]
	s_waitcnt vmcnt(0)
	s_delay_alu instid0(VALU_DEP_1) | instskip(NEXT) | instid1(VALU_DEP_1)
	v_fma_f64 v[1:2], v[128:129], v[3:4], v[1:2]
	v_add_f64 v[1:2], v[106:107], -v[1:2]
	scratch_store_b64 off, v[1:2], off offset:152
	v_cmpx_lt_u32_e32 18, v0
	s_cbranch_execz .LBB113_273
; %bb.272:
	scratch_load_b64 v[1:2], off, off offset:144
	v_mov_b32_e32 v3, 0
	s_delay_alu instid0(VALU_DEP_1)
	v_mov_b32_e32 v4, v3
	scratch_store_b64 off, v[3:4], off offset:144
	s_waitcnt vmcnt(0)
	ds_store_b64 v5, v[1:2]
.LBB113_273:
	s_or_b32 exec_lo, exec_lo, s0
	s_waitcnt lgkmcnt(0)
	s_waitcnt_vscnt null, 0x0
	s_barrier
	buffer_gl0_inv
	s_clause 0x4
	scratch_load_b128 v[106:109], off, off offset:144
	scratch_load_b128 v[110:113], off, off offset:160
	;; [unrolled: 1-line block ×5, first 2 shown]
	v_mov_b32_e32 v1, 0
	ds_load_2addr_b64 v[126:129], v1 offset0:69 offset1:70
	ds_load_2addr_b64 v[130:133], v1 offset0:71 offset1:72
	scratch_load_b128 v[134:137], off, off offset:224
	s_mov_b32 s0, exec_lo
	s_waitcnt vmcnt(5) lgkmcnt(1)
	v_fma_f64 v[2:3], v[108:109], v[126:127], 0
	s_waitcnt vmcnt(4)
	s_delay_alu instid0(VALU_DEP_1) | instskip(SKIP_4) | instid1(VALU_DEP_1)
	v_fma_f64 v[2:3], v[110:111], v[128:129], v[2:3]
	scratch_load_b128 v[108:111], off, off offset:240
	s_waitcnt lgkmcnt(0)
	v_fma_f64 v[2:3], v[112:113], v[130:131], v[2:3]
	s_waitcnt vmcnt(4)
	v_fma_f64 v[2:3], v[114:115], v[132:133], v[2:3]
	ds_load_2addr_b64 v[112:115], v1 offset0:73 offset1:74
	ds_load_2addr_b64 v[126:129], v1 offset0:75 offset1:76
	scratch_load_b128 v[130:133], off, off offset:256
	s_waitcnt lgkmcnt(1)
	v_fma_f64 v[2:3], v[116:117], v[112:113], v[2:3]
	s_waitcnt vmcnt(4)
	s_delay_alu instid0(VALU_DEP_1) | instskip(SKIP_4) | instid1(VALU_DEP_1)
	v_fma_f64 v[2:3], v[118:119], v[114:115], v[2:3]
	scratch_load_b128 v[112:115], off, off offset:272
	s_waitcnt lgkmcnt(0)
	v_fma_f64 v[2:3], v[120:121], v[126:127], v[2:3]
	s_waitcnt vmcnt(4)
	v_fma_f64 v[2:3], v[122:123], v[128:129], v[2:3]
	ds_load_2addr_b64 v[116:119], v1 offset0:77 offset1:78
	ds_load_2addr_b64 v[120:123], v1 offset0:79 offset1:80
	s_waitcnt lgkmcnt(1)
	v_fma_f64 v[2:3], v[124:125], v[116:117], v[2:3]
	scratch_load_b128 v[124:127], off, off offset:288
	s_waitcnt vmcnt(4)
	v_fma_f64 v[2:3], v[134:135], v[118:119], v[2:3]
	scratch_load_b128 v[116:119], off, off offset:304
	s_waitcnt lgkmcnt(0)
	v_fma_f64 v[2:3], v[136:137], v[120:121], v[2:3]
	s_waitcnt vmcnt(4)
	s_delay_alu instid0(VALU_DEP_1)
	v_fma_f64 v[2:3], v[108:109], v[122:123], v[2:3]
	ds_load_2addr_b64 v[120:123], v1 offset0:81 offset1:82
	ds_load_2addr_b64 v[134:137], v1 offset0:83 offset1:84
	s_waitcnt lgkmcnt(1)
	v_fma_f64 v[2:3], v[110:111], v[120:121], v[2:3]
	scratch_load_b128 v[108:111], off, off offset:320
	s_waitcnt vmcnt(4)
	v_fma_f64 v[2:3], v[130:131], v[122:123], v[2:3]
	scratch_load_b128 v[120:123], off, off offset:336
	s_waitcnt lgkmcnt(0)
	v_fma_f64 v[2:3], v[132:133], v[134:135], v[2:3]
	ds_load_2addr_b64 v[128:131], v1 offset0:85 offset1:86
	ds_load_2addr_b64 v[132:135], v1 offset0:87 offset1:88
	s_waitcnt vmcnt(4)
	v_fma_f64 v[2:3], v[112:113], v[136:137], v[2:3]
	s_waitcnt lgkmcnt(1)
	s_delay_alu instid0(VALU_DEP_1) | instskip(SKIP_4) | instid1(VALU_DEP_1)
	v_fma_f64 v[2:3], v[114:115], v[128:129], v[2:3]
	scratch_load_b128 v[112:115], off, off offset:352
	s_waitcnt vmcnt(4)
	v_fma_f64 v[2:3], v[124:125], v[130:131], v[2:3]
	s_waitcnt lgkmcnt(0)
	v_fma_f64 v[2:3], v[126:127], v[132:133], v[2:3]
	scratch_load_b128 v[124:127], off, off offset:368
	s_waitcnt vmcnt(4)
	v_fma_f64 v[2:3], v[116:117], v[134:135], v[2:3]
	ds_load_2addr_b64 v[128:131], v1 offset0:89 offset1:90
	ds_load_2addr_b64 v[132:135], v1 offset0:91 offset1:92
	s_waitcnt lgkmcnt(1)
	v_fma_f64 v[2:3], v[118:119], v[128:129], v[2:3]
	scratch_load_b128 v[116:119], off, off offset:384
	s_waitcnt vmcnt(4)
	v_fma_f64 v[2:3], v[108:109], v[130:131], v[2:3]
	s_waitcnt lgkmcnt(0)
	s_delay_alu instid0(VALU_DEP_1)
	v_fma_f64 v[2:3], v[110:111], v[132:133], v[2:3]
	ds_load_2addr_b64 v[108:111], v1 offset0:93 offset1:94
	ds_load_2addr_b64 v[128:131], v1 offset0:95 offset1:96
	s_waitcnt vmcnt(3)
	v_fma_f64 v[2:3], v[120:121], v[134:135], v[2:3]
	s_waitcnt lgkmcnt(1)
	s_delay_alu instid0(VALU_DEP_1) | instskip(SKIP_1) | instid1(VALU_DEP_1)
	v_fma_f64 v[2:3], v[122:123], v[108:109], v[2:3]
	s_waitcnt vmcnt(2)
	v_fma_f64 v[2:3], v[112:113], v[110:111], v[2:3]
	ds_load_2addr_b64 v[108:111], v1 offset0:97 offset1:98
	ds_load_b64 v[112:113], v1 offset:792
	s_waitcnt lgkmcnt(2)
	v_fma_f64 v[2:3], v[114:115], v[128:129], v[2:3]
	s_waitcnt vmcnt(1)
	s_delay_alu instid0(VALU_DEP_1) | instskip(SKIP_1) | instid1(VALU_DEP_1)
	v_fma_f64 v[2:3], v[124:125], v[130:131], v[2:3]
	s_waitcnt lgkmcnt(1)
	v_fma_f64 v[2:3], v[126:127], v[108:109], v[2:3]
	s_waitcnt vmcnt(0)
	s_delay_alu instid0(VALU_DEP_1) | instskip(SKIP_1) | instid1(VALU_DEP_1)
	v_fma_f64 v[2:3], v[116:117], v[110:111], v[2:3]
	s_waitcnt lgkmcnt(0)
	v_fma_f64 v[2:3], v[118:119], v[112:113], v[2:3]
	s_delay_alu instid0(VALU_DEP_1)
	v_add_f64 v[2:3], v[106:107], -v[2:3]
	scratch_store_b64 off, v[2:3], off offset:144
	v_cmpx_lt_u32_e32 17, v0
	s_cbranch_execz .LBB113_275
; %bb.274:
	scratch_load_b64 v[3:4], off, off offset:136
	v_mov_b32_e32 v2, v1
	scratch_store_b64 off, v[1:2], off offset:136
	s_waitcnt vmcnt(0)
	ds_store_b64 v5, v[3:4]
.LBB113_275:
	s_or_b32 exec_lo, exec_lo, s0
	s_waitcnt lgkmcnt(0)
	s_waitcnt_vscnt null, 0x0
	s_barrier
	buffer_gl0_inv
	s_clause 0x4
	scratch_load_b128 v[106:109], off, off offset:136
	scratch_load_b128 v[110:113], off, off offset:152
	scratch_load_b128 v[114:117], off, off offset:168
	scratch_load_b128 v[118:121], off, off offset:184
	scratch_load_b128 v[122:125], off, off offset:200
	ds_load_b128 v[126:129], v1 offset:544
	ds_load_b128 v[130:133], v1 offset:560
	scratch_load_b128 v[134:137], off, off offset:216
	s_mov_b32 s0, exec_lo
	s_waitcnt vmcnt(5) lgkmcnt(1)
	v_fma_f64 v[2:3], v[108:109], v[126:127], 0
	s_waitcnt vmcnt(4)
	s_delay_alu instid0(VALU_DEP_1) | instskip(SKIP_4) | instid1(VALU_DEP_1)
	v_fma_f64 v[2:3], v[110:111], v[128:129], v[2:3]
	scratch_load_b128 v[108:111], off, off offset:232
	s_waitcnt lgkmcnt(0)
	v_fma_f64 v[2:3], v[112:113], v[130:131], v[2:3]
	s_waitcnt vmcnt(4)
	v_fma_f64 v[2:3], v[114:115], v[132:133], v[2:3]
	ds_load_b128 v[112:115], v1 offset:576
	ds_load_b128 v[126:129], v1 offset:592
	scratch_load_b128 v[130:133], off, off offset:248
	s_waitcnt lgkmcnt(1)
	v_fma_f64 v[2:3], v[116:117], v[112:113], v[2:3]
	s_waitcnt vmcnt(4)
	s_delay_alu instid0(VALU_DEP_1) | instskip(SKIP_4) | instid1(VALU_DEP_1)
	v_fma_f64 v[2:3], v[118:119], v[114:115], v[2:3]
	scratch_load_b128 v[112:115], off, off offset:264
	s_waitcnt lgkmcnt(0)
	v_fma_f64 v[2:3], v[120:121], v[126:127], v[2:3]
	s_waitcnt vmcnt(4)
	v_fma_f64 v[2:3], v[122:123], v[128:129], v[2:3]
	ds_load_b128 v[116:119], v1 offset:608
	ds_load_b128 v[120:123], v1 offset:624
	s_waitcnt lgkmcnt(1)
	v_fma_f64 v[2:3], v[124:125], v[116:117], v[2:3]
	scratch_load_b128 v[124:127], off, off offset:280
	s_waitcnt vmcnt(4)
	v_fma_f64 v[2:3], v[134:135], v[118:119], v[2:3]
	scratch_load_b128 v[116:119], off, off offset:296
	s_waitcnt lgkmcnt(0)
	v_fma_f64 v[2:3], v[136:137], v[120:121], v[2:3]
	s_waitcnt vmcnt(4)
	s_delay_alu instid0(VALU_DEP_1)
	v_fma_f64 v[2:3], v[108:109], v[122:123], v[2:3]
	ds_load_b128 v[120:123], v1 offset:640
	ds_load_b128 v[134:137], v1 offset:656
	s_waitcnt lgkmcnt(1)
	v_fma_f64 v[2:3], v[110:111], v[120:121], v[2:3]
	scratch_load_b128 v[108:111], off, off offset:312
	s_waitcnt vmcnt(4)
	v_fma_f64 v[2:3], v[130:131], v[122:123], v[2:3]
	scratch_load_b128 v[120:123], off, off offset:328
	s_waitcnt lgkmcnt(0)
	v_fma_f64 v[2:3], v[132:133], v[134:135], v[2:3]
	ds_load_b128 v[128:131], v1 offset:672
	ds_load_b128 v[132:135], v1 offset:688
	s_waitcnt vmcnt(4)
	v_fma_f64 v[2:3], v[112:113], v[136:137], v[2:3]
	s_waitcnt lgkmcnt(1)
	s_delay_alu instid0(VALU_DEP_1) | instskip(SKIP_4) | instid1(VALU_DEP_1)
	v_fma_f64 v[2:3], v[114:115], v[128:129], v[2:3]
	scratch_load_b128 v[112:115], off, off offset:344
	s_waitcnt vmcnt(4)
	v_fma_f64 v[2:3], v[124:125], v[130:131], v[2:3]
	s_waitcnt lgkmcnt(0)
	v_fma_f64 v[2:3], v[126:127], v[132:133], v[2:3]
	scratch_load_b128 v[124:127], off, off offset:360
	s_waitcnt vmcnt(4)
	v_fma_f64 v[2:3], v[116:117], v[134:135], v[2:3]
	ds_load_b128 v[128:131], v1 offset:704
	ds_load_b128 v[132:135], v1 offset:720
	s_waitcnt lgkmcnt(1)
	v_fma_f64 v[2:3], v[118:119], v[128:129], v[2:3]
	scratch_load_b128 v[116:119], off, off offset:376
	s_waitcnt vmcnt(4)
	v_fma_f64 v[2:3], v[108:109], v[130:131], v[2:3]
	s_waitcnt lgkmcnt(0)
	s_delay_alu instid0(VALU_DEP_1)
	v_fma_f64 v[2:3], v[110:111], v[132:133], v[2:3]
	scratch_load_b64 v[132:133], off, off offset:392
	ds_load_b128 v[108:111], v1 offset:736
	ds_load_b128 v[128:131], v1 offset:752
	s_waitcnt vmcnt(4)
	v_fma_f64 v[2:3], v[120:121], v[134:135], v[2:3]
	s_waitcnt lgkmcnt(1)
	s_delay_alu instid0(VALU_DEP_1) | instskip(SKIP_1) | instid1(VALU_DEP_1)
	v_fma_f64 v[2:3], v[122:123], v[108:109], v[2:3]
	s_waitcnt vmcnt(3)
	v_fma_f64 v[2:3], v[112:113], v[110:111], v[2:3]
	s_waitcnt lgkmcnt(0)
	s_delay_alu instid0(VALU_DEP_1) | instskip(SKIP_1) | instid1(VALU_DEP_1)
	v_fma_f64 v[2:3], v[114:115], v[128:129], v[2:3]
	s_waitcnt vmcnt(2)
	v_fma_f64 v[112:113], v[124:125], v[130:131], v[2:3]
	ds_load_b128 v[108:111], v1 offset:768
	ds_load_b128 v[1:4], v1 offset:784
	s_waitcnt lgkmcnt(1)
	v_fma_f64 v[108:109], v[126:127], v[108:109], v[112:113]
	s_waitcnt vmcnt(1)
	s_delay_alu instid0(VALU_DEP_1) | instskip(SKIP_1) | instid1(VALU_DEP_1)
	v_fma_f64 v[108:109], v[116:117], v[110:111], v[108:109]
	s_waitcnt lgkmcnt(0)
	v_fma_f64 v[1:2], v[118:119], v[1:2], v[108:109]
	s_waitcnt vmcnt(0)
	s_delay_alu instid0(VALU_DEP_1) | instskip(NEXT) | instid1(VALU_DEP_1)
	v_fma_f64 v[1:2], v[132:133], v[3:4], v[1:2]
	v_add_f64 v[1:2], v[106:107], -v[1:2]
	scratch_store_b64 off, v[1:2], off offset:136
	v_cmpx_lt_u32_e32 16, v0
	s_cbranch_execz .LBB113_277
; %bb.276:
	scratch_load_b64 v[1:2], off, off offset:128
	v_mov_b32_e32 v3, 0
	s_delay_alu instid0(VALU_DEP_1)
	v_mov_b32_e32 v4, v3
	scratch_store_b64 off, v[3:4], off offset:128
	s_waitcnt vmcnt(0)
	ds_store_b64 v5, v[1:2]
.LBB113_277:
	s_or_b32 exec_lo, exec_lo, s0
	s_waitcnt lgkmcnt(0)
	s_waitcnt_vscnt null, 0x0
	s_barrier
	buffer_gl0_inv
	s_clause 0x4
	scratch_load_b128 v[106:109], off, off offset:128
	scratch_load_b128 v[110:113], off, off offset:144
	;; [unrolled: 1-line block ×5, first 2 shown]
	v_mov_b32_e32 v1, 0
	ds_load_2addr_b64 v[126:129], v1 offset0:67 offset1:68
	ds_load_2addr_b64 v[130:133], v1 offset0:69 offset1:70
	scratch_load_b128 v[134:137], off, off offset:208
	s_mov_b32 s0, exec_lo
	s_waitcnt vmcnt(5) lgkmcnt(1)
	v_fma_f64 v[2:3], v[108:109], v[126:127], 0
	s_waitcnt vmcnt(4)
	s_delay_alu instid0(VALU_DEP_1) | instskip(SKIP_4) | instid1(VALU_DEP_1)
	v_fma_f64 v[2:3], v[110:111], v[128:129], v[2:3]
	scratch_load_b128 v[108:111], off, off offset:224
	s_waitcnt lgkmcnt(0)
	v_fma_f64 v[2:3], v[112:113], v[130:131], v[2:3]
	s_waitcnt vmcnt(4)
	v_fma_f64 v[2:3], v[114:115], v[132:133], v[2:3]
	ds_load_2addr_b64 v[112:115], v1 offset0:71 offset1:72
	ds_load_2addr_b64 v[126:129], v1 offset0:73 offset1:74
	scratch_load_b128 v[130:133], off, off offset:240
	s_waitcnt lgkmcnt(1)
	v_fma_f64 v[2:3], v[116:117], v[112:113], v[2:3]
	s_waitcnt vmcnt(4)
	s_delay_alu instid0(VALU_DEP_1) | instskip(SKIP_4) | instid1(VALU_DEP_1)
	v_fma_f64 v[2:3], v[118:119], v[114:115], v[2:3]
	scratch_load_b128 v[112:115], off, off offset:256
	s_waitcnt lgkmcnt(0)
	v_fma_f64 v[2:3], v[120:121], v[126:127], v[2:3]
	s_waitcnt vmcnt(4)
	v_fma_f64 v[2:3], v[122:123], v[128:129], v[2:3]
	ds_load_2addr_b64 v[116:119], v1 offset0:75 offset1:76
	ds_load_2addr_b64 v[120:123], v1 offset0:77 offset1:78
	s_waitcnt lgkmcnt(1)
	v_fma_f64 v[2:3], v[124:125], v[116:117], v[2:3]
	scratch_load_b128 v[124:127], off, off offset:272
	s_waitcnt vmcnt(4)
	v_fma_f64 v[2:3], v[134:135], v[118:119], v[2:3]
	scratch_load_b128 v[116:119], off, off offset:288
	s_waitcnt lgkmcnt(0)
	v_fma_f64 v[2:3], v[136:137], v[120:121], v[2:3]
	s_waitcnt vmcnt(4)
	s_delay_alu instid0(VALU_DEP_1)
	v_fma_f64 v[2:3], v[108:109], v[122:123], v[2:3]
	ds_load_2addr_b64 v[120:123], v1 offset0:79 offset1:80
	ds_load_2addr_b64 v[134:137], v1 offset0:81 offset1:82
	s_waitcnt lgkmcnt(1)
	v_fma_f64 v[2:3], v[110:111], v[120:121], v[2:3]
	scratch_load_b128 v[108:111], off, off offset:304
	s_waitcnt vmcnt(4)
	v_fma_f64 v[2:3], v[130:131], v[122:123], v[2:3]
	scratch_load_b128 v[120:123], off, off offset:320
	s_waitcnt lgkmcnt(0)
	v_fma_f64 v[2:3], v[132:133], v[134:135], v[2:3]
	ds_load_2addr_b64 v[128:131], v1 offset0:83 offset1:84
	ds_load_2addr_b64 v[132:135], v1 offset0:85 offset1:86
	s_waitcnt vmcnt(4)
	v_fma_f64 v[2:3], v[112:113], v[136:137], v[2:3]
	s_waitcnt lgkmcnt(1)
	s_delay_alu instid0(VALU_DEP_1) | instskip(SKIP_4) | instid1(VALU_DEP_1)
	v_fma_f64 v[2:3], v[114:115], v[128:129], v[2:3]
	scratch_load_b128 v[112:115], off, off offset:336
	s_waitcnt vmcnt(4)
	v_fma_f64 v[2:3], v[124:125], v[130:131], v[2:3]
	s_waitcnt lgkmcnt(0)
	v_fma_f64 v[2:3], v[126:127], v[132:133], v[2:3]
	scratch_load_b128 v[124:127], off, off offset:352
	s_waitcnt vmcnt(4)
	v_fma_f64 v[2:3], v[116:117], v[134:135], v[2:3]
	ds_load_2addr_b64 v[128:131], v1 offset0:87 offset1:88
	ds_load_2addr_b64 v[132:135], v1 offset0:89 offset1:90
	s_waitcnt lgkmcnt(1)
	v_fma_f64 v[2:3], v[118:119], v[128:129], v[2:3]
	scratch_load_b128 v[116:119], off, off offset:368
	s_waitcnt vmcnt(4)
	v_fma_f64 v[2:3], v[108:109], v[130:131], v[2:3]
	s_waitcnt lgkmcnt(0)
	s_delay_alu instid0(VALU_DEP_1)
	v_fma_f64 v[2:3], v[110:111], v[132:133], v[2:3]
	scratch_load_b128 v[108:111], off, off offset:384
	s_waitcnt vmcnt(4)
	v_fma_f64 v[2:3], v[120:121], v[134:135], v[2:3]
	ds_load_2addr_b64 v[128:131], v1 offset0:91 offset1:92
	ds_load_2addr_b64 v[132:135], v1 offset0:93 offset1:94
	s_waitcnt lgkmcnt(1)
	v_fma_f64 v[2:3], v[122:123], v[128:129], v[2:3]
	s_waitcnt vmcnt(3)
	s_delay_alu instid0(VALU_DEP_1) | instskip(SKIP_1) | instid1(VALU_DEP_1)
	v_fma_f64 v[2:3], v[112:113], v[130:131], v[2:3]
	s_waitcnt lgkmcnt(0)
	v_fma_f64 v[2:3], v[114:115], v[132:133], v[2:3]
	ds_load_2addr_b64 v[112:115], v1 offset0:95 offset1:96
	ds_load_2addr_b64 v[120:123], v1 offset0:97 offset1:98
	s_waitcnt vmcnt(2)
	v_fma_f64 v[2:3], v[124:125], v[134:135], v[2:3]
	s_waitcnt lgkmcnt(1)
	s_delay_alu instid0(VALU_DEP_1) | instskip(SKIP_1) | instid1(VALU_DEP_1)
	v_fma_f64 v[2:3], v[126:127], v[112:113], v[2:3]
	s_waitcnt vmcnt(1)
	v_fma_f64 v[2:3], v[116:117], v[114:115], v[2:3]
	s_waitcnt lgkmcnt(0)
	s_delay_alu instid0(VALU_DEP_1) | instskip(SKIP_1) | instid1(VALU_DEP_1)
	v_fma_f64 v[2:3], v[118:119], v[120:121], v[2:3]
	s_waitcnt vmcnt(0)
	v_fma_f64 v[2:3], v[108:109], v[122:123], v[2:3]
	ds_load_b64 v[108:109], v1 offset:792
	s_waitcnt lgkmcnt(0)
	v_fma_f64 v[2:3], v[110:111], v[108:109], v[2:3]
	s_delay_alu instid0(VALU_DEP_1)
	v_add_f64 v[2:3], v[106:107], -v[2:3]
	scratch_store_b64 off, v[2:3], off offset:128
	v_cmpx_lt_u32_e32 15, v0
	s_cbranch_execz .LBB113_279
; %bb.278:
	scratch_load_b64 v[3:4], off, off offset:120
	v_mov_b32_e32 v2, v1
	scratch_store_b64 off, v[1:2], off offset:120
	s_waitcnt vmcnt(0)
	ds_store_b64 v5, v[3:4]
.LBB113_279:
	s_or_b32 exec_lo, exec_lo, s0
	s_waitcnt lgkmcnt(0)
	s_waitcnt_vscnt null, 0x0
	s_barrier
	buffer_gl0_inv
	s_clause 0x4
	scratch_load_b128 v[106:109], off, off offset:120
	scratch_load_b128 v[110:113], off, off offset:136
	;; [unrolled: 1-line block ×5, first 2 shown]
	ds_load_b128 v[126:129], v1 offset:528
	ds_load_b128 v[130:133], v1 offset:544
	scratch_load_b128 v[134:137], off, off offset:200
	s_mov_b32 s0, exec_lo
	s_waitcnt vmcnt(5) lgkmcnt(1)
	v_fma_f64 v[2:3], v[108:109], v[126:127], 0
	s_waitcnt vmcnt(4)
	s_delay_alu instid0(VALU_DEP_1) | instskip(SKIP_4) | instid1(VALU_DEP_1)
	v_fma_f64 v[2:3], v[110:111], v[128:129], v[2:3]
	scratch_load_b128 v[108:111], off, off offset:216
	s_waitcnt lgkmcnt(0)
	v_fma_f64 v[2:3], v[112:113], v[130:131], v[2:3]
	s_waitcnt vmcnt(4)
	v_fma_f64 v[2:3], v[114:115], v[132:133], v[2:3]
	ds_load_b128 v[112:115], v1 offset:560
	ds_load_b128 v[126:129], v1 offset:576
	scratch_load_b128 v[130:133], off, off offset:232
	s_waitcnt lgkmcnt(1)
	v_fma_f64 v[2:3], v[116:117], v[112:113], v[2:3]
	s_waitcnt vmcnt(4)
	s_delay_alu instid0(VALU_DEP_1) | instskip(SKIP_4) | instid1(VALU_DEP_1)
	v_fma_f64 v[2:3], v[118:119], v[114:115], v[2:3]
	scratch_load_b128 v[112:115], off, off offset:248
	s_waitcnt lgkmcnt(0)
	v_fma_f64 v[2:3], v[120:121], v[126:127], v[2:3]
	s_waitcnt vmcnt(4)
	v_fma_f64 v[2:3], v[122:123], v[128:129], v[2:3]
	ds_load_b128 v[116:119], v1 offset:592
	ds_load_b128 v[120:123], v1 offset:608
	s_waitcnt lgkmcnt(1)
	v_fma_f64 v[2:3], v[124:125], v[116:117], v[2:3]
	scratch_load_b128 v[124:127], off, off offset:264
	s_waitcnt vmcnt(4)
	v_fma_f64 v[2:3], v[134:135], v[118:119], v[2:3]
	scratch_load_b128 v[116:119], off, off offset:280
	s_waitcnt lgkmcnt(0)
	v_fma_f64 v[2:3], v[136:137], v[120:121], v[2:3]
	s_waitcnt vmcnt(4)
	s_delay_alu instid0(VALU_DEP_1)
	v_fma_f64 v[2:3], v[108:109], v[122:123], v[2:3]
	ds_load_b128 v[120:123], v1 offset:624
	ds_load_b128 v[134:137], v1 offset:640
	s_waitcnt lgkmcnt(1)
	v_fma_f64 v[2:3], v[110:111], v[120:121], v[2:3]
	scratch_load_b128 v[108:111], off, off offset:296
	s_waitcnt vmcnt(4)
	v_fma_f64 v[2:3], v[130:131], v[122:123], v[2:3]
	scratch_load_b128 v[120:123], off, off offset:312
	s_waitcnt lgkmcnt(0)
	v_fma_f64 v[2:3], v[132:133], v[134:135], v[2:3]
	ds_load_b128 v[128:131], v1 offset:656
	ds_load_b128 v[132:135], v1 offset:672
	s_waitcnt vmcnt(4)
	v_fma_f64 v[2:3], v[112:113], v[136:137], v[2:3]
	s_waitcnt lgkmcnt(1)
	s_delay_alu instid0(VALU_DEP_1) | instskip(SKIP_4) | instid1(VALU_DEP_1)
	v_fma_f64 v[2:3], v[114:115], v[128:129], v[2:3]
	scratch_load_b128 v[112:115], off, off offset:328
	s_waitcnt vmcnt(4)
	v_fma_f64 v[2:3], v[124:125], v[130:131], v[2:3]
	s_waitcnt lgkmcnt(0)
	v_fma_f64 v[2:3], v[126:127], v[132:133], v[2:3]
	scratch_load_b128 v[124:127], off, off offset:344
	s_waitcnt vmcnt(4)
	v_fma_f64 v[2:3], v[116:117], v[134:135], v[2:3]
	ds_load_b128 v[128:131], v1 offset:688
	ds_load_b128 v[132:135], v1 offset:704
	s_waitcnt lgkmcnt(1)
	v_fma_f64 v[2:3], v[118:119], v[128:129], v[2:3]
	scratch_load_b128 v[116:119], off, off offset:360
	s_waitcnt vmcnt(4)
	v_fma_f64 v[2:3], v[108:109], v[130:131], v[2:3]
	s_waitcnt lgkmcnt(0)
	s_delay_alu instid0(VALU_DEP_1)
	v_fma_f64 v[2:3], v[110:111], v[132:133], v[2:3]
	scratch_load_b128 v[108:111], off, off offset:376
	s_waitcnt vmcnt(4)
	v_fma_f64 v[2:3], v[120:121], v[134:135], v[2:3]
	ds_load_b128 v[128:131], v1 offset:720
	ds_load_b128 v[132:135], v1 offset:736
	s_waitcnt lgkmcnt(1)
	v_fma_f64 v[2:3], v[122:123], v[128:129], v[2:3]
	scratch_load_b64 v[128:129], off, off offset:392
	s_waitcnt vmcnt(4)
	v_fma_f64 v[2:3], v[112:113], v[130:131], v[2:3]
	s_waitcnt lgkmcnt(0)
	s_delay_alu instid0(VALU_DEP_1)
	v_fma_f64 v[2:3], v[114:115], v[132:133], v[2:3]
	ds_load_b128 v[112:115], v1 offset:752
	ds_load_b128 v[120:123], v1 offset:768
	s_waitcnt vmcnt(3)
	v_fma_f64 v[2:3], v[124:125], v[134:135], v[2:3]
	s_waitcnt lgkmcnt(1)
	s_delay_alu instid0(VALU_DEP_1) | instskip(SKIP_1) | instid1(VALU_DEP_1)
	v_fma_f64 v[2:3], v[126:127], v[112:113], v[2:3]
	s_waitcnt vmcnt(2)
	v_fma_f64 v[2:3], v[116:117], v[114:115], v[2:3]
	s_waitcnt lgkmcnt(0)
	s_delay_alu instid0(VALU_DEP_1) | instskip(SKIP_1) | instid1(VALU_DEP_1)
	v_fma_f64 v[2:3], v[118:119], v[120:121], v[2:3]
	s_waitcnt vmcnt(1)
	v_fma_f64 v[108:109], v[108:109], v[122:123], v[2:3]
	ds_load_b128 v[1:4], v1 offset:784
	s_waitcnt lgkmcnt(0)
	v_fma_f64 v[1:2], v[110:111], v[1:2], v[108:109]
	s_waitcnt vmcnt(0)
	s_delay_alu instid0(VALU_DEP_1) | instskip(NEXT) | instid1(VALU_DEP_1)
	v_fma_f64 v[1:2], v[128:129], v[3:4], v[1:2]
	v_add_f64 v[1:2], v[106:107], -v[1:2]
	scratch_store_b64 off, v[1:2], off offset:120
	v_cmpx_lt_u32_e32 14, v0
	s_cbranch_execz .LBB113_281
; %bb.280:
	scratch_load_b64 v[1:2], off, off offset:112
	v_mov_b32_e32 v3, 0
	s_delay_alu instid0(VALU_DEP_1)
	v_mov_b32_e32 v4, v3
	scratch_store_b64 off, v[3:4], off offset:112
	s_waitcnt vmcnt(0)
	ds_store_b64 v5, v[1:2]
.LBB113_281:
	s_or_b32 exec_lo, exec_lo, s0
	s_waitcnt lgkmcnt(0)
	s_waitcnt_vscnt null, 0x0
	s_barrier
	buffer_gl0_inv
	s_clause 0x4
	scratch_load_b128 v[106:109], off, off offset:112
	scratch_load_b128 v[110:113], off, off offset:128
	;; [unrolled: 1-line block ×5, first 2 shown]
	v_mov_b32_e32 v1, 0
	ds_load_2addr_b64 v[126:129], v1 offset0:65 offset1:66
	ds_load_2addr_b64 v[130:133], v1 offset0:67 offset1:68
	scratch_load_b128 v[134:137], off, off offset:192
	s_mov_b32 s0, exec_lo
	s_waitcnt vmcnt(5) lgkmcnt(1)
	v_fma_f64 v[2:3], v[108:109], v[126:127], 0
	s_waitcnt vmcnt(4)
	s_delay_alu instid0(VALU_DEP_1) | instskip(SKIP_4) | instid1(VALU_DEP_1)
	v_fma_f64 v[2:3], v[110:111], v[128:129], v[2:3]
	scratch_load_b128 v[108:111], off, off offset:208
	s_waitcnt lgkmcnt(0)
	v_fma_f64 v[2:3], v[112:113], v[130:131], v[2:3]
	s_waitcnt vmcnt(4)
	v_fma_f64 v[2:3], v[114:115], v[132:133], v[2:3]
	ds_load_2addr_b64 v[112:115], v1 offset0:69 offset1:70
	ds_load_2addr_b64 v[126:129], v1 offset0:71 offset1:72
	scratch_load_b128 v[130:133], off, off offset:224
	s_waitcnt lgkmcnt(1)
	v_fma_f64 v[2:3], v[116:117], v[112:113], v[2:3]
	s_waitcnt vmcnt(4)
	s_delay_alu instid0(VALU_DEP_1) | instskip(SKIP_4) | instid1(VALU_DEP_1)
	v_fma_f64 v[2:3], v[118:119], v[114:115], v[2:3]
	scratch_load_b128 v[112:115], off, off offset:240
	s_waitcnt lgkmcnt(0)
	v_fma_f64 v[2:3], v[120:121], v[126:127], v[2:3]
	s_waitcnt vmcnt(4)
	v_fma_f64 v[2:3], v[122:123], v[128:129], v[2:3]
	ds_load_2addr_b64 v[116:119], v1 offset0:73 offset1:74
	ds_load_2addr_b64 v[120:123], v1 offset0:75 offset1:76
	s_waitcnt lgkmcnt(1)
	v_fma_f64 v[2:3], v[124:125], v[116:117], v[2:3]
	scratch_load_b128 v[124:127], off, off offset:256
	s_waitcnt vmcnt(4)
	v_fma_f64 v[2:3], v[134:135], v[118:119], v[2:3]
	scratch_load_b128 v[116:119], off, off offset:272
	s_waitcnt lgkmcnt(0)
	v_fma_f64 v[2:3], v[136:137], v[120:121], v[2:3]
	s_waitcnt vmcnt(4)
	s_delay_alu instid0(VALU_DEP_1)
	v_fma_f64 v[2:3], v[108:109], v[122:123], v[2:3]
	ds_load_2addr_b64 v[120:123], v1 offset0:77 offset1:78
	ds_load_2addr_b64 v[134:137], v1 offset0:79 offset1:80
	s_waitcnt lgkmcnt(1)
	v_fma_f64 v[2:3], v[110:111], v[120:121], v[2:3]
	scratch_load_b128 v[108:111], off, off offset:288
	s_waitcnt vmcnt(4)
	v_fma_f64 v[2:3], v[130:131], v[122:123], v[2:3]
	scratch_load_b128 v[120:123], off, off offset:304
	s_waitcnt lgkmcnt(0)
	v_fma_f64 v[2:3], v[132:133], v[134:135], v[2:3]
	ds_load_2addr_b64 v[128:131], v1 offset0:81 offset1:82
	ds_load_2addr_b64 v[132:135], v1 offset0:83 offset1:84
	s_waitcnt vmcnt(4)
	v_fma_f64 v[2:3], v[112:113], v[136:137], v[2:3]
	s_waitcnt lgkmcnt(1)
	s_delay_alu instid0(VALU_DEP_1) | instskip(SKIP_4) | instid1(VALU_DEP_1)
	v_fma_f64 v[2:3], v[114:115], v[128:129], v[2:3]
	scratch_load_b128 v[112:115], off, off offset:320
	s_waitcnt vmcnt(4)
	v_fma_f64 v[2:3], v[124:125], v[130:131], v[2:3]
	s_waitcnt lgkmcnt(0)
	v_fma_f64 v[2:3], v[126:127], v[132:133], v[2:3]
	scratch_load_b128 v[124:127], off, off offset:336
	s_waitcnt vmcnt(4)
	v_fma_f64 v[2:3], v[116:117], v[134:135], v[2:3]
	ds_load_2addr_b64 v[128:131], v1 offset0:85 offset1:86
	ds_load_2addr_b64 v[132:135], v1 offset0:87 offset1:88
	s_waitcnt lgkmcnt(1)
	v_fma_f64 v[2:3], v[118:119], v[128:129], v[2:3]
	scratch_load_b128 v[116:119], off, off offset:352
	s_waitcnt vmcnt(4)
	v_fma_f64 v[2:3], v[108:109], v[130:131], v[2:3]
	s_waitcnt lgkmcnt(0)
	s_delay_alu instid0(VALU_DEP_1)
	v_fma_f64 v[2:3], v[110:111], v[132:133], v[2:3]
	scratch_load_b128 v[108:111], off, off offset:368
	s_waitcnt vmcnt(4)
	v_fma_f64 v[2:3], v[120:121], v[134:135], v[2:3]
	ds_load_2addr_b64 v[128:131], v1 offset0:89 offset1:90
	ds_load_2addr_b64 v[132:135], v1 offset0:91 offset1:92
	s_waitcnt lgkmcnt(1)
	v_fma_f64 v[2:3], v[122:123], v[128:129], v[2:3]
	scratch_load_b128 v[120:123], off, off offset:384
	s_waitcnt vmcnt(4)
	v_fma_f64 v[2:3], v[112:113], v[130:131], v[2:3]
	s_waitcnt lgkmcnt(0)
	s_delay_alu instid0(VALU_DEP_1)
	v_fma_f64 v[2:3], v[114:115], v[132:133], v[2:3]
	ds_load_2addr_b64 v[112:115], v1 offset0:93 offset1:94
	ds_load_2addr_b64 v[128:131], v1 offset0:95 offset1:96
	s_waitcnt vmcnt(3)
	v_fma_f64 v[2:3], v[124:125], v[134:135], v[2:3]
	s_waitcnt lgkmcnt(1)
	s_delay_alu instid0(VALU_DEP_1) | instskip(SKIP_1) | instid1(VALU_DEP_1)
	v_fma_f64 v[2:3], v[126:127], v[112:113], v[2:3]
	s_waitcnt vmcnt(2)
	v_fma_f64 v[2:3], v[116:117], v[114:115], v[2:3]
	s_waitcnt lgkmcnt(0)
	s_delay_alu instid0(VALU_DEP_1) | instskip(SKIP_1) | instid1(VALU_DEP_1)
	v_fma_f64 v[2:3], v[118:119], v[128:129], v[2:3]
	s_waitcnt vmcnt(1)
	v_fma_f64 v[2:3], v[108:109], v[130:131], v[2:3]
	ds_load_2addr_b64 v[112:115], v1 offset0:97 offset1:98
	ds_load_b64 v[108:109], v1 offset:792
	s_waitcnt lgkmcnt(1)
	v_fma_f64 v[2:3], v[110:111], v[112:113], v[2:3]
	s_waitcnt vmcnt(0)
	s_delay_alu instid0(VALU_DEP_1) | instskip(SKIP_1) | instid1(VALU_DEP_1)
	v_fma_f64 v[2:3], v[120:121], v[114:115], v[2:3]
	s_waitcnt lgkmcnt(0)
	v_fma_f64 v[2:3], v[122:123], v[108:109], v[2:3]
	s_delay_alu instid0(VALU_DEP_1)
	v_add_f64 v[2:3], v[106:107], -v[2:3]
	scratch_store_b64 off, v[2:3], off offset:112
	v_cmpx_lt_u32_e32 13, v0
	s_cbranch_execz .LBB113_283
; %bb.282:
	scratch_load_b64 v[3:4], off, off offset:104
	v_mov_b32_e32 v2, v1
	scratch_store_b64 off, v[1:2], off offset:104
	s_waitcnt vmcnt(0)
	ds_store_b64 v5, v[3:4]
.LBB113_283:
	s_or_b32 exec_lo, exec_lo, s0
	s_waitcnt lgkmcnt(0)
	s_waitcnt_vscnt null, 0x0
	s_barrier
	buffer_gl0_inv
	s_clause 0x4
	scratch_load_b128 v[106:109], off, off offset:104
	scratch_load_b128 v[110:113], off, off offset:120
	;; [unrolled: 1-line block ×5, first 2 shown]
	ds_load_b128 v[126:129], v1 offset:512
	ds_load_b128 v[130:133], v1 offset:528
	scratch_load_b128 v[134:137], off, off offset:184
	s_mov_b32 s0, exec_lo
	s_waitcnt vmcnt(5) lgkmcnt(1)
	v_fma_f64 v[2:3], v[108:109], v[126:127], 0
	s_waitcnt vmcnt(4)
	s_delay_alu instid0(VALU_DEP_1) | instskip(SKIP_4) | instid1(VALU_DEP_1)
	v_fma_f64 v[2:3], v[110:111], v[128:129], v[2:3]
	scratch_load_b128 v[108:111], off, off offset:200
	s_waitcnt lgkmcnt(0)
	v_fma_f64 v[2:3], v[112:113], v[130:131], v[2:3]
	s_waitcnt vmcnt(4)
	v_fma_f64 v[2:3], v[114:115], v[132:133], v[2:3]
	ds_load_b128 v[112:115], v1 offset:544
	ds_load_b128 v[126:129], v1 offset:560
	scratch_load_b128 v[130:133], off, off offset:216
	s_waitcnt lgkmcnt(1)
	v_fma_f64 v[2:3], v[116:117], v[112:113], v[2:3]
	s_waitcnt vmcnt(4)
	s_delay_alu instid0(VALU_DEP_1) | instskip(SKIP_4) | instid1(VALU_DEP_1)
	v_fma_f64 v[2:3], v[118:119], v[114:115], v[2:3]
	scratch_load_b128 v[112:115], off, off offset:232
	s_waitcnt lgkmcnt(0)
	v_fma_f64 v[2:3], v[120:121], v[126:127], v[2:3]
	s_waitcnt vmcnt(4)
	v_fma_f64 v[2:3], v[122:123], v[128:129], v[2:3]
	ds_load_b128 v[116:119], v1 offset:576
	ds_load_b128 v[120:123], v1 offset:592
	s_waitcnt lgkmcnt(1)
	v_fma_f64 v[2:3], v[124:125], v[116:117], v[2:3]
	scratch_load_b128 v[124:127], off, off offset:248
	s_waitcnt vmcnt(4)
	v_fma_f64 v[2:3], v[134:135], v[118:119], v[2:3]
	scratch_load_b128 v[116:119], off, off offset:264
	s_waitcnt lgkmcnt(0)
	v_fma_f64 v[2:3], v[136:137], v[120:121], v[2:3]
	s_waitcnt vmcnt(4)
	s_delay_alu instid0(VALU_DEP_1)
	v_fma_f64 v[2:3], v[108:109], v[122:123], v[2:3]
	ds_load_b128 v[120:123], v1 offset:608
	ds_load_b128 v[134:137], v1 offset:624
	s_waitcnt lgkmcnt(1)
	v_fma_f64 v[2:3], v[110:111], v[120:121], v[2:3]
	scratch_load_b128 v[108:111], off, off offset:280
	s_waitcnt vmcnt(4)
	v_fma_f64 v[2:3], v[130:131], v[122:123], v[2:3]
	scratch_load_b128 v[120:123], off, off offset:296
	s_waitcnt lgkmcnt(0)
	v_fma_f64 v[2:3], v[132:133], v[134:135], v[2:3]
	ds_load_b128 v[128:131], v1 offset:640
	ds_load_b128 v[132:135], v1 offset:656
	s_waitcnt vmcnt(4)
	v_fma_f64 v[2:3], v[112:113], v[136:137], v[2:3]
	s_waitcnt lgkmcnt(1)
	s_delay_alu instid0(VALU_DEP_1) | instskip(SKIP_4) | instid1(VALU_DEP_1)
	v_fma_f64 v[2:3], v[114:115], v[128:129], v[2:3]
	scratch_load_b128 v[112:115], off, off offset:312
	s_waitcnt vmcnt(4)
	v_fma_f64 v[2:3], v[124:125], v[130:131], v[2:3]
	s_waitcnt lgkmcnt(0)
	v_fma_f64 v[2:3], v[126:127], v[132:133], v[2:3]
	scratch_load_b128 v[124:127], off, off offset:328
	s_waitcnt vmcnt(4)
	v_fma_f64 v[2:3], v[116:117], v[134:135], v[2:3]
	ds_load_b128 v[128:131], v1 offset:672
	ds_load_b128 v[132:135], v1 offset:688
	s_waitcnt lgkmcnt(1)
	v_fma_f64 v[2:3], v[118:119], v[128:129], v[2:3]
	scratch_load_b128 v[116:119], off, off offset:344
	s_waitcnt vmcnt(4)
	v_fma_f64 v[2:3], v[108:109], v[130:131], v[2:3]
	s_waitcnt lgkmcnt(0)
	s_delay_alu instid0(VALU_DEP_1)
	v_fma_f64 v[2:3], v[110:111], v[132:133], v[2:3]
	scratch_load_b128 v[108:111], off, off offset:360
	s_waitcnt vmcnt(4)
	v_fma_f64 v[2:3], v[120:121], v[134:135], v[2:3]
	ds_load_b128 v[128:131], v1 offset:704
	ds_load_b128 v[132:135], v1 offset:720
	s_waitcnt lgkmcnt(1)
	v_fma_f64 v[2:3], v[122:123], v[128:129], v[2:3]
	scratch_load_b128 v[120:123], off, off offset:376
	s_waitcnt vmcnt(4)
	v_fma_f64 v[2:3], v[112:113], v[130:131], v[2:3]
	s_waitcnt lgkmcnt(0)
	s_delay_alu instid0(VALU_DEP_1)
	v_fma_f64 v[2:3], v[114:115], v[132:133], v[2:3]
	scratch_load_b64 v[132:133], off, off offset:392
	ds_load_b128 v[112:115], v1 offset:736
	ds_load_b128 v[128:131], v1 offset:752
	s_waitcnt vmcnt(4)
	v_fma_f64 v[2:3], v[124:125], v[134:135], v[2:3]
	s_waitcnt lgkmcnt(1)
	s_delay_alu instid0(VALU_DEP_1) | instskip(SKIP_1) | instid1(VALU_DEP_1)
	v_fma_f64 v[2:3], v[126:127], v[112:113], v[2:3]
	s_waitcnt vmcnt(3)
	v_fma_f64 v[2:3], v[116:117], v[114:115], v[2:3]
	s_waitcnt lgkmcnt(0)
	s_delay_alu instid0(VALU_DEP_1) | instskip(SKIP_1) | instid1(VALU_DEP_1)
	v_fma_f64 v[2:3], v[118:119], v[128:129], v[2:3]
	s_waitcnt vmcnt(2)
	v_fma_f64 v[108:109], v[108:109], v[130:131], v[2:3]
	ds_load_b128 v[112:115], v1 offset:768
	ds_load_b128 v[1:4], v1 offset:784
	s_waitcnt lgkmcnt(1)
	v_fma_f64 v[108:109], v[110:111], v[112:113], v[108:109]
	s_waitcnt vmcnt(1)
	s_delay_alu instid0(VALU_DEP_1) | instskip(SKIP_1) | instid1(VALU_DEP_1)
	v_fma_f64 v[108:109], v[120:121], v[114:115], v[108:109]
	s_waitcnt lgkmcnt(0)
	v_fma_f64 v[1:2], v[122:123], v[1:2], v[108:109]
	s_waitcnt vmcnt(0)
	s_delay_alu instid0(VALU_DEP_1) | instskip(NEXT) | instid1(VALU_DEP_1)
	v_fma_f64 v[1:2], v[132:133], v[3:4], v[1:2]
	v_add_f64 v[1:2], v[106:107], -v[1:2]
	scratch_store_b64 off, v[1:2], off offset:104
	v_cmpx_lt_u32_e32 12, v0
	s_cbranch_execz .LBB113_285
; %bb.284:
	scratch_load_b64 v[1:2], off, off offset:96
	v_mov_b32_e32 v3, 0
	s_delay_alu instid0(VALU_DEP_1)
	v_mov_b32_e32 v4, v3
	scratch_store_b64 off, v[3:4], off offset:96
	s_waitcnt vmcnt(0)
	ds_store_b64 v5, v[1:2]
.LBB113_285:
	s_or_b32 exec_lo, exec_lo, s0
	s_waitcnt lgkmcnt(0)
	s_waitcnt_vscnt null, 0x0
	s_barrier
	buffer_gl0_inv
	s_clause 0x4
	scratch_load_b128 v[106:109], off, off offset:96
	scratch_load_b128 v[110:113], off, off offset:112
	;; [unrolled: 1-line block ×5, first 2 shown]
	v_mov_b32_e32 v1, 0
	ds_load_2addr_b64 v[126:129], v1 offset0:63 offset1:64
	ds_load_2addr_b64 v[130:133], v1 offset0:65 offset1:66
	scratch_load_b128 v[134:137], off, off offset:176
	s_mov_b32 s0, exec_lo
	s_waitcnt vmcnt(5) lgkmcnt(1)
	v_fma_f64 v[2:3], v[108:109], v[126:127], 0
	s_waitcnt vmcnt(4)
	s_delay_alu instid0(VALU_DEP_1) | instskip(SKIP_4) | instid1(VALU_DEP_1)
	v_fma_f64 v[2:3], v[110:111], v[128:129], v[2:3]
	scratch_load_b128 v[108:111], off, off offset:192
	s_waitcnt lgkmcnt(0)
	v_fma_f64 v[2:3], v[112:113], v[130:131], v[2:3]
	s_waitcnt vmcnt(4)
	v_fma_f64 v[2:3], v[114:115], v[132:133], v[2:3]
	ds_load_2addr_b64 v[112:115], v1 offset0:67 offset1:68
	ds_load_2addr_b64 v[126:129], v1 offset0:69 offset1:70
	scratch_load_b128 v[130:133], off, off offset:208
	s_waitcnt lgkmcnt(1)
	v_fma_f64 v[2:3], v[116:117], v[112:113], v[2:3]
	s_waitcnt vmcnt(4)
	s_delay_alu instid0(VALU_DEP_1) | instskip(SKIP_4) | instid1(VALU_DEP_1)
	v_fma_f64 v[2:3], v[118:119], v[114:115], v[2:3]
	scratch_load_b128 v[112:115], off, off offset:224
	s_waitcnt lgkmcnt(0)
	v_fma_f64 v[2:3], v[120:121], v[126:127], v[2:3]
	s_waitcnt vmcnt(4)
	v_fma_f64 v[2:3], v[122:123], v[128:129], v[2:3]
	ds_load_2addr_b64 v[116:119], v1 offset0:71 offset1:72
	ds_load_2addr_b64 v[120:123], v1 offset0:73 offset1:74
	s_waitcnt lgkmcnt(1)
	v_fma_f64 v[2:3], v[124:125], v[116:117], v[2:3]
	scratch_load_b128 v[124:127], off, off offset:240
	s_waitcnt vmcnt(4)
	v_fma_f64 v[2:3], v[134:135], v[118:119], v[2:3]
	scratch_load_b128 v[116:119], off, off offset:256
	s_waitcnt lgkmcnt(0)
	v_fma_f64 v[2:3], v[136:137], v[120:121], v[2:3]
	s_waitcnt vmcnt(4)
	s_delay_alu instid0(VALU_DEP_1)
	v_fma_f64 v[2:3], v[108:109], v[122:123], v[2:3]
	ds_load_2addr_b64 v[120:123], v1 offset0:75 offset1:76
	ds_load_2addr_b64 v[134:137], v1 offset0:77 offset1:78
	s_waitcnt lgkmcnt(1)
	v_fma_f64 v[2:3], v[110:111], v[120:121], v[2:3]
	scratch_load_b128 v[108:111], off, off offset:272
	s_waitcnt vmcnt(4)
	v_fma_f64 v[2:3], v[130:131], v[122:123], v[2:3]
	scratch_load_b128 v[120:123], off, off offset:288
	s_waitcnt lgkmcnt(0)
	v_fma_f64 v[2:3], v[132:133], v[134:135], v[2:3]
	ds_load_2addr_b64 v[128:131], v1 offset0:79 offset1:80
	ds_load_2addr_b64 v[132:135], v1 offset0:81 offset1:82
	s_waitcnt vmcnt(4)
	v_fma_f64 v[2:3], v[112:113], v[136:137], v[2:3]
	s_waitcnt lgkmcnt(1)
	s_delay_alu instid0(VALU_DEP_1) | instskip(SKIP_4) | instid1(VALU_DEP_1)
	v_fma_f64 v[2:3], v[114:115], v[128:129], v[2:3]
	scratch_load_b128 v[112:115], off, off offset:304
	s_waitcnt vmcnt(4)
	v_fma_f64 v[2:3], v[124:125], v[130:131], v[2:3]
	s_waitcnt lgkmcnt(0)
	v_fma_f64 v[2:3], v[126:127], v[132:133], v[2:3]
	scratch_load_b128 v[124:127], off, off offset:320
	s_waitcnt vmcnt(4)
	v_fma_f64 v[2:3], v[116:117], v[134:135], v[2:3]
	ds_load_2addr_b64 v[128:131], v1 offset0:83 offset1:84
	ds_load_2addr_b64 v[132:135], v1 offset0:85 offset1:86
	s_waitcnt lgkmcnt(1)
	v_fma_f64 v[2:3], v[118:119], v[128:129], v[2:3]
	scratch_load_b128 v[116:119], off, off offset:336
	s_waitcnt vmcnt(4)
	v_fma_f64 v[2:3], v[108:109], v[130:131], v[2:3]
	s_waitcnt lgkmcnt(0)
	s_delay_alu instid0(VALU_DEP_1)
	v_fma_f64 v[2:3], v[110:111], v[132:133], v[2:3]
	scratch_load_b128 v[108:111], off, off offset:352
	s_waitcnt vmcnt(4)
	v_fma_f64 v[2:3], v[120:121], v[134:135], v[2:3]
	ds_load_2addr_b64 v[128:131], v1 offset0:87 offset1:88
	ds_load_2addr_b64 v[132:135], v1 offset0:89 offset1:90
	s_waitcnt lgkmcnt(1)
	v_fma_f64 v[2:3], v[122:123], v[128:129], v[2:3]
	scratch_load_b128 v[120:123], off, off offset:368
	s_waitcnt vmcnt(4)
	v_fma_f64 v[2:3], v[112:113], v[130:131], v[2:3]
	s_waitcnt lgkmcnt(0)
	s_delay_alu instid0(VALU_DEP_1)
	v_fma_f64 v[2:3], v[114:115], v[132:133], v[2:3]
	scratch_load_b128 v[112:115], off, off offset:384
	s_waitcnt vmcnt(4)
	v_fma_f64 v[2:3], v[124:125], v[134:135], v[2:3]
	ds_load_2addr_b64 v[128:131], v1 offset0:91 offset1:92
	ds_load_2addr_b64 v[132:135], v1 offset0:93 offset1:94
	s_waitcnt lgkmcnt(1)
	v_fma_f64 v[2:3], v[126:127], v[128:129], v[2:3]
	s_waitcnt vmcnt(3)
	s_delay_alu instid0(VALU_DEP_1) | instskip(SKIP_1) | instid1(VALU_DEP_1)
	v_fma_f64 v[2:3], v[116:117], v[130:131], v[2:3]
	s_waitcnt lgkmcnt(0)
	v_fma_f64 v[2:3], v[118:119], v[132:133], v[2:3]
	ds_load_2addr_b64 v[116:119], v1 offset0:95 offset1:96
	ds_load_2addr_b64 v[124:127], v1 offset0:97 offset1:98
	s_waitcnt vmcnt(2)
	v_fma_f64 v[2:3], v[108:109], v[134:135], v[2:3]
	ds_load_b64 v[108:109], v1 offset:792
	s_waitcnt lgkmcnt(2)
	v_fma_f64 v[2:3], v[110:111], v[116:117], v[2:3]
	s_waitcnt vmcnt(1)
	s_delay_alu instid0(VALU_DEP_1) | instskip(SKIP_1) | instid1(VALU_DEP_1)
	v_fma_f64 v[2:3], v[120:121], v[118:119], v[2:3]
	s_waitcnt lgkmcnt(1)
	v_fma_f64 v[2:3], v[122:123], v[124:125], v[2:3]
	s_waitcnt vmcnt(0)
	s_delay_alu instid0(VALU_DEP_1) | instskip(SKIP_1) | instid1(VALU_DEP_1)
	v_fma_f64 v[2:3], v[112:113], v[126:127], v[2:3]
	s_waitcnt lgkmcnt(0)
	v_fma_f64 v[2:3], v[114:115], v[108:109], v[2:3]
	s_delay_alu instid0(VALU_DEP_1)
	v_add_f64 v[2:3], v[106:107], -v[2:3]
	scratch_store_b64 off, v[2:3], off offset:96
	v_cmpx_lt_u32_e32 11, v0
	s_cbranch_execz .LBB113_287
; %bb.286:
	scratch_load_b64 v[3:4], off, off offset:88
	v_mov_b32_e32 v2, v1
	scratch_store_b64 off, v[1:2], off offset:88
	s_waitcnt vmcnt(0)
	ds_store_b64 v5, v[3:4]
.LBB113_287:
	s_or_b32 exec_lo, exec_lo, s0
	s_waitcnt lgkmcnt(0)
	s_waitcnt_vscnt null, 0x0
	s_barrier
	buffer_gl0_inv
	s_clause 0x4
	scratch_load_b128 v[106:109], off, off offset:88
	scratch_load_b128 v[110:113], off, off offset:104
	scratch_load_b128 v[114:117], off, off offset:120
	scratch_load_b128 v[118:121], off, off offset:136
	scratch_load_b128 v[122:125], off, off offset:152
	ds_load_b128 v[126:129], v1 offset:496
	ds_load_b128 v[130:133], v1 offset:512
	scratch_load_b128 v[134:137], off, off offset:168
	s_mov_b32 s0, exec_lo
	s_waitcnt vmcnt(5) lgkmcnt(1)
	v_fma_f64 v[2:3], v[108:109], v[126:127], 0
	s_waitcnt vmcnt(4)
	s_delay_alu instid0(VALU_DEP_1) | instskip(SKIP_4) | instid1(VALU_DEP_1)
	v_fma_f64 v[2:3], v[110:111], v[128:129], v[2:3]
	scratch_load_b128 v[108:111], off, off offset:184
	s_waitcnt lgkmcnt(0)
	v_fma_f64 v[2:3], v[112:113], v[130:131], v[2:3]
	s_waitcnt vmcnt(4)
	v_fma_f64 v[2:3], v[114:115], v[132:133], v[2:3]
	ds_load_b128 v[112:115], v1 offset:528
	ds_load_b128 v[126:129], v1 offset:544
	scratch_load_b128 v[130:133], off, off offset:200
	s_waitcnt lgkmcnt(1)
	v_fma_f64 v[2:3], v[116:117], v[112:113], v[2:3]
	s_waitcnt vmcnt(4)
	s_delay_alu instid0(VALU_DEP_1) | instskip(SKIP_4) | instid1(VALU_DEP_1)
	v_fma_f64 v[2:3], v[118:119], v[114:115], v[2:3]
	scratch_load_b128 v[112:115], off, off offset:216
	s_waitcnt lgkmcnt(0)
	v_fma_f64 v[2:3], v[120:121], v[126:127], v[2:3]
	s_waitcnt vmcnt(4)
	v_fma_f64 v[2:3], v[122:123], v[128:129], v[2:3]
	ds_load_b128 v[116:119], v1 offset:560
	ds_load_b128 v[120:123], v1 offset:576
	s_waitcnt lgkmcnt(1)
	v_fma_f64 v[2:3], v[124:125], v[116:117], v[2:3]
	scratch_load_b128 v[124:127], off, off offset:232
	s_waitcnt vmcnt(4)
	v_fma_f64 v[2:3], v[134:135], v[118:119], v[2:3]
	scratch_load_b128 v[116:119], off, off offset:248
	s_waitcnt lgkmcnt(0)
	v_fma_f64 v[2:3], v[136:137], v[120:121], v[2:3]
	s_waitcnt vmcnt(4)
	s_delay_alu instid0(VALU_DEP_1)
	v_fma_f64 v[2:3], v[108:109], v[122:123], v[2:3]
	ds_load_b128 v[120:123], v1 offset:592
	ds_load_b128 v[134:137], v1 offset:608
	s_waitcnt lgkmcnt(1)
	v_fma_f64 v[2:3], v[110:111], v[120:121], v[2:3]
	scratch_load_b128 v[108:111], off, off offset:264
	s_waitcnt vmcnt(4)
	v_fma_f64 v[2:3], v[130:131], v[122:123], v[2:3]
	scratch_load_b128 v[120:123], off, off offset:280
	s_waitcnt lgkmcnt(0)
	v_fma_f64 v[2:3], v[132:133], v[134:135], v[2:3]
	ds_load_b128 v[128:131], v1 offset:624
	ds_load_b128 v[132:135], v1 offset:640
	s_waitcnt vmcnt(4)
	v_fma_f64 v[2:3], v[112:113], v[136:137], v[2:3]
	s_waitcnt lgkmcnt(1)
	s_delay_alu instid0(VALU_DEP_1) | instskip(SKIP_4) | instid1(VALU_DEP_1)
	v_fma_f64 v[2:3], v[114:115], v[128:129], v[2:3]
	scratch_load_b128 v[112:115], off, off offset:296
	s_waitcnt vmcnt(4)
	v_fma_f64 v[2:3], v[124:125], v[130:131], v[2:3]
	s_waitcnt lgkmcnt(0)
	v_fma_f64 v[2:3], v[126:127], v[132:133], v[2:3]
	scratch_load_b128 v[124:127], off, off offset:312
	s_waitcnt vmcnt(4)
	v_fma_f64 v[2:3], v[116:117], v[134:135], v[2:3]
	ds_load_b128 v[128:131], v1 offset:656
	ds_load_b128 v[132:135], v1 offset:672
	s_waitcnt lgkmcnt(1)
	v_fma_f64 v[2:3], v[118:119], v[128:129], v[2:3]
	scratch_load_b128 v[116:119], off, off offset:328
	s_waitcnt vmcnt(4)
	v_fma_f64 v[2:3], v[108:109], v[130:131], v[2:3]
	s_waitcnt lgkmcnt(0)
	s_delay_alu instid0(VALU_DEP_1)
	v_fma_f64 v[2:3], v[110:111], v[132:133], v[2:3]
	scratch_load_b128 v[108:111], off, off offset:344
	s_waitcnt vmcnt(4)
	v_fma_f64 v[2:3], v[120:121], v[134:135], v[2:3]
	ds_load_b128 v[128:131], v1 offset:688
	ds_load_b128 v[132:135], v1 offset:704
	s_waitcnt lgkmcnt(1)
	v_fma_f64 v[2:3], v[122:123], v[128:129], v[2:3]
	scratch_load_b128 v[120:123], off, off offset:360
	s_waitcnt vmcnt(4)
	v_fma_f64 v[2:3], v[112:113], v[130:131], v[2:3]
	s_waitcnt lgkmcnt(0)
	s_delay_alu instid0(VALU_DEP_1)
	v_fma_f64 v[2:3], v[114:115], v[132:133], v[2:3]
	scratch_load_b128 v[112:115], off, off offset:376
	s_waitcnt vmcnt(4)
	v_fma_f64 v[2:3], v[124:125], v[134:135], v[2:3]
	ds_load_b128 v[128:131], v1 offset:720
	ds_load_b128 v[132:135], v1 offset:736
	s_waitcnt lgkmcnt(1)
	v_fma_f64 v[2:3], v[126:127], v[128:129], v[2:3]
	scratch_load_b64 v[128:129], off, off offset:392
	s_waitcnt vmcnt(4)
	v_fma_f64 v[2:3], v[116:117], v[130:131], v[2:3]
	s_waitcnt lgkmcnt(0)
	s_delay_alu instid0(VALU_DEP_1)
	v_fma_f64 v[2:3], v[118:119], v[132:133], v[2:3]
	ds_load_b128 v[116:119], v1 offset:752
	ds_load_b128 v[124:127], v1 offset:768
	s_waitcnt vmcnt(3)
	v_fma_f64 v[2:3], v[108:109], v[134:135], v[2:3]
	s_waitcnt lgkmcnt(1)
	s_delay_alu instid0(VALU_DEP_1) | instskip(SKIP_1) | instid1(VALU_DEP_1)
	v_fma_f64 v[2:3], v[110:111], v[116:117], v[2:3]
	s_waitcnt vmcnt(2)
	v_fma_f64 v[2:3], v[120:121], v[118:119], v[2:3]
	s_waitcnt lgkmcnt(0)
	s_delay_alu instid0(VALU_DEP_1) | instskip(SKIP_1) | instid1(VALU_DEP_1)
	v_fma_f64 v[2:3], v[122:123], v[124:125], v[2:3]
	s_waitcnt vmcnt(1)
	v_fma_f64 v[108:109], v[112:113], v[126:127], v[2:3]
	ds_load_b128 v[1:4], v1 offset:784
	s_waitcnt lgkmcnt(0)
	v_fma_f64 v[1:2], v[114:115], v[1:2], v[108:109]
	s_waitcnt vmcnt(0)
	s_delay_alu instid0(VALU_DEP_1) | instskip(NEXT) | instid1(VALU_DEP_1)
	v_fma_f64 v[1:2], v[128:129], v[3:4], v[1:2]
	v_add_f64 v[1:2], v[106:107], -v[1:2]
	scratch_store_b64 off, v[1:2], off offset:88
	v_cmpx_lt_u32_e32 10, v0
	s_cbranch_execz .LBB113_289
; %bb.288:
	scratch_load_b64 v[1:2], off, off offset:80
	v_mov_b32_e32 v3, 0
	s_delay_alu instid0(VALU_DEP_1)
	v_mov_b32_e32 v4, v3
	scratch_store_b64 off, v[3:4], off offset:80
	s_waitcnt vmcnt(0)
	ds_store_b64 v5, v[1:2]
.LBB113_289:
	s_or_b32 exec_lo, exec_lo, s0
	s_waitcnt lgkmcnt(0)
	s_waitcnt_vscnt null, 0x0
	s_barrier
	buffer_gl0_inv
	s_clause 0x4
	scratch_load_b128 v[106:109], off, off offset:80
	scratch_load_b128 v[110:113], off, off offset:96
	;; [unrolled: 1-line block ×5, first 2 shown]
	v_mov_b32_e32 v1, 0
	ds_load_2addr_b64 v[126:129], v1 offset0:61 offset1:62
	ds_load_2addr_b64 v[130:133], v1 offset0:63 offset1:64
	scratch_load_b128 v[134:137], off, off offset:160
	s_mov_b32 s0, exec_lo
	s_waitcnt vmcnt(5) lgkmcnt(1)
	v_fma_f64 v[2:3], v[108:109], v[126:127], 0
	s_waitcnt vmcnt(4)
	s_delay_alu instid0(VALU_DEP_1) | instskip(SKIP_4) | instid1(VALU_DEP_1)
	v_fma_f64 v[2:3], v[110:111], v[128:129], v[2:3]
	scratch_load_b128 v[108:111], off, off offset:176
	s_waitcnt lgkmcnt(0)
	v_fma_f64 v[2:3], v[112:113], v[130:131], v[2:3]
	s_waitcnt vmcnt(4)
	v_fma_f64 v[2:3], v[114:115], v[132:133], v[2:3]
	ds_load_2addr_b64 v[112:115], v1 offset0:65 offset1:66
	ds_load_2addr_b64 v[126:129], v1 offset0:67 offset1:68
	scratch_load_b128 v[130:133], off, off offset:192
	s_waitcnt lgkmcnt(1)
	v_fma_f64 v[2:3], v[116:117], v[112:113], v[2:3]
	s_waitcnt vmcnt(4)
	s_delay_alu instid0(VALU_DEP_1) | instskip(SKIP_4) | instid1(VALU_DEP_1)
	v_fma_f64 v[2:3], v[118:119], v[114:115], v[2:3]
	scratch_load_b128 v[112:115], off, off offset:208
	s_waitcnt lgkmcnt(0)
	v_fma_f64 v[2:3], v[120:121], v[126:127], v[2:3]
	s_waitcnt vmcnt(4)
	v_fma_f64 v[2:3], v[122:123], v[128:129], v[2:3]
	ds_load_2addr_b64 v[116:119], v1 offset0:69 offset1:70
	ds_load_2addr_b64 v[120:123], v1 offset0:71 offset1:72
	s_waitcnt lgkmcnt(1)
	v_fma_f64 v[2:3], v[124:125], v[116:117], v[2:3]
	scratch_load_b128 v[124:127], off, off offset:224
	s_waitcnt vmcnt(4)
	v_fma_f64 v[2:3], v[134:135], v[118:119], v[2:3]
	scratch_load_b128 v[116:119], off, off offset:240
	s_waitcnt lgkmcnt(0)
	v_fma_f64 v[2:3], v[136:137], v[120:121], v[2:3]
	s_waitcnt vmcnt(4)
	s_delay_alu instid0(VALU_DEP_1)
	v_fma_f64 v[2:3], v[108:109], v[122:123], v[2:3]
	ds_load_2addr_b64 v[120:123], v1 offset0:73 offset1:74
	ds_load_2addr_b64 v[134:137], v1 offset0:75 offset1:76
	s_waitcnt lgkmcnt(1)
	v_fma_f64 v[2:3], v[110:111], v[120:121], v[2:3]
	scratch_load_b128 v[108:111], off, off offset:256
	s_waitcnt vmcnt(4)
	v_fma_f64 v[2:3], v[130:131], v[122:123], v[2:3]
	scratch_load_b128 v[120:123], off, off offset:272
	s_waitcnt lgkmcnt(0)
	v_fma_f64 v[2:3], v[132:133], v[134:135], v[2:3]
	ds_load_2addr_b64 v[128:131], v1 offset0:77 offset1:78
	ds_load_2addr_b64 v[132:135], v1 offset0:79 offset1:80
	s_waitcnt vmcnt(4)
	v_fma_f64 v[2:3], v[112:113], v[136:137], v[2:3]
	s_waitcnt lgkmcnt(1)
	s_delay_alu instid0(VALU_DEP_1) | instskip(SKIP_4) | instid1(VALU_DEP_1)
	v_fma_f64 v[2:3], v[114:115], v[128:129], v[2:3]
	scratch_load_b128 v[112:115], off, off offset:288
	s_waitcnt vmcnt(4)
	v_fma_f64 v[2:3], v[124:125], v[130:131], v[2:3]
	s_waitcnt lgkmcnt(0)
	v_fma_f64 v[2:3], v[126:127], v[132:133], v[2:3]
	scratch_load_b128 v[124:127], off, off offset:304
	s_waitcnt vmcnt(4)
	v_fma_f64 v[2:3], v[116:117], v[134:135], v[2:3]
	ds_load_2addr_b64 v[128:131], v1 offset0:81 offset1:82
	ds_load_2addr_b64 v[132:135], v1 offset0:83 offset1:84
	s_waitcnt lgkmcnt(1)
	v_fma_f64 v[2:3], v[118:119], v[128:129], v[2:3]
	scratch_load_b128 v[116:119], off, off offset:320
	s_waitcnt vmcnt(4)
	v_fma_f64 v[2:3], v[108:109], v[130:131], v[2:3]
	s_waitcnt lgkmcnt(0)
	s_delay_alu instid0(VALU_DEP_1)
	v_fma_f64 v[2:3], v[110:111], v[132:133], v[2:3]
	scratch_load_b128 v[108:111], off, off offset:336
	s_waitcnt vmcnt(4)
	v_fma_f64 v[2:3], v[120:121], v[134:135], v[2:3]
	ds_load_2addr_b64 v[128:131], v1 offset0:85 offset1:86
	ds_load_2addr_b64 v[132:135], v1 offset0:87 offset1:88
	s_waitcnt lgkmcnt(1)
	v_fma_f64 v[2:3], v[122:123], v[128:129], v[2:3]
	scratch_load_b128 v[120:123], off, off offset:352
	s_waitcnt vmcnt(4)
	v_fma_f64 v[2:3], v[112:113], v[130:131], v[2:3]
	s_waitcnt lgkmcnt(0)
	s_delay_alu instid0(VALU_DEP_1)
	;; [unrolled: 13-line block ×3, first 2 shown]
	v_fma_f64 v[2:3], v[118:119], v[132:133], v[2:3]
	ds_load_2addr_b64 v[116:119], v1 offset0:93 offset1:94
	ds_load_2addr_b64 v[128:131], v1 offset0:95 offset1:96
	s_waitcnt vmcnt(3)
	v_fma_f64 v[2:3], v[108:109], v[134:135], v[2:3]
	s_waitcnt lgkmcnt(1)
	s_delay_alu instid0(VALU_DEP_1) | instskip(SKIP_1) | instid1(VALU_DEP_1)
	v_fma_f64 v[2:3], v[110:111], v[116:117], v[2:3]
	s_waitcnt vmcnt(2)
	v_fma_f64 v[2:3], v[120:121], v[118:119], v[2:3]
	s_waitcnt lgkmcnt(0)
	s_delay_alu instid0(VALU_DEP_1) | instskip(SKIP_1) | instid1(VALU_DEP_1)
	v_fma_f64 v[2:3], v[122:123], v[128:129], v[2:3]
	s_waitcnt vmcnt(1)
	v_fma_f64 v[2:3], v[112:113], v[130:131], v[2:3]
	ds_load_2addr_b64 v[108:111], v1 offset0:97 offset1:98
	ds_load_b64 v[112:113], v1 offset:792
	s_waitcnt lgkmcnt(1)
	v_fma_f64 v[2:3], v[114:115], v[108:109], v[2:3]
	s_waitcnt vmcnt(0)
	s_delay_alu instid0(VALU_DEP_1) | instskip(SKIP_1) | instid1(VALU_DEP_1)
	v_fma_f64 v[2:3], v[124:125], v[110:111], v[2:3]
	s_waitcnt lgkmcnt(0)
	v_fma_f64 v[2:3], v[126:127], v[112:113], v[2:3]
	s_delay_alu instid0(VALU_DEP_1)
	v_add_f64 v[2:3], v[106:107], -v[2:3]
	scratch_store_b64 off, v[2:3], off offset:80
	v_cmpx_lt_u32_e32 9, v0
	s_cbranch_execz .LBB113_291
; %bb.290:
	scratch_load_b64 v[3:4], off, off offset:72
	v_mov_b32_e32 v2, v1
	scratch_store_b64 off, v[1:2], off offset:72
	s_waitcnt vmcnt(0)
	ds_store_b64 v5, v[3:4]
.LBB113_291:
	s_or_b32 exec_lo, exec_lo, s0
	s_waitcnt lgkmcnt(0)
	s_waitcnt_vscnt null, 0x0
	s_barrier
	buffer_gl0_inv
	s_clause 0x4
	scratch_load_b128 v[106:109], off, off offset:72
	scratch_load_b128 v[110:113], off, off offset:88
	;; [unrolled: 1-line block ×5, first 2 shown]
	ds_load_b128 v[126:129], v1 offset:480
	ds_load_b128 v[130:133], v1 offset:496
	scratch_load_b128 v[134:137], off, off offset:152
	s_mov_b32 s0, exec_lo
	s_waitcnt vmcnt(5) lgkmcnt(1)
	v_fma_f64 v[2:3], v[108:109], v[126:127], 0
	s_waitcnt vmcnt(4)
	s_delay_alu instid0(VALU_DEP_1) | instskip(SKIP_4) | instid1(VALU_DEP_1)
	v_fma_f64 v[2:3], v[110:111], v[128:129], v[2:3]
	scratch_load_b128 v[108:111], off, off offset:168
	s_waitcnt lgkmcnt(0)
	v_fma_f64 v[2:3], v[112:113], v[130:131], v[2:3]
	s_waitcnt vmcnt(4)
	v_fma_f64 v[2:3], v[114:115], v[132:133], v[2:3]
	ds_load_b128 v[112:115], v1 offset:512
	ds_load_b128 v[126:129], v1 offset:528
	scratch_load_b128 v[130:133], off, off offset:184
	s_waitcnt lgkmcnt(1)
	v_fma_f64 v[2:3], v[116:117], v[112:113], v[2:3]
	s_waitcnt vmcnt(4)
	s_delay_alu instid0(VALU_DEP_1) | instskip(SKIP_4) | instid1(VALU_DEP_1)
	v_fma_f64 v[2:3], v[118:119], v[114:115], v[2:3]
	scratch_load_b128 v[112:115], off, off offset:200
	s_waitcnt lgkmcnt(0)
	v_fma_f64 v[2:3], v[120:121], v[126:127], v[2:3]
	s_waitcnt vmcnt(4)
	v_fma_f64 v[2:3], v[122:123], v[128:129], v[2:3]
	ds_load_b128 v[116:119], v1 offset:544
	ds_load_b128 v[120:123], v1 offset:560
	s_waitcnt lgkmcnt(1)
	v_fma_f64 v[2:3], v[124:125], v[116:117], v[2:3]
	scratch_load_b128 v[124:127], off, off offset:216
	s_waitcnt vmcnt(4)
	v_fma_f64 v[2:3], v[134:135], v[118:119], v[2:3]
	scratch_load_b128 v[116:119], off, off offset:232
	s_waitcnt lgkmcnt(0)
	v_fma_f64 v[2:3], v[136:137], v[120:121], v[2:3]
	s_waitcnt vmcnt(4)
	s_delay_alu instid0(VALU_DEP_1)
	v_fma_f64 v[2:3], v[108:109], v[122:123], v[2:3]
	ds_load_b128 v[120:123], v1 offset:576
	ds_load_b128 v[134:137], v1 offset:592
	s_waitcnt lgkmcnt(1)
	v_fma_f64 v[2:3], v[110:111], v[120:121], v[2:3]
	scratch_load_b128 v[108:111], off, off offset:248
	s_waitcnt vmcnt(4)
	v_fma_f64 v[2:3], v[130:131], v[122:123], v[2:3]
	scratch_load_b128 v[120:123], off, off offset:264
	s_waitcnt lgkmcnt(0)
	v_fma_f64 v[2:3], v[132:133], v[134:135], v[2:3]
	ds_load_b128 v[128:131], v1 offset:608
	ds_load_b128 v[132:135], v1 offset:624
	s_waitcnt vmcnt(4)
	v_fma_f64 v[2:3], v[112:113], v[136:137], v[2:3]
	s_waitcnt lgkmcnt(1)
	s_delay_alu instid0(VALU_DEP_1) | instskip(SKIP_4) | instid1(VALU_DEP_1)
	v_fma_f64 v[2:3], v[114:115], v[128:129], v[2:3]
	scratch_load_b128 v[112:115], off, off offset:280
	s_waitcnt vmcnt(4)
	v_fma_f64 v[2:3], v[124:125], v[130:131], v[2:3]
	s_waitcnt lgkmcnt(0)
	v_fma_f64 v[2:3], v[126:127], v[132:133], v[2:3]
	scratch_load_b128 v[124:127], off, off offset:296
	s_waitcnt vmcnt(4)
	v_fma_f64 v[2:3], v[116:117], v[134:135], v[2:3]
	ds_load_b128 v[128:131], v1 offset:640
	ds_load_b128 v[132:135], v1 offset:656
	s_waitcnt lgkmcnt(1)
	v_fma_f64 v[2:3], v[118:119], v[128:129], v[2:3]
	scratch_load_b128 v[116:119], off, off offset:312
	s_waitcnt vmcnt(4)
	v_fma_f64 v[2:3], v[108:109], v[130:131], v[2:3]
	s_waitcnt lgkmcnt(0)
	s_delay_alu instid0(VALU_DEP_1)
	v_fma_f64 v[2:3], v[110:111], v[132:133], v[2:3]
	scratch_load_b128 v[108:111], off, off offset:328
	s_waitcnt vmcnt(4)
	v_fma_f64 v[2:3], v[120:121], v[134:135], v[2:3]
	ds_load_b128 v[128:131], v1 offset:672
	ds_load_b128 v[132:135], v1 offset:688
	s_waitcnt lgkmcnt(1)
	v_fma_f64 v[2:3], v[122:123], v[128:129], v[2:3]
	scratch_load_b128 v[120:123], off, off offset:344
	s_waitcnt vmcnt(4)
	v_fma_f64 v[2:3], v[112:113], v[130:131], v[2:3]
	s_waitcnt lgkmcnt(0)
	s_delay_alu instid0(VALU_DEP_1)
	;; [unrolled: 13-line block ×3, first 2 shown]
	v_fma_f64 v[2:3], v[118:119], v[132:133], v[2:3]
	scratch_load_b64 v[132:133], off, off offset:392
	ds_load_b128 v[116:119], v1 offset:736
	ds_load_b128 v[128:131], v1 offset:752
	s_waitcnt vmcnt(4)
	v_fma_f64 v[2:3], v[108:109], v[134:135], v[2:3]
	s_waitcnt lgkmcnt(1)
	s_delay_alu instid0(VALU_DEP_1) | instskip(SKIP_1) | instid1(VALU_DEP_1)
	v_fma_f64 v[2:3], v[110:111], v[116:117], v[2:3]
	s_waitcnt vmcnt(3)
	v_fma_f64 v[2:3], v[120:121], v[118:119], v[2:3]
	s_waitcnt lgkmcnt(0)
	s_delay_alu instid0(VALU_DEP_1) | instskip(SKIP_1) | instid1(VALU_DEP_1)
	v_fma_f64 v[2:3], v[122:123], v[128:129], v[2:3]
	s_waitcnt vmcnt(2)
	v_fma_f64 v[112:113], v[112:113], v[130:131], v[2:3]
	ds_load_b128 v[108:111], v1 offset:768
	ds_load_b128 v[1:4], v1 offset:784
	s_waitcnt lgkmcnt(1)
	v_fma_f64 v[108:109], v[114:115], v[108:109], v[112:113]
	s_waitcnt vmcnt(1)
	s_delay_alu instid0(VALU_DEP_1) | instskip(SKIP_1) | instid1(VALU_DEP_1)
	v_fma_f64 v[108:109], v[124:125], v[110:111], v[108:109]
	s_waitcnt lgkmcnt(0)
	v_fma_f64 v[1:2], v[126:127], v[1:2], v[108:109]
	s_waitcnt vmcnt(0)
	s_delay_alu instid0(VALU_DEP_1) | instskip(NEXT) | instid1(VALU_DEP_1)
	v_fma_f64 v[1:2], v[132:133], v[3:4], v[1:2]
	v_add_f64 v[1:2], v[106:107], -v[1:2]
	scratch_store_b64 off, v[1:2], off offset:72
	v_cmpx_lt_u32_e32 8, v0
	s_cbranch_execz .LBB113_293
; %bb.292:
	scratch_load_b64 v[1:2], off, off offset:64
	v_mov_b32_e32 v3, 0
	s_delay_alu instid0(VALU_DEP_1)
	v_mov_b32_e32 v4, v3
	scratch_store_b64 off, v[3:4], off offset:64
	s_waitcnt vmcnt(0)
	ds_store_b64 v5, v[1:2]
.LBB113_293:
	s_or_b32 exec_lo, exec_lo, s0
	s_waitcnt lgkmcnt(0)
	s_waitcnt_vscnt null, 0x0
	s_barrier
	buffer_gl0_inv
	s_clause 0x4
	scratch_load_b128 v[106:109], off, off offset:64
	scratch_load_b128 v[110:113], off, off offset:80
	;; [unrolled: 1-line block ×5, first 2 shown]
	v_mov_b32_e32 v1, 0
	ds_load_2addr_b64 v[126:129], v1 offset0:59 offset1:60
	ds_load_2addr_b64 v[130:133], v1 offset0:61 offset1:62
	scratch_load_b128 v[134:137], off, off offset:144
	s_mov_b32 s0, exec_lo
	s_waitcnt vmcnt(5) lgkmcnt(1)
	v_fma_f64 v[2:3], v[108:109], v[126:127], 0
	s_waitcnt vmcnt(4)
	s_delay_alu instid0(VALU_DEP_1) | instskip(SKIP_4) | instid1(VALU_DEP_1)
	v_fma_f64 v[2:3], v[110:111], v[128:129], v[2:3]
	scratch_load_b128 v[108:111], off, off offset:160
	s_waitcnt lgkmcnt(0)
	v_fma_f64 v[2:3], v[112:113], v[130:131], v[2:3]
	s_waitcnt vmcnt(4)
	v_fma_f64 v[2:3], v[114:115], v[132:133], v[2:3]
	ds_load_2addr_b64 v[112:115], v1 offset0:63 offset1:64
	ds_load_2addr_b64 v[126:129], v1 offset0:65 offset1:66
	scratch_load_b128 v[130:133], off, off offset:176
	s_waitcnt lgkmcnt(1)
	v_fma_f64 v[2:3], v[116:117], v[112:113], v[2:3]
	s_waitcnt vmcnt(4)
	s_delay_alu instid0(VALU_DEP_1) | instskip(SKIP_4) | instid1(VALU_DEP_1)
	v_fma_f64 v[2:3], v[118:119], v[114:115], v[2:3]
	scratch_load_b128 v[112:115], off, off offset:192
	s_waitcnt lgkmcnt(0)
	v_fma_f64 v[2:3], v[120:121], v[126:127], v[2:3]
	s_waitcnt vmcnt(4)
	v_fma_f64 v[2:3], v[122:123], v[128:129], v[2:3]
	ds_load_2addr_b64 v[116:119], v1 offset0:67 offset1:68
	ds_load_2addr_b64 v[120:123], v1 offset0:69 offset1:70
	s_waitcnt lgkmcnt(1)
	v_fma_f64 v[2:3], v[124:125], v[116:117], v[2:3]
	scratch_load_b128 v[124:127], off, off offset:208
	s_waitcnt vmcnt(4)
	v_fma_f64 v[2:3], v[134:135], v[118:119], v[2:3]
	scratch_load_b128 v[116:119], off, off offset:224
	s_waitcnt lgkmcnt(0)
	v_fma_f64 v[2:3], v[136:137], v[120:121], v[2:3]
	s_waitcnt vmcnt(4)
	s_delay_alu instid0(VALU_DEP_1)
	v_fma_f64 v[2:3], v[108:109], v[122:123], v[2:3]
	ds_load_2addr_b64 v[120:123], v1 offset0:71 offset1:72
	ds_load_2addr_b64 v[134:137], v1 offset0:73 offset1:74
	s_waitcnt lgkmcnt(1)
	v_fma_f64 v[2:3], v[110:111], v[120:121], v[2:3]
	scratch_load_b128 v[108:111], off, off offset:240
	s_waitcnt vmcnt(4)
	v_fma_f64 v[2:3], v[130:131], v[122:123], v[2:3]
	scratch_load_b128 v[120:123], off, off offset:256
	s_waitcnt lgkmcnt(0)
	v_fma_f64 v[2:3], v[132:133], v[134:135], v[2:3]
	ds_load_2addr_b64 v[128:131], v1 offset0:75 offset1:76
	ds_load_2addr_b64 v[132:135], v1 offset0:77 offset1:78
	s_waitcnt vmcnt(4)
	v_fma_f64 v[2:3], v[112:113], v[136:137], v[2:3]
	s_waitcnt lgkmcnt(1)
	s_delay_alu instid0(VALU_DEP_1) | instskip(SKIP_4) | instid1(VALU_DEP_1)
	v_fma_f64 v[2:3], v[114:115], v[128:129], v[2:3]
	scratch_load_b128 v[112:115], off, off offset:272
	s_waitcnt vmcnt(4)
	v_fma_f64 v[2:3], v[124:125], v[130:131], v[2:3]
	s_waitcnt lgkmcnt(0)
	v_fma_f64 v[2:3], v[126:127], v[132:133], v[2:3]
	scratch_load_b128 v[124:127], off, off offset:288
	s_waitcnt vmcnt(4)
	v_fma_f64 v[2:3], v[116:117], v[134:135], v[2:3]
	ds_load_2addr_b64 v[128:131], v1 offset0:79 offset1:80
	ds_load_2addr_b64 v[132:135], v1 offset0:81 offset1:82
	s_waitcnt lgkmcnt(1)
	v_fma_f64 v[2:3], v[118:119], v[128:129], v[2:3]
	scratch_load_b128 v[116:119], off, off offset:304
	s_waitcnt vmcnt(4)
	v_fma_f64 v[2:3], v[108:109], v[130:131], v[2:3]
	s_waitcnt lgkmcnt(0)
	s_delay_alu instid0(VALU_DEP_1)
	v_fma_f64 v[2:3], v[110:111], v[132:133], v[2:3]
	scratch_load_b128 v[108:111], off, off offset:320
	s_waitcnt vmcnt(4)
	v_fma_f64 v[2:3], v[120:121], v[134:135], v[2:3]
	ds_load_2addr_b64 v[128:131], v1 offset0:83 offset1:84
	ds_load_2addr_b64 v[132:135], v1 offset0:85 offset1:86
	s_waitcnt lgkmcnt(1)
	v_fma_f64 v[2:3], v[122:123], v[128:129], v[2:3]
	scratch_load_b128 v[120:123], off, off offset:336
	s_waitcnt vmcnt(4)
	v_fma_f64 v[2:3], v[112:113], v[130:131], v[2:3]
	s_waitcnt lgkmcnt(0)
	s_delay_alu instid0(VALU_DEP_1)
	v_fma_f64 v[2:3], v[114:115], v[132:133], v[2:3]
	scratch_load_b128 v[112:115], off, off offset:352
	s_waitcnt vmcnt(4)
	v_fma_f64 v[2:3], v[124:125], v[134:135], v[2:3]
	ds_load_2addr_b64 v[128:131], v1 offset0:87 offset1:88
	ds_load_2addr_b64 v[132:135], v1 offset0:89 offset1:90
	s_waitcnt lgkmcnt(1)
	v_fma_f64 v[2:3], v[126:127], v[128:129], v[2:3]
	scratch_load_b128 v[124:127], off, off offset:368
	s_waitcnt vmcnt(4)
	v_fma_f64 v[2:3], v[116:117], v[130:131], v[2:3]
	s_waitcnt lgkmcnt(0)
	s_delay_alu instid0(VALU_DEP_1)
	v_fma_f64 v[2:3], v[118:119], v[132:133], v[2:3]
	scratch_load_b128 v[116:119], off, off offset:384
	s_waitcnt vmcnt(4)
	v_fma_f64 v[2:3], v[108:109], v[134:135], v[2:3]
	ds_load_2addr_b64 v[128:131], v1 offset0:91 offset1:92
	ds_load_2addr_b64 v[132:135], v1 offset0:93 offset1:94
	s_waitcnt lgkmcnt(1)
	v_fma_f64 v[2:3], v[110:111], v[128:129], v[2:3]
	s_waitcnt vmcnt(3)
	s_delay_alu instid0(VALU_DEP_1) | instskip(SKIP_1) | instid1(VALU_DEP_1)
	v_fma_f64 v[2:3], v[120:121], v[130:131], v[2:3]
	s_waitcnt lgkmcnt(0)
	v_fma_f64 v[2:3], v[122:123], v[132:133], v[2:3]
	ds_load_2addr_b64 v[108:111], v1 offset0:95 offset1:96
	ds_load_2addr_b64 v[120:123], v1 offset0:97 offset1:98
	s_waitcnt vmcnt(2)
	v_fma_f64 v[2:3], v[112:113], v[134:135], v[2:3]
	s_waitcnt lgkmcnt(1)
	s_delay_alu instid0(VALU_DEP_1) | instskip(SKIP_4) | instid1(VALU_DEP_1)
	v_fma_f64 v[2:3], v[114:115], v[108:109], v[2:3]
	ds_load_b64 v[108:109], v1 offset:792
	s_waitcnt vmcnt(1)
	v_fma_f64 v[2:3], v[124:125], v[110:111], v[2:3]
	s_waitcnt lgkmcnt(1)
	v_fma_f64 v[2:3], v[126:127], v[120:121], v[2:3]
	s_waitcnt vmcnt(0)
	s_delay_alu instid0(VALU_DEP_1) | instskip(SKIP_1) | instid1(VALU_DEP_1)
	v_fma_f64 v[2:3], v[116:117], v[122:123], v[2:3]
	s_waitcnt lgkmcnt(0)
	v_fma_f64 v[2:3], v[118:119], v[108:109], v[2:3]
	s_delay_alu instid0(VALU_DEP_1)
	v_add_f64 v[2:3], v[106:107], -v[2:3]
	scratch_store_b64 off, v[2:3], off offset:64
	v_cmpx_lt_u32_e32 7, v0
	s_cbranch_execz .LBB113_295
; %bb.294:
	scratch_load_b64 v[3:4], off, off offset:56
	v_mov_b32_e32 v2, v1
	scratch_store_b64 off, v[1:2], off offset:56
	s_waitcnt vmcnt(0)
	ds_store_b64 v5, v[3:4]
.LBB113_295:
	s_or_b32 exec_lo, exec_lo, s0
	s_waitcnt lgkmcnt(0)
	s_waitcnt_vscnt null, 0x0
	s_barrier
	buffer_gl0_inv
	s_clause 0x4
	scratch_load_b128 v[106:109], off, off offset:56
	scratch_load_b128 v[110:113], off, off offset:72
	;; [unrolled: 1-line block ×5, first 2 shown]
	ds_load_b128 v[126:129], v1 offset:464
	ds_load_b128 v[130:133], v1 offset:480
	scratch_load_b128 v[134:137], off, off offset:136
	s_mov_b32 s0, exec_lo
	s_waitcnt vmcnt(5) lgkmcnt(1)
	v_fma_f64 v[2:3], v[108:109], v[126:127], 0
	s_waitcnt vmcnt(4)
	s_delay_alu instid0(VALU_DEP_1) | instskip(SKIP_4) | instid1(VALU_DEP_1)
	v_fma_f64 v[2:3], v[110:111], v[128:129], v[2:3]
	scratch_load_b128 v[108:111], off, off offset:152
	s_waitcnt lgkmcnt(0)
	v_fma_f64 v[2:3], v[112:113], v[130:131], v[2:3]
	s_waitcnt vmcnt(4)
	v_fma_f64 v[2:3], v[114:115], v[132:133], v[2:3]
	ds_load_b128 v[112:115], v1 offset:496
	ds_load_b128 v[126:129], v1 offset:512
	scratch_load_b128 v[130:133], off, off offset:168
	s_waitcnt lgkmcnt(1)
	v_fma_f64 v[2:3], v[116:117], v[112:113], v[2:3]
	s_waitcnt vmcnt(4)
	s_delay_alu instid0(VALU_DEP_1) | instskip(SKIP_4) | instid1(VALU_DEP_1)
	v_fma_f64 v[2:3], v[118:119], v[114:115], v[2:3]
	scratch_load_b128 v[112:115], off, off offset:184
	s_waitcnt lgkmcnt(0)
	v_fma_f64 v[2:3], v[120:121], v[126:127], v[2:3]
	s_waitcnt vmcnt(4)
	v_fma_f64 v[2:3], v[122:123], v[128:129], v[2:3]
	ds_load_b128 v[116:119], v1 offset:528
	ds_load_b128 v[120:123], v1 offset:544
	s_waitcnt lgkmcnt(1)
	v_fma_f64 v[2:3], v[124:125], v[116:117], v[2:3]
	scratch_load_b128 v[124:127], off, off offset:200
	s_waitcnt vmcnt(4)
	v_fma_f64 v[2:3], v[134:135], v[118:119], v[2:3]
	scratch_load_b128 v[116:119], off, off offset:216
	s_waitcnt lgkmcnt(0)
	v_fma_f64 v[2:3], v[136:137], v[120:121], v[2:3]
	s_waitcnt vmcnt(4)
	s_delay_alu instid0(VALU_DEP_1)
	v_fma_f64 v[2:3], v[108:109], v[122:123], v[2:3]
	ds_load_b128 v[120:123], v1 offset:560
	ds_load_b128 v[134:137], v1 offset:576
	s_waitcnt lgkmcnt(1)
	v_fma_f64 v[2:3], v[110:111], v[120:121], v[2:3]
	scratch_load_b128 v[108:111], off, off offset:232
	s_waitcnt vmcnt(4)
	v_fma_f64 v[2:3], v[130:131], v[122:123], v[2:3]
	scratch_load_b128 v[120:123], off, off offset:248
	s_waitcnt lgkmcnt(0)
	v_fma_f64 v[2:3], v[132:133], v[134:135], v[2:3]
	ds_load_b128 v[128:131], v1 offset:592
	ds_load_b128 v[132:135], v1 offset:608
	s_waitcnt vmcnt(4)
	v_fma_f64 v[2:3], v[112:113], v[136:137], v[2:3]
	s_waitcnt lgkmcnt(1)
	s_delay_alu instid0(VALU_DEP_1) | instskip(SKIP_4) | instid1(VALU_DEP_1)
	v_fma_f64 v[2:3], v[114:115], v[128:129], v[2:3]
	scratch_load_b128 v[112:115], off, off offset:264
	s_waitcnt vmcnt(4)
	v_fma_f64 v[2:3], v[124:125], v[130:131], v[2:3]
	s_waitcnt lgkmcnt(0)
	v_fma_f64 v[2:3], v[126:127], v[132:133], v[2:3]
	scratch_load_b128 v[124:127], off, off offset:280
	s_waitcnt vmcnt(4)
	v_fma_f64 v[2:3], v[116:117], v[134:135], v[2:3]
	ds_load_b128 v[128:131], v1 offset:624
	ds_load_b128 v[132:135], v1 offset:640
	s_waitcnt lgkmcnt(1)
	v_fma_f64 v[2:3], v[118:119], v[128:129], v[2:3]
	scratch_load_b128 v[116:119], off, off offset:296
	s_waitcnt vmcnt(4)
	v_fma_f64 v[2:3], v[108:109], v[130:131], v[2:3]
	s_waitcnt lgkmcnt(0)
	s_delay_alu instid0(VALU_DEP_1)
	v_fma_f64 v[2:3], v[110:111], v[132:133], v[2:3]
	scratch_load_b128 v[108:111], off, off offset:312
	s_waitcnt vmcnt(4)
	v_fma_f64 v[2:3], v[120:121], v[134:135], v[2:3]
	ds_load_b128 v[128:131], v1 offset:656
	ds_load_b128 v[132:135], v1 offset:672
	s_waitcnt lgkmcnt(1)
	v_fma_f64 v[2:3], v[122:123], v[128:129], v[2:3]
	scratch_load_b128 v[120:123], off, off offset:328
	s_waitcnt vmcnt(4)
	v_fma_f64 v[2:3], v[112:113], v[130:131], v[2:3]
	s_waitcnt lgkmcnt(0)
	s_delay_alu instid0(VALU_DEP_1)
	;; [unrolled: 13-line block ×3, first 2 shown]
	v_fma_f64 v[2:3], v[118:119], v[132:133], v[2:3]
	scratch_load_b128 v[116:119], off, off offset:376
	s_waitcnt vmcnt(4)
	v_fma_f64 v[2:3], v[108:109], v[134:135], v[2:3]
	ds_load_b128 v[128:131], v1 offset:720
	ds_load_b128 v[132:135], v1 offset:736
	s_waitcnt lgkmcnt(1)
	v_fma_f64 v[2:3], v[110:111], v[128:129], v[2:3]
	scratch_load_b64 v[128:129], off, off offset:392
	s_waitcnt vmcnt(4)
	v_fma_f64 v[2:3], v[120:121], v[130:131], v[2:3]
	s_waitcnt lgkmcnt(0)
	s_delay_alu instid0(VALU_DEP_1)
	v_fma_f64 v[2:3], v[122:123], v[132:133], v[2:3]
	ds_load_b128 v[108:111], v1 offset:752
	ds_load_b128 v[120:123], v1 offset:768
	s_waitcnt vmcnt(3)
	v_fma_f64 v[2:3], v[112:113], v[134:135], v[2:3]
	s_waitcnt lgkmcnt(1)
	s_delay_alu instid0(VALU_DEP_1) | instskip(SKIP_1) | instid1(VALU_DEP_1)
	v_fma_f64 v[2:3], v[114:115], v[108:109], v[2:3]
	s_waitcnt vmcnt(2)
	v_fma_f64 v[2:3], v[124:125], v[110:111], v[2:3]
	s_waitcnt lgkmcnt(0)
	s_delay_alu instid0(VALU_DEP_1) | instskip(SKIP_1) | instid1(VALU_DEP_1)
	v_fma_f64 v[2:3], v[126:127], v[120:121], v[2:3]
	s_waitcnt vmcnt(1)
	v_fma_f64 v[108:109], v[116:117], v[122:123], v[2:3]
	ds_load_b128 v[1:4], v1 offset:784
	s_waitcnt lgkmcnt(0)
	v_fma_f64 v[1:2], v[118:119], v[1:2], v[108:109]
	s_waitcnt vmcnt(0)
	s_delay_alu instid0(VALU_DEP_1) | instskip(NEXT) | instid1(VALU_DEP_1)
	v_fma_f64 v[1:2], v[128:129], v[3:4], v[1:2]
	v_add_f64 v[1:2], v[106:107], -v[1:2]
	scratch_store_b64 off, v[1:2], off offset:56
	v_cmpx_lt_u32_e32 6, v0
	s_cbranch_execz .LBB113_297
; %bb.296:
	scratch_load_b64 v[1:2], off, off offset:48
	v_mov_b32_e32 v3, 0
	s_delay_alu instid0(VALU_DEP_1)
	v_mov_b32_e32 v4, v3
	scratch_store_b64 off, v[3:4], off offset:48
	s_waitcnt vmcnt(0)
	ds_store_b64 v5, v[1:2]
.LBB113_297:
	s_or_b32 exec_lo, exec_lo, s0
	s_waitcnt lgkmcnt(0)
	s_waitcnt_vscnt null, 0x0
	s_barrier
	buffer_gl0_inv
	s_clause 0x4
	scratch_load_b128 v[106:109], off, off offset:48
	scratch_load_b128 v[110:113], off, off offset:64
	;; [unrolled: 1-line block ×5, first 2 shown]
	v_mov_b32_e32 v1, 0
	ds_load_2addr_b64 v[126:129], v1 offset0:57 offset1:58
	ds_load_2addr_b64 v[130:133], v1 offset0:59 offset1:60
	scratch_load_b128 v[134:137], off, off offset:128
	s_mov_b32 s0, exec_lo
	s_waitcnt vmcnt(5) lgkmcnt(1)
	v_fma_f64 v[2:3], v[108:109], v[126:127], 0
	s_waitcnt vmcnt(4)
	s_delay_alu instid0(VALU_DEP_1) | instskip(SKIP_4) | instid1(VALU_DEP_1)
	v_fma_f64 v[2:3], v[110:111], v[128:129], v[2:3]
	scratch_load_b128 v[108:111], off, off offset:144
	s_waitcnt lgkmcnt(0)
	v_fma_f64 v[2:3], v[112:113], v[130:131], v[2:3]
	s_waitcnt vmcnt(4)
	v_fma_f64 v[2:3], v[114:115], v[132:133], v[2:3]
	ds_load_2addr_b64 v[112:115], v1 offset0:61 offset1:62
	ds_load_2addr_b64 v[126:129], v1 offset0:63 offset1:64
	scratch_load_b128 v[130:133], off, off offset:160
	s_waitcnt lgkmcnt(1)
	v_fma_f64 v[2:3], v[116:117], v[112:113], v[2:3]
	s_waitcnt vmcnt(4)
	s_delay_alu instid0(VALU_DEP_1) | instskip(SKIP_4) | instid1(VALU_DEP_1)
	v_fma_f64 v[2:3], v[118:119], v[114:115], v[2:3]
	scratch_load_b128 v[112:115], off, off offset:176
	s_waitcnt lgkmcnt(0)
	v_fma_f64 v[2:3], v[120:121], v[126:127], v[2:3]
	s_waitcnt vmcnt(4)
	v_fma_f64 v[2:3], v[122:123], v[128:129], v[2:3]
	ds_load_2addr_b64 v[116:119], v1 offset0:65 offset1:66
	ds_load_2addr_b64 v[120:123], v1 offset0:67 offset1:68
	s_waitcnt lgkmcnt(1)
	v_fma_f64 v[2:3], v[124:125], v[116:117], v[2:3]
	scratch_load_b128 v[124:127], off, off offset:192
	s_waitcnt vmcnt(4)
	v_fma_f64 v[2:3], v[134:135], v[118:119], v[2:3]
	scratch_load_b128 v[116:119], off, off offset:208
	s_waitcnt lgkmcnt(0)
	v_fma_f64 v[2:3], v[136:137], v[120:121], v[2:3]
	s_waitcnt vmcnt(4)
	s_delay_alu instid0(VALU_DEP_1)
	v_fma_f64 v[2:3], v[108:109], v[122:123], v[2:3]
	ds_load_2addr_b64 v[120:123], v1 offset0:69 offset1:70
	ds_load_2addr_b64 v[134:137], v1 offset0:71 offset1:72
	s_waitcnt lgkmcnt(1)
	v_fma_f64 v[2:3], v[110:111], v[120:121], v[2:3]
	scratch_load_b128 v[108:111], off, off offset:224
	s_waitcnt vmcnt(4)
	v_fma_f64 v[2:3], v[130:131], v[122:123], v[2:3]
	scratch_load_b128 v[120:123], off, off offset:240
	s_waitcnt lgkmcnt(0)
	v_fma_f64 v[2:3], v[132:133], v[134:135], v[2:3]
	ds_load_2addr_b64 v[128:131], v1 offset0:73 offset1:74
	ds_load_2addr_b64 v[132:135], v1 offset0:75 offset1:76
	s_waitcnt vmcnt(4)
	v_fma_f64 v[2:3], v[112:113], v[136:137], v[2:3]
	s_waitcnt lgkmcnt(1)
	s_delay_alu instid0(VALU_DEP_1) | instskip(SKIP_4) | instid1(VALU_DEP_1)
	v_fma_f64 v[2:3], v[114:115], v[128:129], v[2:3]
	scratch_load_b128 v[112:115], off, off offset:256
	s_waitcnt vmcnt(4)
	v_fma_f64 v[2:3], v[124:125], v[130:131], v[2:3]
	s_waitcnt lgkmcnt(0)
	v_fma_f64 v[2:3], v[126:127], v[132:133], v[2:3]
	scratch_load_b128 v[124:127], off, off offset:272
	s_waitcnt vmcnt(4)
	v_fma_f64 v[2:3], v[116:117], v[134:135], v[2:3]
	ds_load_2addr_b64 v[128:131], v1 offset0:77 offset1:78
	ds_load_2addr_b64 v[132:135], v1 offset0:79 offset1:80
	s_waitcnt lgkmcnt(1)
	v_fma_f64 v[2:3], v[118:119], v[128:129], v[2:3]
	scratch_load_b128 v[116:119], off, off offset:288
	s_waitcnt vmcnt(4)
	v_fma_f64 v[2:3], v[108:109], v[130:131], v[2:3]
	s_waitcnt lgkmcnt(0)
	s_delay_alu instid0(VALU_DEP_1)
	v_fma_f64 v[2:3], v[110:111], v[132:133], v[2:3]
	scratch_load_b128 v[108:111], off, off offset:304
	s_waitcnt vmcnt(4)
	v_fma_f64 v[2:3], v[120:121], v[134:135], v[2:3]
	ds_load_2addr_b64 v[128:131], v1 offset0:81 offset1:82
	ds_load_2addr_b64 v[132:135], v1 offset0:83 offset1:84
	s_waitcnt lgkmcnt(1)
	v_fma_f64 v[2:3], v[122:123], v[128:129], v[2:3]
	scratch_load_b128 v[120:123], off, off offset:320
	s_waitcnt vmcnt(4)
	v_fma_f64 v[2:3], v[112:113], v[130:131], v[2:3]
	s_waitcnt lgkmcnt(0)
	s_delay_alu instid0(VALU_DEP_1)
	;; [unrolled: 13-line block ×4, first 2 shown]
	v_fma_f64 v[2:3], v[122:123], v[132:133], v[2:3]
	ds_load_2addr_b64 v[120:123], v1 offset0:93 offset1:94
	ds_load_2addr_b64 v[128:131], v1 offset0:95 offset1:96
	s_waitcnt vmcnt(3)
	v_fma_f64 v[2:3], v[112:113], v[134:135], v[2:3]
	s_waitcnt lgkmcnt(1)
	s_delay_alu instid0(VALU_DEP_1) | instskip(SKIP_1) | instid1(VALU_DEP_1)
	v_fma_f64 v[2:3], v[114:115], v[120:121], v[2:3]
	s_waitcnt vmcnt(2)
	v_fma_f64 v[2:3], v[124:125], v[122:123], v[2:3]
	s_waitcnt lgkmcnt(0)
	s_delay_alu instid0(VALU_DEP_1) | instskip(SKIP_1) | instid1(VALU_DEP_1)
	v_fma_f64 v[2:3], v[126:127], v[128:129], v[2:3]
	s_waitcnt vmcnt(1)
	v_fma_f64 v[2:3], v[116:117], v[130:131], v[2:3]
	ds_load_2addr_b64 v[112:115], v1 offset0:97 offset1:98
	ds_load_b64 v[116:117], v1 offset:792
	s_waitcnt lgkmcnt(1)
	v_fma_f64 v[2:3], v[118:119], v[112:113], v[2:3]
	s_waitcnt vmcnt(0)
	s_delay_alu instid0(VALU_DEP_1) | instskip(SKIP_1) | instid1(VALU_DEP_1)
	v_fma_f64 v[2:3], v[108:109], v[114:115], v[2:3]
	s_waitcnt lgkmcnt(0)
	v_fma_f64 v[2:3], v[110:111], v[116:117], v[2:3]
	s_delay_alu instid0(VALU_DEP_1)
	v_add_f64 v[2:3], v[106:107], -v[2:3]
	scratch_store_b64 off, v[2:3], off offset:48
	v_cmpx_lt_u32_e32 5, v0
	s_cbranch_execz .LBB113_299
; %bb.298:
	scratch_load_b64 v[3:4], off, off offset:40
	v_mov_b32_e32 v2, v1
	scratch_store_b64 off, v[1:2], off offset:40
	s_waitcnt vmcnt(0)
	ds_store_b64 v5, v[3:4]
.LBB113_299:
	s_or_b32 exec_lo, exec_lo, s0
	s_waitcnt lgkmcnt(0)
	s_waitcnt_vscnt null, 0x0
	s_barrier
	buffer_gl0_inv
	s_clause 0x4
	scratch_load_b128 v[106:109], off, off offset:40
	scratch_load_b128 v[110:113], off, off offset:56
	scratch_load_b128 v[114:117], off, off offset:72
	scratch_load_b128 v[118:121], off, off offset:88
	scratch_load_b128 v[122:125], off, off offset:104
	ds_load_b128 v[126:129], v1 offset:448
	ds_load_b128 v[130:133], v1 offset:464
	scratch_load_b128 v[134:137], off, off offset:120
	s_mov_b32 s0, exec_lo
	s_waitcnt vmcnt(5) lgkmcnt(1)
	v_fma_f64 v[2:3], v[108:109], v[126:127], 0
	s_waitcnt vmcnt(4)
	s_delay_alu instid0(VALU_DEP_1) | instskip(SKIP_4) | instid1(VALU_DEP_1)
	v_fma_f64 v[2:3], v[110:111], v[128:129], v[2:3]
	scratch_load_b128 v[108:111], off, off offset:136
	s_waitcnt lgkmcnt(0)
	v_fma_f64 v[2:3], v[112:113], v[130:131], v[2:3]
	s_waitcnt vmcnt(4)
	v_fma_f64 v[2:3], v[114:115], v[132:133], v[2:3]
	ds_load_b128 v[112:115], v1 offset:480
	ds_load_b128 v[126:129], v1 offset:496
	scratch_load_b128 v[130:133], off, off offset:152
	s_waitcnt lgkmcnt(1)
	v_fma_f64 v[2:3], v[116:117], v[112:113], v[2:3]
	s_waitcnt vmcnt(4)
	s_delay_alu instid0(VALU_DEP_1) | instskip(SKIP_4) | instid1(VALU_DEP_1)
	v_fma_f64 v[2:3], v[118:119], v[114:115], v[2:3]
	scratch_load_b128 v[112:115], off, off offset:168
	s_waitcnt lgkmcnt(0)
	v_fma_f64 v[2:3], v[120:121], v[126:127], v[2:3]
	s_waitcnt vmcnt(4)
	v_fma_f64 v[2:3], v[122:123], v[128:129], v[2:3]
	ds_load_b128 v[116:119], v1 offset:512
	ds_load_b128 v[120:123], v1 offset:528
	s_waitcnt lgkmcnt(1)
	v_fma_f64 v[2:3], v[124:125], v[116:117], v[2:3]
	scratch_load_b128 v[124:127], off, off offset:184
	s_waitcnt vmcnt(4)
	v_fma_f64 v[2:3], v[134:135], v[118:119], v[2:3]
	scratch_load_b128 v[116:119], off, off offset:200
	s_waitcnt lgkmcnt(0)
	v_fma_f64 v[2:3], v[136:137], v[120:121], v[2:3]
	s_waitcnt vmcnt(4)
	s_delay_alu instid0(VALU_DEP_1)
	v_fma_f64 v[2:3], v[108:109], v[122:123], v[2:3]
	ds_load_b128 v[120:123], v1 offset:544
	ds_load_b128 v[134:137], v1 offset:560
	s_waitcnt lgkmcnt(1)
	v_fma_f64 v[2:3], v[110:111], v[120:121], v[2:3]
	scratch_load_b128 v[108:111], off, off offset:216
	s_waitcnt vmcnt(4)
	v_fma_f64 v[2:3], v[130:131], v[122:123], v[2:3]
	scratch_load_b128 v[120:123], off, off offset:232
	s_waitcnt lgkmcnt(0)
	v_fma_f64 v[2:3], v[132:133], v[134:135], v[2:3]
	ds_load_b128 v[128:131], v1 offset:576
	ds_load_b128 v[132:135], v1 offset:592
	s_waitcnt vmcnt(4)
	v_fma_f64 v[2:3], v[112:113], v[136:137], v[2:3]
	s_waitcnt lgkmcnt(1)
	s_delay_alu instid0(VALU_DEP_1) | instskip(SKIP_4) | instid1(VALU_DEP_1)
	v_fma_f64 v[2:3], v[114:115], v[128:129], v[2:3]
	scratch_load_b128 v[112:115], off, off offset:248
	s_waitcnt vmcnt(4)
	v_fma_f64 v[2:3], v[124:125], v[130:131], v[2:3]
	s_waitcnt lgkmcnt(0)
	v_fma_f64 v[2:3], v[126:127], v[132:133], v[2:3]
	scratch_load_b128 v[124:127], off, off offset:264
	s_waitcnt vmcnt(4)
	v_fma_f64 v[2:3], v[116:117], v[134:135], v[2:3]
	ds_load_b128 v[128:131], v1 offset:608
	ds_load_b128 v[132:135], v1 offset:624
	s_waitcnt lgkmcnt(1)
	v_fma_f64 v[2:3], v[118:119], v[128:129], v[2:3]
	scratch_load_b128 v[116:119], off, off offset:280
	s_waitcnt vmcnt(4)
	v_fma_f64 v[2:3], v[108:109], v[130:131], v[2:3]
	s_waitcnt lgkmcnt(0)
	s_delay_alu instid0(VALU_DEP_1)
	v_fma_f64 v[2:3], v[110:111], v[132:133], v[2:3]
	scratch_load_b128 v[108:111], off, off offset:296
	s_waitcnt vmcnt(4)
	v_fma_f64 v[2:3], v[120:121], v[134:135], v[2:3]
	ds_load_b128 v[128:131], v1 offset:640
	ds_load_b128 v[132:135], v1 offset:656
	s_waitcnt lgkmcnt(1)
	v_fma_f64 v[2:3], v[122:123], v[128:129], v[2:3]
	scratch_load_b128 v[120:123], off, off offset:312
	s_waitcnt vmcnt(4)
	v_fma_f64 v[2:3], v[112:113], v[130:131], v[2:3]
	s_waitcnt lgkmcnt(0)
	s_delay_alu instid0(VALU_DEP_1)
	;; [unrolled: 13-line block ×4, first 2 shown]
	v_fma_f64 v[2:3], v[122:123], v[132:133], v[2:3]
	scratch_load_b64 v[132:133], off, off offset:392
	ds_load_b128 v[120:123], v1 offset:736
	ds_load_b128 v[128:131], v1 offset:752
	s_waitcnt vmcnt(4)
	v_fma_f64 v[2:3], v[112:113], v[134:135], v[2:3]
	s_waitcnt lgkmcnt(1)
	s_delay_alu instid0(VALU_DEP_1) | instskip(SKIP_1) | instid1(VALU_DEP_1)
	v_fma_f64 v[2:3], v[114:115], v[120:121], v[2:3]
	s_waitcnt vmcnt(3)
	v_fma_f64 v[2:3], v[124:125], v[122:123], v[2:3]
	s_waitcnt lgkmcnt(0)
	s_delay_alu instid0(VALU_DEP_1) | instskip(SKIP_1) | instid1(VALU_DEP_1)
	v_fma_f64 v[2:3], v[126:127], v[128:129], v[2:3]
	s_waitcnt vmcnt(2)
	v_fma_f64 v[116:117], v[116:117], v[130:131], v[2:3]
	ds_load_b128 v[112:115], v1 offset:768
	ds_load_b128 v[1:4], v1 offset:784
	s_waitcnt lgkmcnt(1)
	v_fma_f64 v[112:113], v[118:119], v[112:113], v[116:117]
	s_waitcnt vmcnt(1)
	s_delay_alu instid0(VALU_DEP_1) | instskip(SKIP_1) | instid1(VALU_DEP_1)
	v_fma_f64 v[108:109], v[108:109], v[114:115], v[112:113]
	s_waitcnt lgkmcnt(0)
	v_fma_f64 v[1:2], v[110:111], v[1:2], v[108:109]
	s_waitcnt vmcnt(0)
	s_delay_alu instid0(VALU_DEP_1) | instskip(NEXT) | instid1(VALU_DEP_1)
	v_fma_f64 v[1:2], v[132:133], v[3:4], v[1:2]
	v_add_f64 v[1:2], v[106:107], -v[1:2]
	scratch_store_b64 off, v[1:2], off offset:40
	v_cmpx_lt_u32_e32 4, v0
	s_cbranch_execz .LBB113_301
; %bb.300:
	scratch_load_b64 v[1:2], off, off offset:32
	v_mov_b32_e32 v3, 0
	s_delay_alu instid0(VALU_DEP_1)
	v_mov_b32_e32 v4, v3
	scratch_store_b64 off, v[3:4], off offset:32
	s_waitcnt vmcnt(0)
	ds_store_b64 v5, v[1:2]
.LBB113_301:
	s_or_b32 exec_lo, exec_lo, s0
	s_waitcnt lgkmcnt(0)
	s_waitcnt_vscnt null, 0x0
	s_barrier
	buffer_gl0_inv
	s_clause 0x4
	scratch_load_b128 v[1:4], off, off offset:32
	scratch_load_b128 v[107:110], off, off offset:48
	;; [unrolled: 1-line block ×5, first 2 shown]
	v_mov_b32_e32 v106, 0
	ds_load_2addr_b64 v[123:126], v106 offset0:55 offset1:56
	ds_load_2addr_b64 v[127:130], v106 offset0:57 offset1:58
	scratch_load_b128 v[131:134], off, off offset:112
	s_mov_b32 s0, exec_lo
	s_waitcnt vmcnt(5) lgkmcnt(1)
	v_fma_f64 v[3:4], v[3:4], v[123:124], 0
	s_waitcnt vmcnt(4)
	s_delay_alu instid0(VALU_DEP_1) | instskip(SKIP_1) | instid1(VALU_DEP_1)
	v_fma_f64 v[3:4], v[107:108], v[125:126], v[3:4]
	s_waitcnt lgkmcnt(0)
	v_fma_f64 v[3:4], v[109:110], v[127:128], v[3:4]
	scratch_load_b128 v[107:110], off, off offset:128
	s_waitcnt vmcnt(4)
	v_fma_f64 v[3:4], v[111:112], v[129:130], v[3:4]
	ds_load_2addr_b64 v[123:126], v106 offset0:59 offset1:60
	ds_load_2addr_b64 v[127:130], v106 offset0:61 offset1:62
	s_waitcnt lgkmcnt(1)
	v_fma_f64 v[3:4], v[113:114], v[123:124], v[3:4]
	scratch_load_b128 v[111:114], off, off offset:144
	s_waitcnt vmcnt(4)
	v_fma_f64 v[3:4], v[115:116], v[125:126], v[3:4]
	s_waitcnt lgkmcnt(0)
	s_delay_alu instid0(VALU_DEP_1)
	v_fma_f64 v[3:4], v[117:118], v[127:128], v[3:4]
	scratch_load_b128 v[115:118], off, off offset:160
	s_waitcnt vmcnt(4)
	v_fma_f64 v[3:4], v[119:120], v[129:130], v[3:4]
	ds_load_2addr_b64 v[123:126], v106 offset0:63 offset1:64
	ds_load_2addr_b64 v[127:130], v106 offset0:65 offset1:66
	s_waitcnt lgkmcnt(1)
	v_fma_f64 v[3:4], v[121:122], v[123:124], v[3:4]
	scratch_load_b128 v[119:122], off, off offset:176
	s_waitcnt vmcnt(4)
	v_fma_f64 v[3:4], v[131:132], v[125:126], v[3:4]
	scratch_load_b128 v[123:126], off, off offset:192
	s_waitcnt lgkmcnt(0)
	v_fma_f64 v[3:4], v[133:134], v[127:128], v[3:4]
	s_waitcnt vmcnt(4)
	s_delay_alu instid0(VALU_DEP_1)
	v_fma_f64 v[3:4], v[107:108], v[129:130], v[3:4]
	ds_load_2addr_b64 v[127:130], v106 offset0:67 offset1:68
	ds_load_2addr_b64 v[131:134], v106 offset0:69 offset1:70
	s_waitcnt lgkmcnt(1)
	v_fma_f64 v[3:4], v[109:110], v[127:128], v[3:4]
	scratch_load_b128 v[107:110], off, off offset:208
	s_waitcnt vmcnt(4)
	v_fma_f64 v[3:4], v[111:112], v[129:130], v[3:4]
	s_waitcnt lgkmcnt(0)
	s_delay_alu instid0(VALU_DEP_1)
	v_fma_f64 v[3:4], v[113:114], v[131:132], v[3:4]
	scratch_load_b128 v[111:114], off, off offset:224
	s_waitcnt vmcnt(4)
	v_fma_f64 v[3:4], v[115:116], v[133:134], v[3:4]
	ds_load_2addr_b64 v[127:130], v106 offset0:71 offset1:72
	ds_load_2addr_b64 v[131:134], v106 offset0:73 offset1:74
	s_waitcnt lgkmcnt(1)
	v_fma_f64 v[3:4], v[117:118], v[127:128], v[3:4]
	scratch_load_b128 v[115:118], off, off offset:240
	s_waitcnt vmcnt(4)
	v_fma_f64 v[3:4], v[119:120], v[129:130], v[3:4]
	s_waitcnt lgkmcnt(0)
	s_delay_alu instid0(VALU_DEP_1)
	v_fma_f64 v[3:4], v[121:122], v[131:132], v[3:4]
	scratch_load_b128 v[119:122], off, off offset:256
	s_waitcnt vmcnt(4)
	;; [unrolled: 13-line block ×6, first 2 shown]
	v_fma_f64 v[3:4], v[115:116], v[133:134], v[3:4]
	ds_load_2addr_b64 v[127:130], v106 offset0:91 offset1:92
	ds_load_2addr_b64 v[131:134], v106 offset0:93 offset1:94
	s_waitcnt lgkmcnt(1)
	v_fma_f64 v[3:4], v[117:118], v[127:128], v[3:4]
	s_waitcnt vmcnt(3)
	s_delay_alu instid0(VALU_DEP_1) | instskip(SKIP_1) | instid1(VALU_DEP_1)
	v_fma_f64 v[3:4], v[119:120], v[129:130], v[3:4]
	s_waitcnt lgkmcnt(0)
	v_fma_f64 v[3:4], v[121:122], v[131:132], v[3:4]
	ds_load_2addr_b64 v[115:118], v106 offset0:95 offset1:96
	ds_load_2addr_b64 v[119:122], v106 offset0:97 offset1:98
	s_waitcnt vmcnt(2)
	v_fma_f64 v[3:4], v[123:124], v[133:134], v[3:4]
	s_waitcnt lgkmcnt(1)
	s_delay_alu instid0(VALU_DEP_1) | instskip(SKIP_1) | instid1(VALU_DEP_1)
	v_fma_f64 v[3:4], v[125:126], v[115:116], v[3:4]
	s_waitcnt vmcnt(1)
	v_fma_f64 v[3:4], v[107:108], v[117:118], v[3:4]
	ds_load_b64 v[107:108], v106 offset:792
	s_waitcnt lgkmcnt(1)
	v_fma_f64 v[3:4], v[109:110], v[119:120], v[3:4]
	s_waitcnt vmcnt(0)
	s_delay_alu instid0(VALU_DEP_1) | instskip(SKIP_1) | instid1(VALU_DEP_1)
	v_fma_f64 v[3:4], v[111:112], v[121:122], v[3:4]
	s_waitcnt lgkmcnt(0)
	v_fma_f64 v[3:4], v[113:114], v[107:108], v[3:4]
	s_delay_alu instid0(VALU_DEP_1)
	v_add_f64 v[1:2], v[1:2], -v[3:4]
	scratch_store_b64 off, v[1:2], off offset:32
	v_cmpx_lt_u32_e32 3, v0
	s_cbranch_execz .LBB113_303
; %bb.302:
	scratch_load_b64 v[1:2], off, off offset:24
	v_mov_b32_e32 v107, v106
	scratch_store_b64 off, v[106:107], off offset:24
	s_waitcnt vmcnt(0)
	ds_store_b64 v5, v[1:2]
.LBB113_303:
	s_or_b32 exec_lo, exec_lo, s0
	s_waitcnt lgkmcnt(0)
	s_waitcnt_vscnt null, 0x0
	s_barrier
	buffer_gl0_inv
	s_clause 0x4
	scratch_load_b128 v[1:4], off, off offset:24
	scratch_load_b128 v[107:110], off, off offset:40
	scratch_load_b128 v[111:114], off, off offset:56
	scratch_load_b128 v[115:118], off, off offset:72
	scratch_load_b128 v[119:122], off, off offset:88
	ds_load_b128 v[123:126], v106 offset:432
	ds_load_b128 v[127:130], v106 offset:448
	scratch_load_b128 v[131:134], off, off offset:104
	s_mov_b32 s0, exec_lo
	s_waitcnt vmcnt(5) lgkmcnt(1)
	v_fma_f64 v[3:4], v[3:4], v[123:124], 0
	s_waitcnt vmcnt(4)
	s_delay_alu instid0(VALU_DEP_1) | instskip(SKIP_1) | instid1(VALU_DEP_1)
	v_fma_f64 v[3:4], v[107:108], v[125:126], v[3:4]
	s_waitcnt lgkmcnt(0)
	v_fma_f64 v[3:4], v[109:110], v[127:128], v[3:4]
	scratch_load_b128 v[107:110], off, off offset:120
	s_waitcnt vmcnt(4)
	v_fma_f64 v[3:4], v[111:112], v[129:130], v[3:4]
	ds_load_b128 v[123:126], v106 offset:464
	ds_load_b128 v[127:130], v106 offset:480
	s_waitcnt lgkmcnt(1)
	v_fma_f64 v[3:4], v[113:114], v[123:124], v[3:4]
	scratch_load_b128 v[111:114], off, off offset:136
	s_waitcnt vmcnt(4)
	v_fma_f64 v[3:4], v[115:116], v[125:126], v[3:4]
	s_waitcnt lgkmcnt(0)
	s_delay_alu instid0(VALU_DEP_1)
	v_fma_f64 v[3:4], v[117:118], v[127:128], v[3:4]
	scratch_load_b128 v[115:118], off, off offset:152
	s_waitcnt vmcnt(4)
	v_fma_f64 v[3:4], v[119:120], v[129:130], v[3:4]
	ds_load_b128 v[123:126], v106 offset:496
	ds_load_b128 v[127:130], v106 offset:512
	s_waitcnt lgkmcnt(1)
	v_fma_f64 v[3:4], v[121:122], v[123:124], v[3:4]
	scratch_load_b128 v[119:122], off, off offset:168
	s_waitcnt vmcnt(4)
	v_fma_f64 v[3:4], v[131:132], v[125:126], v[3:4]
	scratch_load_b128 v[123:126], off, off offset:184
	s_waitcnt lgkmcnt(0)
	v_fma_f64 v[3:4], v[133:134], v[127:128], v[3:4]
	s_waitcnt vmcnt(4)
	s_delay_alu instid0(VALU_DEP_1)
	v_fma_f64 v[3:4], v[107:108], v[129:130], v[3:4]
	ds_load_b128 v[127:130], v106 offset:528
	ds_load_b128 v[131:134], v106 offset:544
	s_waitcnt lgkmcnt(1)
	v_fma_f64 v[3:4], v[109:110], v[127:128], v[3:4]
	scratch_load_b128 v[107:110], off, off offset:200
	s_waitcnt vmcnt(4)
	v_fma_f64 v[3:4], v[111:112], v[129:130], v[3:4]
	s_waitcnt lgkmcnt(0)
	s_delay_alu instid0(VALU_DEP_1)
	v_fma_f64 v[3:4], v[113:114], v[131:132], v[3:4]
	scratch_load_b128 v[111:114], off, off offset:216
	s_waitcnt vmcnt(4)
	v_fma_f64 v[3:4], v[115:116], v[133:134], v[3:4]
	ds_load_b128 v[127:130], v106 offset:560
	ds_load_b128 v[131:134], v106 offset:576
	s_waitcnt lgkmcnt(1)
	v_fma_f64 v[3:4], v[117:118], v[127:128], v[3:4]
	scratch_load_b128 v[115:118], off, off offset:232
	s_waitcnt vmcnt(4)
	v_fma_f64 v[3:4], v[119:120], v[129:130], v[3:4]
	s_waitcnt lgkmcnt(0)
	s_delay_alu instid0(VALU_DEP_1)
	v_fma_f64 v[3:4], v[121:122], v[131:132], v[3:4]
	scratch_load_b128 v[119:122], off, off offset:248
	s_waitcnt vmcnt(4)
	;; [unrolled: 13-line block ×6, first 2 shown]
	v_fma_f64 v[3:4], v[115:116], v[133:134], v[3:4]
	ds_load_b128 v[127:130], v106 offset:720
	ds_load_b128 v[131:134], v106 offset:736
	s_waitcnt lgkmcnt(1)
	v_fma_f64 v[3:4], v[117:118], v[127:128], v[3:4]
	scratch_load_b64 v[127:128], off, off offset:392
	s_waitcnt vmcnt(4)
	v_fma_f64 v[3:4], v[119:120], v[129:130], v[3:4]
	s_waitcnt lgkmcnt(0)
	s_delay_alu instid0(VALU_DEP_1)
	v_fma_f64 v[3:4], v[121:122], v[131:132], v[3:4]
	ds_load_b128 v[115:118], v106 offset:752
	ds_load_b128 v[119:122], v106 offset:768
	s_waitcnt vmcnt(3)
	v_fma_f64 v[3:4], v[123:124], v[133:134], v[3:4]
	s_waitcnt lgkmcnt(1)
	s_delay_alu instid0(VALU_DEP_1) | instskip(SKIP_1) | instid1(VALU_DEP_1)
	v_fma_f64 v[3:4], v[125:126], v[115:116], v[3:4]
	s_waitcnt vmcnt(2)
	v_fma_f64 v[3:4], v[107:108], v[117:118], v[3:4]
	s_waitcnt lgkmcnt(0)
	s_delay_alu instid0(VALU_DEP_1) | instskip(SKIP_4) | instid1(VALU_DEP_1)
	v_fma_f64 v[3:4], v[109:110], v[119:120], v[3:4]
	ds_load_b128 v[106:109], v106 offset:784
	s_waitcnt vmcnt(1)
	v_fma_f64 v[3:4], v[111:112], v[121:122], v[3:4]
	s_waitcnt lgkmcnt(0)
	v_fma_f64 v[3:4], v[113:114], v[106:107], v[3:4]
	s_waitcnt vmcnt(0)
	s_delay_alu instid0(VALU_DEP_1) | instskip(NEXT) | instid1(VALU_DEP_1)
	v_fma_f64 v[3:4], v[127:128], v[108:109], v[3:4]
	v_add_f64 v[1:2], v[1:2], -v[3:4]
	scratch_store_b64 off, v[1:2], off offset:24
	v_cmpx_lt_u32_e32 2, v0
	s_cbranch_execz .LBB113_305
; %bb.304:
	scratch_load_b64 v[1:2], off, off offset:16
	v_mov_b32_e32 v3, 0
	s_delay_alu instid0(VALU_DEP_1)
	v_mov_b32_e32 v4, v3
	scratch_store_b64 off, v[3:4], off offset:16
	s_waitcnt vmcnt(0)
	ds_store_b64 v5, v[1:2]
.LBB113_305:
	s_or_b32 exec_lo, exec_lo, s0
	s_waitcnt lgkmcnt(0)
	s_waitcnt_vscnt null, 0x0
	s_barrier
	buffer_gl0_inv
	s_clause 0x4
	scratch_load_b128 v[1:4], off, off offset:16
	scratch_load_b128 v[107:110], off, off offset:32
	;; [unrolled: 1-line block ×5, first 2 shown]
	v_mov_b32_e32 v106, 0
	ds_load_2addr_b64 v[123:126], v106 offset0:53 offset1:54
	ds_load_2addr_b64 v[127:130], v106 offset0:55 offset1:56
	scratch_load_b128 v[131:134], off, off offset:96
	s_mov_b32 s0, exec_lo
	s_waitcnt vmcnt(5) lgkmcnt(1)
	v_fma_f64 v[3:4], v[3:4], v[123:124], 0
	s_waitcnt vmcnt(4)
	s_delay_alu instid0(VALU_DEP_1) | instskip(SKIP_1) | instid1(VALU_DEP_1)
	v_fma_f64 v[3:4], v[107:108], v[125:126], v[3:4]
	s_waitcnt lgkmcnt(0)
	v_fma_f64 v[3:4], v[109:110], v[127:128], v[3:4]
	scratch_load_b128 v[107:110], off, off offset:112
	s_waitcnt vmcnt(4)
	v_fma_f64 v[3:4], v[111:112], v[129:130], v[3:4]
	ds_load_2addr_b64 v[123:126], v106 offset0:57 offset1:58
	ds_load_2addr_b64 v[127:130], v106 offset0:59 offset1:60
	s_waitcnt lgkmcnt(1)
	v_fma_f64 v[3:4], v[113:114], v[123:124], v[3:4]
	scratch_load_b128 v[111:114], off, off offset:128
	s_waitcnt vmcnt(4)
	v_fma_f64 v[3:4], v[115:116], v[125:126], v[3:4]
	s_waitcnt lgkmcnt(0)
	s_delay_alu instid0(VALU_DEP_1)
	v_fma_f64 v[3:4], v[117:118], v[127:128], v[3:4]
	scratch_load_b128 v[115:118], off, off offset:144
	s_waitcnt vmcnt(4)
	v_fma_f64 v[3:4], v[119:120], v[129:130], v[3:4]
	ds_load_2addr_b64 v[123:126], v106 offset0:61 offset1:62
	ds_load_2addr_b64 v[127:130], v106 offset0:63 offset1:64
	s_waitcnt lgkmcnt(1)
	v_fma_f64 v[3:4], v[121:122], v[123:124], v[3:4]
	scratch_load_b128 v[119:122], off, off offset:160
	s_waitcnt vmcnt(4)
	v_fma_f64 v[3:4], v[131:132], v[125:126], v[3:4]
	scratch_load_b128 v[123:126], off, off offset:176
	s_waitcnt lgkmcnt(0)
	v_fma_f64 v[3:4], v[133:134], v[127:128], v[3:4]
	s_waitcnt vmcnt(4)
	s_delay_alu instid0(VALU_DEP_1)
	v_fma_f64 v[3:4], v[107:108], v[129:130], v[3:4]
	ds_load_2addr_b64 v[127:130], v106 offset0:65 offset1:66
	ds_load_2addr_b64 v[131:134], v106 offset0:67 offset1:68
	s_waitcnt lgkmcnt(1)
	v_fma_f64 v[3:4], v[109:110], v[127:128], v[3:4]
	scratch_load_b128 v[107:110], off, off offset:192
	s_waitcnt vmcnt(4)
	v_fma_f64 v[3:4], v[111:112], v[129:130], v[3:4]
	s_waitcnt lgkmcnt(0)
	s_delay_alu instid0(VALU_DEP_1)
	v_fma_f64 v[3:4], v[113:114], v[131:132], v[3:4]
	scratch_load_b128 v[111:114], off, off offset:208
	s_waitcnt vmcnt(4)
	v_fma_f64 v[3:4], v[115:116], v[133:134], v[3:4]
	ds_load_2addr_b64 v[127:130], v106 offset0:69 offset1:70
	ds_load_2addr_b64 v[131:134], v106 offset0:71 offset1:72
	s_waitcnt lgkmcnt(1)
	v_fma_f64 v[3:4], v[117:118], v[127:128], v[3:4]
	scratch_load_b128 v[115:118], off, off offset:224
	s_waitcnt vmcnt(4)
	v_fma_f64 v[3:4], v[119:120], v[129:130], v[3:4]
	s_waitcnt lgkmcnt(0)
	s_delay_alu instid0(VALU_DEP_1)
	v_fma_f64 v[3:4], v[121:122], v[131:132], v[3:4]
	scratch_load_b128 v[119:122], off, off offset:240
	s_waitcnt vmcnt(4)
	;; [unrolled: 13-line block ×6, first 2 shown]
	v_fma_f64 v[3:4], v[115:116], v[133:134], v[3:4]
	ds_load_2addr_b64 v[127:130], v106 offset0:89 offset1:90
	ds_load_2addr_b64 v[131:134], v106 offset0:91 offset1:92
	s_waitcnt lgkmcnt(1)
	v_fma_f64 v[3:4], v[117:118], v[127:128], v[3:4]
	scratch_load_b128 v[115:118], off, off offset:384
	s_waitcnt vmcnt(4)
	v_fma_f64 v[3:4], v[119:120], v[129:130], v[3:4]
	s_waitcnt lgkmcnt(0)
	s_delay_alu instid0(VALU_DEP_1)
	v_fma_f64 v[3:4], v[121:122], v[131:132], v[3:4]
	ds_load_2addr_b64 v[119:122], v106 offset0:93 offset1:94
	ds_load_2addr_b64 v[127:130], v106 offset0:95 offset1:96
	s_waitcnt vmcnt(3)
	v_fma_f64 v[3:4], v[123:124], v[133:134], v[3:4]
	s_waitcnt lgkmcnt(1)
	s_delay_alu instid0(VALU_DEP_1) | instskip(SKIP_1) | instid1(VALU_DEP_1)
	v_fma_f64 v[3:4], v[125:126], v[119:120], v[3:4]
	s_waitcnt vmcnt(2)
	v_fma_f64 v[3:4], v[107:108], v[121:122], v[3:4]
	s_waitcnt lgkmcnt(0)
	s_delay_alu instid0(VALU_DEP_1) | instskip(SKIP_1) | instid1(VALU_DEP_1)
	v_fma_f64 v[3:4], v[109:110], v[127:128], v[3:4]
	s_waitcnt vmcnt(1)
	v_fma_f64 v[3:4], v[111:112], v[129:130], v[3:4]
	ds_load_2addr_b64 v[107:110], v106 offset0:97 offset1:98
	ds_load_b64 v[111:112], v106 offset:792
	s_waitcnt lgkmcnt(1)
	v_fma_f64 v[3:4], v[113:114], v[107:108], v[3:4]
	s_waitcnt vmcnt(0)
	s_delay_alu instid0(VALU_DEP_1) | instskip(SKIP_1) | instid1(VALU_DEP_1)
	v_fma_f64 v[3:4], v[115:116], v[109:110], v[3:4]
	s_waitcnt lgkmcnt(0)
	v_fma_f64 v[3:4], v[117:118], v[111:112], v[3:4]
	s_delay_alu instid0(VALU_DEP_1)
	v_add_f64 v[1:2], v[1:2], -v[3:4]
	scratch_store_b64 off, v[1:2], off offset:16
	v_cmpx_lt_u32_e32 1, v0
	s_cbranch_execz .LBB113_307
; %bb.306:
	scratch_load_b64 v[1:2], off, off offset:8
	v_mov_b32_e32 v107, v106
	scratch_store_b64 off, v[106:107], off offset:8
	s_waitcnt vmcnt(0)
	ds_store_b64 v5, v[1:2]
.LBB113_307:
	s_or_b32 exec_lo, exec_lo, s0
	s_waitcnt lgkmcnt(0)
	s_waitcnt_vscnt null, 0x0
	s_barrier
	buffer_gl0_inv
	s_clause 0x4
	scratch_load_b128 v[1:4], off, off offset:8
	scratch_load_b128 v[107:110], off, off offset:24
	;; [unrolled: 1-line block ×5, first 2 shown]
	ds_load_b128 v[123:126], v106 offset:416
	ds_load_b128 v[127:130], v106 offset:432
	scratch_load_b128 v[131:134], off, off offset:88
	s_mov_b32 s0, exec_lo
	s_waitcnt vmcnt(5) lgkmcnt(1)
	v_fma_f64 v[3:4], v[3:4], v[123:124], 0
	s_waitcnt vmcnt(4)
	s_delay_alu instid0(VALU_DEP_1) | instskip(SKIP_1) | instid1(VALU_DEP_1)
	v_fma_f64 v[3:4], v[107:108], v[125:126], v[3:4]
	s_waitcnt lgkmcnt(0)
	v_fma_f64 v[3:4], v[109:110], v[127:128], v[3:4]
	scratch_load_b128 v[107:110], off, off offset:104
	s_waitcnt vmcnt(4)
	v_fma_f64 v[3:4], v[111:112], v[129:130], v[3:4]
	ds_load_b128 v[123:126], v106 offset:448
	ds_load_b128 v[127:130], v106 offset:464
	s_waitcnt lgkmcnt(1)
	v_fma_f64 v[3:4], v[113:114], v[123:124], v[3:4]
	scratch_load_b128 v[111:114], off, off offset:120
	s_waitcnt vmcnt(4)
	v_fma_f64 v[3:4], v[115:116], v[125:126], v[3:4]
	s_waitcnt lgkmcnt(0)
	s_delay_alu instid0(VALU_DEP_1)
	v_fma_f64 v[3:4], v[117:118], v[127:128], v[3:4]
	scratch_load_b128 v[115:118], off, off offset:136
	s_waitcnt vmcnt(4)
	v_fma_f64 v[3:4], v[119:120], v[129:130], v[3:4]
	ds_load_b128 v[123:126], v106 offset:480
	ds_load_b128 v[127:130], v106 offset:496
	s_waitcnt lgkmcnt(1)
	v_fma_f64 v[3:4], v[121:122], v[123:124], v[3:4]
	scratch_load_b128 v[119:122], off, off offset:152
	s_waitcnt vmcnt(4)
	v_fma_f64 v[3:4], v[131:132], v[125:126], v[3:4]
	scratch_load_b128 v[123:126], off, off offset:168
	s_waitcnt lgkmcnt(0)
	v_fma_f64 v[3:4], v[133:134], v[127:128], v[3:4]
	s_waitcnt vmcnt(4)
	s_delay_alu instid0(VALU_DEP_1)
	v_fma_f64 v[3:4], v[107:108], v[129:130], v[3:4]
	ds_load_b128 v[127:130], v106 offset:512
	ds_load_b128 v[131:134], v106 offset:528
	s_waitcnt lgkmcnt(1)
	v_fma_f64 v[3:4], v[109:110], v[127:128], v[3:4]
	scratch_load_b128 v[107:110], off, off offset:184
	s_waitcnt vmcnt(4)
	v_fma_f64 v[3:4], v[111:112], v[129:130], v[3:4]
	s_waitcnt lgkmcnt(0)
	s_delay_alu instid0(VALU_DEP_1)
	v_fma_f64 v[3:4], v[113:114], v[131:132], v[3:4]
	scratch_load_b128 v[111:114], off, off offset:200
	s_waitcnt vmcnt(4)
	v_fma_f64 v[3:4], v[115:116], v[133:134], v[3:4]
	ds_load_b128 v[127:130], v106 offset:544
	ds_load_b128 v[131:134], v106 offset:560
	s_waitcnt lgkmcnt(1)
	v_fma_f64 v[3:4], v[117:118], v[127:128], v[3:4]
	scratch_load_b128 v[115:118], off, off offset:216
	s_waitcnt vmcnt(4)
	v_fma_f64 v[3:4], v[119:120], v[129:130], v[3:4]
	s_waitcnt lgkmcnt(0)
	s_delay_alu instid0(VALU_DEP_1)
	v_fma_f64 v[3:4], v[121:122], v[131:132], v[3:4]
	scratch_load_b128 v[119:122], off, off offset:232
	s_waitcnt vmcnt(4)
	;; [unrolled: 13-line block ×6, first 2 shown]
	v_fma_f64 v[3:4], v[115:116], v[133:134], v[3:4]
	ds_load_b128 v[127:130], v106 offset:704
	ds_load_b128 v[131:134], v106 offset:720
	s_waitcnt lgkmcnt(1)
	v_fma_f64 v[3:4], v[117:118], v[127:128], v[3:4]
	scratch_load_b128 v[115:118], off, off offset:376
	s_waitcnt vmcnt(4)
	v_fma_f64 v[3:4], v[119:120], v[129:130], v[3:4]
	s_waitcnt lgkmcnt(0)
	s_delay_alu instid0(VALU_DEP_1)
	v_fma_f64 v[3:4], v[121:122], v[131:132], v[3:4]
	scratch_load_b64 v[131:132], off, off offset:392
	ds_load_b128 v[119:122], v106 offset:736
	ds_load_b128 v[127:130], v106 offset:752
	s_waitcnt vmcnt(4)
	v_fma_f64 v[3:4], v[123:124], v[133:134], v[3:4]
	s_waitcnt lgkmcnt(1)
	s_delay_alu instid0(VALU_DEP_1) | instskip(SKIP_1) | instid1(VALU_DEP_1)
	v_fma_f64 v[3:4], v[125:126], v[119:120], v[3:4]
	s_waitcnt vmcnt(3)
	v_fma_f64 v[3:4], v[107:108], v[121:122], v[3:4]
	s_waitcnt lgkmcnt(0)
	s_delay_alu instid0(VALU_DEP_1)
	v_fma_f64 v[3:4], v[109:110], v[127:128], v[3:4]
	ds_load_b128 v[107:110], v106 offset:768
	ds_load_b128 v[119:122], v106 offset:784
	s_waitcnt vmcnt(2)
	v_fma_f64 v[3:4], v[111:112], v[129:130], v[3:4]
	s_waitcnt lgkmcnt(1)
	s_delay_alu instid0(VALU_DEP_1) | instskip(SKIP_1) | instid1(VALU_DEP_1)
	v_fma_f64 v[3:4], v[113:114], v[107:108], v[3:4]
	s_waitcnt vmcnt(1)
	v_fma_f64 v[3:4], v[115:116], v[109:110], v[3:4]
	s_waitcnt lgkmcnt(0)
	s_delay_alu instid0(VALU_DEP_1) | instskip(SKIP_1) | instid1(VALU_DEP_1)
	v_fma_f64 v[3:4], v[117:118], v[119:120], v[3:4]
	s_waitcnt vmcnt(0)
	v_fma_f64 v[3:4], v[131:132], v[121:122], v[3:4]
	s_delay_alu instid0(VALU_DEP_1)
	v_add_f64 v[1:2], v[1:2], -v[3:4]
	scratch_store_b64 off, v[1:2], off offset:8
	v_cmpx_ne_u32_e32 0, v0
	s_cbranch_execz .LBB113_309
; %bb.308:
	scratch_load_b64 v[0:1], off, off
	v_mov_b32_e32 v2, 0
	s_delay_alu instid0(VALU_DEP_1)
	v_mov_b32_e32 v3, v2
	scratch_store_b64 off, v[2:3], off
	s_waitcnt vmcnt(0)
	ds_store_b64 v5, v[0:1]
.LBB113_309:
	s_or_b32 exec_lo, exec_lo, s0
	s_waitcnt lgkmcnt(0)
	s_waitcnt_vscnt null, 0x0
	s_barrier
	buffer_gl0_inv
	s_clause 0x4
	scratch_load_b128 v[0:3], off, off
	scratch_load_b128 v[106:109], off, off offset:16
	scratch_load_b128 v[110:113], off, off offset:32
	;; [unrolled: 1-line block ×4, first 2 shown]
	v_mov_b32_e32 v130, 0
	ds_load_2addr_b64 v[122:125], v130 offset0:51 offset1:52
	ds_load_2addr_b64 v[126:129], v130 offset0:53 offset1:54
	s_and_b32 vcc_lo, exec_lo, s12
	s_waitcnt vmcnt(4) lgkmcnt(1)
	v_fma_f64 v[122:123], v[2:3], v[122:123], 0
	scratch_load_b128 v[2:5], off, off offset:80
	s_waitcnt vmcnt(4)
	v_fma_f64 v[106:107], v[106:107], v[124:125], v[122:123]
	s_waitcnt lgkmcnt(0)
	s_delay_alu instid0(VALU_DEP_1)
	v_fma_f64 v[122:123], v[108:109], v[126:127], v[106:107]
	scratch_load_b128 v[106:109], off, off offset:96
	s_waitcnt vmcnt(4)
	v_fma_f64 v[110:111], v[110:111], v[128:129], v[122:123]
	ds_load_2addr_b64 v[122:125], v130 offset0:55 offset1:56
	ds_load_2addr_b64 v[126:129], v130 offset0:57 offset1:58
	s_waitcnt lgkmcnt(1)
	v_fma_f64 v[122:123], v[112:113], v[122:123], v[110:111]
	scratch_load_b128 v[110:113], off, off offset:112
	s_waitcnt vmcnt(4)
	v_fma_f64 v[114:115], v[114:115], v[124:125], v[122:123]
	s_waitcnt lgkmcnt(0)
	s_delay_alu instid0(VALU_DEP_1)
	v_fma_f64 v[122:123], v[116:117], v[126:127], v[114:115]
	scratch_load_b128 v[114:117], off, off offset:128
	s_waitcnt vmcnt(4)
	v_fma_f64 v[118:119], v[118:119], v[128:129], v[122:123]
	ds_load_2addr_b64 v[122:125], v130 offset0:59 offset1:60
	ds_load_2addr_b64 v[126:129], v130 offset0:61 offset1:62
	s_waitcnt lgkmcnt(1)
	;; [unrolled: 13-line block ×7, first 2 shown]
	v_fma_f64 v[122:123], v[120:121], v[122:123], v[118:119]
	scratch_load_b128 v[118:121], off, off offset:304
	s_waitcnt vmcnt(4)
	v_fma_f64 v[2:3], v[2:3], v[124:125], v[122:123]
	scratch_load_b128 v[122:125], off, off offset:320
	s_waitcnt lgkmcnt(0)
	v_fma_f64 v[2:3], v[4:5], v[126:127], v[2:3]
	s_waitcnt vmcnt(4)
	s_delay_alu instid0(VALU_DEP_1)
	v_fma_f64 v[106:107], v[106:107], v[128:129], v[2:3]
	ds_load_2addr_b64 v[2:5], v130 offset0:83 offset1:84
	ds_load_2addr_b64 v[126:129], v130 offset0:85 offset1:86
	s_waitcnt lgkmcnt(1)
	v_fma_f64 v[2:3], v[108:109], v[2:3], v[106:107]
	scratch_load_b128 v[106:109], off, off offset:336
	s_waitcnt vmcnt(4)
	v_fma_f64 v[2:3], v[110:111], v[4:5], v[2:3]
	s_waitcnt lgkmcnt(0)
	s_delay_alu instid0(VALU_DEP_1)
	v_fma_f64 v[2:3], v[112:113], v[126:127], v[2:3]
	scratch_load_b128 v[110:113], off, off offset:352
	s_waitcnt vmcnt(4)
	v_fma_f64 v[114:115], v[114:115], v[128:129], v[2:3]
	ds_load_2addr_b64 v[2:5], v130 offset0:87 offset1:88
	ds_load_2addr_b64 v[126:129], v130 offset0:89 offset1:90
	s_waitcnt lgkmcnt(1)
	v_fma_f64 v[2:3], v[116:117], v[2:3], v[114:115]
	scratch_load_b128 v[114:117], off, off offset:368
	s_waitcnt vmcnt(4)
	v_fma_f64 v[2:3], v[118:119], v[4:5], v[2:3]
	s_waitcnt lgkmcnt(0)
	s_delay_alu instid0(VALU_DEP_1)
	v_fma_f64 v[118:119], v[120:121], v[126:127], v[2:3]
	scratch_load_b128 v[2:5], off, off offset:384
	s_waitcnt vmcnt(4)
	v_fma_f64 v[122:123], v[122:123], v[128:129], v[118:119]
	ds_load_2addr_b64 v[118:121], v130 offset0:91 offset1:92
	ds_load_2addr_b64 v[126:129], v130 offset0:93 offset1:94
	s_waitcnt lgkmcnt(1)
	v_fma_f64 v[118:119], v[124:125], v[118:119], v[122:123]
	s_waitcnt vmcnt(3)
	s_delay_alu instid0(VALU_DEP_1) | instskip(SKIP_1) | instid1(VALU_DEP_1)
	v_fma_f64 v[106:107], v[106:107], v[120:121], v[118:119]
	s_waitcnt lgkmcnt(0)
	v_fma_f64 v[106:107], v[108:109], v[126:127], v[106:107]
	s_waitcnt vmcnt(2)
	s_delay_alu instid0(VALU_DEP_1)
	v_fma_f64 v[110:111], v[110:111], v[128:129], v[106:107]
	ds_load_2addr_b64 v[106:109], v130 offset0:95 offset1:96
	ds_load_2addr_b64 v[118:121], v130 offset0:97 offset1:98
	s_waitcnt lgkmcnt(1)
	v_fma_f64 v[106:107], v[112:113], v[106:107], v[110:111]
	s_waitcnt vmcnt(1)
	s_delay_alu instid0(VALU_DEP_1) | instskip(SKIP_4) | instid1(VALU_DEP_1)
	v_fma_f64 v[106:107], v[114:115], v[108:109], v[106:107]
	ds_load_b64 v[108:109], v130 offset:792
	s_waitcnt lgkmcnt(1)
	v_fma_f64 v[106:107], v[116:117], v[118:119], v[106:107]
	s_waitcnt vmcnt(0)
	v_fma_f64 v[106:107], v[2:3], v[120:121], v[106:107]
	s_waitcnt lgkmcnt(0)
	s_delay_alu instid0(VALU_DEP_1) | instskip(NEXT) | instid1(VALU_DEP_1)
	v_fma_f64 v[4:5], v[4:5], v[108:109], v[106:107]
	v_add_f64 v[0:1], v[0:1], -v[4:5]
	scratch_store_b64 off, v[0:1], off
	s_cbranch_vccz .LBB113_409
; %bb.310:
	v_dual_mov_b32 v0, s2 :: v_dual_mov_b32 v1, s3
	s_mov_b32 s0, exec_lo
	flat_load_b32 v0, v[0:1] offset:192
	s_waitcnt vmcnt(0) lgkmcnt(0)
	v_cmpx_ne_u32_e32 49, v0
	s_cbranch_execz .LBB113_312
; %bb.311:
	v_lshl_add_u32 v4, v0, 3, 0
	scratch_load_b64 v[0:1], v4, off offset:-8
	s_waitcnt vmcnt(0)
	scratch_store_b64 off, v[0:1], off offset:384
	scratch_store_b64 v4, v[2:3], off offset:-8
.LBB113_312:
	s_or_b32 exec_lo, exec_lo, s0
	v_dual_mov_b32 v0, s2 :: v_dual_mov_b32 v1, s3
	s_mov_b32 s0, exec_lo
	flat_load_b32 v0, v[0:1] offset:188
	s_waitcnt vmcnt(0) lgkmcnt(0)
	v_cmpx_ne_u32_e32 48, v0
	s_cbranch_execz .LBB113_314
; %bb.313:
	v_lshl_add_u32 v4, v0, 3, 0
	scratch_load_b64 v[0:1], v4, off offset:-8
	scratch_load_b64 v[2:3], off, off offset:376
	s_waitcnt vmcnt(1)
	scratch_store_b64 off, v[0:1], off offset:376
	s_waitcnt vmcnt(0)
	scratch_store_b64 v4, v[2:3], off offset:-8
.LBB113_314:
	s_or_b32 exec_lo, exec_lo, s0
	v_dual_mov_b32 v0, s2 :: v_dual_mov_b32 v1, s3
	s_mov_b32 s0, exec_lo
	flat_load_b32 v0, v[0:1] offset:184
	s_waitcnt vmcnt(0) lgkmcnt(0)
	v_cmpx_ne_u32_e32 47, v0
	s_cbranch_execz .LBB113_316
; %bb.315:
	v_lshl_add_u32 v4, v0, 3, 0
	scratch_load_b64 v[0:1], v4, off offset:-8
	scratch_load_b64 v[2:3], off, off offset:368
	s_waitcnt vmcnt(1)
	scratch_store_b64 off, v[0:1], off offset:368
	s_waitcnt vmcnt(0)
	scratch_store_b64 v4, v[2:3], off offset:-8
.LBB113_316:
	;; [unrolled: 16-line block ×47, first 2 shown]
	s_or_b32 exec_lo, exec_lo, s0
	v_dual_mov_b32 v0, s2 :: v_dual_mov_b32 v1, s3
	s_mov_b32 s0, exec_lo
	flat_load_b32 v2, v[0:1]
	scratch_load_b64 v[0:1], off, off
	s_waitcnt vmcnt(1) lgkmcnt(0)
	v_cmpx_ne_u32_e32 1, v2
	s_cbranch_execz .LBB113_408
; %bb.407:
	v_lshl_add_u32 v4, v2, 3, 0
	scratch_load_b64 v[2:3], v4, off offset:-8
	s_waitcnt vmcnt(0)
	scratch_store_b64 off, v[2:3], off
	scratch_store_b64 v4, v[0:1], off offset:-8
	scratch_load_b64 v[0:1], off, off
.LBB113_408:
	s_or_b32 exec_lo, exec_lo, s0
.LBB113_409:
	s_clause 0x8
	scratch_load_b128 v[2:5], off, off offset:8
	scratch_load_b128 v[106:109], off, off offset:24
	;; [unrolled: 1-line block ×9, first 2 shown]
	s_waitcnt vmcnt(9)
	global_store_b64 v[40:41], v[0:1], off
	s_clause 0x2
	scratch_load_b128 v[138:141], off, off offset:152
	scratch_load_b128 v[142:145], off, off offset:184
	scratch_load_b128 v[146:149], off, off offset:232
	s_waitcnt vmcnt(11)
	s_clause 0x1
	global_store_b64 v[36:37], v[2:3], off
	global_store_b64 v[32:33], v[4:5], off
	s_waitcnt vmcnt(10)
	global_store_b64 v[34:35], v[106:107], off
	scratch_load_b128 v[32:35], off, off offset:200
	global_store_b64 v[30:31], v[108:109], off
	s_waitcnt vmcnt(10)
	s_clause 0x1
	global_store_b64 v[24:25], v[110:111], off
	global_store_b64 v[28:29], v[112:113], off
	s_waitcnt vmcnt(9)
	s_clause 0x1
	global_store_b64 v[26:27], v[114:115], off
	;; [unrolled: 4-line block ×5, first 2 shown]
	global_store_b64 v[12:13], v[128:129], off
	s_clause 0xb
	scratch_load_b128 v[0:3], off, off offset:168
	scratch_load_b128 v[106:109], off, off offset:216
	;; [unrolled: 1-line block ×11, first 2 shown]
	scratch_load_b64 v[4:5], off, off offset:392
	s_waitcnt vmcnt(17)
	s_clause 0x1
	global_store_b64 v[6:7], v[130:131], off
	global_store_b64 v[38:39], v[132:133], off
	s_waitcnt vmcnt(16)
	s_clause 0x1
	global_store_b64 v[42:43], v[134:135], off
	global_store_b64 v[44:45], v[136:137], off
	;; [unrolled: 4-line block ×4, first 2 shown]
	global_store_b64 v[54:55], v[142:143], off
	global_store_b64 v[56:57], v[144:145], off
	;; [unrolled: 1-line block ×4, first 2 shown]
	s_waitcnt vmcnt(10)
	s_clause 0x3
	global_store_b64 v[62:63], v[106:107], off
	global_store_b64 v[64:65], v[108:109], off
	;; [unrolled: 1-line block ×4, first 2 shown]
	s_waitcnt vmcnt(9)
	s_clause 0x1
	global_store_b64 v[70:71], v[28:29], off
	global_store_b64 v[72:73], v[30:31], off
	s_waitcnt vmcnt(8)
	s_clause 0x1
	global_store_b64 v[74:75], v[24:25], off
	global_store_b64 v[76:77], v[26:27], off
	;; [unrolled: 4-line block ×9, first 2 shown]
	s_waitcnt vmcnt(0)
	global_store_b64 v[16:17], v[4:5], off
	s_endpgm
	.section	.rodata,"a",@progbits
	.p2align	6, 0x0
	.amdhsa_kernel _ZN9rocsolver6v33100L18getri_kernel_smallILi50EdPKPdEEvT1_iilPiilS6_bb
		.amdhsa_group_segment_fixed_size 808
		.amdhsa_private_segment_fixed_size 416
		.amdhsa_kernarg_size 60
		.amdhsa_user_sgpr_count 15
		.amdhsa_user_sgpr_dispatch_ptr 0
		.amdhsa_user_sgpr_queue_ptr 0
		.amdhsa_user_sgpr_kernarg_segment_ptr 1
		.amdhsa_user_sgpr_dispatch_id 0
		.amdhsa_user_sgpr_private_segment_size 0
		.amdhsa_wavefront_size32 1
		.amdhsa_uses_dynamic_stack 0
		.amdhsa_enable_private_segment 1
		.amdhsa_system_sgpr_workgroup_id_x 1
		.amdhsa_system_sgpr_workgroup_id_y 0
		.amdhsa_system_sgpr_workgroup_id_z 0
		.amdhsa_system_sgpr_workgroup_info 0
		.amdhsa_system_vgpr_workitem_id 0
		.amdhsa_next_free_vgpr 150
		.amdhsa_next_free_sgpr 17
		.amdhsa_reserve_vcc 1
		.amdhsa_float_round_mode_32 0
		.amdhsa_float_round_mode_16_64 0
		.amdhsa_float_denorm_mode_32 3
		.amdhsa_float_denorm_mode_16_64 3
		.amdhsa_dx10_clamp 1
		.amdhsa_ieee_mode 1
		.amdhsa_fp16_overflow 0
		.amdhsa_workgroup_processor_mode 1
		.amdhsa_memory_ordered 1
		.amdhsa_forward_progress 0
		.amdhsa_shared_vgpr_count 0
		.amdhsa_exception_fp_ieee_invalid_op 0
		.amdhsa_exception_fp_denorm_src 0
		.amdhsa_exception_fp_ieee_div_zero 0
		.amdhsa_exception_fp_ieee_overflow 0
		.amdhsa_exception_fp_ieee_underflow 0
		.amdhsa_exception_fp_ieee_inexact 0
		.amdhsa_exception_int_div_zero 0
	.end_amdhsa_kernel
	.section	.text._ZN9rocsolver6v33100L18getri_kernel_smallILi50EdPKPdEEvT1_iilPiilS6_bb,"axG",@progbits,_ZN9rocsolver6v33100L18getri_kernel_smallILi50EdPKPdEEvT1_iilPiilS6_bb,comdat
.Lfunc_end113:
	.size	_ZN9rocsolver6v33100L18getri_kernel_smallILi50EdPKPdEEvT1_iilPiilS6_bb, .Lfunc_end113-_ZN9rocsolver6v33100L18getri_kernel_smallILi50EdPKPdEEvT1_iilPiilS6_bb
                                        ; -- End function
	.section	.AMDGPU.csdata,"",@progbits
; Kernel info:
; codeLenInByte = 48228
; NumSgprs: 19
; NumVgprs: 150
; ScratchSize: 416
; MemoryBound: 0
; FloatMode: 240
; IeeeMode: 1
; LDSByteSize: 808 bytes/workgroup (compile time only)
; SGPRBlocks: 2
; VGPRBlocks: 18
; NumSGPRsForWavesPerEU: 19
; NumVGPRsForWavesPerEU: 150
; Occupancy: 9
; WaveLimiterHint : 1
; COMPUTE_PGM_RSRC2:SCRATCH_EN: 1
; COMPUTE_PGM_RSRC2:USER_SGPR: 15
; COMPUTE_PGM_RSRC2:TRAP_HANDLER: 0
; COMPUTE_PGM_RSRC2:TGID_X_EN: 1
; COMPUTE_PGM_RSRC2:TGID_Y_EN: 0
; COMPUTE_PGM_RSRC2:TGID_Z_EN: 0
; COMPUTE_PGM_RSRC2:TIDIG_COMP_CNT: 0
	.section	.text._ZN9rocsolver6v33100L18getri_kernel_smallILi51EdPKPdEEvT1_iilPiilS6_bb,"axG",@progbits,_ZN9rocsolver6v33100L18getri_kernel_smallILi51EdPKPdEEvT1_iilPiilS6_bb,comdat
	.globl	_ZN9rocsolver6v33100L18getri_kernel_smallILi51EdPKPdEEvT1_iilPiilS6_bb ; -- Begin function _ZN9rocsolver6v33100L18getri_kernel_smallILi51EdPKPdEEvT1_iilPiilS6_bb
	.p2align	8
	.type	_ZN9rocsolver6v33100L18getri_kernel_smallILi51EdPKPdEEvT1_iilPiilS6_bb,@function
_ZN9rocsolver6v33100L18getri_kernel_smallILi51EdPKPdEEvT1_iilPiilS6_bb: ; @_ZN9rocsolver6v33100L18getri_kernel_smallILi51EdPKPdEEvT1_iilPiilS6_bb
; %bb.0:
	s_mov_b32 s2, exec_lo
	v_cmpx_gt_u32_e32 51, v0
	s_cbranch_execz .LBB114_214
; %bb.1:
	s_clause 0x1
	s_load_b32 s13, s[0:1], 0x38
	s_load_b64 s[2:3], s[0:1], 0x0
	s_mov_b32 s8, s15
	s_load_b128 s[4:7], s[0:1], 0x28
	s_waitcnt lgkmcnt(0)
	s_bitcmp1_b32 s13, 8
	s_cselect_b32 s12, -1, 0
	s_ashr_i32 s9, s15, 31
	s_delay_alu instid0(SALU_CYCLE_1) | instskip(NEXT) | instid1(SALU_CYCLE_1)
	s_lshl_b64 s[10:11], s[8:9], 3
	s_add_u32 s2, s2, s10
	s_addc_u32 s3, s3, s11
	s_load_b64 s[10:11], s[2:3], 0x0
	s_bfe_u32 s2, s13, 0x10008
	s_delay_alu instid0(SALU_CYCLE_1)
	s_cmp_eq_u32 s2, 0
                                        ; implicit-def: $sgpr2_sgpr3
	s_cbranch_scc1 .LBB114_3
; %bb.2:
	s_clause 0x1
	s_load_b32 s2, s[0:1], 0x20
	s_load_b64 s[14:15], s[0:1], 0x18
	s_mul_i32 s3, s8, s5
	s_mul_hi_u32 s5, s8, s4
	s_mul_i32 s16, s9, s4
	s_add_i32 s3, s5, s3
	s_mul_i32 s4, s8, s4
	s_add_i32 s5, s3, s16
	s_delay_alu instid0(SALU_CYCLE_1)
	s_lshl_b64 s[4:5], s[4:5], 2
	s_waitcnt lgkmcnt(0)
	s_ashr_i32 s3, s2, 31
	s_add_u32 s4, s14, s4
	s_addc_u32 s5, s15, s5
	s_lshl_b64 s[2:3], s[2:3], 2
	s_delay_alu instid0(SALU_CYCLE_1)
	s_add_u32 s2, s4, s2
	s_addc_u32 s3, s5, s3
.LBB114_3:
	s_load_b64 s[0:1], s[0:1], 0x8
	v_lshlrev_b32_e32 v3, 3, v0
	s_waitcnt lgkmcnt(0)
	s_ashr_i32 s5, s0, 31
	s_mov_b32 s4, s0
	s_mov_b32 s14, s1
	s_lshl_b64 s[4:5], s[4:5], 3
	v_add3_u32 v1, s1, s1, v0
	s_add_u32 s4, s10, s4
	s_addc_u32 s5, s11, s5
	v_add_co_u32 v24, s0, s4, v3
	s_ashr_i32 s15, s1, 31
	v_add_co_ci_u32_e64 v25, null, s5, 0, s0
	s_lshl_b64 s[10:11], s[14:15], 3
	v_add_nc_u32_e32 v4, s1, v1
	v_add_co_u32 v8, vcc_lo, v24, s10
	s_delay_alu instid0(VALU_DEP_3)
	v_add_co_ci_u32_e32 v9, vcc_lo, s11, v25, vcc_lo
	s_clause 0x1
	global_load_b64 v[42:43], v3, s[4:5]
	global_load_b64 v[44:45], v[8:9], off
	v_add_nc_u32_e32 v6, s1, v4
	v_ashrrev_i32_e32 v2, 31, v1
	v_ashrrev_i32_e32 v5, 31, v4
	s_bitcmp0_b32 s13, 0
	s_delay_alu instid0(VALU_DEP_3) | instskip(NEXT) | instid1(VALU_DEP_3)
	v_add_nc_u32_e32 v10, s1, v6
	v_lshlrev_b64 v[1:2], 3, v[1:2]
	s_delay_alu instid0(VALU_DEP_3) | instskip(SKIP_1) | instid1(VALU_DEP_4)
	v_lshlrev_b64 v[4:5], 3, v[4:5]
	v_ashrrev_i32_e32 v7, 31, v6
	v_add_nc_u32_e32 v12, s1, v10
	v_ashrrev_i32_e32 v11, 31, v10
	v_add_co_u32 v48, vcc_lo, s4, v1
	v_add_co_ci_u32_e32 v49, vcc_lo, s5, v2, vcc_lo
	s_delay_alu instid0(VALU_DEP_4) | instskip(SKIP_3) | instid1(VALU_DEP_4)
	v_add_nc_u32_e32 v14, s1, v12
	v_lshlrev_b64 v[1:2], 3, v[6:7]
	v_add_co_u32 v38, vcc_lo, s4, v4
	v_add_co_ci_u32_e32 v39, vcc_lo, s5, v5, vcc_lo
	v_add_nc_u32_e32 v16, s1, v14
	v_lshlrev_b64 v[4:5], 3, v[10:11]
	v_ashrrev_i32_e32 v13, 31, v12
	v_add_co_u32 v46, vcc_lo, s4, v1
	s_delay_alu instid0(VALU_DEP_4) | instskip(SKIP_3) | instid1(VALU_DEP_4)
	v_add_nc_u32_e32 v18, s1, v16
	v_ashrrev_i32_e32 v15, 31, v14
	v_add_co_ci_u32_e32 v47, vcc_lo, s5, v2, vcc_lo
	v_lshlrev_b64 v[1:2], 3, v[12:13]
	v_add_nc_u32_e32 v20, s1, v18
	v_add_co_u32 v32, vcc_lo, s4, v4
	v_add_co_ci_u32_e32 v33, vcc_lo, s5, v5, vcc_lo
	s_delay_alu instid0(VALU_DEP_3) | instskip(SKIP_3) | instid1(VALU_DEP_4)
	v_add_nc_u32_e32 v22, s1, v20
	v_lshlrev_b64 v[4:5], 3, v[14:15]
	v_ashrrev_i32_e32 v17, 31, v16
	v_add_co_u32 v40, vcc_lo, s4, v1
	v_add_nc_u32_e32 v26, s1, v22
	v_ashrrev_i32_e32 v19, 31, v18
	v_add_co_ci_u32_e32 v41, vcc_lo, s5, v2, vcc_lo
	v_lshlrev_b64 v[1:2], 3, v[16:17]
	s_delay_alu instid0(VALU_DEP_4) | instskip(SKIP_2) | instid1(VALU_DEP_3)
	v_add_nc_u32_e32 v30, s1, v26
	v_add_co_u32 v28, vcc_lo, s4, v4
	v_add_co_ci_u32_e32 v29, vcc_lo, s5, v5, vcc_lo
	v_add_nc_u32_e32 v50, s1, v30
	v_lshlrev_b64 v[4:5], 3, v[18:19]
	v_add_co_u32 v36, vcc_lo, s4, v1
	v_add_co_ci_u32_e32 v37, vcc_lo, s5, v2, vcc_lo
	s_delay_alu instid0(VALU_DEP_4) | instskip(NEXT) | instid1(VALU_DEP_4)
	v_add_nc_u32_e32 v74, s1, v50
	v_add_co_u32 v18, vcc_lo, s4, v4
	v_ashrrev_i32_e32 v21, 31, v20
	s_clause 0x2
	global_load_b64 v[52:53], v[48:49], off
	global_load_b64 v[54:55], v[38:39], off
	;; [unrolled: 1-line block ×3, first 2 shown]
	v_add_nc_u32_e32 v76, s1, v74
	global_load_b64 v[58:59], v[32:33], off
	v_ashrrev_i32_e32 v23, 31, v22
	v_lshlrev_b64 v[1:2], 3, v[20:21]
	v_add_co_ci_u32_e32 v19, vcc_lo, s5, v5, vcc_lo
	v_add_nc_u32_e32 v78, s1, v76
	s_delay_alu instid0(VALU_DEP_4) | instskip(SKIP_2) | instid1(VALU_DEP_4)
	v_lshlrev_b64 v[5:6], 3, v[22:23]
	v_ashrrev_i32_e32 v27, 31, v26
	v_add_co_u32 v34, vcc_lo, s4, v1
	v_add_nc_u32_e32 v84, s1, v78
	v_ashrrev_i32_e32 v31, 31, v30
	v_add_co_ci_u32_e32 v35, vcc_lo, s5, v2, vcc_lo
	v_lshlrev_b64 v[1:2], 3, v[26:27]
	s_delay_alu instid0(VALU_DEP_4)
	v_add_nc_u32_e32 v86, s1, v84
	v_add_co_u32 v20, vcc_lo, s4, v5
	s_clause 0x3
	global_load_b64 v[60:61], v[40:41], off
	global_load_b64 v[62:63], v[28:29], off
	;; [unrolled: 1-line block ×4, first 2 shown]
	v_add_nc_u32_e32 v88, s1, v86
	v_add_co_ci_u32_e32 v21, vcc_lo, s5, v6, vcc_lo
	v_lshlrev_b64 v[5:6], 3, v[30:31]
	v_ashrrev_i32_e32 v51, 31, v50
	s_delay_alu instid0(VALU_DEP_4) | instskip(SKIP_3) | instid1(VALU_DEP_4)
	v_add_nc_u32_e32 v90, s1, v88
	v_add_co_u32 v26, vcc_lo, s4, v1
	v_ashrrev_i32_e32 v75, 31, v74
	v_add_co_ci_u32_e32 v27, vcc_lo, s5, v2, vcc_lo
	v_add_nc_u32_e32 v92, s1, v90
	v_lshlrev_b64 v[1:2], 3, v[50:51]
	v_add_co_u32 v12, vcc_lo, s4, v5
	v_add_co_ci_u32_e32 v13, vcc_lo, s5, v6, vcc_lo
	s_delay_alu instid0(VALU_DEP_4)
	v_add_nc_u32_e32 v94, s1, v92
	v_lshlrev_b64 v[5:6], 3, v[74:75]
	v_ashrrev_i32_e32 v77, 31, v76
	s_clause 0x2
	global_load_b64 v[68:69], v[34:35], off
	global_load_b64 v[70:71], v[20:21], off
	;; [unrolled: 1-line block ×3, first 2 shown]
	v_add_co_u32 v22, vcc_lo, s4, v1
	v_add_nc_u32_e32 v96, s1, v94
	global_load_b64 v[74:75], v[12:13], off
	v_add_co_ci_u32_e32 v23, vcc_lo, s5, v2, vcc_lo
	v_lshlrev_b64 v[1:2], 3, v[76:77]
	v_add_nc_u32_e32 v98, s1, v96
	v_ashrrev_i32_e32 v79, 31, v78
	v_add_co_u32 v14, vcc_lo, s4, v5
	v_add_co_ci_u32_e32 v15, vcc_lo, s5, v6, vcc_lo
	s_delay_alu instid0(VALU_DEP_4) | instskip(NEXT) | instid1(VALU_DEP_4)
	v_add_nc_u32_e32 v100, s1, v98
	v_lshlrev_b64 v[30:31], 3, v[78:79]
	v_add_co_u32 v16, vcc_lo, s4, v1
	v_add_co_ci_u32_e32 v17, vcc_lo, s5, v2, vcc_lo
	s_delay_alu instid0(VALU_DEP_4)
	v_add_nc_u32_e32 v102, s1, v100
	v_ashrrev_i32_e32 v85, 31, v84
	v_ashrrev_i32_e32 v87, 31, v86
	;; [unrolled: 1-line block ×4, first 2 shown]
	v_add_nc_u32_e32 v104, s1, v102
	v_ashrrev_i32_e32 v93, 31, v92
	v_ashrrev_i32_e32 v95, 31, v94
	v_ashrrev_i32_e32 v97, 31, v96
	v_lshlrev_b64 v[50:51], 3, v[90:91]
	v_add_nc_u32_e32 v106, s1, v104
	v_lshlrev_b64 v[92:93], 3, v[92:93]
	v_ashrrev_i32_e32 v99, 31, v98
	v_ashrrev_i32_e32 v101, 31, v100
	;; [unrolled: 1-line block ×3, first 2 shown]
	v_add_nc_u32_e32 v108, s1, v106
	v_ashrrev_i32_e32 v105, 31, v104
	v_ashrrev_i32_e32 v107, 31, v106
	v_lshlrev_b64 v[100:101], 3, v[100:101]
	s_delay_alu instid0(VALU_DEP_4) | instskip(SKIP_1) | instid1(VALU_DEP_2)
	v_add_nc_u32_e32 v110, s1, v108
	v_ashrrev_i32_e32 v109, 31, v108
	v_add_nc_u32_e32 v112, s1, v110
	v_ashrrev_i32_e32 v111, 31, v110
	s_delay_alu instid0(VALU_DEP_2) | instskip(SKIP_1) | instid1(VALU_DEP_2)
	v_add_nc_u32_e32 v114, s1, v112
	v_ashrrev_i32_e32 v113, 31, v112
	v_add_nc_u32_e32 v116, s1, v114
	v_ashrrev_i32_e32 v115, 31, v114
	s_delay_alu instid0(VALU_DEP_2) | instskip(SKIP_1) | instid1(VALU_DEP_2)
	;; [unrolled: 5-line block ×7, first 2 shown]
	v_add_nc_u32_e32 v136, s1, v4
	v_ashrrev_i32_e32 v5, 31, v4
	v_add_nc_u32_e32 v138, s1, v136
	s_delay_alu instid0(VALU_DEP_2) | instskip(SKIP_1) | instid1(VALU_DEP_3)
	v_lshlrev_b64 v[4:5], 3, v[4:5]
	v_ashrrev_i32_e32 v137, 31, v136
	v_add_nc_u32_e32 v140, s1, v138
	v_ashrrev_i32_e32 v139, 31, v138
	s_delay_alu instid0(VALU_DEP_2) | instskip(SKIP_1) | instid1(VALU_DEP_2)
	v_add_nc_u32_e32 v142, s1, v140
	v_ashrrev_i32_e32 v141, 31, v140
	v_add_nc_u32_e32 v144, s1, v142
	v_ashrrev_i32_e32 v143, 31, v142
	s_delay_alu instid0(VALU_DEP_2) | instskip(SKIP_2) | instid1(VALU_DEP_2)
	v_add_nc_u32_e32 v10, s1, v144
	v_ashrrev_i32_e32 v145, 31, v144
	s_mov_b32 s1, -1
	v_ashrrev_i32_e32 v11, 31, v10
	s_delay_alu instid0(VALU_DEP_1) | instskip(NEXT) | instid1(VALU_DEP_1)
	v_lshlrev_b64 v[6:7], 3, v[10:11]
	v_add_co_u32 v6, vcc_lo, s4, v6
	s_delay_alu instid0(VALU_DEP_2) | instskip(SKIP_4) | instid1(VALU_DEP_1)
	v_add_co_ci_u32_e32 v7, vcc_lo, s5, v7, vcc_lo
	v_add_co_u32 v10, vcc_lo, s4, v30
	v_add_co_ci_u32_e32 v11, vcc_lo, s5, v31, vcc_lo
	global_load_b64 v[1:2], v[6:7], off
	v_lshlrev_b64 v[30:31], 3, v[84:85]
	v_add_co_u32 v30, vcc_lo, s4, v30
	s_delay_alu instid0(VALU_DEP_2)
	v_add_co_ci_u32_e32 v31, vcc_lo, s5, v31, vcc_lo
	s_waitcnt vmcnt(13)
	scratch_store_b128 off, v[42:45], off
	s_clause 0x3
	global_load_b64 v[76:77], v[22:23], off
	global_load_b64 v[78:79], v[14:15], off
	;; [unrolled: 1-line block ×4, first 2 shown]
	v_lshlrev_b64 v[42:43], 3, v[86:87]
	v_lshlrev_b64 v[44:45], 3, v[88:89]
	s_waitcnt vmcnt(15)
	scratch_store_b128 off, v[52:55], off offset:16
	s_waitcnt vmcnt(13)
	scratch_store_b128 off, v[56:59], off offset:32
	v_add_co_u32 v42, vcc_lo, s4, v42
	v_add_co_ci_u32_e32 v43, vcc_lo, s5, v43, vcc_lo
	v_add_co_u32 v44, vcc_lo, s4, v44
	v_add_co_ci_u32_e32 v45, vcc_lo, s5, v45, vcc_lo
	;; [unrolled: 2-line block ×3, first 2 shown]
	v_lshlrev_b64 v[54:55], 3, v[94:95]
	v_add_co_u32 v52, vcc_lo, s4, v92
	v_lshlrev_b64 v[56:57], 3, v[96:97]
	s_clause 0x3
	global_load_b64 v[84:85], v[30:31], off
	global_load_b64 v[86:87], v[42:43], off
	;; [unrolled: 1-line block ×4, first 2 shown]
	v_add_co_ci_u32_e32 v53, vcc_lo, s5, v93, vcc_lo
	v_add_co_u32 v54, vcc_lo, s4, v54
	v_lshlrev_b64 v[58:59], 3, v[98:99]
	v_add_co_ci_u32_e32 v55, vcc_lo, s5, v55, vcc_lo
	v_add_co_u32 v56, vcc_lo, s4, v56
	v_add_co_ci_u32_e32 v57, vcc_lo, s5, v57, vcc_lo
	s_delay_alu instid0(VALU_DEP_4)
	v_add_co_u32 v58, vcc_lo, s4, v58
	v_add_co_ci_u32_e32 v59, vcc_lo, s5, v59, vcc_lo
	s_waitcnt vmcnt(15)
	scratch_store_b128 off, v[60:63], off offset:48
	s_waitcnt vmcnt(13)
	scratch_store_b128 off, v[64:67], off offset:64
	v_lshlrev_b64 v[62:63], 3, v[102:103]
	s_clause 0x3
	global_load_b64 v[92:93], v[52:53], off
	global_load_b64 v[94:95], v[54:55], off
	;; [unrolled: 1-line block ×4, first 2 shown]
	v_add_co_u32 v60, vcc_lo, s4, v100
	v_lshlrev_b64 v[64:65], 3, v[104:105]
	v_add_co_ci_u32_e32 v61, vcc_lo, s5, v101, vcc_lo
	v_add_co_u32 v62, vcc_lo, s4, v62
	v_lshlrev_b64 v[66:67], 3, v[106:107]
	v_add_co_ci_u32_e32 v63, vcc_lo, s5, v63, vcc_lo
	v_add_co_u32 v64, vcc_lo, s4, v64
	v_add_co_ci_u32_e32 v65, vcc_lo, s5, v65, vcc_lo
	s_delay_alu instid0(VALU_DEP_4)
	v_add_co_u32 v66, vcc_lo, s4, v66
	s_waitcnt vmcnt(15)
	scratch_store_b128 off, v[68:71], off offset:80
	s_waitcnt vmcnt(13)
	scratch_store_b128 off, v[72:75], off offset:96
	v_lshlrev_b64 v[68:69], 3, v[108:109]
	v_add_co_ci_u32_e32 v67, vcc_lo, s5, v67, vcc_lo
	s_clause 0x3
	global_load_b64 v[100:101], v[60:61], off
	global_load_b64 v[102:103], v[62:63], off
	;; [unrolled: 1-line block ×4, first 2 shown]
	v_lshlrev_b64 v[70:71], 3, v[110:111]
	v_lshlrev_b64 v[72:73], 3, v[112:113]
	v_add_co_u32 v68, vcc_lo, s4, v68
	v_add_co_ci_u32_e32 v69, vcc_lo, s5, v69, vcc_lo
	s_delay_alu instid0(VALU_DEP_4) | instskip(SKIP_4) | instid1(VALU_DEP_4)
	v_add_co_u32 v70, vcc_lo, s4, v70
	v_lshlrev_b64 v[74:75], 3, v[114:115]
	v_add_co_ci_u32_e32 v71, vcc_lo, s5, v71, vcc_lo
	v_add_co_u32 v72, vcc_lo, s4, v72
	v_add_co_ci_u32_e32 v73, vcc_lo, s5, v73, vcc_lo
	v_add_co_u32 v74, vcc_lo, s4, v74
	v_add_co_ci_u32_e32 v75, vcc_lo, s5, v75, vcc_lo
	s_waitcnt vmcnt(14)
	scratch_store_b128 off, v[76:79], off offset:112
	s_waitcnt vmcnt(12)
	scratch_store_b128 off, v[80:83], off offset:128
	s_clause 0x3
	global_load_b64 v[108:109], v[68:69], off
	global_load_b64 v[110:111], v[70:71], off
	;; [unrolled: 1-line block ×4, first 2 shown]
	v_lshlrev_b64 v[76:77], 3, v[116:117]
	v_lshlrev_b64 v[78:79], 3, v[118:119]
	;; [unrolled: 1-line block ×5, first 2 shown]
	s_waitcnt vmcnt(14)
	scratch_store_b128 off, v[84:87], off offset:144
	s_waitcnt vmcnt(12)
	scratch_store_b128 off, v[88:91], off offset:160
	v_add_co_u32 v76, vcc_lo, s4, v76
	v_add_co_ci_u32_e32 v77, vcc_lo, s5, v77, vcc_lo
	v_add_co_u32 v78, vcc_lo, s4, v78
	v_add_co_ci_u32_e32 v79, vcc_lo, s5, v79, vcc_lo
	;; [unrolled: 2-line block ×3, first 2 shown]
	v_add_co_u32 v82, vcc_lo, s4, v82
	v_lshlrev_b64 v[86:87], 3, v[126:127]
	v_add_co_ci_u32_e32 v83, vcc_lo, s5, v83, vcc_lo
	v_add_co_u32 v84, vcc_lo, s4, v122
	v_lshlrev_b64 v[88:89], 3, v[128:129]
	v_add_co_ci_u32_e32 v85, vcc_lo, s5, v123, vcc_lo
	;; [unrolled: 3-line block ×4, first 2 shown]
	s_clause 0x2
	global_load_b64 v[116:117], v[76:77], off
	global_load_b64 v[118:119], v[78:79], off
	;; [unrolled: 1-line block ×3, first 2 shown]
	s_waitcnt vmcnt(13)
	scratch_store_b128 off, v[92:95], off offset:176
	s_waitcnt vmcnt(11)
	scratch_store_b128 off, v[96:99], off offset:192
	v_add_co_u32 v90, vcc_lo, s4, v90
	v_lshlrev_b64 v[94:95], 3, v[134:135]
	v_add_co_ci_u32_e32 v91, vcc_lo, s5, v91, vcc_lo
	v_add_co_u32 v92, vcc_lo, s4, v130
	v_add_co_ci_u32_e32 v93, vcc_lo, s5, v131, vcc_lo
	s_delay_alu instid0(VALU_DEP_4)
	v_add_co_u32 v94, vcc_lo, s4, v94
	v_add_co_ci_u32_e32 v95, vcc_lo, s5, v95, vcc_lo
	v_lshlrev_b64 v[98:99], 3, v[136:137]
	v_add_co_u32 v96, vcc_lo, s4, v4
	v_add_co_ci_u32_e32 v97, vcc_lo, s5, v5, vcc_lo
	v_lshlrev_b64 v[4:5], 3, v[138:139]
	s_clause 0x3
	global_load_b64 v[122:123], v[82:83], off
	global_load_b64 v[124:125], v[84:85], off
	;; [unrolled: 1-line block ×4, first 2 shown]
	s_waitcnt vmcnt(13)
	scratch_store_b128 off, v[100:103], off offset:208
	s_waitcnt vmcnt(11)
	scratch_store_b128 off, v[104:107], off offset:224
	v_add_co_u32 v98, vcc_lo, s4, v98
	v_lshlrev_b64 v[102:103], 3, v[140:141]
	v_add_co_ci_u32_e32 v99, vcc_lo, s5, v99, vcc_lo
	v_add_co_u32 v100, vcc_lo, s4, v4
	v_add_co_ci_u32_e32 v101, vcc_lo, s5, v5, vcc_lo
	v_lshlrev_b64 v[4:5], 3, v[142:143]
	v_add_co_u32 v104, vcc_lo, s4, v102
	v_add_co_ci_u32_e32 v105, vcc_lo, s5, v103, vcc_lo
	v_lshlrev_b64 v[102:103], 3, v[144:145]
	s_delay_alu instid0(VALU_DEP_4)
	v_add_co_u32 v106, vcc_lo, s4, v4
	v_add_co_ci_u32_e32 v107, vcc_lo, s5, v5, vcc_lo
	s_clause 0x3
	global_load_b64 v[130:131], v[90:91], off
	global_load_b64 v[132:133], v[92:93], off
	;; [unrolled: 1-line block ×4, first 2 shown]
	v_add_co_u32 v102, vcc_lo, s4, v102
	v_add_co_ci_u32_e32 v103, vcc_lo, s5, v103, vcc_lo
	s_waitcnt vmcnt(13)
	scratch_store_b128 off, v[108:111], off offset:240
	s_waitcnt vmcnt(11)
	scratch_store_b128 off, v[112:115], off offset:256
	s_clause 0x4
	global_load_b64 v[138:139], v[98:99], off
	global_load_b64 v[108:109], v[100:101], off
	;; [unrolled: 1-line block ×5, first 2 shown]
	s_waitcnt vmcnt(14)
	scratch_store_b128 off, v[116:119], off offset:272
	s_waitcnt vmcnt(12)
	scratch_store_b128 off, v[120:123], off offset:288
	;; [unrolled: 2-line block ×7, first 2 shown]
	s_waitcnt vmcnt(0)
	s_clause 0x1
	scratch_store_b128 off, v[112:115], off offset:384
	scratch_store_b64 off, v[1:2], off offset:400
	s_cbranch_scc1 .LBB114_212
; %bb.4:
	v_cmp_eq_u32_e64 s0, 0, v0
	s_delay_alu instid0(VALU_DEP_1)
	s_and_saveexec_b32 s1, s0
	s_cbranch_execz .LBB114_6
; %bb.5:
	v_mov_b32_e32 v1, 0
	ds_store_b32 v1, v1 offset:408
.LBB114_6:
	s_or_b32 exec_lo, exec_lo, s1
	s_waitcnt lgkmcnt(0)
	s_waitcnt_vscnt null, 0x0
	s_barrier
	buffer_gl0_inv
	scratch_load_b64 v[1:2], v3, off
	s_mov_b32 s4, exec_lo
	s_waitcnt vmcnt(0)
	v_cmpx_eq_f64_e32 0, v[1:2]
	s_cbranch_execz .LBB114_10
; %bb.7:
	v_mov_b32_e32 v1, 0
	s_mov_b32 s5, 0
	ds_load_b32 v2, v1 offset:408
	s_waitcnt lgkmcnt(0)
	v_readfirstlane_b32 s1, v2
	v_add_nc_u32_e32 v2, 1, v0
	s_delay_alu instid0(VALU_DEP_2) | instskip(NEXT) | instid1(VALU_DEP_1)
	s_cmp_eq_u32 s1, 0
	v_cmp_gt_i32_e32 vcc_lo, s1, v2
	s_cselect_b32 s10, -1, 0
	s_delay_alu instid0(SALU_CYCLE_1) | instskip(NEXT) | instid1(SALU_CYCLE_1)
	s_or_b32 s10, s10, vcc_lo
	s_and_b32 exec_lo, exec_lo, s10
	s_cbranch_execz .LBB114_10
; %bb.8:
	v_mov_b32_e32 v4, s1
.LBB114_9:                              ; =>This Inner Loop Header: Depth=1
	ds_cmpstore_rtn_b32 v4, v1, v2, v4 offset:408
	s_waitcnt lgkmcnt(0)
	v_cmp_ne_u32_e32 vcc_lo, 0, v4
	v_cmp_le_i32_e64 s1, v4, v2
	s_delay_alu instid0(VALU_DEP_1) | instskip(NEXT) | instid1(SALU_CYCLE_1)
	s_and_b32 s1, vcc_lo, s1
	s_and_b32 s1, exec_lo, s1
	s_delay_alu instid0(SALU_CYCLE_1) | instskip(NEXT) | instid1(SALU_CYCLE_1)
	s_or_b32 s5, s1, s5
	s_and_not1_b32 exec_lo, exec_lo, s5
	s_cbranch_execnz .LBB114_9
.LBB114_10:
	s_or_b32 exec_lo, exec_lo, s4
	v_mov_b32_e32 v1, 0
	s_barrier
	buffer_gl0_inv
	ds_load_b32 v2, v1 offset:408
	s_and_saveexec_b32 s1, s0
	s_cbranch_execz .LBB114_12
; %bb.11:
	s_lshl_b64 s[4:5], s[8:9], 2
	s_delay_alu instid0(SALU_CYCLE_1)
	s_add_u32 s4, s6, s4
	s_addc_u32 s5, s7, s5
	s_waitcnt lgkmcnt(0)
	global_store_b32 v1, v2, s[4:5]
.LBB114_12:
	s_or_b32 exec_lo, exec_lo, s1
	s_waitcnt lgkmcnt(0)
	v_cmp_ne_u32_e32 vcc_lo, 0, v2
	s_mov_b32 s1, 0
	s_cbranch_vccnz .LBB114_212
; %bb.13:
	v_add_nc_u32_e32 v4, 0, v3
	v_add_nc_u32_e32 v5, 0x1a0, v3
	scratch_load_b64 v[1:2], v4, off
	s_waitcnt vmcnt(0)
	v_div_scale_f64 v[108:109], null, v[1:2], v[1:2], 1.0
	v_div_scale_f64 v[114:115], vcc_lo, 1.0, v[1:2], 1.0
	s_delay_alu instid0(VALU_DEP_2) | instskip(SKIP_2) | instid1(VALU_DEP_1)
	v_rcp_f64_e32 v[110:111], v[108:109]
	s_waitcnt_depctr 0xfff
	v_fma_f64 v[112:113], -v[108:109], v[110:111], 1.0
	v_fma_f64 v[110:111], v[110:111], v[112:113], v[110:111]
	s_delay_alu instid0(VALU_DEP_1) | instskip(NEXT) | instid1(VALU_DEP_1)
	v_fma_f64 v[112:113], -v[108:109], v[110:111], 1.0
	v_fma_f64 v[110:111], v[110:111], v[112:113], v[110:111]
	s_delay_alu instid0(VALU_DEP_1) | instskip(NEXT) | instid1(VALU_DEP_1)
	v_mul_f64 v[112:113], v[114:115], v[110:111]
	v_fma_f64 v[108:109], -v[108:109], v[112:113], v[114:115]
	s_delay_alu instid0(VALU_DEP_1) | instskip(NEXT) | instid1(VALU_DEP_1)
	v_div_fmas_f64 v[108:109], v[108:109], v[110:111], v[112:113]
	v_div_fixup_f64 v[1:2], v[108:109], v[1:2], 1.0
	scratch_store_b64 v4, v[1:2], off
	scratch_load_b64 v[108:109], off, off offset:8
	v_xor_b32_e32 v2, 0x80000000, v2
	s_waitcnt vmcnt(0)
	ds_store_2addr_b64 v3, v[1:2], v[108:109] offset1:52
	s_waitcnt lgkmcnt(0)
	s_waitcnt_vscnt null, 0x0
	s_barrier
	buffer_gl0_inv
	s_and_saveexec_b32 s1, s0
	s_cbranch_execz .LBB114_15
; %bb.14:
	scratch_load_b64 v[1:2], v4, off
	ds_load_b64 v[108:109], v5
	s_waitcnt vmcnt(0) lgkmcnt(0)
	v_fma_f64 v[1:2], v[1:2], v[108:109], 0
	v_mov_b32_e32 v108, 0
	ds_load_b64 v[108:109], v108 offset:8
	s_waitcnt lgkmcnt(0)
	v_mul_f64 v[1:2], v[1:2], v[108:109]
	scratch_store_b64 off, v[1:2], off offset:8
.LBB114_15:
	s_or_b32 exec_lo, exec_lo, s1
	s_waitcnt_vscnt null, 0x0
	s_barrier
	buffer_gl0_inv
	scratch_load_b64 v[1:2], off, off offset:16
	s_mov_b32 s1, exec_lo
	s_waitcnt vmcnt(0)
	ds_store_b64 v5, v[1:2]
	s_waitcnt lgkmcnt(0)
	s_barrier
	buffer_gl0_inv
	v_cmpx_gt_u32_e32 2, v0
	s_cbranch_execz .LBB114_19
; %bb.16:
	scratch_load_b64 v[1:2], v4, off
	ds_load_b64 v[108:109], v5
	s_waitcnt vmcnt(0) lgkmcnt(0)
	v_fma_f64 v[1:2], v[1:2], v[108:109], 0
	s_and_saveexec_b32 s4, s0
	s_cbranch_execz .LBB114_18
; %bb.17:
	scratch_load_b64 v[108:109], off, off offset:8
	v_mov_b32_e32 v110, 0
	ds_load_b64 v[110:111], v110 offset:424
	s_waitcnt vmcnt(0) lgkmcnt(0)
	v_fma_f64 v[1:2], v[108:109], v[110:111], v[1:2]
.LBB114_18:
	s_or_b32 exec_lo, exec_lo, s4
	v_mov_b32_e32 v108, 0
	ds_load_b64 v[108:109], v108 offset:16
	s_waitcnt lgkmcnt(0)
	v_mul_f64 v[1:2], v[1:2], v[108:109]
	scratch_store_b64 off, v[1:2], off offset:16
.LBB114_19:
	s_or_b32 exec_lo, exec_lo, s1
	s_waitcnt_vscnt null, 0x0
	s_barrier
	buffer_gl0_inv
	scratch_load_b64 v[1:2], off, off offset:24
	v_add_nc_u32_e32 v108, -1, v0
	s_mov_b32 s0, exec_lo
	s_waitcnt vmcnt(0)
	ds_store_b64 v5, v[1:2]
	s_waitcnt lgkmcnt(0)
	s_barrier
	buffer_gl0_inv
	v_cmpx_gt_u32_e32 3, v0
	s_cbranch_execz .LBB114_23
; %bb.20:
	v_dual_mov_b32 v1, 0 :: v_dual_add_nc_u32 v110, 0x1a0, v3
	v_dual_mov_b32 v2, 0 :: v_dual_add_nc_u32 v109, -1, v0
	v_add_nc_u32_e32 v111, 0, v3
	s_mov_b32 s1, 0
.LBB114_21:                             ; =>This Inner Loop Header: Depth=1
	scratch_load_b64 v[112:113], v111, off
	ds_load_b64 v[114:115], v110
	v_add_nc_u32_e32 v109, 1, v109
	v_add_nc_u32_e32 v110, 8, v110
	v_add_nc_u32_e32 v111, 8, v111
	s_delay_alu instid0(VALU_DEP_3)
	v_cmp_lt_u32_e32 vcc_lo, 1, v109
	s_or_b32 s1, vcc_lo, s1
	s_waitcnt vmcnt(0) lgkmcnt(0)
	v_fma_f64 v[1:2], v[112:113], v[114:115], v[1:2]
	s_and_not1_b32 exec_lo, exec_lo, s1
	s_cbranch_execnz .LBB114_21
; %bb.22:
	s_or_b32 exec_lo, exec_lo, s1
	v_mov_b32_e32 v109, 0
	ds_load_b64 v[109:110], v109 offset:24
	s_waitcnt lgkmcnt(0)
	v_mul_f64 v[1:2], v[1:2], v[109:110]
	scratch_store_b64 off, v[1:2], off offset:24
.LBB114_23:
	s_or_b32 exec_lo, exec_lo, s0
	s_waitcnt_vscnt null, 0x0
	s_barrier
	buffer_gl0_inv
	scratch_load_b64 v[1:2], off, off offset:32
	s_mov_b32 s0, exec_lo
	s_waitcnt vmcnt(0)
	ds_store_b64 v5, v[1:2]
	s_waitcnt lgkmcnt(0)
	s_barrier
	buffer_gl0_inv
	v_cmpx_gt_u32_e32 4, v0
	s_cbranch_execz .LBB114_27
; %bb.24:
	v_dual_mov_b32 v1, 0 :: v_dual_add_nc_u32 v110, 0x1a0, v3
	v_dual_mov_b32 v2, 0 :: v_dual_add_nc_u32 v109, -1, v0
	v_add_nc_u32_e32 v111, 0, v3
	s_mov_b32 s1, 0
.LBB114_25:                             ; =>This Inner Loop Header: Depth=1
	scratch_load_b64 v[112:113], v111, off
	ds_load_b64 v[114:115], v110
	v_add_nc_u32_e32 v109, 1, v109
	v_add_nc_u32_e32 v110, 8, v110
	v_add_nc_u32_e32 v111, 8, v111
	s_delay_alu instid0(VALU_DEP_3)
	v_cmp_lt_u32_e32 vcc_lo, 2, v109
	s_or_b32 s1, vcc_lo, s1
	s_waitcnt vmcnt(0) lgkmcnt(0)
	v_fma_f64 v[1:2], v[112:113], v[114:115], v[1:2]
	s_and_not1_b32 exec_lo, exec_lo, s1
	s_cbranch_execnz .LBB114_25
; %bb.26:
	s_or_b32 exec_lo, exec_lo, s1
	v_mov_b32_e32 v109, 0
	ds_load_b64 v[109:110], v109 offset:32
	s_waitcnt lgkmcnt(0)
	v_mul_f64 v[1:2], v[1:2], v[109:110]
	scratch_store_b64 off, v[1:2], off offset:32
.LBB114_27:
	s_or_b32 exec_lo, exec_lo, s0
	s_waitcnt_vscnt null, 0x0
	s_barrier
	buffer_gl0_inv
	scratch_load_b64 v[1:2], off, off offset:40
	;; [unrolled: 39-line block ×20, first 2 shown]
	s_mov_b32 s0, exec_lo
	s_waitcnt vmcnt(0)
	ds_store_b64 v5, v[1:2]
	s_waitcnt lgkmcnt(0)
	s_barrier
	buffer_gl0_inv
	v_cmpx_gt_u32_e32 23, v0
	s_cbranch_execz .LBB114_103
; %bb.100:
	v_dual_mov_b32 v1, 0 :: v_dual_add_nc_u32 v110, 0x1a0, v3
	v_dual_mov_b32 v2, 0 :: v_dual_add_nc_u32 v109, -1, v0
	v_add_nc_u32_e32 v111, 0, v3
	s_mov_b32 s1, 0
.LBB114_101:                            ; =>This Inner Loop Header: Depth=1
	scratch_load_b64 v[112:113], v111, off
	ds_load_b64 v[114:115], v110
	v_add_nc_u32_e32 v109, 1, v109
	v_add_nc_u32_e32 v110, 8, v110
	v_add_nc_u32_e32 v111, 8, v111
	s_delay_alu instid0(VALU_DEP_3)
	v_cmp_lt_u32_e32 vcc_lo, 21, v109
	s_or_b32 s1, vcc_lo, s1
	s_waitcnt vmcnt(0) lgkmcnt(0)
	v_fma_f64 v[1:2], v[112:113], v[114:115], v[1:2]
	s_and_not1_b32 exec_lo, exec_lo, s1
	s_cbranch_execnz .LBB114_101
; %bb.102:
	s_or_b32 exec_lo, exec_lo, s1
	v_mov_b32_e32 v109, 0
	ds_load_b64 v[109:110], v109 offset:184
	s_waitcnt lgkmcnt(0)
	v_mul_f64 v[1:2], v[1:2], v[109:110]
	scratch_store_b64 off, v[1:2], off offset:184
.LBB114_103:
	s_or_b32 exec_lo, exec_lo, s0
	s_waitcnt_vscnt null, 0x0
	s_barrier
	buffer_gl0_inv
	scratch_load_b64 v[1:2], off, off offset:192
	s_mov_b32 s0, exec_lo
	s_waitcnt vmcnt(0)
	ds_store_b64 v5, v[1:2]
	s_waitcnt lgkmcnt(0)
	s_barrier
	buffer_gl0_inv
	v_cmpx_gt_u32_e32 24, v0
	s_cbranch_execz .LBB114_107
; %bb.104:
	v_dual_mov_b32 v1, 0 :: v_dual_add_nc_u32 v110, 0x1a0, v3
	v_dual_mov_b32 v2, 0 :: v_dual_add_nc_u32 v109, -1, v0
	v_add_nc_u32_e32 v111, 0, v3
	s_mov_b32 s1, 0
.LBB114_105:                            ; =>This Inner Loop Header: Depth=1
	scratch_load_b64 v[112:113], v111, off
	ds_load_b64 v[114:115], v110
	v_add_nc_u32_e32 v109, 1, v109
	v_add_nc_u32_e32 v110, 8, v110
	v_add_nc_u32_e32 v111, 8, v111
	s_delay_alu instid0(VALU_DEP_3)
	v_cmp_lt_u32_e32 vcc_lo, 22, v109
	s_or_b32 s1, vcc_lo, s1
	s_waitcnt vmcnt(0) lgkmcnt(0)
	v_fma_f64 v[1:2], v[112:113], v[114:115], v[1:2]
	s_and_not1_b32 exec_lo, exec_lo, s1
	s_cbranch_execnz .LBB114_105
; %bb.106:
	s_or_b32 exec_lo, exec_lo, s1
	v_mov_b32_e32 v109, 0
	ds_load_b64 v[109:110], v109 offset:192
	s_waitcnt lgkmcnt(0)
	v_mul_f64 v[1:2], v[1:2], v[109:110]
	scratch_store_b64 off, v[1:2], off offset:192
.LBB114_107:
	s_or_b32 exec_lo, exec_lo, s0
	s_waitcnt_vscnt null, 0x0
	s_barrier
	buffer_gl0_inv
	scratch_load_b64 v[1:2], off, off offset:200
	;; [unrolled: 39-line block ×27, first 2 shown]
	s_mov_b32 s0, exec_lo
	s_waitcnt vmcnt(0)
	ds_store_b64 v5, v[1:2]
	s_waitcnt lgkmcnt(0)
	s_barrier
	buffer_gl0_inv
	v_cmpx_ne_u32_e32 50, v0
	s_cbranch_execz .LBB114_211
; %bb.208:
	v_mov_b32_e32 v1, 0
	v_mov_b32_e32 v2, 0
	s_mov_b32 s1, 0
.LBB114_209:                            ; =>This Inner Loop Header: Depth=1
	scratch_load_b64 v[109:110], v4, off
	ds_load_b64 v[111:112], v5
	v_add_nc_u32_e32 v108, 1, v108
	v_add_nc_u32_e32 v5, 8, v5
	;; [unrolled: 1-line block ×3, first 2 shown]
	s_delay_alu instid0(VALU_DEP_3)
	v_cmp_lt_u32_e32 vcc_lo, 48, v108
	s_or_b32 s1, vcc_lo, s1
	s_waitcnt vmcnt(0) lgkmcnt(0)
	v_fma_f64 v[1:2], v[109:110], v[111:112], v[1:2]
	s_and_not1_b32 exec_lo, exec_lo, s1
	s_cbranch_execnz .LBB114_209
; %bb.210:
	s_or_b32 exec_lo, exec_lo, s1
	v_mov_b32_e32 v3, 0
	ds_load_b64 v[3:4], v3 offset:400
	s_waitcnt lgkmcnt(0)
	v_mul_f64 v[1:2], v[1:2], v[3:4]
	scratch_store_b64 off, v[1:2], off offset:400
.LBB114_211:
	s_or_b32 exec_lo, exec_lo, s0
	s_mov_b32 s1, -1
	s_waitcnt_vscnt null, 0x0
	s_barrier
	buffer_gl0_inv
.LBB114_212:
	s_and_b32 vcc_lo, exec_lo, s1
	s_cbranch_vccz .LBB114_214
; %bb.213:
	s_lshl_b64 s[0:1], s[8:9], 2
	v_mov_b32_e32 v1, 0
	s_add_u32 s0, s6, s0
	s_addc_u32 s1, s7, s1
	global_load_b32 v1, v1, s[0:1]
	s_waitcnt vmcnt(0)
	v_cmp_ne_u32_e32 vcc_lo, 0, v1
	s_cbranch_vccz .LBB114_215
.LBB114_214:
	s_endpgm
.LBB114_215:
	v_lshl_add_u32 v5, v0, 3, 0x1a0
	s_mov_b32 s0, exec_lo
	v_cmpx_eq_u32_e32 50, v0
	s_cbranch_execz .LBB114_217
; %bb.216:
	scratch_load_b64 v[1:2], off, off offset:392
	v_mov_b32_e32 v3, 0
	s_delay_alu instid0(VALU_DEP_1)
	v_mov_b32_e32 v4, v3
	scratch_store_b64 off, v[3:4], off offset:392
	s_waitcnt vmcnt(0)
	ds_store_b64 v5, v[1:2]
.LBB114_217:
	s_or_b32 exec_lo, exec_lo, s0
	s_waitcnt lgkmcnt(0)
	s_waitcnt_vscnt null, 0x0
	s_barrier
	buffer_gl0_inv
	scratch_load_b128 v[108:111], off, off offset:392
	v_mov_b32_e32 v1, 0
	s_mov_b32 s0, exec_lo
	ds_load_b64 v[2:3], v1 offset:816
	s_waitcnt vmcnt(0) lgkmcnt(0)
	v_fma_f64 v[2:3], v[110:111], v[2:3], 0
	s_delay_alu instid0(VALU_DEP_1)
	v_add_f64 v[2:3], v[108:109], -v[2:3]
	scratch_store_b64 off, v[2:3], off offset:392
	v_cmpx_lt_u32_e32 48, v0
	s_cbranch_execz .LBB114_219
; %bb.218:
	scratch_load_b64 v[3:4], off, off offset:384
	v_mov_b32_e32 v2, v1
	scratch_store_b64 off, v[1:2], off offset:384
	s_waitcnt vmcnt(0)
	ds_store_b64 v5, v[3:4]
.LBB114_219:
	s_or_b32 exec_lo, exec_lo, s0
	s_waitcnt lgkmcnt(0)
	s_waitcnt_vscnt null, 0x0
	s_barrier
	buffer_gl0_inv
	s_clause 0x1
	scratch_load_b128 v[108:111], off, off offset:384
	scratch_load_b64 v[112:113], off, off offset:400
	ds_load_2addr_b64 v[1:4], v1 offset0:101 offset1:102
	s_mov_b32 s0, exec_lo
	s_waitcnt vmcnt(1) lgkmcnt(0)
	v_fma_f64 v[1:2], v[110:111], v[1:2], 0
	s_waitcnt vmcnt(0)
	s_delay_alu instid0(VALU_DEP_1) | instskip(NEXT) | instid1(VALU_DEP_1)
	v_fma_f64 v[1:2], v[112:113], v[3:4], v[1:2]
	v_add_f64 v[1:2], v[108:109], -v[1:2]
	scratch_store_b64 off, v[1:2], off offset:384
	v_cmpx_lt_u32_e32 47, v0
	s_cbranch_execz .LBB114_221
; %bb.220:
	scratch_load_b64 v[1:2], off, off offset:376
	v_mov_b32_e32 v3, 0
	s_delay_alu instid0(VALU_DEP_1)
	v_mov_b32_e32 v4, v3
	scratch_store_b64 off, v[3:4], off offset:376
	s_waitcnt vmcnt(0)
	ds_store_b64 v5, v[1:2]
.LBB114_221:
	s_or_b32 exec_lo, exec_lo, s0
	s_waitcnt lgkmcnt(0)
	s_waitcnt_vscnt null, 0x0
	s_barrier
	buffer_gl0_inv
	s_clause 0x1
	scratch_load_b128 v[108:111], off, off offset:376
	scratch_load_b128 v[112:115], off, off offset:392
	v_mov_b32_e32 v1, 0
	s_mov_b32 s0, exec_lo
	ds_load_b128 v[116:119], v1 offset:800
	s_waitcnt vmcnt(1) lgkmcnt(0)
	v_fma_f64 v[2:3], v[110:111], v[116:117], 0
	ds_load_b64 v[110:111], v1 offset:816
	s_waitcnt vmcnt(0)
	v_fma_f64 v[2:3], v[112:113], v[118:119], v[2:3]
	s_waitcnt lgkmcnt(0)
	s_delay_alu instid0(VALU_DEP_1) | instskip(NEXT) | instid1(VALU_DEP_1)
	v_fma_f64 v[2:3], v[114:115], v[110:111], v[2:3]
	v_add_f64 v[2:3], v[108:109], -v[2:3]
	scratch_store_b64 off, v[2:3], off offset:376
	v_cmpx_lt_u32_e32 46, v0
	s_cbranch_execz .LBB114_223
; %bb.222:
	scratch_load_b64 v[3:4], off, off offset:368
	v_mov_b32_e32 v2, v1
	scratch_store_b64 off, v[1:2], off offset:368
	s_waitcnt vmcnt(0)
	ds_store_b64 v5, v[3:4]
.LBB114_223:
	s_or_b32 exec_lo, exec_lo, s0
	s_waitcnt lgkmcnt(0)
	s_waitcnt_vscnt null, 0x0
	s_barrier
	buffer_gl0_inv
	s_clause 0x2
	scratch_load_b128 v[108:111], off, off offset:368
	scratch_load_b128 v[112:115], off, off offset:384
	scratch_load_b64 v[120:121], off, off offset:400
	ds_load_2addr_b64 v[116:119], v1 offset0:99 offset1:100
	s_mov_b32 s0, exec_lo
	s_waitcnt vmcnt(2) lgkmcnt(0)
	v_fma_f64 v[2:3], v[110:111], v[116:117], 0
	s_waitcnt vmcnt(1)
	s_delay_alu instid0(VALU_DEP_1) | instskip(SKIP_4) | instid1(VALU_DEP_1)
	v_fma_f64 v[110:111], v[112:113], v[118:119], v[2:3]
	ds_load_2addr_b64 v[1:4], v1 offset0:101 offset1:102
	s_waitcnt lgkmcnt(0)
	v_fma_f64 v[1:2], v[114:115], v[1:2], v[110:111]
	s_waitcnt vmcnt(0)
	v_fma_f64 v[1:2], v[120:121], v[3:4], v[1:2]
	s_delay_alu instid0(VALU_DEP_1)
	v_add_f64 v[1:2], v[108:109], -v[1:2]
	scratch_store_b64 off, v[1:2], off offset:368
	v_cmpx_lt_u32_e32 45, v0
	s_cbranch_execz .LBB114_225
; %bb.224:
	scratch_load_b64 v[1:2], off, off offset:360
	v_mov_b32_e32 v3, 0
	s_delay_alu instid0(VALU_DEP_1)
	v_mov_b32_e32 v4, v3
	scratch_store_b64 off, v[3:4], off offset:360
	s_waitcnt vmcnt(0)
	ds_store_b64 v5, v[1:2]
.LBB114_225:
	s_or_b32 exec_lo, exec_lo, s0
	s_waitcnt lgkmcnt(0)
	s_waitcnt_vscnt null, 0x0
	s_barrier
	buffer_gl0_inv
	s_clause 0x2
	scratch_load_b128 v[108:111], off, off offset:360
	scratch_load_b128 v[112:115], off, off offset:376
	;; [unrolled: 1-line block ×3, first 2 shown]
	v_mov_b32_e32 v1, 0
	ds_load_b128 v[120:123], v1 offset:784
	ds_load_b128 v[124:127], v1 offset:800
	s_mov_b32 s0, exec_lo
	s_waitcnt vmcnt(2) lgkmcnt(1)
	v_fma_f64 v[2:3], v[110:111], v[120:121], 0
	ds_load_b64 v[110:111], v1 offset:816
	s_waitcnt vmcnt(1)
	v_fma_f64 v[2:3], v[112:113], v[122:123], v[2:3]
	s_waitcnt lgkmcnt(1)
	s_delay_alu instid0(VALU_DEP_1) | instskip(SKIP_1) | instid1(VALU_DEP_1)
	v_fma_f64 v[2:3], v[114:115], v[124:125], v[2:3]
	s_waitcnt vmcnt(0)
	v_fma_f64 v[2:3], v[116:117], v[126:127], v[2:3]
	s_waitcnt lgkmcnt(0)
	s_delay_alu instid0(VALU_DEP_1) | instskip(NEXT) | instid1(VALU_DEP_1)
	v_fma_f64 v[2:3], v[118:119], v[110:111], v[2:3]
	v_add_f64 v[2:3], v[108:109], -v[2:3]
	scratch_store_b64 off, v[2:3], off offset:360
	v_cmpx_lt_u32_e32 44, v0
	s_cbranch_execz .LBB114_227
; %bb.226:
	scratch_load_b64 v[3:4], off, off offset:352
	v_mov_b32_e32 v2, v1
	scratch_store_b64 off, v[1:2], off offset:352
	s_waitcnt vmcnt(0)
	ds_store_b64 v5, v[3:4]
.LBB114_227:
	s_or_b32 exec_lo, exec_lo, s0
	s_waitcnt lgkmcnt(0)
	s_waitcnt_vscnt null, 0x0
	s_barrier
	buffer_gl0_inv
	s_clause 0x3
	scratch_load_b128 v[108:111], off, off offset:352
	scratch_load_b128 v[112:115], off, off offset:368
	;; [unrolled: 1-line block ×3, first 2 shown]
	scratch_load_b64 v[128:129], off, off offset:400
	ds_load_2addr_b64 v[120:123], v1 offset0:97 offset1:98
	ds_load_2addr_b64 v[124:127], v1 offset0:99 offset1:100
	s_mov_b32 s0, exec_lo
	s_waitcnt vmcnt(3) lgkmcnt(1)
	v_fma_f64 v[2:3], v[110:111], v[120:121], 0
	s_waitcnt vmcnt(2)
	s_delay_alu instid0(VALU_DEP_1) | instskip(SKIP_1) | instid1(VALU_DEP_1)
	v_fma_f64 v[2:3], v[112:113], v[122:123], v[2:3]
	s_waitcnt lgkmcnt(0)
	v_fma_f64 v[2:3], v[114:115], v[124:125], v[2:3]
	s_waitcnt vmcnt(1)
	s_delay_alu instid0(VALU_DEP_1) | instskip(SKIP_4) | instid1(VALU_DEP_1)
	v_fma_f64 v[110:111], v[116:117], v[126:127], v[2:3]
	ds_load_2addr_b64 v[1:4], v1 offset0:101 offset1:102
	s_waitcnt lgkmcnt(0)
	v_fma_f64 v[1:2], v[118:119], v[1:2], v[110:111]
	s_waitcnt vmcnt(0)
	v_fma_f64 v[1:2], v[128:129], v[3:4], v[1:2]
	s_delay_alu instid0(VALU_DEP_1)
	v_add_f64 v[1:2], v[108:109], -v[1:2]
	scratch_store_b64 off, v[1:2], off offset:352
	v_cmpx_lt_u32_e32 43, v0
	s_cbranch_execz .LBB114_229
; %bb.228:
	scratch_load_b64 v[1:2], off, off offset:344
	v_mov_b32_e32 v3, 0
	s_delay_alu instid0(VALU_DEP_1)
	v_mov_b32_e32 v4, v3
	scratch_store_b64 off, v[3:4], off offset:344
	s_waitcnt vmcnt(0)
	ds_store_b64 v5, v[1:2]
.LBB114_229:
	s_or_b32 exec_lo, exec_lo, s0
	s_waitcnt lgkmcnt(0)
	s_waitcnt_vscnt null, 0x0
	s_barrier
	buffer_gl0_inv
	s_clause 0x3
	scratch_load_b128 v[108:111], off, off offset:344
	scratch_load_b128 v[112:115], off, off offset:360
	;; [unrolled: 1-line block ×4, first 2 shown]
	v_mov_b32_e32 v1, 0
	ds_load_b128 v[124:127], v1 offset:768
	ds_load_b128 v[128:131], v1 offset:784
	s_mov_b32 s0, exec_lo
	s_waitcnt vmcnt(3) lgkmcnt(1)
	v_fma_f64 v[2:3], v[110:111], v[124:125], 0
	s_waitcnt vmcnt(2)
	s_delay_alu instid0(VALU_DEP_1) | instskip(SKIP_1) | instid1(VALU_DEP_1)
	v_fma_f64 v[2:3], v[112:113], v[126:127], v[2:3]
	s_waitcnt lgkmcnt(0)
	v_fma_f64 v[2:3], v[114:115], v[128:129], v[2:3]
	ds_load_b128 v[110:113], v1 offset:800
	ds_load_b64 v[114:115], v1 offset:816
	s_waitcnt vmcnt(1)
	v_fma_f64 v[2:3], v[116:117], v[130:131], v[2:3]
	s_waitcnt lgkmcnt(1)
	s_delay_alu instid0(VALU_DEP_1) | instskip(SKIP_1) | instid1(VALU_DEP_1)
	v_fma_f64 v[2:3], v[118:119], v[110:111], v[2:3]
	s_waitcnt vmcnt(0)
	v_fma_f64 v[2:3], v[120:121], v[112:113], v[2:3]
	s_waitcnt lgkmcnt(0)
	s_delay_alu instid0(VALU_DEP_1) | instskip(NEXT) | instid1(VALU_DEP_1)
	v_fma_f64 v[2:3], v[122:123], v[114:115], v[2:3]
	v_add_f64 v[2:3], v[108:109], -v[2:3]
	scratch_store_b64 off, v[2:3], off offset:344
	v_cmpx_lt_u32_e32 42, v0
	s_cbranch_execz .LBB114_231
; %bb.230:
	scratch_load_b64 v[3:4], off, off offset:336
	v_mov_b32_e32 v2, v1
	scratch_store_b64 off, v[1:2], off offset:336
	s_waitcnt vmcnt(0)
	ds_store_b64 v5, v[3:4]
.LBB114_231:
	s_or_b32 exec_lo, exec_lo, s0
	s_waitcnt lgkmcnt(0)
	s_waitcnt_vscnt null, 0x0
	s_barrier
	buffer_gl0_inv
	s_clause 0x4
	scratch_load_b128 v[108:111], off, off offset:336
	scratch_load_b128 v[112:115], off, off offset:352
	;; [unrolled: 1-line block ×4, first 2 shown]
	scratch_load_b64 v[132:133], off, off offset:400
	ds_load_2addr_b64 v[124:127], v1 offset0:95 offset1:96
	ds_load_2addr_b64 v[128:131], v1 offset0:97 offset1:98
	s_mov_b32 s0, exec_lo
	s_waitcnt vmcnt(4) lgkmcnt(1)
	v_fma_f64 v[2:3], v[110:111], v[124:125], 0
	s_waitcnt vmcnt(3)
	s_delay_alu instid0(VALU_DEP_1) | instskip(SKIP_1) | instid1(VALU_DEP_1)
	v_fma_f64 v[2:3], v[112:113], v[126:127], v[2:3]
	s_waitcnt lgkmcnt(0)
	v_fma_f64 v[2:3], v[114:115], v[128:129], v[2:3]
	s_waitcnt vmcnt(2)
	s_delay_alu instid0(VALU_DEP_1)
	v_fma_f64 v[114:115], v[116:117], v[130:131], v[2:3]
	ds_load_2addr_b64 v[110:113], v1 offset0:99 offset1:100
	ds_load_2addr_b64 v[1:4], v1 offset0:101 offset1:102
	s_waitcnt lgkmcnt(1)
	v_fma_f64 v[110:111], v[118:119], v[110:111], v[114:115]
	s_waitcnt vmcnt(1)
	s_delay_alu instid0(VALU_DEP_1) | instskip(SKIP_1) | instid1(VALU_DEP_1)
	v_fma_f64 v[110:111], v[120:121], v[112:113], v[110:111]
	s_waitcnt lgkmcnt(0)
	v_fma_f64 v[1:2], v[122:123], v[1:2], v[110:111]
	s_waitcnt vmcnt(0)
	s_delay_alu instid0(VALU_DEP_1) | instskip(NEXT) | instid1(VALU_DEP_1)
	v_fma_f64 v[1:2], v[132:133], v[3:4], v[1:2]
	v_add_f64 v[1:2], v[108:109], -v[1:2]
	scratch_store_b64 off, v[1:2], off offset:336
	v_cmpx_lt_u32_e32 41, v0
	s_cbranch_execz .LBB114_233
; %bb.232:
	scratch_load_b64 v[1:2], off, off offset:328
	v_mov_b32_e32 v3, 0
	s_delay_alu instid0(VALU_DEP_1)
	v_mov_b32_e32 v4, v3
	scratch_store_b64 off, v[3:4], off offset:328
	s_waitcnt vmcnt(0)
	ds_store_b64 v5, v[1:2]
.LBB114_233:
	s_or_b32 exec_lo, exec_lo, s0
	s_waitcnt lgkmcnt(0)
	s_waitcnt_vscnt null, 0x0
	s_barrier
	buffer_gl0_inv
	s_clause 0x4
	scratch_load_b128 v[108:111], off, off offset:328
	scratch_load_b128 v[112:115], off, off offset:344
	scratch_load_b128 v[116:119], off, off offset:360
	scratch_load_b128 v[120:123], off, off offset:376
	scratch_load_b128 v[124:127], off, off offset:392
	v_mov_b32_e32 v1, 0
	ds_load_b128 v[128:131], v1 offset:752
	ds_load_b128 v[132:135], v1 offset:768
	s_mov_b32 s0, exec_lo
	s_waitcnt vmcnt(4) lgkmcnt(1)
	v_fma_f64 v[2:3], v[110:111], v[128:129], 0
	s_waitcnt vmcnt(3)
	s_delay_alu instid0(VALU_DEP_1) | instskip(SKIP_1) | instid1(VALU_DEP_1)
	v_fma_f64 v[2:3], v[112:113], v[130:131], v[2:3]
	s_waitcnt lgkmcnt(0)
	v_fma_f64 v[2:3], v[114:115], v[132:133], v[2:3]
	s_waitcnt vmcnt(2)
	s_delay_alu instid0(VALU_DEP_1)
	v_fma_f64 v[2:3], v[116:117], v[134:135], v[2:3]
	ds_load_b128 v[110:113], v1 offset:784
	ds_load_b128 v[114:117], v1 offset:800
	s_waitcnt lgkmcnt(1)
	v_fma_f64 v[2:3], v[118:119], v[110:111], v[2:3]
	ds_load_b64 v[110:111], v1 offset:816
	s_waitcnt vmcnt(1)
	v_fma_f64 v[2:3], v[120:121], v[112:113], v[2:3]
	s_waitcnt lgkmcnt(1)
	s_delay_alu instid0(VALU_DEP_1) | instskip(SKIP_1) | instid1(VALU_DEP_1)
	v_fma_f64 v[2:3], v[122:123], v[114:115], v[2:3]
	s_waitcnt vmcnt(0)
	v_fma_f64 v[2:3], v[124:125], v[116:117], v[2:3]
	s_waitcnt lgkmcnt(0)
	s_delay_alu instid0(VALU_DEP_1) | instskip(NEXT) | instid1(VALU_DEP_1)
	v_fma_f64 v[2:3], v[126:127], v[110:111], v[2:3]
	v_add_f64 v[2:3], v[108:109], -v[2:3]
	scratch_store_b64 off, v[2:3], off offset:328
	v_cmpx_lt_u32_e32 40, v0
	s_cbranch_execz .LBB114_235
; %bb.234:
	scratch_load_b64 v[3:4], off, off offset:320
	v_mov_b32_e32 v2, v1
	scratch_store_b64 off, v[1:2], off offset:320
	s_waitcnt vmcnt(0)
	ds_store_b64 v5, v[3:4]
.LBB114_235:
	s_or_b32 exec_lo, exec_lo, s0
	s_waitcnt lgkmcnt(0)
	s_waitcnt_vscnt null, 0x0
	s_barrier
	buffer_gl0_inv
	s_clause 0x4
	scratch_load_b128 v[108:111], off, off offset:320
	scratch_load_b128 v[112:115], off, off offset:336
	;; [unrolled: 1-line block ×5, first 2 shown]
	ds_load_2addr_b64 v[128:131], v1 offset0:93 offset1:94
	ds_load_2addr_b64 v[132:135], v1 offset0:95 offset1:96
	s_mov_b32 s0, exec_lo
	s_waitcnt vmcnt(4) lgkmcnt(1)
	v_fma_f64 v[2:3], v[110:111], v[128:129], 0
	scratch_load_b64 v[128:129], off, off offset:400
	s_waitcnt vmcnt(4)
	v_fma_f64 v[2:3], v[112:113], v[130:131], v[2:3]
	s_waitcnt lgkmcnt(0)
	s_delay_alu instid0(VALU_DEP_1) | instskip(SKIP_1) | instid1(VALU_DEP_1)
	v_fma_f64 v[2:3], v[114:115], v[132:133], v[2:3]
	s_waitcnt vmcnt(3)
	v_fma_f64 v[2:3], v[116:117], v[134:135], v[2:3]
	ds_load_2addr_b64 v[110:113], v1 offset0:97 offset1:98
	ds_load_2addr_b64 v[114:117], v1 offset0:99 offset1:100
	s_waitcnt lgkmcnt(1)
	v_fma_f64 v[2:3], v[118:119], v[110:111], v[2:3]
	s_waitcnt vmcnt(2)
	s_delay_alu instid0(VALU_DEP_1) | instskip(SKIP_1) | instid1(VALU_DEP_1)
	v_fma_f64 v[2:3], v[120:121], v[112:113], v[2:3]
	s_waitcnt lgkmcnt(0)
	v_fma_f64 v[2:3], v[122:123], v[114:115], v[2:3]
	s_waitcnt vmcnt(1)
	s_delay_alu instid0(VALU_DEP_1) | instskip(SKIP_4) | instid1(VALU_DEP_1)
	v_fma_f64 v[110:111], v[124:125], v[116:117], v[2:3]
	ds_load_2addr_b64 v[1:4], v1 offset0:101 offset1:102
	s_waitcnt lgkmcnt(0)
	v_fma_f64 v[1:2], v[126:127], v[1:2], v[110:111]
	s_waitcnt vmcnt(0)
	v_fma_f64 v[1:2], v[128:129], v[3:4], v[1:2]
	s_delay_alu instid0(VALU_DEP_1)
	v_add_f64 v[1:2], v[108:109], -v[1:2]
	scratch_store_b64 off, v[1:2], off offset:320
	v_cmpx_lt_u32_e32 39, v0
	s_cbranch_execz .LBB114_237
; %bb.236:
	scratch_load_b64 v[1:2], off, off offset:312
	v_mov_b32_e32 v3, 0
	s_delay_alu instid0(VALU_DEP_1)
	v_mov_b32_e32 v4, v3
	scratch_store_b64 off, v[3:4], off offset:312
	s_waitcnt vmcnt(0)
	ds_store_b64 v5, v[1:2]
.LBB114_237:
	s_or_b32 exec_lo, exec_lo, s0
	s_waitcnt lgkmcnt(0)
	s_waitcnt_vscnt null, 0x0
	s_barrier
	buffer_gl0_inv
	s_clause 0x4
	scratch_load_b128 v[108:111], off, off offset:312
	scratch_load_b128 v[112:115], off, off offset:328
	;; [unrolled: 1-line block ×5, first 2 shown]
	v_mov_b32_e32 v1, 0
	ds_load_b128 v[128:131], v1 offset:736
	ds_load_b128 v[132:135], v1 offset:752
	scratch_load_b128 v[136:139], off, off offset:392
	s_mov_b32 s0, exec_lo
	s_waitcnt vmcnt(5) lgkmcnt(1)
	v_fma_f64 v[2:3], v[110:111], v[128:129], 0
	s_waitcnt vmcnt(4)
	s_delay_alu instid0(VALU_DEP_1) | instskip(SKIP_1) | instid1(VALU_DEP_1)
	v_fma_f64 v[2:3], v[112:113], v[130:131], v[2:3]
	s_waitcnt lgkmcnt(0)
	v_fma_f64 v[2:3], v[114:115], v[132:133], v[2:3]
	s_waitcnt vmcnt(3)
	s_delay_alu instid0(VALU_DEP_1)
	v_fma_f64 v[2:3], v[116:117], v[134:135], v[2:3]
	ds_load_b128 v[110:113], v1 offset:768
	ds_load_b128 v[114:117], v1 offset:784
	s_waitcnt lgkmcnt(1)
	v_fma_f64 v[2:3], v[118:119], v[110:111], v[2:3]
	s_waitcnt vmcnt(2)
	s_delay_alu instid0(VALU_DEP_1) | instskip(SKIP_1) | instid1(VALU_DEP_1)
	v_fma_f64 v[2:3], v[120:121], v[112:113], v[2:3]
	s_waitcnt lgkmcnt(0)
	v_fma_f64 v[2:3], v[122:123], v[114:115], v[2:3]
	ds_load_b128 v[110:113], v1 offset:800
	ds_load_b64 v[114:115], v1 offset:816
	s_waitcnt vmcnt(1)
	v_fma_f64 v[2:3], v[124:125], v[116:117], v[2:3]
	s_waitcnt lgkmcnt(1)
	s_delay_alu instid0(VALU_DEP_1) | instskip(SKIP_1) | instid1(VALU_DEP_1)
	v_fma_f64 v[2:3], v[126:127], v[110:111], v[2:3]
	s_waitcnt vmcnt(0)
	v_fma_f64 v[2:3], v[136:137], v[112:113], v[2:3]
	s_waitcnt lgkmcnt(0)
	s_delay_alu instid0(VALU_DEP_1) | instskip(NEXT) | instid1(VALU_DEP_1)
	v_fma_f64 v[2:3], v[138:139], v[114:115], v[2:3]
	v_add_f64 v[2:3], v[108:109], -v[2:3]
	scratch_store_b64 off, v[2:3], off offset:312
	v_cmpx_lt_u32_e32 38, v0
	s_cbranch_execz .LBB114_239
; %bb.238:
	scratch_load_b64 v[3:4], off, off offset:304
	v_mov_b32_e32 v2, v1
	scratch_store_b64 off, v[1:2], off offset:304
	s_waitcnt vmcnt(0)
	ds_store_b64 v5, v[3:4]
.LBB114_239:
	s_or_b32 exec_lo, exec_lo, s0
	s_waitcnt lgkmcnt(0)
	s_waitcnt_vscnt null, 0x0
	s_barrier
	buffer_gl0_inv
	s_clause 0x4
	scratch_load_b128 v[108:111], off, off offset:304
	scratch_load_b128 v[112:115], off, off offset:320
	;; [unrolled: 1-line block ×5, first 2 shown]
	ds_load_2addr_b64 v[128:131], v1 offset0:91 offset1:92
	ds_load_2addr_b64 v[132:135], v1 offset0:93 offset1:94
	scratch_load_b128 v[136:139], off, off offset:384
	s_mov_b32 s0, exec_lo
	s_waitcnt vmcnt(5) lgkmcnt(1)
	v_fma_f64 v[2:3], v[110:111], v[128:129], 0
	scratch_load_b64 v[128:129], off, off offset:400
	s_waitcnt vmcnt(5)
	v_fma_f64 v[2:3], v[112:113], v[130:131], v[2:3]
	s_waitcnt lgkmcnt(0)
	s_delay_alu instid0(VALU_DEP_1) | instskip(SKIP_1) | instid1(VALU_DEP_1)
	v_fma_f64 v[2:3], v[114:115], v[132:133], v[2:3]
	s_waitcnt vmcnt(4)
	v_fma_f64 v[2:3], v[116:117], v[134:135], v[2:3]
	ds_load_2addr_b64 v[110:113], v1 offset0:95 offset1:96
	ds_load_2addr_b64 v[114:117], v1 offset0:97 offset1:98
	s_waitcnt lgkmcnt(1)
	v_fma_f64 v[2:3], v[118:119], v[110:111], v[2:3]
	s_waitcnt vmcnt(3)
	s_delay_alu instid0(VALU_DEP_1) | instskip(SKIP_1) | instid1(VALU_DEP_1)
	v_fma_f64 v[2:3], v[120:121], v[112:113], v[2:3]
	s_waitcnt lgkmcnt(0)
	v_fma_f64 v[2:3], v[122:123], v[114:115], v[2:3]
	s_waitcnt vmcnt(2)
	s_delay_alu instid0(VALU_DEP_1)
	v_fma_f64 v[114:115], v[124:125], v[116:117], v[2:3]
	ds_load_2addr_b64 v[110:113], v1 offset0:99 offset1:100
	ds_load_2addr_b64 v[1:4], v1 offset0:101 offset1:102
	s_waitcnt lgkmcnt(1)
	v_fma_f64 v[110:111], v[126:127], v[110:111], v[114:115]
	s_waitcnt vmcnt(1)
	s_delay_alu instid0(VALU_DEP_1) | instskip(SKIP_1) | instid1(VALU_DEP_1)
	v_fma_f64 v[110:111], v[136:137], v[112:113], v[110:111]
	s_waitcnt lgkmcnt(0)
	v_fma_f64 v[1:2], v[138:139], v[1:2], v[110:111]
	s_waitcnt vmcnt(0)
	s_delay_alu instid0(VALU_DEP_1) | instskip(NEXT) | instid1(VALU_DEP_1)
	v_fma_f64 v[1:2], v[128:129], v[3:4], v[1:2]
	v_add_f64 v[1:2], v[108:109], -v[1:2]
	scratch_store_b64 off, v[1:2], off offset:304
	v_cmpx_lt_u32_e32 37, v0
	s_cbranch_execz .LBB114_241
; %bb.240:
	scratch_load_b64 v[1:2], off, off offset:296
	v_mov_b32_e32 v3, 0
	s_delay_alu instid0(VALU_DEP_1)
	v_mov_b32_e32 v4, v3
	scratch_store_b64 off, v[3:4], off offset:296
	s_waitcnt vmcnt(0)
	ds_store_b64 v5, v[1:2]
.LBB114_241:
	s_or_b32 exec_lo, exec_lo, s0
	s_waitcnt lgkmcnt(0)
	s_waitcnt_vscnt null, 0x0
	s_barrier
	buffer_gl0_inv
	s_clause 0x4
	scratch_load_b128 v[108:111], off, off offset:296
	scratch_load_b128 v[112:115], off, off offset:312
	;; [unrolled: 1-line block ×5, first 2 shown]
	v_mov_b32_e32 v1, 0
	ds_load_b128 v[128:131], v1 offset:720
	ds_load_b128 v[132:135], v1 offset:736
	scratch_load_b128 v[136:139], off, off offset:376
	s_mov_b32 s0, exec_lo
	s_waitcnt vmcnt(5) lgkmcnt(1)
	v_fma_f64 v[2:3], v[110:111], v[128:129], 0
	s_waitcnt vmcnt(4)
	s_delay_alu instid0(VALU_DEP_1) | instskip(SKIP_4) | instid1(VALU_DEP_1)
	v_fma_f64 v[2:3], v[112:113], v[130:131], v[2:3]
	scratch_load_b128 v[110:113], off, off offset:392
	s_waitcnt lgkmcnt(0)
	v_fma_f64 v[2:3], v[114:115], v[132:133], v[2:3]
	s_waitcnt vmcnt(4)
	v_fma_f64 v[2:3], v[116:117], v[134:135], v[2:3]
	ds_load_b128 v[114:117], v1 offset:752
	ds_load_b128 v[128:131], v1 offset:768
	s_waitcnt lgkmcnt(1)
	v_fma_f64 v[2:3], v[118:119], v[114:115], v[2:3]
	s_waitcnt vmcnt(3)
	s_delay_alu instid0(VALU_DEP_1)
	v_fma_f64 v[2:3], v[120:121], v[116:117], v[2:3]
	ds_load_b128 v[114:117], v1 offset:784
	ds_load_b128 v[118:121], v1 offset:800
	s_waitcnt lgkmcnt(2)
	v_fma_f64 v[2:3], v[122:123], v[128:129], v[2:3]
	s_waitcnt vmcnt(2)
	s_delay_alu instid0(VALU_DEP_1) | instskip(SKIP_1) | instid1(VALU_DEP_1)
	v_fma_f64 v[2:3], v[124:125], v[130:131], v[2:3]
	s_waitcnt lgkmcnt(1)
	v_fma_f64 v[2:3], v[126:127], v[114:115], v[2:3]
	s_waitcnt vmcnt(1)
	s_delay_alu instid0(VALU_DEP_1) | instskip(SKIP_1) | instid1(VALU_DEP_1)
	v_fma_f64 v[2:3], v[136:137], v[116:117], v[2:3]
	s_waitcnt lgkmcnt(0)
	v_fma_f64 v[2:3], v[138:139], v[118:119], v[2:3]
	s_waitcnt vmcnt(0)
	s_delay_alu instid0(VALU_DEP_1) | instskip(SKIP_3) | instid1(VALU_DEP_1)
	v_fma_f64 v[2:3], v[110:111], v[120:121], v[2:3]
	ds_load_b64 v[110:111], v1 offset:816
	s_waitcnt lgkmcnt(0)
	v_fma_f64 v[2:3], v[112:113], v[110:111], v[2:3]
	v_add_f64 v[2:3], v[108:109], -v[2:3]
	scratch_store_b64 off, v[2:3], off offset:296
	v_cmpx_lt_u32_e32 36, v0
	s_cbranch_execz .LBB114_243
; %bb.242:
	scratch_load_b64 v[3:4], off, off offset:288
	v_mov_b32_e32 v2, v1
	scratch_store_b64 off, v[1:2], off offset:288
	s_waitcnt vmcnt(0)
	ds_store_b64 v5, v[3:4]
.LBB114_243:
	s_or_b32 exec_lo, exec_lo, s0
	s_waitcnt lgkmcnt(0)
	s_waitcnt_vscnt null, 0x0
	s_barrier
	buffer_gl0_inv
	s_clause 0x4
	scratch_load_b128 v[108:111], off, off offset:288
	scratch_load_b128 v[112:115], off, off offset:304
	scratch_load_b128 v[116:119], off, off offset:320
	scratch_load_b128 v[120:123], off, off offset:336
	scratch_load_b128 v[124:127], off, off offset:352
	ds_load_2addr_b64 v[128:131], v1 offset0:89 offset1:90
	ds_load_2addr_b64 v[132:135], v1 offset0:91 offset1:92
	scratch_load_b128 v[136:139], off, off offset:368
	s_mov_b32 s0, exec_lo
	s_waitcnt vmcnt(5) lgkmcnt(1)
	v_fma_f64 v[2:3], v[110:111], v[128:129], 0
	s_waitcnt vmcnt(4)
	s_delay_alu instid0(VALU_DEP_1) | instskip(SKIP_4) | instid1(VALU_DEP_1)
	v_fma_f64 v[2:3], v[112:113], v[130:131], v[2:3]
	scratch_load_b128 v[110:113], off, off offset:384
	s_waitcnt lgkmcnt(0)
	v_fma_f64 v[2:3], v[114:115], v[132:133], v[2:3]
	s_waitcnt vmcnt(4)
	v_fma_f64 v[2:3], v[116:117], v[134:135], v[2:3]
	ds_load_2addr_b64 v[114:117], v1 offset0:93 offset1:94
	ds_load_2addr_b64 v[128:131], v1 offset0:95 offset1:96
	scratch_load_b64 v[132:133], off, off offset:400
	s_waitcnt lgkmcnt(1)
	v_fma_f64 v[2:3], v[118:119], v[114:115], v[2:3]
	s_waitcnt vmcnt(4)
	s_delay_alu instid0(VALU_DEP_1)
	v_fma_f64 v[2:3], v[120:121], v[116:117], v[2:3]
	ds_load_2addr_b64 v[114:117], v1 offset0:97 offset1:98
	ds_load_2addr_b64 v[118:121], v1 offset0:99 offset1:100
	s_waitcnt lgkmcnt(2)
	v_fma_f64 v[2:3], v[122:123], v[128:129], v[2:3]
	s_waitcnt vmcnt(3)
	s_delay_alu instid0(VALU_DEP_1) | instskip(SKIP_1) | instid1(VALU_DEP_1)
	v_fma_f64 v[2:3], v[124:125], v[130:131], v[2:3]
	s_waitcnt lgkmcnt(1)
	v_fma_f64 v[2:3], v[126:127], v[114:115], v[2:3]
	s_waitcnt vmcnt(2)
	s_delay_alu instid0(VALU_DEP_1) | instskip(SKIP_1) | instid1(VALU_DEP_1)
	v_fma_f64 v[2:3], v[136:137], v[116:117], v[2:3]
	s_waitcnt lgkmcnt(0)
	v_fma_f64 v[2:3], v[138:139], v[118:119], v[2:3]
	s_waitcnt vmcnt(1)
	s_delay_alu instid0(VALU_DEP_1) | instskip(SKIP_4) | instid1(VALU_DEP_1)
	v_fma_f64 v[110:111], v[110:111], v[120:121], v[2:3]
	ds_load_2addr_b64 v[1:4], v1 offset0:101 offset1:102
	s_waitcnt lgkmcnt(0)
	v_fma_f64 v[1:2], v[112:113], v[1:2], v[110:111]
	s_waitcnt vmcnt(0)
	v_fma_f64 v[1:2], v[132:133], v[3:4], v[1:2]
	s_delay_alu instid0(VALU_DEP_1)
	v_add_f64 v[1:2], v[108:109], -v[1:2]
	scratch_store_b64 off, v[1:2], off offset:288
	v_cmpx_lt_u32_e32 35, v0
	s_cbranch_execz .LBB114_245
; %bb.244:
	scratch_load_b64 v[1:2], off, off offset:280
	v_mov_b32_e32 v3, 0
	s_delay_alu instid0(VALU_DEP_1)
	v_mov_b32_e32 v4, v3
	scratch_store_b64 off, v[3:4], off offset:280
	s_waitcnt vmcnt(0)
	ds_store_b64 v5, v[1:2]
.LBB114_245:
	s_or_b32 exec_lo, exec_lo, s0
	s_waitcnt lgkmcnt(0)
	s_waitcnt_vscnt null, 0x0
	s_barrier
	buffer_gl0_inv
	s_clause 0x4
	scratch_load_b128 v[108:111], off, off offset:280
	scratch_load_b128 v[112:115], off, off offset:296
	;; [unrolled: 1-line block ×5, first 2 shown]
	v_mov_b32_e32 v1, 0
	ds_load_b128 v[128:131], v1 offset:704
	ds_load_b128 v[132:135], v1 offset:720
	scratch_load_b128 v[136:139], off, off offset:360
	s_mov_b32 s0, exec_lo
	s_waitcnt vmcnt(5) lgkmcnt(1)
	v_fma_f64 v[2:3], v[110:111], v[128:129], 0
	s_waitcnt vmcnt(4)
	s_delay_alu instid0(VALU_DEP_1) | instskip(SKIP_4) | instid1(VALU_DEP_1)
	v_fma_f64 v[2:3], v[112:113], v[130:131], v[2:3]
	scratch_load_b128 v[110:113], off, off offset:376
	s_waitcnt lgkmcnt(0)
	v_fma_f64 v[2:3], v[114:115], v[132:133], v[2:3]
	s_waitcnt vmcnt(4)
	v_fma_f64 v[2:3], v[116:117], v[134:135], v[2:3]
	ds_load_b128 v[114:117], v1 offset:736
	ds_load_b128 v[128:131], v1 offset:752
	scratch_load_b128 v[132:135], off, off offset:392
	s_waitcnt lgkmcnt(1)
	v_fma_f64 v[2:3], v[118:119], v[114:115], v[2:3]
	s_waitcnt vmcnt(4)
	s_delay_alu instid0(VALU_DEP_1)
	v_fma_f64 v[2:3], v[120:121], v[116:117], v[2:3]
	ds_load_b128 v[114:117], v1 offset:768
	ds_load_b128 v[118:121], v1 offset:784
	s_waitcnt lgkmcnt(2)
	v_fma_f64 v[2:3], v[122:123], v[128:129], v[2:3]
	s_waitcnt vmcnt(3)
	s_delay_alu instid0(VALU_DEP_1) | instskip(SKIP_1) | instid1(VALU_DEP_1)
	v_fma_f64 v[2:3], v[124:125], v[130:131], v[2:3]
	s_waitcnt lgkmcnt(1)
	v_fma_f64 v[2:3], v[126:127], v[114:115], v[2:3]
	s_waitcnt vmcnt(2)
	s_delay_alu instid0(VALU_DEP_1) | instskip(SKIP_1) | instid1(VALU_DEP_1)
	v_fma_f64 v[2:3], v[136:137], v[116:117], v[2:3]
	s_waitcnt lgkmcnt(0)
	v_fma_f64 v[2:3], v[138:139], v[118:119], v[2:3]
	s_waitcnt vmcnt(1)
	s_delay_alu instid0(VALU_DEP_1)
	v_fma_f64 v[2:3], v[110:111], v[120:121], v[2:3]
	ds_load_b128 v[114:117], v1 offset:800
	ds_load_b64 v[110:111], v1 offset:816
	s_waitcnt lgkmcnt(1)
	v_fma_f64 v[2:3], v[112:113], v[114:115], v[2:3]
	s_waitcnt vmcnt(0)
	s_delay_alu instid0(VALU_DEP_1) | instskip(SKIP_1) | instid1(VALU_DEP_1)
	v_fma_f64 v[2:3], v[132:133], v[116:117], v[2:3]
	s_waitcnt lgkmcnt(0)
	v_fma_f64 v[2:3], v[134:135], v[110:111], v[2:3]
	s_delay_alu instid0(VALU_DEP_1)
	v_add_f64 v[2:3], v[108:109], -v[2:3]
	scratch_store_b64 off, v[2:3], off offset:280
	v_cmpx_lt_u32_e32 34, v0
	s_cbranch_execz .LBB114_247
; %bb.246:
	scratch_load_b64 v[3:4], off, off offset:272
	v_mov_b32_e32 v2, v1
	scratch_store_b64 off, v[1:2], off offset:272
	s_waitcnt vmcnt(0)
	ds_store_b64 v5, v[3:4]
.LBB114_247:
	s_or_b32 exec_lo, exec_lo, s0
	s_waitcnt lgkmcnt(0)
	s_waitcnt_vscnt null, 0x0
	s_barrier
	buffer_gl0_inv
	s_clause 0x4
	scratch_load_b128 v[108:111], off, off offset:272
	scratch_load_b128 v[112:115], off, off offset:288
	;; [unrolled: 1-line block ×5, first 2 shown]
	ds_load_2addr_b64 v[128:131], v1 offset0:87 offset1:88
	ds_load_2addr_b64 v[132:135], v1 offset0:89 offset1:90
	scratch_load_b128 v[136:139], off, off offset:352
	s_mov_b32 s0, exec_lo
	s_waitcnt vmcnt(5) lgkmcnt(1)
	v_fma_f64 v[2:3], v[110:111], v[128:129], 0
	s_waitcnt vmcnt(4)
	s_delay_alu instid0(VALU_DEP_1) | instskip(SKIP_4) | instid1(VALU_DEP_1)
	v_fma_f64 v[2:3], v[112:113], v[130:131], v[2:3]
	scratch_load_b128 v[110:113], off, off offset:368
	s_waitcnt lgkmcnt(0)
	v_fma_f64 v[2:3], v[114:115], v[132:133], v[2:3]
	s_waitcnt vmcnt(4)
	v_fma_f64 v[2:3], v[116:117], v[134:135], v[2:3]
	ds_load_2addr_b64 v[114:117], v1 offset0:91 offset1:92
	ds_load_2addr_b64 v[128:131], v1 offset0:93 offset1:94
	scratch_load_b128 v[132:135], off, off offset:384
	s_waitcnt lgkmcnt(1)
	v_fma_f64 v[2:3], v[118:119], v[114:115], v[2:3]
	s_waitcnt vmcnt(4)
	s_delay_alu instid0(VALU_DEP_1) | instskip(SKIP_1) | instid1(VALU_DEP_1)
	v_fma_f64 v[2:3], v[120:121], v[116:117], v[2:3]
	s_waitcnt lgkmcnt(0)
	v_fma_f64 v[2:3], v[122:123], v[128:129], v[2:3]
	scratch_load_b64 v[122:123], off, off offset:400
	ds_load_2addr_b64 v[114:117], v1 offset0:95 offset1:96
	ds_load_2addr_b64 v[118:121], v1 offset0:97 offset1:98
	s_waitcnt vmcnt(4)
	v_fma_f64 v[2:3], v[124:125], v[130:131], v[2:3]
	s_waitcnt lgkmcnt(1)
	s_delay_alu instid0(VALU_DEP_1) | instskip(SKIP_1) | instid1(VALU_DEP_1)
	v_fma_f64 v[2:3], v[126:127], v[114:115], v[2:3]
	s_waitcnt vmcnt(3)
	v_fma_f64 v[2:3], v[136:137], v[116:117], v[2:3]
	s_waitcnt lgkmcnt(0)
	s_delay_alu instid0(VALU_DEP_1) | instskip(SKIP_1) | instid1(VALU_DEP_1)
	v_fma_f64 v[2:3], v[138:139], v[118:119], v[2:3]
	s_waitcnt vmcnt(2)
	v_fma_f64 v[110:111], v[110:111], v[120:121], v[2:3]
	ds_load_2addr_b64 v[114:117], v1 offset0:99 offset1:100
	ds_load_2addr_b64 v[1:4], v1 offset0:101 offset1:102
	s_waitcnt lgkmcnt(1)
	v_fma_f64 v[110:111], v[112:113], v[114:115], v[110:111]
	s_waitcnt vmcnt(1)
	s_delay_alu instid0(VALU_DEP_1) | instskip(SKIP_1) | instid1(VALU_DEP_1)
	v_fma_f64 v[110:111], v[132:133], v[116:117], v[110:111]
	s_waitcnt lgkmcnt(0)
	v_fma_f64 v[1:2], v[134:135], v[1:2], v[110:111]
	s_waitcnt vmcnt(0)
	s_delay_alu instid0(VALU_DEP_1) | instskip(NEXT) | instid1(VALU_DEP_1)
	v_fma_f64 v[1:2], v[122:123], v[3:4], v[1:2]
	v_add_f64 v[1:2], v[108:109], -v[1:2]
	scratch_store_b64 off, v[1:2], off offset:272
	v_cmpx_lt_u32_e32 33, v0
	s_cbranch_execz .LBB114_249
; %bb.248:
	scratch_load_b64 v[1:2], off, off offset:264
	v_mov_b32_e32 v3, 0
	s_delay_alu instid0(VALU_DEP_1)
	v_mov_b32_e32 v4, v3
	scratch_store_b64 off, v[3:4], off offset:264
	s_waitcnt vmcnt(0)
	ds_store_b64 v5, v[1:2]
.LBB114_249:
	s_or_b32 exec_lo, exec_lo, s0
	s_waitcnt lgkmcnt(0)
	s_waitcnt_vscnt null, 0x0
	s_barrier
	buffer_gl0_inv
	s_clause 0x4
	scratch_load_b128 v[108:111], off, off offset:264
	scratch_load_b128 v[112:115], off, off offset:280
	;; [unrolled: 1-line block ×5, first 2 shown]
	v_mov_b32_e32 v1, 0
	ds_load_b128 v[128:131], v1 offset:688
	ds_load_b128 v[132:135], v1 offset:704
	scratch_load_b128 v[136:139], off, off offset:344
	s_mov_b32 s0, exec_lo
	s_waitcnt vmcnt(5) lgkmcnt(1)
	v_fma_f64 v[2:3], v[110:111], v[128:129], 0
	s_waitcnt vmcnt(4)
	s_delay_alu instid0(VALU_DEP_1) | instskip(SKIP_4) | instid1(VALU_DEP_1)
	v_fma_f64 v[2:3], v[112:113], v[130:131], v[2:3]
	scratch_load_b128 v[110:113], off, off offset:360
	s_waitcnt lgkmcnt(0)
	v_fma_f64 v[2:3], v[114:115], v[132:133], v[2:3]
	s_waitcnt vmcnt(4)
	v_fma_f64 v[2:3], v[116:117], v[134:135], v[2:3]
	ds_load_b128 v[114:117], v1 offset:720
	ds_load_b128 v[128:131], v1 offset:736
	scratch_load_b128 v[132:135], off, off offset:376
	s_waitcnt lgkmcnt(1)
	v_fma_f64 v[2:3], v[118:119], v[114:115], v[2:3]
	s_waitcnt vmcnt(4)
	s_delay_alu instid0(VALU_DEP_1) | instskip(SKIP_4) | instid1(VALU_DEP_1)
	v_fma_f64 v[2:3], v[120:121], v[116:117], v[2:3]
	scratch_load_b128 v[114:117], off, off offset:392
	s_waitcnt lgkmcnt(0)
	v_fma_f64 v[2:3], v[122:123], v[128:129], v[2:3]
	s_waitcnt vmcnt(4)
	v_fma_f64 v[2:3], v[124:125], v[130:131], v[2:3]
	ds_load_b128 v[118:121], v1 offset:752
	ds_load_b128 v[122:125], v1 offset:768
	s_waitcnt lgkmcnt(1)
	v_fma_f64 v[2:3], v[126:127], v[118:119], v[2:3]
	s_waitcnt vmcnt(3)
	s_delay_alu instid0(VALU_DEP_1) | instskip(SKIP_1) | instid1(VALU_DEP_1)
	v_fma_f64 v[2:3], v[136:137], v[120:121], v[2:3]
	s_waitcnt lgkmcnt(0)
	v_fma_f64 v[2:3], v[138:139], v[122:123], v[2:3]
	s_waitcnt vmcnt(2)
	s_delay_alu instid0(VALU_DEP_1)
	v_fma_f64 v[2:3], v[110:111], v[124:125], v[2:3]
	ds_load_b128 v[118:121], v1 offset:784
	ds_load_b128 v[122:125], v1 offset:800
	ds_load_b64 v[110:111], v1 offset:816
	s_waitcnt lgkmcnt(2)
	v_fma_f64 v[2:3], v[112:113], v[118:119], v[2:3]
	s_waitcnt vmcnt(1)
	s_delay_alu instid0(VALU_DEP_1) | instskip(SKIP_1) | instid1(VALU_DEP_1)
	v_fma_f64 v[2:3], v[132:133], v[120:121], v[2:3]
	s_waitcnt lgkmcnt(1)
	v_fma_f64 v[2:3], v[134:135], v[122:123], v[2:3]
	s_waitcnt vmcnt(0)
	s_delay_alu instid0(VALU_DEP_1) | instskip(SKIP_1) | instid1(VALU_DEP_1)
	v_fma_f64 v[2:3], v[114:115], v[124:125], v[2:3]
	s_waitcnt lgkmcnt(0)
	v_fma_f64 v[2:3], v[116:117], v[110:111], v[2:3]
	s_delay_alu instid0(VALU_DEP_1)
	v_add_f64 v[2:3], v[108:109], -v[2:3]
	scratch_store_b64 off, v[2:3], off offset:264
	v_cmpx_lt_u32_e32 32, v0
	s_cbranch_execz .LBB114_251
; %bb.250:
	scratch_load_b64 v[3:4], off, off offset:256
	v_mov_b32_e32 v2, v1
	scratch_store_b64 off, v[1:2], off offset:256
	s_waitcnt vmcnt(0)
	ds_store_b64 v5, v[3:4]
.LBB114_251:
	s_or_b32 exec_lo, exec_lo, s0
	s_waitcnt lgkmcnt(0)
	s_waitcnt_vscnt null, 0x0
	s_barrier
	buffer_gl0_inv
	s_clause 0x4
	scratch_load_b128 v[108:111], off, off offset:256
	scratch_load_b128 v[112:115], off, off offset:272
	;; [unrolled: 1-line block ×5, first 2 shown]
	ds_load_2addr_b64 v[128:131], v1 offset0:85 offset1:86
	ds_load_2addr_b64 v[132:135], v1 offset0:87 offset1:88
	scratch_load_b128 v[136:139], off, off offset:336
	s_mov_b32 s0, exec_lo
	s_waitcnt vmcnt(5) lgkmcnt(1)
	v_fma_f64 v[2:3], v[110:111], v[128:129], 0
	s_waitcnt vmcnt(4)
	s_delay_alu instid0(VALU_DEP_1) | instskip(SKIP_4) | instid1(VALU_DEP_1)
	v_fma_f64 v[2:3], v[112:113], v[130:131], v[2:3]
	scratch_load_b128 v[110:113], off, off offset:352
	s_waitcnt lgkmcnt(0)
	v_fma_f64 v[2:3], v[114:115], v[132:133], v[2:3]
	s_waitcnt vmcnt(4)
	v_fma_f64 v[2:3], v[116:117], v[134:135], v[2:3]
	ds_load_2addr_b64 v[114:117], v1 offset0:89 offset1:90
	ds_load_2addr_b64 v[128:131], v1 offset0:91 offset1:92
	scratch_load_b128 v[132:135], off, off offset:368
	s_waitcnt lgkmcnt(1)
	v_fma_f64 v[2:3], v[118:119], v[114:115], v[2:3]
	s_waitcnt vmcnt(4)
	s_delay_alu instid0(VALU_DEP_1) | instskip(SKIP_4) | instid1(VALU_DEP_1)
	v_fma_f64 v[2:3], v[120:121], v[116:117], v[2:3]
	scratch_load_b128 v[114:117], off, off offset:384
	s_waitcnt lgkmcnt(0)
	v_fma_f64 v[2:3], v[122:123], v[128:129], v[2:3]
	s_waitcnt vmcnt(4)
	v_fma_f64 v[2:3], v[124:125], v[130:131], v[2:3]
	ds_load_2addr_b64 v[118:121], v1 offset0:93 offset1:94
	ds_load_2addr_b64 v[122:125], v1 offset0:95 offset1:96
	s_waitcnt lgkmcnt(1)
	v_fma_f64 v[2:3], v[126:127], v[118:119], v[2:3]
	scratch_load_b64 v[126:127], off, off offset:400
	s_waitcnt vmcnt(4)
	v_fma_f64 v[2:3], v[136:137], v[120:121], v[2:3]
	s_waitcnt lgkmcnt(0)
	s_delay_alu instid0(VALU_DEP_1) | instskip(SKIP_1) | instid1(VALU_DEP_1)
	v_fma_f64 v[2:3], v[138:139], v[122:123], v[2:3]
	s_waitcnt vmcnt(3)
	v_fma_f64 v[2:3], v[110:111], v[124:125], v[2:3]
	ds_load_2addr_b64 v[118:121], v1 offset0:97 offset1:98
	ds_load_2addr_b64 v[122:125], v1 offset0:99 offset1:100
	s_waitcnt lgkmcnt(1)
	v_fma_f64 v[2:3], v[112:113], v[118:119], v[2:3]
	s_waitcnt vmcnt(2)
	s_delay_alu instid0(VALU_DEP_1) | instskip(SKIP_1) | instid1(VALU_DEP_1)
	v_fma_f64 v[2:3], v[132:133], v[120:121], v[2:3]
	s_waitcnt lgkmcnt(0)
	v_fma_f64 v[2:3], v[134:135], v[122:123], v[2:3]
	s_waitcnt vmcnt(1)
	s_delay_alu instid0(VALU_DEP_1) | instskip(SKIP_4) | instid1(VALU_DEP_1)
	v_fma_f64 v[110:111], v[114:115], v[124:125], v[2:3]
	ds_load_2addr_b64 v[1:4], v1 offset0:101 offset1:102
	s_waitcnt lgkmcnt(0)
	v_fma_f64 v[1:2], v[116:117], v[1:2], v[110:111]
	s_waitcnt vmcnt(0)
	v_fma_f64 v[1:2], v[126:127], v[3:4], v[1:2]
	s_delay_alu instid0(VALU_DEP_1)
	v_add_f64 v[1:2], v[108:109], -v[1:2]
	scratch_store_b64 off, v[1:2], off offset:256
	v_cmpx_lt_u32_e32 31, v0
	s_cbranch_execz .LBB114_253
; %bb.252:
	scratch_load_b64 v[1:2], off, off offset:248
	v_mov_b32_e32 v3, 0
	s_delay_alu instid0(VALU_DEP_1)
	v_mov_b32_e32 v4, v3
	scratch_store_b64 off, v[3:4], off offset:248
	s_waitcnt vmcnt(0)
	ds_store_b64 v5, v[1:2]
.LBB114_253:
	s_or_b32 exec_lo, exec_lo, s0
	s_waitcnt lgkmcnt(0)
	s_waitcnt_vscnt null, 0x0
	s_barrier
	buffer_gl0_inv
	s_clause 0x4
	scratch_load_b128 v[108:111], off, off offset:248
	scratch_load_b128 v[112:115], off, off offset:264
	;; [unrolled: 1-line block ×5, first 2 shown]
	v_mov_b32_e32 v1, 0
	ds_load_b128 v[128:131], v1 offset:672
	ds_load_b128 v[132:135], v1 offset:688
	scratch_load_b128 v[136:139], off, off offset:328
	s_mov_b32 s0, exec_lo
	s_waitcnt vmcnt(5) lgkmcnt(1)
	v_fma_f64 v[2:3], v[110:111], v[128:129], 0
	s_waitcnt vmcnt(4)
	s_delay_alu instid0(VALU_DEP_1) | instskip(SKIP_4) | instid1(VALU_DEP_1)
	v_fma_f64 v[2:3], v[112:113], v[130:131], v[2:3]
	scratch_load_b128 v[110:113], off, off offset:344
	s_waitcnt lgkmcnt(0)
	v_fma_f64 v[2:3], v[114:115], v[132:133], v[2:3]
	s_waitcnt vmcnt(4)
	v_fma_f64 v[2:3], v[116:117], v[134:135], v[2:3]
	ds_load_b128 v[114:117], v1 offset:704
	ds_load_b128 v[128:131], v1 offset:720
	scratch_load_b128 v[132:135], off, off offset:360
	s_waitcnt lgkmcnt(1)
	v_fma_f64 v[2:3], v[118:119], v[114:115], v[2:3]
	s_waitcnt vmcnt(4)
	s_delay_alu instid0(VALU_DEP_1) | instskip(SKIP_4) | instid1(VALU_DEP_1)
	v_fma_f64 v[2:3], v[120:121], v[116:117], v[2:3]
	scratch_load_b128 v[114:117], off, off offset:376
	s_waitcnt lgkmcnt(0)
	v_fma_f64 v[2:3], v[122:123], v[128:129], v[2:3]
	s_waitcnt vmcnt(4)
	v_fma_f64 v[2:3], v[124:125], v[130:131], v[2:3]
	ds_load_b128 v[118:121], v1 offset:736
	ds_load_b128 v[122:125], v1 offset:752
	s_waitcnt lgkmcnt(1)
	v_fma_f64 v[2:3], v[126:127], v[118:119], v[2:3]
	scratch_load_b128 v[126:129], off, off offset:392
	s_waitcnt vmcnt(4)
	v_fma_f64 v[2:3], v[136:137], v[120:121], v[2:3]
	s_waitcnt lgkmcnt(0)
	s_delay_alu instid0(VALU_DEP_1) | instskip(SKIP_1) | instid1(VALU_DEP_1)
	v_fma_f64 v[2:3], v[138:139], v[122:123], v[2:3]
	s_waitcnt vmcnt(3)
	v_fma_f64 v[2:3], v[110:111], v[124:125], v[2:3]
	ds_load_b128 v[118:121], v1 offset:768
	ds_load_b128 v[122:125], v1 offset:784
	s_waitcnt lgkmcnt(1)
	v_fma_f64 v[2:3], v[112:113], v[118:119], v[2:3]
	s_waitcnt vmcnt(2)
	s_delay_alu instid0(VALU_DEP_1) | instskip(SKIP_1) | instid1(VALU_DEP_1)
	v_fma_f64 v[2:3], v[132:133], v[120:121], v[2:3]
	s_waitcnt lgkmcnt(0)
	v_fma_f64 v[2:3], v[134:135], v[122:123], v[2:3]
	s_waitcnt vmcnt(1)
	s_delay_alu instid0(VALU_DEP_1)
	v_fma_f64 v[2:3], v[114:115], v[124:125], v[2:3]
	ds_load_b128 v[110:113], v1 offset:800
	ds_load_b64 v[114:115], v1 offset:816
	s_waitcnt lgkmcnt(1)
	v_fma_f64 v[2:3], v[116:117], v[110:111], v[2:3]
	s_waitcnt vmcnt(0)
	s_delay_alu instid0(VALU_DEP_1) | instskip(SKIP_1) | instid1(VALU_DEP_1)
	v_fma_f64 v[2:3], v[126:127], v[112:113], v[2:3]
	s_waitcnt lgkmcnt(0)
	v_fma_f64 v[2:3], v[128:129], v[114:115], v[2:3]
	s_delay_alu instid0(VALU_DEP_1)
	v_add_f64 v[2:3], v[108:109], -v[2:3]
	scratch_store_b64 off, v[2:3], off offset:248
	v_cmpx_lt_u32_e32 30, v0
	s_cbranch_execz .LBB114_255
; %bb.254:
	scratch_load_b64 v[3:4], off, off offset:240
	v_mov_b32_e32 v2, v1
	scratch_store_b64 off, v[1:2], off offset:240
	s_waitcnt vmcnt(0)
	ds_store_b64 v5, v[3:4]
.LBB114_255:
	s_or_b32 exec_lo, exec_lo, s0
	s_waitcnt lgkmcnt(0)
	s_waitcnt_vscnt null, 0x0
	s_barrier
	buffer_gl0_inv
	s_clause 0x4
	scratch_load_b128 v[108:111], off, off offset:240
	scratch_load_b128 v[112:115], off, off offset:256
	;; [unrolled: 1-line block ×5, first 2 shown]
	ds_load_2addr_b64 v[128:131], v1 offset0:83 offset1:84
	ds_load_2addr_b64 v[132:135], v1 offset0:85 offset1:86
	scratch_load_b128 v[136:139], off, off offset:320
	s_mov_b32 s0, exec_lo
	s_waitcnt vmcnt(5) lgkmcnt(1)
	v_fma_f64 v[2:3], v[110:111], v[128:129], 0
	s_waitcnt vmcnt(4)
	s_delay_alu instid0(VALU_DEP_1) | instskip(SKIP_4) | instid1(VALU_DEP_1)
	v_fma_f64 v[2:3], v[112:113], v[130:131], v[2:3]
	scratch_load_b128 v[110:113], off, off offset:336
	s_waitcnt lgkmcnt(0)
	v_fma_f64 v[2:3], v[114:115], v[132:133], v[2:3]
	s_waitcnt vmcnt(4)
	v_fma_f64 v[2:3], v[116:117], v[134:135], v[2:3]
	ds_load_2addr_b64 v[114:117], v1 offset0:87 offset1:88
	ds_load_2addr_b64 v[128:131], v1 offset0:89 offset1:90
	scratch_load_b128 v[132:135], off, off offset:352
	s_waitcnt lgkmcnt(1)
	v_fma_f64 v[2:3], v[118:119], v[114:115], v[2:3]
	s_waitcnt vmcnt(4)
	s_delay_alu instid0(VALU_DEP_1) | instskip(SKIP_4) | instid1(VALU_DEP_1)
	v_fma_f64 v[2:3], v[120:121], v[116:117], v[2:3]
	scratch_load_b128 v[114:117], off, off offset:368
	s_waitcnt lgkmcnt(0)
	v_fma_f64 v[2:3], v[122:123], v[128:129], v[2:3]
	s_waitcnt vmcnt(4)
	v_fma_f64 v[2:3], v[124:125], v[130:131], v[2:3]
	ds_load_2addr_b64 v[118:121], v1 offset0:91 offset1:92
	ds_load_2addr_b64 v[122:125], v1 offset0:93 offset1:94
	scratch_load_b64 v[130:131], off, off offset:400
	s_waitcnt lgkmcnt(1)
	v_fma_f64 v[2:3], v[126:127], v[118:119], v[2:3]
	scratch_load_b128 v[126:129], off, off offset:384
	s_waitcnt vmcnt(5)
	v_fma_f64 v[2:3], v[136:137], v[120:121], v[2:3]
	s_waitcnt lgkmcnt(0)
	s_delay_alu instid0(VALU_DEP_1) | instskip(SKIP_1) | instid1(VALU_DEP_1)
	v_fma_f64 v[2:3], v[138:139], v[122:123], v[2:3]
	s_waitcnt vmcnt(4)
	v_fma_f64 v[2:3], v[110:111], v[124:125], v[2:3]
	ds_load_2addr_b64 v[118:121], v1 offset0:95 offset1:96
	ds_load_2addr_b64 v[122:125], v1 offset0:97 offset1:98
	s_waitcnt lgkmcnt(1)
	v_fma_f64 v[2:3], v[112:113], v[118:119], v[2:3]
	s_waitcnt vmcnt(3)
	s_delay_alu instid0(VALU_DEP_1) | instskip(SKIP_1) | instid1(VALU_DEP_1)
	v_fma_f64 v[2:3], v[132:133], v[120:121], v[2:3]
	s_waitcnt lgkmcnt(0)
	v_fma_f64 v[2:3], v[134:135], v[122:123], v[2:3]
	s_waitcnt vmcnt(2)
	s_delay_alu instid0(VALU_DEP_1)
	v_fma_f64 v[114:115], v[114:115], v[124:125], v[2:3]
	ds_load_2addr_b64 v[110:113], v1 offset0:99 offset1:100
	ds_load_2addr_b64 v[1:4], v1 offset0:101 offset1:102
	s_waitcnt lgkmcnt(1)
	v_fma_f64 v[110:111], v[116:117], v[110:111], v[114:115]
	s_waitcnt vmcnt(0)
	s_delay_alu instid0(VALU_DEP_1) | instskip(SKIP_1) | instid1(VALU_DEP_1)
	v_fma_f64 v[110:111], v[126:127], v[112:113], v[110:111]
	s_waitcnt lgkmcnt(0)
	v_fma_f64 v[1:2], v[128:129], v[1:2], v[110:111]
	s_delay_alu instid0(VALU_DEP_1) | instskip(NEXT) | instid1(VALU_DEP_1)
	v_fma_f64 v[1:2], v[130:131], v[3:4], v[1:2]
	v_add_f64 v[1:2], v[108:109], -v[1:2]
	scratch_store_b64 off, v[1:2], off offset:240
	v_cmpx_lt_u32_e32 29, v0
	s_cbranch_execz .LBB114_257
; %bb.256:
	scratch_load_b64 v[1:2], off, off offset:232
	v_mov_b32_e32 v3, 0
	s_delay_alu instid0(VALU_DEP_1)
	v_mov_b32_e32 v4, v3
	scratch_store_b64 off, v[3:4], off offset:232
	s_waitcnt vmcnt(0)
	ds_store_b64 v5, v[1:2]
.LBB114_257:
	s_or_b32 exec_lo, exec_lo, s0
	s_waitcnt lgkmcnt(0)
	s_waitcnt_vscnt null, 0x0
	s_barrier
	buffer_gl0_inv
	s_clause 0x4
	scratch_load_b128 v[108:111], off, off offset:232
	scratch_load_b128 v[112:115], off, off offset:248
	;; [unrolled: 1-line block ×5, first 2 shown]
	v_mov_b32_e32 v1, 0
	ds_load_b128 v[128:131], v1 offset:656
	ds_load_b128 v[132:135], v1 offset:672
	scratch_load_b128 v[136:139], off, off offset:312
	s_mov_b32 s0, exec_lo
	s_waitcnt vmcnt(5) lgkmcnt(1)
	v_fma_f64 v[2:3], v[110:111], v[128:129], 0
	s_waitcnt vmcnt(4)
	s_delay_alu instid0(VALU_DEP_1) | instskip(SKIP_4) | instid1(VALU_DEP_1)
	v_fma_f64 v[2:3], v[112:113], v[130:131], v[2:3]
	scratch_load_b128 v[110:113], off, off offset:328
	s_waitcnt lgkmcnt(0)
	v_fma_f64 v[2:3], v[114:115], v[132:133], v[2:3]
	s_waitcnt vmcnt(4)
	v_fma_f64 v[2:3], v[116:117], v[134:135], v[2:3]
	ds_load_b128 v[114:117], v1 offset:688
	ds_load_b128 v[128:131], v1 offset:704
	scratch_load_b128 v[132:135], off, off offset:344
	s_waitcnt lgkmcnt(1)
	v_fma_f64 v[2:3], v[118:119], v[114:115], v[2:3]
	s_waitcnt vmcnt(4)
	s_delay_alu instid0(VALU_DEP_1) | instskip(SKIP_4) | instid1(VALU_DEP_1)
	v_fma_f64 v[2:3], v[120:121], v[116:117], v[2:3]
	scratch_load_b128 v[114:117], off, off offset:360
	s_waitcnt lgkmcnt(0)
	v_fma_f64 v[2:3], v[122:123], v[128:129], v[2:3]
	s_waitcnt vmcnt(4)
	v_fma_f64 v[2:3], v[124:125], v[130:131], v[2:3]
	ds_load_b128 v[118:121], v1 offset:720
	ds_load_b128 v[122:125], v1 offset:736
	s_waitcnt lgkmcnt(1)
	v_fma_f64 v[2:3], v[126:127], v[118:119], v[2:3]
	scratch_load_b128 v[126:129], off, off offset:376
	s_waitcnt vmcnt(4)
	v_fma_f64 v[2:3], v[136:137], v[120:121], v[2:3]
	scratch_load_b128 v[118:121], off, off offset:392
	s_waitcnt lgkmcnt(0)
	v_fma_f64 v[2:3], v[138:139], v[122:123], v[2:3]
	s_waitcnt vmcnt(4)
	s_delay_alu instid0(VALU_DEP_1)
	v_fma_f64 v[2:3], v[110:111], v[124:125], v[2:3]
	ds_load_b128 v[122:125], v1 offset:752
	ds_load_b128 v[136:139], v1 offset:768
	s_waitcnt lgkmcnt(1)
	v_fma_f64 v[2:3], v[112:113], v[122:123], v[2:3]
	s_waitcnt vmcnt(3)
	s_delay_alu instid0(VALU_DEP_1)
	v_fma_f64 v[2:3], v[132:133], v[124:125], v[2:3]
	ds_load_b128 v[110:113], v1 offset:784
	ds_load_b128 v[122:125], v1 offset:800
	s_waitcnt lgkmcnt(2)
	v_fma_f64 v[2:3], v[134:135], v[136:137], v[2:3]
	s_waitcnt vmcnt(2)
	s_delay_alu instid0(VALU_DEP_1) | instskip(SKIP_1) | instid1(VALU_DEP_1)
	v_fma_f64 v[2:3], v[114:115], v[138:139], v[2:3]
	s_waitcnt lgkmcnt(1)
	v_fma_f64 v[2:3], v[116:117], v[110:111], v[2:3]
	ds_load_b64 v[110:111], v1 offset:816
	s_waitcnt vmcnt(1)
	v_fma_f64 v[2:3], v[126:127], v[112:113], v[2:3]
	s_waitcnt lgkmcnt(1)
	s_delay_alu instid0(VALU_DEP_1) | instskip(SKIP_1) | instid1(VALU_DEP_1)
	v_fma_f64 v[2:3], v[128:129], v[122:123], v[2:3]
	s_waitcnt vmcnt(0)
	v_fma_f64 v[2:3], v[118:119], v[124:125], v[2:3]
	s_waitcnt lgkmcnt(0)
	s_delay_alu instid0(VALU_DEP_1) | instskip(NEXT) | instid1(VALU_DEP_1)
	v_fma_f64 v[2:3], v[120:121], v[110:111], v[2:3]
	v_add_f64 v[2:3], v[108:109], -v[2:3]
	scratch_store_b64 off, v[2:3], off offset:232
	v_cmpx_lt_u32_e32 28, v0
	s_cbranch_execz .LBB114_259
; %bb.258:
	scratch_load_b64 v[3:4], off, off offset:224
	v_mov_b32_e32 v2, v1
	scratch_store_b64 off, v[1:2], off offset:224
	s_waitcnt vmcnt(0)
	ds_store_b64 v5, v[3:4]
.LBB114_259:
	s_or_b32 exec_lo, exec_lo, s0
	s_waitcnt lgkmcnt(0)
	s_waitcnt_vscnt null, 0x0
	s_barrier
	buffer_gl0_inv
	s_clause 0x4
	scratch_load_b128 v[108:111], off, off offset:224
	scratch_load_b128 v[112:115], off, off offset:240
	;; [unrolled: 1-line block ×5, first 2 shown]
	ds_load_2addr_b64 v[128:131], v1 offset0:81 offset1:82
	ds_load_2addr_b64 v[132:135], v1 offset0:83 offset1:84
	scratch_load_b128 v[136:139], off, off offset:304
	s_mov_b32 s0, exec_lo
	s_waitcnt vmcnt(5) lgkmcnt(1)
	v_fma_f64 v[2:3], v[110:111], v[128:129], 0
	s_waitcnt vmcnt(4)
	s_delay_alu instid0(VALU_DEP_1) | instskip(SKIP_4) | instid1(VALU_DEP_1)
	v_fma_f64 v[2:3], v[112:113], v[130:131], v[2:3]
	scratch_load_b128 v[110:113], off, off offset:320
	s_waitcnt lgkmcnt(0)
	v_fma_f64 v[2:3], v[114:115], v[132:133], v[2:3]
	s_waitcnt vmcnt(4)
	v_fma_f64 v[2:3], v[116:117], v[134:135], v[2:3]
	ds_load_2addr_b64 v[114:117], v1 offset0:85 offset1:86
	ds_load_2addr_b64 v[128:131], v1 offset0:87 offset1:88
	scratch_load_b128 v[132:135], off, off offset:336
	s_waitcnt lgkmcnt(1)
	v_fma_f64 v[2:3], v[118:119], v[114:115], v[2:3]
	s_waitcnt vmcnt(4)
	s_delay_alu instid0(VALU_DEP_1) | instskip(SKIP_4) | instid1(VALU_DEP_1)
	v_fma_f64 v[2:3], v[120:121], v[116:117], v[2:3]
	scratch_load_b128 v[114:117], off, off offset:352
	s_waitcnt lgkmcnt(0)
	v_fma_f64 v[2:3], v[122:123], v[128:129], v[2:3]
	s_waitcnt vmcnt(4)
	v_fma_f64 v[2:3], v[124:125], v[130:131], v[2:3]
	ds_load_2addr_b64 v[118:121], v1 offset0:89 offset1:90
	ds_load_2addr_b64 v[122:125], v1 offset0:91 offset1:92
	s_waitcnt lgkmcnt(1)
	v_fma_f64 v[2:3], v[126:127], v[118:119], v[2:3]
	scratch_load_b128 v[126:129], off, off offset:368
	s_waitcnt vmcnt(4)
	v_fma_f64 v[2:3], v[136:137], v[120:121], v[2:3]
	scratch_load_b128 v[118:121], off, off offset:384
	s_waitcnt lgkmcnt(0)
	v_fma_f64 v[2:3], v[138:139], v[122:123], v[2:3]
	s_waitcnt vmcnt(4)
	s_delay_alu instid0(VALU_DEP_1)
	v_fma_f64 v[2:3], v[110:111], v[124:125], v[2:3]
	ds_load_2addr_b64 v[122:125], v1 offset0:93 offset1:94
	ds_load_2addr_b64 v[136:139], v1 offset0:95 offset1:96
	scratch_load_b64 v[130:131], off, off offset:400
	s_waitcnt lgkmcnt(1)
	v_fma_f64 v[2:3], v[112:113], v[122:123], v[2:3]
	s_waitcnt vmcnt(4)
	s_delay_alu instid0(VALU_DEP_1)
	v_fma_f64 v[2:3], v[132:133], v[124:125], v[2:3]
	ds_load_2addr_b64 v[110:113], v1 offset0:97 offset1:98
	ds_load_2addr_b64 v[122:125], v1 offset0:99 offset1:100
	s_waitcnt lgkmcnt(2)
	v_fma_f64 v[2:3], v[134:135], v[136:137], v[2:3]
	s_waitcnt vmcnt(3)
	s_delay_alu instid0(VALU_DEP_1) | instskip(SKIP_1) | instid1(VALU_DEP_1)
	v_fma_f64 v[2:3], v[114:115], v[138:139], v[2:3]
	s_waitcnt lgkmcnt(1)
	v_fma_f64 v[2:3], v[116:117], v[110:111], v[2:3]
	s_waitcnt vmcnt(2)
	s_delay_alu instid0(VALU_DEP_1) | instskip(SKIP_1) | instid1(VALU_DEP_1)
	v_fma_f64 v[2:3], v[126:127], v[112:113], v[2:3]
	s_waitcnt lgkmcnt(0)
	v_fma_f64 v[2:3], v[128:129], v[122:123], v[2:3]
	s_waitcnt vmcnt(1)
	s_delay_alu instid0(VALU_DEP_1) | instskip(SKIP_4) | instid1(VALU_DEP_1)
	v_fma_f64 v[110:111], v[118:119], v[124:125], v[2:3]
	ds_load_2addr_b64 v[1:4], v1 offset0:101 offset1:102
	s_waitcnt lgkmcnt(0)
	v_fma_f64 v[1:2], v[120:121], v[1:2], v[110:111]
	s_waitcnt vmcnt(0)
	v_fma_f64 v[1:2], v[130:131], v[3:4], v[1:2]
	s_delay_alu instid0(VALU_DEP_1)
	v_add_f64 v[1:2], v[108:109], -v[1:2]
	scratch_store_b64 off, v[1:2], off offset:224
	v_cmpx_lt_u32_e32 27, v0
	s_cbranch_execz .LBB114_261
; %bb.260:
	scratch_load_b64 v[1:2], off, off offset:216
	v_mov_b32_e32 v3, 0
	s_delay_alu instid0(VALU_DEP_1)
	v_mov_b32_e32 v4, v3
	scratch_store_b64 off, v[3:4], off offset:216
	s_waitcnt vmcnt(0)
	ds_store_b64 v5, v[1:2]
.LBB114_261:
	s_or_b32 exec_lo, exec_lo, s0
	s_waitcnt lgkmcnt(0)
	s_waitcnt_vscnt null, 0x0
	s_barrier
	buffer_gl0_inv
	s_clause 0x4
	scratch_load_b128 v[108:111], off, off offset:216
	scratch_load_b128 v[112:115], off, off offset:232
	;; [unrolled: 1-line block ×5, first 2 shown]
	v_mov_b32_e32 v1, 0
	ds_load_b128 v[128:131], v1 offset:640
	ds_load_b128 v[132:135], v1 offset:656
	scratch_load_b128 v[136:139], off, off offset:296
	s_mov_b32 s0, exec_lo
	s_waitcnt vmcnt(5) lgkmcnt(1)
	v_fma_f64 v[2:3], v[110:111], v[128:129], 0
	s_waitcnt vmcnt(4)
	s_delay_alu instid0(VALU_DEP_1) | instskip(SKIP_4) | instid1(VALU_DEP_1)
	v_fma_f64 v[2:3], v[112:113], v[130:131], v[2:3]
	scratch_load_b128 v[110:113], off, off offset:312
	s_waitcnt lgkmcnt(0)
	v_fma_f64 v[2:3], v[114:115], v[132:133], v[2:3]
	s_waitcnt vmcnt(4)
	v_fma_f64 v[2:3], v[116:117], v[134:135], v[2:3]
	ds_load_b128 v[114:117], v1 offset:672
	ds_load_b128 v[128:131], v1 offset:688
	scratch_load_b128 v[132:135], off, off offset:328
	s_waitcnt lgkmcnt(1)
	v_fma_f64 v[2:3], v[118:119], v[114:115], v[2:3]
	s_waitcnt vmcnt(4)
	s_delay_alu instid0(VALU_DEP_1) | instskip(SKIP_4) | instid1(VALU_DEP_1)
	v_fma_f64 v[2:3], v[120:121], v[116:117], v[2:3]
	scratch_load_b128 v[114:117], off, off offset:344
	s_waitcnt lgkmcnt(0)
	v_fma_f64 v[2:3], v[122:123], v[128:129], v[2:3]
	s_waitcnt vmcnt(4)
	v_fma_f64 v[2:3], v[124:125], v[130:131], v[2:3]
	ds_load_b128 v[118:121], v1 offset:704
	ds_load_b128 v[122:125], v1 offset:720
	s_waitcnt lgkmcnt(1)
	v_fma_f64 v[2:3], v[126:127], v[118:119], v[2:3]
	scratch_load_b128 v[126:129], off, off offset:360
	s_waitcnt vmcnt(4)
	v_fma_f64 v[2:3], v[136:137], v[120:121], v[2:3]
	scratch_load_b128 v[118:121], off, off offset:376
	s_waitcnt lgkmcnt(0)
	v_fma_f64 v[2:3], v[138:139], v[122:123], v[2:3]
	s_waitcnt vmcnt(4)
	s_delay_alu instid0(VALU_DEP_1)
	v_fma_f64 v[2:3], v[110:111], v[124:125], v[2:3]
	ds_load_b128 v[122:125], v1 offset:736
	ds_load_b128 v[136:139], v1 offset:752
	s_waitcnt lgkmcnt(1)
	v_fma_f64 v[2:3], v[112:113], v[122:123], v[2:3]
	scratch_load_b128 v[110:113], off, off offset:392
	s_waitcnt vmcnt(4)
	v_fma_f64 v[2:3], v[132:133], v[124:125], v[2:3]
	ds_load_b128 v[122:125], v1 offset:768
	ds_load_b128 v[130:133], v1 offset:784
	s_waitcnt lgkmcnt(2)
	v_fma_f64 v[2:3], v[134:135], v[136:137], v[2:3]
	s_waitcnt vmcnt(3)
	s_delay_alu instid0(VALU_DEP_1) | instskip(SKIP_1) | instid1(VALU_DEP_1)
	v_fma_f64 v[2:3], v[114:115], v[138:139], v[2:3]
	s_waitcnt lgkmcnt(1)
	v_fma_f64 v[2:3], v[116:117], v[122:123], v[2:3]
	s_waitcnt vmcnt(2)
	s_delay_alu instid0(VALU_DEP_1) | instskip(SKIP_1) | instid1(VALU_DEP_1)
	v_fma_f64 v[2:3], v[126:127], v[124:125], v[2:3]
	s_waitcnt lgkmcnt(0)
	v_fma_f64 v[2:3], v[128:129], v[130:131], v[2:3]
	s_waitcnt vmcnt(1)
	s_delay_alu instid0(VALU_DEP_1)
	v_fma_f64 v[2:3], v[118:119], v[132:133], v[2:3]
	ds_load_b128 v[114:117], v1 offset:800
	ds_load_b64 v[118:119], v1 offset:816
	s_waitcnt lgkmcnt(1)
	v_fma_f64 v[2:3], v[120:121], v[114:115], v[2:3]
	s_waitcnt vmcnt(0)
	s_delay_alu instid0(VALU_DEP_1) | instskip(SKIP_1) | instid1(VALU_DEP_1)
	v_fma_f64 v[2:3], v[110:111], v[116:117], v[2:3]
	s_waitcnt lgkmcnt(0)
	v_fma_f64 v[2:3], v[112:113], v[118:119], v[2:3]
	s_delay_alu instid0(VALU_DEP_1)
	v_add_f64 v[2:3], v[108:109], -v[2:3]
	scratch_store_b64 off, v[2:3], off offset:216
	v_cmpx_lt_u32_e32 26, v0
	s_cbranch_execz .LBB114_263
; %bb.262:
	scratch_load_b64 v[3:4], off, off offset:208
	v_mov_b32_e32 v2, v1
	scratch_store_b64 off, v[1:2], off offset:208
	s_waitcnt vmcnt(0)
	ds_store_b64 v5, v[3:4]
.LBB114_263:
	s_or_b32 exec_lo, exec_lo, s0
	s_waitcnt lgkmcnt(0)
	s_waitcnt_vscnt null, 0x0
	s_barrier
	buffer_gl0_inv
	s_clause 0x4
	scratch_load_b128 v[108:111], off, off offset:208
	scratch_load_b128 v[112:115], off, off offset:224
	scratch_load_b128 v[116:119], off, off offset:240
	scratch_load_b128 v[120:123], off, off offset:256
	scratch_load_b128 v[124:127], off, off offset:272
	ds_load_2addr_b64 v[128:131], v1 offset0:79 offset1:80
	ds_load_2addr_b64 v[132:135], v1 offset0:81 offset1:82
	scratch_load_b128 v[136:139], off, off offset:288
	s_mov_b32 s0, exec_lo
	s_waitcnt vmcnt(5) lgkmcnt(1)
	v_fma_f64 v[2:3], v[110:111], v[128:129], 0
	s_waitcnt vmcnt(4)
	s_delay_alu instid0(VALU_DEP_1) | instskip(SKIP_4) | instid1(VALU_DEP_1)
	v_fma_f64 v[2:3], v[112:113], v[130:131], v[2:3]
	scratch_load_b128 v[110:113], off, off offset:304
	s_waitcnt lgkmcnt(0)
	v_fma_f64 v[2:3], v[114:115], v[132:133], v[2:3]
	s_waitcnt vmcnt(4)
	v_fma_f64 v[2:3], v[116:117], v[134:135], v[2:3]
	ds_load_2addr_b64 v[114:117], v1 offset0:83 offset1:84
	ds_load_2addr_b64 v[128:131], v1 offset0:85 offset1:86
	scratch_load_b128 v[132:135], off, off offset:320
	s_waitcnt lgkmcnt(1)
	v_fma_f64 v[2:3], v[118:119], v[114:115], v[2:3]
	s_waitcnt vmcnt(4)
	s_delay_alu instid0(VALU_DEP_1) | instskip(SKIP_4) | instid1(VALU_DEP_1)
	v_fma_f64 v[2:3], v[120:121], v[116:117], v[2:3]
	scratch_load_b128 v[114:117], off, off offset:336
	s_waitcnt lgkmcnt(0)
	v_fma_f64 v[2:3], v[122:123], v[128:129], v[2:3]
	s_waitcnt vmcnt(4)
	v_fma_f64 v[2:3], v[124:125], v[130:131], v[2:3]
	ds_load_2addr_b64 v[118:121], v1 offset0:87 offset1:88
	ds_load_2addr_b64 v[122:125], v1 offset0:89 offset1:90
	s_waitcnt lgkmcnt(1)
	v_fma_f64 v[2:3], v[126:127], v[118:119], v[2:3]
	scratch_load_b128 v[126:129], off, off offset:352
	s_waitcnt vmcnt(4)
	v_fma_f64 v[2:3], v[136:137], v[120:121], v[2:3]
	scratch_load_b128 v[118:121], off, off offset:368
	s_waitcnt lgkmcnt(0)
	v_fma_f64 v[2:3], v[138:139], v[122:123], v[2:3]
	s_waitcnt vmcnt(4)
	s_delay_alu instid0(VALU_DEP_1)
	v_fma_f64 v[2:3], v[110:111], v[124:125], v[2:3]
	ds_load_2addr_b64 v[122:125], v1 offset0:91 offset1:92
	ds_load_2addr_b64 v[136:139], v1 offset0:93 offset1:94
	s_waitcnt lgkmcnt(1)
	v_fma_f64 v[2:3], v[112:113], v[122:123], v[2:3]
	scratch_load_b128 v[110:113], off, off offset:384
	s_waitcnt vmcnt(4)
	v_fma_f64 v[2:3], v[132:133], v[124:125], v[2:3]
	s_waitcnt lgkmcnt(0)
	s_delay_alu instid0(VALU_DEP_1)
	v_fma_f64 v[2:3], v[134:135], v[136:137], v[2:3]
	scratch_load_b64 v[134:135], off, off offset:400
	ds_load_2addr_b64 v[122:125], v1 offset0:95 offset1:96
	ds_load_2addr_b64 v[130:133], v1 offset0:97 offset1:98
	s_waitcnt vmcnt(4)
	v_fma_f64 v[2:3], v[114:115], v[138:139], v[2:3]
	s_waitcnt lgkmcnt(1)
	s_delay_alu instid0(VALU_DEP_1) | instskip(SKIP_1) | instid1(VALU_DEP_1)
	v_fma_f64 v[2:3], v[116:117], v[122:123], v[2:3]
	s_waitcnt vmcnt(3)
	v_fma_f64 v[2:3], v[126:127], v[124:125], v[2:3]
	s_waitcnt lgkmcnt(0)
	s_delay_alu instid0(VALU_DEP_1) | instskip(SKIP_1) | instid1(VALU_DEP_1)
	v_fma_f64 v[2:3], v[128:129], v[130:131], v[2:3]
	s_waitcnt vmcnt(2)
	v_fma_f64 v[118:119], v[118:119], v[132:133], v[2:3]
	ds_load_2addr_b64 v[114:117], v1 offset0:99 offset1:100
	ds_load_2addr_b64 v[1:4], v1 offset0:101 offset1:102
	s_waitcnt lgkmcnt(1)
	v_fma_f64 v[114:115], v[120:121], v[114:115], v[118:119]
	s_waitcnt vmcnt(1)
	s_delay_alu instid0(VALU_DEP_1) | instskip(SKIP_1) | instid1(VALU_DEP_1)
	v_fma_f64 v[110:111], v[110:111], v[116:117], v[114:115]
	s_waitcnt lgkmcnt(0)
	v_fma_f64 v[1:2], v[112:113], v[1:2], v[110:111]
	s_waitcnt vmcnt(0)
	s_delay_alu instid0(VALU_DEP_1) | instskip(NEXT) | instid1(VALU_DEP_1)
	v_fma_f64 v[1:2], v[134:135], v[3:4], v[1:2]
	v_add_f64 v[1:2], v[108:109], -v[1:2]
	scratch_store_b64 off, v[1:2], off offset:208
	v_cmpx_lt_u32_e32 25, v0
	s_cbranch_execz .LBB114_265
; %bb.264:
	scratch_load_b64 v[1:2], off, off offset:200
	v_mov_b32_e32 v3, 0
	s_delay_alu instid0(VALU_DEP_1)
	v_mov_b32_e32 v4, v3
	scratch_store_b64 off, v[3:4], off offset:200
	s_waitcnt vmcnt(0)
	ds_store_b64 v5, v[1:2]
.LBB114_265:
	s_or_b32 exec_lo, exec_lo, s0
	s_waitcnt lgkmcnt(0)
	s_waitcnt_vscnt null, 0x0
	s_barrier
	buffer_gl0_inv
	s_clause 0x4
	scratch_load_b128 v[108:111], off, off offset:200
	scratch_load_b128 v[112:115], off, off offset:216
	scratch_load_b128 v[116:119], off, off offset:232
	scratch_load_b128 v[120:123], off, off offset:248
	scratch_load_b128 v[124:127], off, off offset:264
	v_mov_b32_e32 v1, 0
	ds_load_b128 v[128:131], v1 offset:624
	ds_load_b128 v[132:135], v1 offset:640
	scratch_load_b128 v[136:139], off, off offset:280
	s_mov_b32 s0, exec_lo
	s_waitcnt vmcnt(5) lgkmcnt(1)
	v_fma_f64 v[2:3], v[110:111], v[128:129], 0
	s_waitcnt vmcnt(4)
	s_delay_alu instid0(VALU_DEP_1) | instskip(SKIP_4) | instid1(VALU_DEP_1)
	v_fma_f64 v[2:3], v[112:113], v[130:131], v[2:3]
	scratch_load_b128 v[110:113], off, off offset:296
	s_waitcnt lgkmcnt(0)
	v_fma_f64 v[2:3], v[114:115], v[132:133], v[2:3]
	s_waitcnt vmcnt(4)
	v_fma_f64 v[2:3], v[116:117], v[134:135], v[2:3]
	ds_load_b128 v[114:117], v1 offset:656
	ds_load_b128 v[128:131], v1 offset:672
	scratch_load_b128 v[132:135], off, off offset:312
	s_waitcnt lgkmcnt(1)
	v_fma_f64 v[2:3], v[118:119], v[114:115], v[2:3]
	s_waitcnt vmcnt(4)
	s_delay_alu instid0(VALU_DEP_1) | instskip(SKIP_4) | instid1(VALU_DEP_1)
	v_fma_f64 v[2:3], v[120:121], v[116:117], v[2:3]
	scratch_load_b128 v[114:117], off, off offset:328
	s_waitcnt lgkmcnt(0)
	v_fma_f64 v[2:3], v[122:123], v[128:129], v[2:3]
	s_waitcnt vmcnt(4)
	v_fma_f64 v[2:3], v[124:125], v[130:131], v[2:3]
	ds_load_b128 v[118:121], v1 offset:688
	ds_load_b128 v[122:125], v1 offset:704
	s_waitcnt lgkmcnt(1)
	v_fma_f64 v[2:3], v[126:127], v[118:119], v[2:3]
	scratch_load_b128 v[126:129], off, off offset:344
	s_waitcnt vmcnt(4)
	v_fma_f64 v[2:3], v[136:137], v[120:121], v[2:3]
	scratch_load_b128 v[118:121], off, off offset:360
	s_waitcnt lgkmcnt(0)
	v_fma_f64 v[2:3], v[138:139], v[122:123], v[2:3]
	s_waitcnt vmcnt(4)
	s_delay_alu instid0(VALU_DEP_1)
	v_fma_f64 v[2:3], v[110:111], v[124:125], v[2:3]
	ds_load_b128 v[122:125], v1 offset:720
	ds_load_b128 v[136:139], v1 offset:736
	s_waitcnt lgkmcnt(1)
	v_fma_f64 v[2:3], v[112:113], v[122:123], v[2:3]
	scratch_load_b128 v[110:113], off, off offset:376
	s_waitcnt vmcnt(4)
	v_fma_f64 v[2:3], v[132:133], v[124:125], v[2:3]
	scratch_load_b128 v[122:125], off, off offset:392
	s_waitcnt lgkmcnt(0)
	v_fma_f64 v[2:3], v[134:135], v[136:137], v[2:3]
	ds_load_b128 v[130:133], v1 offset:752
	ds_load_b128 v[134:137], v1 offset:768
	s_waitcnt vmcnt(4)
	v_fma_f64 v[2:3], v[114:115], v[138:139], v[2:3]
	s_waitcnt lgkmcnt(1)
	s_delay_alu instid0(VALU_DEP_1) | instskip(SKIP_1) | instid1(VALU_DEP_1)
	v_fma_f64 v[2:3], v[116:117], v[130:131], v[2:3]
	s_waitcnt vmcnt(3)
	v_fma_f64 v[2:3], v[126:127], v[132:133], v[2:3]
	s_waitcnt lgkmcnt(0)
	s_delay_alu instid0(VALU_DEP_1)
	v_fma_f64 v[2:3], v[128:129], v[134:135], v[2:3]
	ds_load_b128 v[114:117], v1 offset:784
	ds_load_b128 v[126:129], v1 offset:800
	s_waitcnt vmcnt(2)
	v_fma_f64 v[2:3], v[118:119], v[136:137], v[2:3]
	s_waitcnt lgkmcnt(1)
	s_delay_alu instid0(VALU_DEP_1) | instskip(SKIP_1) | instid1(VALU_DEP_1)
	v_fma_f64 v[2:3], v[120:121], v[114:115], v[2:3]
	s_waitcnt vmcnt(1)
	v_fma_f64 v[2:3], v[110:111], v[116:117], v[2:3]
	ds_load_b64 v[110:111], v1 offset:816
	s_waitcnt lgkmcnt(1)
	v_fma_f64 v[2:3], v[112:113], v[126:127], v[2:3]
	s_waitcnt vmcnt(0)
	s_delay_alu instid0(VALU_DEP_1) | instskip(SKIP_1) | instid1(VALU_DEP_1)
	v_fma_f64 v[2:3], v[122:123], v[128:129], v[2:3]
	s_waitcnt lgkmcnt(0)
	v_fma_f64 v[2:3], v[124:125], v[110:111], v[2:3]
	s_delay_alu instid0(VALU_DEP_1)
	v_add_f64 v[2:3], v[108:109], -v[2:3]
	scratch_store_b64 off, v[2:3], off offset:200
	v_cmpx_lt_u32_e32 24, v0
	s_cbranch_execz .LBB114_267
; %bb.266:
	scratch_load_b64 v[3:4], off, off offset:192
	v_mov_b32_e32 v2, v1
	scratch_store_b64 off, v[1:2], off offset:192
	s_waitcnt vmcnt(0)
	ds_store_b64 v5, v[3:4]
.LBB114_267:
	s_or_b32 exec_lo, exec_lo, s0
	s_waitcnt lgkmcnt(0)
	s_waitcnt_vscnt null, 0x0
	s_barrier
	buffer_gl0_inv
	s_clause 0x4
	scratch_load_b128 v[108:111], off, off offset:192
	scratch_load_b128 v[112:115], off, off offset:208
	scratch_load_b128 v[116:119], off, off offset:224
	scratch_load_b128 v[120:123], off, off offset:240
	scratch_load_b128 v[124:127], off, off offset:256
	ds_load_2addr_b64 v[128:131], v1 offset0:77 offset1:78
	ds_load_2addr_b64 v[132:135], v1 offset0:79 offset1:80
	scratch_load_b128 v[136:139], off, off offset:272
	s_mov_b32 s0, exec_lo
	s_waitcnt vmcnt(5) lgkmcnt(1)
	v_fma_f64 v[2:3], v[110:111], v[128:129], 0
	s_waitcnt vmcnt(4)
	s_delay_alu instid0(VALU_DEP_1) | instskip(SKIP_4) | instid1(VALU_DEP_1)
	v_fma_f64 v[2:3], v[112:113], v[130:131], v[2:3]
	scratch_load_b128 v[110:113], off, off offset:288
	s_waitcnt lgkmcnt(0)
	v_fma_f64 v[2:3], v[114:115], v[132:133], v[2:3]
	s_waitcnt vmcnt(4)
	v_fma_f64 v[2:3], v[116:117], v[134:135], v[2:3]
	ds_load_2addr_b64 v[114:117], v1 offset0:81 offset1:82
	ds_load_2addr_b64 v[128:131], v1 offset0:83 offset1:84
	scratch_load_b128 v[132:135], off, off offset:304
	s_waitcnt lgkmcnt(1)
	v_fma_f64 v[2:3], v[118:119], v[114:115], v[2:3]
	s_waitcnt vmcnt(4)
	s_delay_alu instid0(VALU_DEP_1) | instskip(SKIP_4) | instid1(VALU_DEP_1)
	v_fma_f64 v[2:3], v[120:121], v[116:117], v[2:3]
	scratch_load_b128 v[114:117], off, off offset:320
	s_waitcnt lgkmcnt(0)
	v_fma_f64 v[2:3], v[122:123], v[128:129], v[2:3]
	s_waitcnt vmcnt(4)
	v_fma_f64 v[2:3], v[124:125], v[130:131], v[2:3]
	ds_load_2addr_b64 v[118:121], v1 offset0:85 offset1:86
	ds_load_2addr_b64 v[122:125], v1 offset0:87 offset1:88
	s_waitcnt lgkmcnt(1)
	v_fma_f64 v[2:3], v[126:127], v[118:119], v[2:3]
	scratch_load_b128 v[126:129], off, off offset:336
	s_waitcnt vmcnt(4)
	v_fma_f64 v[2:3], v[136:137], v[120:121], v[2:3]
	scratch_load_b128 v[118:121], off, off offset:352
	s_waitcnt lgkmcnt(0)
	v_fma_f64 v[2:3], v[138:139], v[122:123], v[2:3]
	s_waitcnt vmcnt(4)
	s_delay_alu instid0(VALU_DEP_1)
	v_fma_f64 v[2:3], v[110:111], v[124:125], v[2:3]
	ds_load_2addr_b64 v[122:125], v1 offset0:89 offset1:90
	ds_load_2addr_b64 v[136:139], v1 offset0:91 offset1:92
	s_waitcnt lgkmcnt(1)
	v_fma_f64 v[2:3], v[112:113], v[122:123], v[2:3]
	scratch_load_b128 v[110:113], off, off offset:368
	s_waitcnt vmcnt(4)
	v_fma_f64 v[2:3], v[132:133], v[124:125], v[2:3]
	scratch_load_b128 v[122:125], off, off offset:384
	s_waitcnt lgkmcnt(0)
	v_fma_f64 v[2:3], v[134:135], v[136:137], v[2:3]
	ds_load_2addr_b64 v[130:133], v1 offset0:93 offset1:94
	ds_load_2addr_b64 v[134:137], v1 offset0:95 offset1:96
	s_waitcnt vmcnt(4)
	v_fma_f64 v[2:3], v[114:115], v[138:139], v[2:3]
	s_waitcnt lgkmcnt(1)
	s_delay_alu instid0(VALU_DEP_1) | instskip(SKIP_4) | instid1(VALU_DEP_1)
	v_fma_f64 v[2:3], v[116:117], v[130:131], v[2:3]
	scratch_load_b64 v[130:131], off, off offset:400
	s_waitcnt vmcnt(4)
	v_fma_f64 v[2:3], v[126:127], v[132:133], v[2:3]
	s_waitcnt lgkmcnt(0)
	v_fma_f64 v[2:3], v[128:129], v[134:135], v[2:3]
	ds_load_2addr_b64 v[114:117], v1 offset0:97 offset1:98
	ds_load_2addr_b64 v[126:129], v1 offset0:99 offset1:100
	s_waitcnt vmcnt(3)
	v_fma_f64 v[2:3], v[118:119], v[136:137], v[2:3]
	s_waitcnt lgkmcnt(1)
	s_delay_alu instid0(VALU_DEP_1) | instskip(SKIP_1) | instid1(VALU_DEP_1)
	v_fma_f64 v[2:3], v[120:121], v[114:115], v[2:3]
	s_waitcnt vmcnt(2)
	v_fma_f64 v[2:3], v[110:111], v[116:117], v[2:3]
	s_waitcnt lgkmcnt(0)
	s_delay_alu instid0(VALU_DEP_1) | instskip(SKIP_1) | instid1(VALU_DEP_1)
	v_fma_f64 v[2:3], v[112:113], v[126:127], v[2:3]
	s_waitcnt vmcnt(1)
	v_fma_f64 v[110:111], v[122:123], v[128:129], v[2:3]
	ds_load_2addr_b64 v[1:4], v1 offset0:101 offset1:102
	s_waitcnt lgkmcnt(0)
	v_fma_f64 v[1:2], v[124:125], v[1:2], v[110:111]
	s_waitcnt vmcnt(0)
	s_delay_alu instid0(VALU_DEP_1) | instskip(NEXT) | instid1(VALU_DEP_1)
	v_fma_f64 v[1:2], v[130:131], v[3:4], v[1:2]
	v_add_f64 v[1:2], v[108:109], -v[1:2]
	scratch_store_b64 off, v[1:2], off offset:192
	v_cmpx_lt_u32_e32 23, v0
	s_cbranch_execz .LBB114_269
; %bb.268:
	scratch_load_b64 v[1:2], off, off offset:184
	v_mov_b32_e32 v3, 0
	s_delay_alu instid0(VALU_DEP_1)
	v_mov_b32_e32 v4, v3
	scratch_store_b64 off, v[3:4], off offset:184
	s_waitcnt vmcnt(0)
	ds_store_b64 v5, v[1:2]
.LBB114_269:
	s_or_b32 exec_lo, exec_lo, s0
	s_waitcnt lgkmcnt(0)
	s_waitcnt_vscnt null, 0x0
	s_barrier
	buffer_gl0_inv
	s_clause 0x4
	scratch_load_b128 v[108:111], off, off offset:184
	scratch_load_b128 v[112:115], off, off offset:200
	;; [unrolled: 1-line block ×5, first 2 shown]
	v_mov_b32_e32 v1, 0
	ds_load_b128 v[128:131], v1 offset:608
	ds_load_b128 v[132:135], v1 offset:624
	scratch_load_b128 v[136:139], off, off offset:264
	s_mov_b32 s0, exec_lo
	s_waitcnt vmcnt(5) lgkmcnt(1)
	v_fma_f64 v[2:3], v[110:111], v[128:129], 0
	s_waitcnt vmcnt(4)
	s_delay_alu instid0(VALU_DEP_1) | instskip(SKIP_4) | instid1(VALU_DEP_1)
	v_fma_f64 v[2:3], v[112:113], v[130:131], v[2:3]
	scratch_load_b128 v[110:113], off, off offset:280
	s_waitcnt lgkmcnt(0)
	v_fma_f64 v[2:3], v[114:115], v[132:133], v[2:3]
	s_waitcnt vmcnt(4)
	v_fma_f64 v[2:3], v[116:117], v[134:135], v[2:3]
	ds_load_b128 v[114:117], v1 offset:640
	ds_load_b128 v[128:131], v1 offset:656
	scratch_load_b128 v[132:135], off, off offset:296
	s_waitcnt lgkmcnt(1)
	v_fma_f64 v[2:3], v[118:119], v[114:115], v[2:3]
	s_waitcnt vmcnt(4)
	s_delay_alu instid0(VALU_DEP_1) | instskip(SKIP_4) | instid1(VALU_DEP_1)
	v_fma_f64 v[2:3], v[120:121], v[116:117], v[2:3]
	scratch_load_b128 v[114:117], off, off offset:312
	s_waitcnt lgkmcnt(0)
	v_fma_f64 v[2:3], v[122:123], v[128:129], v[2:3]
	s_waitcnt vmcnt(4)
	v_fma_f64 v[2:3], v[124:125], v[130:131], v[2:3]
	ds_load_b128 v[118:121], v1 offset:672
	ds_load_b128 v[122:125], v1 offset:688
	s_waitcnt lgkmcnt(1)
	v_fma_f64 v[2:3], v[126:127], v[118:119], v[2:3]
	scratch_load_b128 v[126:129], off, off offset:328
	s_waitcnt vmcnt(4)
	v_fma_f64 v[2:3], v[136:137], v[120:121], v[2:3]
	scratch_load_b128 v[118:121], off, off offset:344
	s_waitcnt lgkmcnt(0)
	v_fma_f64 v[2:3], v[138:139], v[122:123], v[2:3]
	s_waitcnt vmcnt(4)
	s_delay_alu instid0(VALU_DEP_1)
	v_fma_f64 v[2:3], v[110:111], v[124:125], v[2:3]
	ds_load_b128 v[122:125], v1 offset:704
	ds_load_b128 v[136:139], v1 offset:720
	s_waitcnt lgkmcnt(1)
	v_fma_f64 v[2:3], v[112:113], v[122:123], v[2:3]
	scratch_load_b128 v[110:113], off, off offset:360
	s_waitcnt vmcnt(4)
	v_fma_f64 v[2:3], v[132:133], v[124:125], v[2:3]
	scratch_load_b128 v[122:125], off, off offset:376
	s_waitcnt lgkmcnt(0)
	v_fma_f64 v[2:3], v[134:135], v[136:137], v[2:3]
	ds_load_b128 v[130:133], v1 offset:736
	ds_load_b128 v[134:137], v1 offset:752
	s_waitcnt vmcnt(4)
	v_fma_f64 v[2:3], v[114:115], v[138:139], v[2:3]
	s_waitcnt lgkmcnt(1)
	s_delay_alu instid0(VALU_DEP_1) | instskip(SKIP_4) | instid1(VALU_DEP_1)
	v_fma_f64 v[2:3], v[116:117], v[130:131], v[2:3]
	scratch_load_b128 v[114:117], off, off offset:392
	s_waitcnt vmcnt(4)
	v_fma_f64 v[2:3], v[126:127], v[132:133], v[2:3]
	s_waitcnt lgkmcnt(0)
	v_fma_f64 v[2:3], v[128:129], v[134:135], v[2:3]
	ds_load_b128 v[126:129], v1 offset:768
	ds_load_b128 v[130:133], v1 offset:784
	s_waitcnt vmcnt(3)
	v_fma_f64 v[2:3], v[118:119], v[136:137], v[2:3]
	s_waitcnt lgkmcnt(1)
	s_delay_alu instid0(VALU_DEP_1) | instskip(SKIP_1) | instid1(VALU_DEP_1)
	v_fma_f64 v[2:3], v[120:121], v[126:127], v[2:3]
	s_waitcnt vmcnt(2)
	v_fma_f64 v[2:3], v[110:111], v[128:129], v[2:3]
	s_waitcnt lgkmcnt(0)
	s_delay_alu instid0(VALU_DEP_1)
	v_fma_f64 v[2:3], v[112:113], v[130:131], v[2:3]
	ds_load_b128 v[110:113], v1 offset:800
	ds_load_b64 v[118:119], v1 offset:816
	s_waitcnt vmcnt(1)
	v_fma_f64 v[2:3], v[122:123], v[132:133], v[2:3]
	s_waitcnt lgkmcnt(1)
	s_delay_alu instid0(VALU_DEP_1) | instskip(SKIP_1) | instid1(VALU_DEP_1)
	v_fma_f64 v[2:3], v[124:125], v[110:111], v[2:3]
	s_waitcnt vmcnt(0)
	v_fma_f64 v[2:3], v[114:115], v[112:113], v[2:3]
	s_waitcnt lgkmcnt(0)
	s_delay_alu instid0(VALU_DEP_1) | instskip(NEXT) | instid1(VALU_DEP_1)
	v_fma_f64 v[2:3], v[116:117], v[118:119], v[2:3]
	v_add_f64 v[2:3], v[108:109], -v[2:3]
	scratch_store_b64 off, v[2:3], off offset:184
	v_cmpx_lt_u32_e32 22, v0
	s_cbranch_execz .LBB114_271
; %bb.270:
	scratch_load_b64 v[3:4], off, off offset:176
	v_mov_b32_e32 v2, v1
	scratch_store_b64 off, v[1:2], off offset:176
	s_waitcnt vmcnt(0)
	ds_store_b64 v5, v[3:4]
.LBB114_271:
	s_or_b32 exec_lo, exec_lo, s0
	s_waitcnt lgkmcnt(0)
	s_waitcnt_vscnt null, 0x0
	s_barrier
	buffer_gl0_inv
	s_clause 0x4
	scratch_load_b128 v[108:111], off, off offset:176
	scratch_load_b128 v[112:115], off, off offset:192
	;; [unrolled: 1-line block ×5, first 2 shown]
	ds_load_2addr_b64 v[128:131], v1 offset0:75 offset1:76
	ds_load_2addr_b64 v[132:135], v1 offset0:77 offset1:78
	scratch_load_b128 v[136:139], off, off offset:256
	s_mov_b32 s0, exec_lo
	s_waitcnt vmcnt(5) lgkmcnt(1)
	v_fma_f64 v[2:3], v[110:111], v[128:129], 0
	s_waitcnt vmcnt(4)
	s_delay_alu instid0(VALU_DEP_1) | instskip(SKIP_4) | instid1(VALU_DEP_1)
	v_fma_f64 v[2:3], v[112:113], v[130:131], v[2:3]
	scratch_load_b128 v[110:113], off, off offset:272
	s_waitcnt lgkmcnt(0)
	v_fma_f64 v[2:3], v[114:115], v[132:133], v[2:3]
	s_waitcnt vmcnt(4)
	v_fma_f64 v[2:3], v[116:117], v[134:135], v[2:3]
	ds_load_2addr_b64 v[114:117], v1 offset0:79 offset1:80
	ds_load_2addr_b64 v[128:131], v1 offset0:81 offset1:82
	scratch_load_b128 v[132:135], off, off offset:288
	s_waitcnt lgkmcnt(1)
	v_fma_f64 v[2:3], v[118:119], v[114:115], v[2:3]
	s_waitcnt vmcnt(4)
	s_delay_alu instid0(VALU_DEP_1) | instskip(SKIP_4) | instid1(VALU_DEP_1)
	v_fma_f64 v[2:3], v[120:121], v[116:117], v[2:3]
	scratch_load_b128 v[114:117], off, off offset:304
	s_waitcnt lgkmcnt(0)
	v_fma_f64 v[2:3], v[122:123], v[128:129], v[2:3]
	s_waitcnt vmcnt(4)
	v_fma_f64 v[2:3], v[124:125], v[130:131], v[2:3]
	ds_load_2addr_b64 v[118:121], v1 offset0:83 offset1:84
	ds_load_2addr_b64 v[122:125], v1 offset0:85 offset1:86
	s_waitcnt lgkmcnt(1)
	v_fma_f64 v[2:3], v[126:127], v[118:119], v[2:3]
	scratch_load_b128 v[126:129], off, off offset:320
	s_waitcnt vmcnt(4)
	v_fma_f64 v[2:3], v[136:137], v[120:121], v[2:3]
	scratch_load_b128 v[118:121], off, off offset:336
	s_waitcnt lgkmcnt(0)
	v_fma_f64 v[2:3], v[138:139], v[122:123], v[2:3]
	s_waitcnt vmcnt(4)
	s_delay_alu instid0(VALU_DEP_1)
	v_fma_f64 v[2:3], v[110:111], v[124:125], v[2:3]
	ds_load_2addr_b64 v[122:125], v1 offset0:87 offset1:88
	ds_load_2addr_b64 v[136:139], v1 offset0:89 offset1:90
	s_waitcnt lgkmcnt(1)
	v_fma_f64 v[2:3], v[112:113], v[122:123], v[2:3]
	scratch_load_b128 v[110:113], off, off offset:352
	s_waitcnt vmcnt(4)
	v_fma_f64 v[2:3], v[132:133], v[124:125], v[2:3]
	scratch_load_b128 v[122:125], off, off offset:368
	s_waitcnt lgkmcnt(0)
	v_fma_f64 v[2:3], v[134:135], v[136:137], v[2:3]
	ds_load_2addr_b64 v[130:133], v1 offset0:91 offset1:92
	ds_load_2addr_b64 v[134:137], v1 offset0:93 offset1:94
	s_waitcnt vmcnt(4)
	v_fma_f64 v[2:3], v[114:115], v[138:139], v[2:3]
	s_waitcnt lgkmcnt(1)
	s_delay_alu instid0(VALU_DEP_1) | instskip(SKIP_4) | instid1(VALU_DEP_1)
	v_fma_f64 v[2:3], v[116:117], v[130:131], v[2:3]
	scratch_load_b128 v[114:117], off, off offset:384
	s_waitcnt vmcnt(4)
	v_fma_f64 v[2:3], v[126:127], v[132:133], v[2:3]
	s_waitcnt lgkmcnt(0)
	v_fma_f64 v[2:3], v[128:129], v[134:135], v[2:3]
	scratch_load_b64 v[134:135], off, off offset:400
	ds_load_2addr_b64 v[126:129], v1 offset0:95 offset1:96
	ds_load_2addr_b64 v[130:133], v1 offset0:97 offset1:98
	s_waitcnt vmcnt(4)
	v_fma_f64 v[2:3], v[118:119], v[136:137], v[2:3]
	s_waitcnt lgkmcnt(1)
	s_delay_alu instid0(VALU_DEP_1) | instskip(SKIP_1) | instid1(VALU_DEP_1)
	v_fma_f64 v[2:3], v[120:121], v[126:127], v[2:3]
	s_waitcnt vmcnt(3)
	v_fma_f64 v[2:3], v[110:111], v[128:129], v[2:3]
	s_waitcnt lgkmcnt(0)
	s_delay_alu instid0(VALU_DEP_1) | instskip(SKIP_1) | instid1(VALU_DEP_1)
	v_fma_f64 v[2:3], v[112:113], v[130:131], v[2:3]
	s_waitcnt vmcnt(2)
	v_fma_f64 v[118:119], v[122:123], v[132:133], v[2:3]
	ds_load_2addr_b64 v[110:113], v1 offset0:99 offset1:100
	ds_load_2addr_b64 v[1:4], v1 offset0:101 offset1:102
	s_waitcnt lgkmcnt(1)
	v_fma_f64 v[110:111], v[124:125], v[110:111], v[118:119]
	s_waitcnt vmcnt(1)
	s_delay_alu instid0(VALU_DEP_1) | instskip(SKIP_1) | instid1(VALU_DEP_1)
	v_fma_f64 v[110:111], v[114:115], v[112:113], v[110:111]
	s_waitcnt lgkmcnt(0)
	v_fma_f64 v[1:2], v[116:117], v[1:2], v[110:111]
	s_waitcnt vmcnt(0)
	s_delay_alu instid0(VALU_DEP_1) | instskip(NEXT) | instid1(VALU_DEP_1)
	v_fma_f64 v[1:2], v[134:135], v[3:4], v[1:2]
	v_add_f64 v[1:2], v[108:109], -v[1:2]
	scratch_store_b64 off, v[1:2], off offset:176
	v_cmpx_lt_u32_e32 21, v0
	s_cbranch_execz .LBB114_273
; %bb.272:
	scratch_load_b64 v[1:2], off, off offset:168
	v_mov_b32_e32 v3, 0
	s_delay_alu instid0(VALU_DEP_1)
	v_mov_b32_e32 v4, v3
	scratch_store_b64 off, v[3:4], off offset:168
	s_waitcnt vmcnt(0)
	ds_store_b64 v5, v[1:2]
.LBB114_273:
	s_or_b32 exec_lo, exec_lo, s0
	s_waitcnt lgkmcnt(0)
	s_waitcnt_vscnt null, 0x0
	s_barrier
	buffer_gl0_inv
	s_clause 0x4
	scratch_load_b128 v[108:111], off, off offset:168
	scratch_load_b128 v[112:115], off, off offset:184
	scratch_load_b128 v[116:119], off, off offset:200
	scratch_load_b128 v[120:123], off, off offset:216
	scratch_load_b128 v[124:127], off, off offset:232
	v_mov_b32_e32 v1, 0
	ds_load_b128 v[128:131], v1 offset:592
	ds_load_b128 v[132:135], v1 offset:608
	scratch_load_b128 v[136:139], off, off offset:248
	s_mov_b32 s0, exec_lo
	s_waitcnt vmcnt(5) lgkmcnt(1)
	v_fma_f64 v[2:3], v[110:111], v[128:129], 0
	s_waitcnt vmcnt(4)
	s_delay_alu instid0(VALU_DEP_1) | instskip(SKIP_4) | instid1(VALU_DEP_1)
	v_fma_f64 v[2:3], v[112:113], v[130:131], v[2:3]
	scratch_load_b128 v[110:113], off, off offset:264
	s_waitcnt lgkmcnt(0)
	v_fma_f64 v[2:3], v[114:115], v[132:133], v[2:3]
	s_waitcnt vmcnt(4)
	v_fma_f64 v[2:3], v[116:117], v[134:135], v[2:3]
	ds_load_b128 v[114:117], v1 offset:624
	ds_load_b128 v[128:131], v1 offset:640
	scratch_load_b128 v[132:135], off, off offset:280
	s_waitcnt lgkmcnt(1)
	v_fma_f64 v[2:3], v[118:119], v[114:115], v[2:3]
	s_waitcnt vmcnt(4)
	s_delay_alu instid0(VALU_DEP_1) | instskip(SKIP_4) | instid1(VALU_DEP_1)
	v_fma_f64 v[2:3], v[120:121], v[116:117], v[2:3]
	scratch_load_b128 v[114:117], off, off offset:296
	s_waitcnt lgkmcnt(0)
	v_fma_f64 v[2:3], v[122:123], v[128:129], v[2:3]
	s_waitcnt vmcnt(4)
	v_fma_f64 v[2:3], v[124:125], v[130:131], v[2:3]
	ds_load_b128 v[118:121], v1 offset:656
	ds_load_b128 v[122:125], v1 offset:672
	s_waitcnt lgkmcnt(1)
	v_fma_f64 v[2:3], v[126:127], v[118:119], v[2:3]
	scratch_load_b128 v[126:129], off, off offset:312
	s_waitcnt vmcnt(4)
	v_fma_f64 v[2:3], v[136:137], v[120:121], v[2:3]
	scratch_load_b128 v[118:121], off, off offset:328
	s_waitcnt lgkmcnt(0)
	v_fma_f64 v[2:3], v[138:139], v[122:123], v[2:3]
	s_waitcnt vmcnt(4)
	s_delay_alu instid0(VALU_DEP_1)
	v_fma_f64 v[2:3], v[110:111], v[124:125], v[2:3]
	ds_load_b128 v[122:125], v1 offset:688
	ds_load_b128 v[136:139], v1 offset:704
	s_waitcnt lgkmcnt(1)
	v_fma_f64 v[2:3], v[112:113], v[122:123], v[2:3]
	scratch_load_b128 v[110:113], off, off offset:344
	s_waitcnt vmcnt(4)
	v_fma_f64 v[2:3], v[132:133], v[124:125], v[2:3]
	scratch_load_b128 v[122:125], off, off offset:360
	s_waitcnt lgkmcnt(0)
	v_fma_f64 v[2:3], v[134:135], v[136:137], v[2:3]
	ds_load_b128 v[130:133], v1 offset:720
	ds_load_b128 v[134:137], v1 offset:736
	s_waitcnt vmcnt(4)
	v_fma_f64 v[2:3], v[114:115], v[138:139], v[2:3]
	s_waitcnt lgkmcnt(1)
	s_delay_alu instid0(VALU_DEP_1) | instskip(SKIP_4) | instid1(VALU_DEP_1)
	v_fma_f64 v[2:3], v[116:117], v[130:131], v[2:3]
	scratch_load_b128 v[114:117], off, off offset:376
	s_waitcnt vmcnt(4)
	v_fma_f64 v[2:3], v[126:127], v[132:133], v[2:3]
	s_waitcnt lgkmcnt(0)
	v_fma_f64 v[2:3], v[128:129], v[134:135], v[2:3]
	scratch_load_b128 v[126:129], off, off offset:392
	s_waitcnt vmcnt(4)
	v_fma_f64 v[2:3], v[118:119], v[136:137], v[2:3]
	ds_load_b128 v[130:133], v1 offset:752
	ds_load_b128 v[134:137], v1 offset:768
	s_waitcnt lgkmcnt(1)
	v_fma_f64 v[2:3], v[120:121], v[130:131], v[2:3]
	s_waitcnt vmcnt(3)
	s_delay_alu instid0(VALU_DEP_1) | instskip(SKIP_1) | instid1(VALU_DEP_1)
	v_fma_f64 v[2:3], v[110:111], v[132:133], v[2:3]
	s_waitcnt lgkmcnt(0)
	v_fma_f64 v[2:3], v[112:113], v[134:135], v[2:3]
	ds_load_b128 v[110:113], v1 offset:784
	ds_load_b128 v[118:121], v1 offset:800
	s_waitcnt vmcnt(2)
	v_fma_f64 v[2:3], v[122:123], v[136:137], v[2:3]
	s_waitcnt lgkmcnt(1)
	s_delay_alu instid0(VALU_DEP_1) | instskip(SKIP_4) | instid1(VALU_DEP_1)
	v_fma_f64 v[2:3], v[124:125], v[110:111], v[2:3]
	ds_load_b64 v[110:111], v1 offset:816
	s_waitcnt vmcnt(1)
	v_fma_f64 v[2:3], v[114:115], v[112:113], v[2:3]
	s_waitcnt lgkmcnt(1)
	v_fma_f64 v[2:3], v[116:117], v[118:119], v[2:3]
	s_waitcnt vmcnt(0)
	s_delay_alu instid0(VALU_DEP_1) | instskip(SKIP_1) | instid1(VALU_DEP_1)
	v_fma_f64 v[2:3], v[126:127], v[120:121], v[2:3]
	s_waitcnt lgkmcnt(0)
	v_fma_f64 v[2:3], v[128:129], v[110:111], v[2:3]
	s_delay_alu instid0(VALU_DEP_1)
	v_add_f64 v[2:3], v[108:109], -v[2:3]
	scratch_store_b64 off, v[2:3], off offset:168
	v_cmpx_lt_u32_e32 20, v0
	s_cbranch_execz .LBB114_275
; %bb.274:
	scratch_load_b64 v[3:4], off, off offset:160
	v_mov_b32_e32 v2, v1
	scratch_store_b64 off, v[1:2], off offset:160
	s_waitcnt vmcnt(0)
	ds_store_b64 v5, v[3:4]
.LBB114_275:
	s_or_b32 exec_lo, exec_lo, s0
	s_waitcnt lgkmcnt(0)
	s_waitcnt_vscnt null, 0x0
	s_barrier
	buffer_gl0_inv
	s_clause 0x4
	scratch_load_b128 v[108:111], off, off offset:160
	scratch_load_b128 v[112:115], off, off offset:176
	;; [unrolled: 1-line block ×5, first 2 shown]
	ds_load_2addr_b64 v[128:131], v1 offset0:73 offset1:74
	ds_load_2addr_b64 v[132:135], v1 offset0:75 offset1:76
	scratch_load_b128 v[136:139], off, off offset:240
	s_mov_b32 s0, exec_lo
	s_waitcnt vmcnt(5) lgkmcnt(1)
	v_fma_f64 v[2:3], v[110:111], v[128:129], 0
	s_waitcnt vmcnt(4)
	s_delay_alu instid0(VALU_DEP_1) | instskip(SKIP_4) | instid1(VALU_DEP_1)
	v_fma_f64 v[2:3], v[112:113], v[130:131], v[2:3]
	scratch_load_b128 v[110:113], off, off offset:256
	s_waitcnt lgkmcnt(0)
	v_fma_f64 v[2:3], v[114:115], v[132:133], v[2:3]
	s_waitcnt vmcnt(4)
	v_fma_f64 v[2:3], v[116:117], v[134:135], v[2:3]
	ds_load_2addr_b64 v[114:117], v1 offset0:77 offset1:78
	ds_load_2addr_b64 v[128:131], v1 offset0:79 offset1:80
	scratch_load_b128 v[132:135], off, off offset:272
	s_waitcnt lgkmcnt(1)
	v_fma_f64 v[2:3], v[118:119], v[114:115], v[2:3]
	s_waitcnt vmcnt(4)
	s_delay_alu instid0(VALU_DEP_1) | instskip(SKIP_4) | instid1(VALU_DEP_1)
	v_fma_f64 v[2:3], v[120:121], v[116:117], v[2:3]
	scratch_load_b128 v[114:117], off, off offset:288
	s_waitcnt lgkmcnt(0)
	v_fma_f64 v[2:3], v[122:123], v[128:129], v[2:3]
	s_waitcnt vmcnt(4)
	v_fma_f64 v[2:3], v[124:125], v[130:131], v[2:3]
	ds_load_2addr_b64 v[118:121], v1 offset0:81 offset1:82
	ds_load_2addr_b64 v[122:125], v1 offset0:83 offset1:84
	s_waitcnt lgkmcnt(1)
	v_fma_f64 v[2:3], v[126:127], v[118:119], v[2:3]
	scratch_load_b128 v[126:129], off, off offset:304
	s_waitcnt vmcnt(4)
	v_fma_f64 v[2:3], v[136:137], v[120:121], v[2:3]
	scratch_load_b128 v[118:121], off, off offset:320
	s_waitcnt lgkmcnt(0)
	v_fma_f64 v[2:3], v[138:139], v[122:123], v[2:3]
	s_waitcnt vmcnt(4)
	s_delay_alu instid0(VALU_DEP_1)
	v_fma_f64 v[2:3], v[110:111], v[124:125], v[2:3]
	ds_load_2addr_b64 v[122:125], v1 offset0:85 offset1:86
	ds_load_2addr_b64 v[136:139], v1 offset0:87 offset1:88
	s_waitcnt lgkmcnt(1)
	v_fma_f64 v[2:3], v[112:113], v[122:123], v[2:3]
	scratch_load_b128 v[110:113], off, off offset:336
	s_waitcnt vmcnt(4)
	v_fma_f64 v[2:3], v[132:133], v[124:125], v[2:3]
	scratch_load_b128 v[122:125], off, off offset:352
	s_waitcnt lgkmcnt(0)
	v_fma_f64 v[2:3], v[134:135], v[136:137], v[2:3]
	ds_load_2addr_b64 v[130:133], v1 offset0:89 offset1:90
	ds_load_2addr_b64 v[134:137], v1 offset0:91 offset1:92
	s_waitcnt vmcnt(4)
	v_fma_f64 v[2:3], v[114:115], v[138:139], v[2:3]
	s_waitcnt lgkmcnt(1)
	s_delay_alu instid0(VALU_DEP_1) | instskip(SKIP_4) | instid1(VALU_DEP_1)
	v_fma_f64 v[2:3], v[116:117], v[130:131], v[2:3]
	scratch_load_b128 v[114:117], off, off offset:368
	s_waitcnt vmcnt(4)
	v_fma_f64 v[2:3], v[126:127], v[132:133], v[2:3]
	s_waitcnt lgkmcnt(0)
	v_fma_f64 v[2:3], v[128:129], v[134:135], v[2:3]
	scratch_load_b128 v[126:129], off, off offset:384
	s_waitcnt vmcnt(4)
	v_fma_f64 v[2:3], v[118:119], v[136:137], v[2:3]
	ds_load_2addr_b64 v[130:133], v1 offset0:93 offset1:94
	ds_load_2addr_b64 v[134:137], v1 offset0:95 offset1:96
	s_waitcnt lgkmcnt(1)
	v_fma_f64 v[2:3], v[120:121], v[130:131], v[2:3]
	scratch_load_b64 v[130:131], off, off offset:400
	s_waitcnt vmcnt(4)
	v_fma_f64 v[2:3], v[110:111], v[132:133], v[2:3]
	s_waitcnt lgkmcnt(0)
	s_delay_alu instid0(VALU_DEP_1)
	v_fma_f64 v[2:3], v[112:113], v[134:135], v[2:3]
	ds_load_2addr_b64 v[110:113], v1 offset0:97 offset1:98
	ds_load_2addr_b64 v[118:121], v1 offset0:99 offset1:100
	s_waitcnt vmcnt(3)
	v_fma_f64 v[2:3], v[122:123], v[136:137], v[2:3]
	s_waitcnt lgkmcnt(1)
	s_delay_alu instid0(VALU_DEP_1) | instskip(SKIP_1) | instid1(VALU_DEP_1)
	v_fma_f64 v[2:3], v[124:125], v[110:111], v[2:3]
	s_waitcnt vmcnt(2)
	v_fma_f64 v[2:3], v[114:115], v[112:113], v[2:3]
	s_waitcnt lgkmcnt(0)
	s_delay_alu instid0(VALU_DEP_1) | instskip(SKIP_1) | instid1(VALU_DEP_1)
	v_fma_f64 v[2:3], v[116:117], v[118:119], v[2:3]
	s_waitcnt vmcnt(1)
	v_fma_f64 v[110:111], v[126:127], v[120:121], v[2:3]
	ds_load_2addr_b64 v[1:4], v1 offset0:101 offset1:102
	s_waitcnt lgkmcnt(0)
	v_fma_f64 v[1:2], v[128:129], v[1:2], v[110:111]
	s_waitcnt vmcnt(0)
	s_delay_alu instid0(VALU_DEP_1) | instskip(NEXT) | instid1(VALU_DEP_1)
	v_fma_f64 v[1:2], v[130:131], v[3:4], v[1:2]
	v_add_f64 v[1:2], v[108:109], -v[1:2]
	scratch_store_b64 off, v[1:2], off offset:160
	v_cmpx_lt_u32_e32 19, v0
	s_cbranch_execz .LBB114_277
; %bb.276:
	scratch_load_b64 v[1:2], off, off offset:152
	v_mov_b32_e32 v3, 0
	s_delay_alu instid0(VALU_DEP_1)
	v_mov_b32_e32 v4, v3
	scratch_store_b64 off, v[3:4], off offset:152
	s_waitcnt vmcnt(0)
	ds_store_b64 v5, v[1:2]
.LBB114_277:
	s_or_b32 exec_lo, exec_lo, s0
	s_waitcnt lgkmcnt(0)
	s_waitcnt_vscnt null, 0x0
	s_barrier
	buffer_gl0_inv
	s_clause 0x4
	scratch_load_b128 v[108:111], off, off offset:152
	scratch_load_b128 v[112:115], off, off offset:168
	;; [unrolled: 1-line block ×5, first 2 shown]
	v_mov_b32_e32 v1, 0
	ds_load_b128 v[128:131], v1 offset:576
	ds_load_b128 v[132:135], v1 offset:592
	scratch_load_b128 v[136:139], off, off offset:232
	s_mov_b32 s0, exec_lo
	s_waitcnt vmcnt(5) lgkmcnt(1)
	v_fma_f64 v[2:3], v[110:111], v[128:129], 0
	s_waitcnt vmcnt(4)
	s_delay_alu instid0(VALU_DEP_1) | instskip(SKIP_4) | instid1(VALU_DEP_1)
	v_fma_f64 v[2:3], v[112:113], v[130:131], v[2:3]
	scratch_load_b128 v[110:113], off, off offset:248
	s_waitcnt lgkmcnt(0)
	v_fma_f64 v[2:3], v[114:115], v[132:133], v[2:3]
	s_waitcnt vmcnt(4)
	v_fma_f64 v[2:3], v[116:117], v[134:135], v[2:3]
	ds_load_b128 v[114:117], v1 offset:608
	ds_load_b128 v[128:131], v1 offset:624
	scratch_load_b128 v[132:135], off, off offset:264
	s_waitcnt lgkmcnt(1)
	v_fma_f64 v[2:3], v[118:119], v[114:115], v[2:3]
	s_waitcnt vmcnt(4)
	s_delay_alu instid0(VALU_DEP_1) | instskip(SKIP_4) | instid1(VALU_DEP_1)
	v_fma_f64 v[2:3], v[120:121], v[116:117], v[2:3]
	scratch_load_b128 v[114:117], off, off offset:280
	s_waitcnt lgkmcnt(0)
	v_fma_f64 v[2:3], v[122:123], v[128:129], v[2:3]
	s_waitcnt vmcnt(4)
	v_fma_f64 v[2:3], v[124:125], v[130:131], v[2:3]
	ds_load_b128 v[118:121], v1 offset:640
	ds_load_b128 v[122:125], v1 offset:656
	s_waitcnt lgkmcnt(1)
	v_fma_f64 v[2:3], v[126:127], v[118:119], v[2:3]
	scratch_load_b128 v[126:129], off, off offset:296
	s_waitcnt vmcnt(4)
	v_fma_f64 v[2:3], v[136:137], v[120:121], v[2:3]
	scratch_load_b128 v[118:121], off, off offset:312
	s_waitcnt lgkmcnt(0)
	v_fma_f64 v[2:3], v[138:139], v[122:123], v[2:3]
	s_waitcnt vmcnt(4)
	s_delay_alu instid0(VALU_DEP_1)
	v_fma_f64 v[2:3], v[110:111], v[124:125], v[2:3]
	ds_load_b128 v[122:125], v1 offset:672
	ds_load_b128 v[136:139], v1 offset:688
	s_waitcnt lgkmcnt(1)
	v_fma_f64 v[2:3], v[112:113], v[122:123], v[2:3]
	scratch_load_b128 v[110:113], off, off offset:328
	s_waitcnt vmcnt(4)
	v_fma_f64 v[2:3], v[132:133], v[124:125], v[2:3]
	scratch_load_b128 v[122:125], off, off offset:344
	s_waitcnt lgkmcnt(0)
	v_fma_f64 v[2:3], v[134:135], v[136:137], v[2:3]
	ds_load_b128 v[130:133], v1 offset:704
	ds_load_b128 v[134:137], v1 offset:720
	s_waitcnt vmcnt(4)
	v_fma_f64 v[2:3], v[114:115], v[138:139], v[2:3]
	s_waitcnt lgkmcnt(1)
	s_delay_alu instid0(VALU_DEP_1) | instskip(SKIP_4) | instid1(VALU_DEP_1)
	v_fma_f64 v[2:3], v[116:117], v[130:131], v[2:3]
	scratch_load_b128 v[114:117], off, off offset:360
	s_waitcnt vmcnt(4)
	v_fma_f64 v[2:3], v[126:127], v[132:133], v[2:3]
	s_waitcnt lgkmcnt(0)
	v_fma_f64 v[2:3], v[128:129], v[134:135], v[2:3]
	scratch_load_b128 v[126:129], off, off offset:376
	s_waitcnt vmcnt(4)
	v_fma_f64 v[2:3], v[118:119], v[136:137], v[2:3]
	ds_load_b128 v[130:133], v1 offset:736
	ds_load_b128 v[134:137], v1 offset:752
	s_waitcnt lgkmcnt(1)
	v_fma_f64 v[2:3], v[120:121], v[130:131], v[2:3]
	scratch_load_b128 v[118:121], off, off offset:392
	s_waitcnt vmcnt(4)
	v_fma_f64 v[2:3], v[110:111], v[132:133], v[2:3]
	s_waitcnt lgkmcnt(0)
	s_delay_alu instid0(VALU_DEP_1)
	v_fma_f64 v[2:3], v[112:113], v[134:135], v[2:3]
	ds_load_b128 v[110:113], v1 offset:768
	ds_load_b128 v[130:133], v1 offset:784
	s_waitcnt vmcnt(3)
	v_fma_f64 v[2:3], v[122:123], v[136:137], v[2:3]
	s_waitcnt lgkmcnt(1)
	s_delay_alu instid0(VALU_DEP_1) | instskip(SKIP_1) | instid1(VALU_DEP_1)
	v_fma_f64 v[2:3], v[124:125], v[110:111], v[2:3]
	s_waitcnt vmcnt(2)
	v_fma_f64 v[2:3], v[114:115], v[112:113], v[2:3]
	ds_load_b128 v[110:113], v1 offset:800
	ds_load_b64 v[114:115], v1 offset:816
	s_waitcnt lgkmcnt(2)
	v_fma_f64 v[2:3], v[116:117], v[130:131], v[2:3]
	s_waitcnt vmcnt(1)
	s_delay_alu instid0(VALU_DEP_1) | instskip(SKIP_1) | instid1(VALU_DEP_1)
	v_fma_f64 v[2:3], v[126:127], v[132:133], v[2:3]
	s_waitcnt lgkmcnt(1)
	v_fma_f64 v[2:3], v[128:129], v[110:111], v[2:3]
	s_waitcnt vmcnt(0)
	s_delay_alu instid0(VALU_DEP_1) | instskip(SKIP_1) | instid1(VALU_DEP_1)
	v_fma_f64 v[2:3], v[118:119], v[112:113], v[2:3]
	s_waitcnt lgkmcnt(0)
	v_fma_f64 v[2:3], v[120:121], v[114:115], v[2:3]
	s_delay_alu instid0(VALU_DEP_1)
	v_add_f64 v[2:3], v[108:109], -v[2:3]
	scratch_store_b64 off, v[2:3], off offset:152
	v_cmpx_lt_u32_e32 18, v0
	s_cbranch_execz .LBB114_279
; %bb.278:
	scratch_load_b64 v[3:4], off, off offset:144
	v_mov_b32_e32 v2, v1
	scratch_store_b64 off, v[1:2], off offset:144
	s_waitcnt vmcnt(0)
	ds_store_b64 v5, v[3:4]
.LBB114_279:
	s_or_b32 exec_lo, exec_lo, s0
	s_waitcnt lgkmcnt(0)
	s_waitcnt_vscnt null, 0x0
	s_barrier
	buffer_gl0_inv
	s_clause 0x4
	scratch_load_b128 v[108:111], off, off offset:144
	scratch_load_b128 v[112:115], off, off offset:160
	;; [unrolled: 1-line block ×5, first 2 shown]
	ds_load_2addr_b64 v[128:131], v1 offset0:71 offset1:72
	ds_load_2addr_b64 v[132:135], v1 offset0:73 offset1:74
	scratch_load_b128 v[136:139], off, off offset:224
	s_mov_b32 s0, exec_lo
	s_waitcnt vmcnt(5) lgkmcnt(1)
	v_fma_f64 v[2:3], v[110:111], v[128:129], 0
	s_waitcnt vmcnt(4)
	s_delay_alu instid0(VALU_DEP_1) | instskip(SKIP_4) | instid1(VALU_DEP_1)
	v_fma_f64 v[2:3], v[112:113], v[130:131], v[2:3]
	scratch_load_b128 v[110:113], off, off offset:240
	s_waitcnt lgkmcnt(0)
	v_fma_f64 v[2:3], v[114:115], v[132:133], v[2:3]
	s_waitcnt vmcnt(4)
	v_fma_f64 v[2:3], v[116:117], v[134:135], v[2:3]
	ds_load_2addr_b64 v[114:117], v1 offset0:75 offset1:76
	ds_load_2addr_b64 v[128:131], v1 offset0:77 offset1:78
	scratch_load_b128 v[132:135], off, off offset:256
	s_waitcnt lgkmcnt(1)
	v_fma_f64 v[2:3], v[118:119], v[114:115], v[2:3]
	s_waitcnt vmcnt(4)
	s_delay_alu instid0(VALU_DEP_1) | instskip(SKIP_4) | instid1(VALU_DEP_1)
	v_fma_f64 v[2:3], v[120:121], v[116:117], v[2:3]
	scratch_load_b128 v[114:117], off, off offset:272
	s_waitcnt lgkmcnt(0)
	v_fma_f64 v[2:3], v[122:123], v[128:129], v[2:3]
	s_waitcnt vmcnt(4)
	v_fma_f64 v[2:3], v[124:125], v[130:131], v[2:3]
	ds_load_2addr_b64 v[118:121], v1 offset0:79 offset1:80
	ds_load_2addr_b64 v[122:125], v1 offset0:81 offset1:82
	s_waitcnt lgkmcnt(1)
	v_fma_f64 v[2:3], v[126:127], v[118:119], v[2:3]
	scratch_load_b128 v[126:129], off, off offset:288
	s_waitcnt vmcnt(4)
	v_fma_f64 v[2:3], v[136:137], v[120:121], v[2:3]
	scratch_load_b128 v[118:121], off, off offset:304
	s_waitcnt lgkmcnt(0)
	v_fma_f64 v[2:3], v[138:139], v[122:123], v[2:3]
	s_waitcnt vmcnt(4)
	s_delay_alu instid0(VALU_DEP_1)
	v_fma_f64 v[2:3], v[110:111], v[124:125], v[2:3]
	ds_load_2addr_b64 v[122:125], v1 offset0:83 offset1:84
	ds_load_2addr_b64 v[136:139], v1 offset0:85 offset1:86
	s_waitcnt lgkmcnt(1)
	v_fma_f64 v[2:3], v[112:113], v[122:123], v[2:3]
	scratch_load_b128 v[110:113], off, off offset:320
	s_waitcnt vmcnt(4)
	v_fma_f64 v[2:3], v[132:133], v[124:125], v[2:3]
	scratch_load_b128 v[122:125], off, off offset:336
	s_waitcnt lgkmcnt(0)
	v_fma_f64 v[2:3], v[134:135], v[136:137], v[2:3]
	ds_load_2addr_b64 v[130:133], v1 offset0:87 offset1:88
	ds_load_2addr_b64 v[134:137], v1 offset0:89 offset1:90
	s_waitcnt vmcnt(4)
	v_fma_f64 v[2:3], v[114:115], v[138:139], v[2:3]
	s_waitcnt lgkmcnt(1)
	s_delay_alu instid0(VALU_DEP_1) | instskip(SKIP_4) | instid1(VALU_DEP_1)
	v_fma_f64 v[2:3], v[116:117], v[130:131], v[2:3]
	scratch_load_b128 v[114:117], off, off offset:352
	s_waitcnt vmcnt(4)
	v_fma_f64 v[2:3], v[126:127], v[132:133], v[2:3]
	s_waitcnt lgkmcnt(0)
	v_fma_f64 v[2:3], v[128:129], v[134:135], v[2:3]
	scratch_load_b128 v[126:129], off, off offset:368
	s_waitcnt vmcnt(4)
	v_fma_f64 v[2:3], v[118:119], v[136:137], v[2:3]
	ds_load_2addr_b64 v[130:133], v1 offset0:91 offset1:92
	ds_load_2addr_b64 v[134:137], v1 offset0:93 offset1:94
	s_waitcnt lgkmcnt(1)
	v_fma_f64 v[2:3], v[120:121], v[130:131], v[2:3]
	scratch_load_b128 v[118:121], off, off offset:384
	s_waitcnt vmcnt(4)
	v_fma_f64 v[2:3], v[110:111], v[132:133], v[2:3]
	s_waitcnt lgkmcnt(0)
	s_delay_alu instid0(VALU_DEP_1)
	v_fma_f64 v[2:3], v[112:113], v[134:135], v[2:3]
	scratch_load_b64 v[134:135], off, off offset:400
	ds_load_2addr_b64 v[110:113], v1 offset0:95 offset1:96
	ds_load_2addr_b64 v[130:133], v1 offset0:97 offset1:98
	s_waitcnt vmcnt(4)
	v_fma_f64 v[2:3], v[122:123], v[136:137], v[2:3]
	s_waitcnt lgkmcnt(1)
	s_delay_alu instid0(VALU_DEP_1) | instskip(SKIP_1) | instid1(VALU_DEP_1)
	v_fma_f64 v[2:3], v[124:125], v[110:111], v[2:3]
	s_waitcnt vmcnt(3)
	v_fma_f64 v[2:3], v[114:115], v[112:113], v[2:3]
	s_waitcnt lgkmcnt(0)
	s_delay_alu instid0(VALU_DEP_1) | instskip(SKIP_1) | instid1(VALU_DEP_1)
	v_fma_f64 v[2:3], v[116:117], v[130:131], v[2:3]
	s_waitcnt vmcnt(2)
	v_fma_f64 v[114:115], v[126:127], v[132:133], v[2:3]
	ds_load_2addr_b64 v[110:113], v1 offset0:99 offset1:100
	ds_load_2addr_b64 v[1:4], v1 offset0:101 offset1:102
	s_waitcnt lgkmcnt(1)
	v_fma_f64 v[110:111], v[128:129], v[110:111], v[114:115]
	s_waitcnt vmcnt(1)
	s_delay_alu instid0(VALU_DEP_1) | instskip(SKIP_1) | instid1(VALU_DEP_1)
	v_fma_f64 v[110:111], v[118:119], v[112:113], v[110:111]
	s_waitcnt lgkmcnt(0)
	v_fma_f64 v[1:2], v[120:121], v[1:2], v[110:111]
	s_waitcnt vmcnt(0)
	s_delay_alu instid0(VALU_DEP_1) | instskip(NEXT) | instid1(VALU_DEP_1)
	v_fma_f64 v[1:2], v[134:135], v[3:4], v[1:2]
	v_add_f64 v[1:2], v[108:109], -v[1:2]
	scratch_store_b64 off, v[1:2], off offset:144
	v_cmpx_lt_u32_e32 17, v0
	s_cbranch_execz .LBB114_281
; %bb.280:
	scratch_load_b64 v[1:2], off, off offset:136
	v_mov_b32_e32 v3, 0
	s_delay_alu instid0(VALU_DEP_1)
	v_mov_b32_e32 v4, v3
	scratch_store_b64 off, v[3:4], off offset:136
	s_waitcnt vmcnt(0)
	ds_store_b64 v5, v[1:2]
.LBB114_281:
	s_or_b32 exec_lo, exec_lo, s0
	s_waitcnt lgkmcnt(0)
	s_waitcnt_vscnt null, 0x0
	s_barrier
	buffer_gl0_inv
	s_clause 0x4
	scratch_load_b128 v[108:111], off, off offset:136
	scratch_load_b128 v[112:115], off, off offset:152
	;; [unrolled: 1-line block ×5, first 2 shown]
	v_mov_b32_e32 v1, 0
	ds_load_b128 v[128:131], v1 offset:560
	ds_load_b128 v[132:135], v1 offset:576
	scratch_load_b128 v[136:139], off, off offset:216
	s_mov_b32 s0, exec_lo
	s_waitcnt vmcnt(5) lgkmcnt(1)
	v_fma_f64 v[2:3], v[110:111], v[128:129], 0
	s_waitcnt vmcnt(4)
	s_delay_alu instid0(VALU_DEP_1) | instskip(SKIP_4) | instid1(VALU_DEP_1)
	v_fma_f64 v[2:3], v[112:113], v[130:131], v[2:3]
	scratch_load_b128 v[110:113], off, off offset:232
	s_waitcnt lgkmcnt(0)
	v_fma_f64 v[2:3], v[114:115], v[132:133], v[2:3]
	s_waitcnt vmcnt(4)
	v_fma_f64 v[2:3], v[116:117], v[134:135], v[2:3]
	ds_load_b128 v[114:117], v1 offset:592
	ds_load_b128 v[128:131], v1 offset:608
	scratch_load_b128 v[132:135], off, off offset:248
	s_waitcnt lgkmcnt(1)
	v_fma_f64 v[2:3], v[118:119], v[114:115], v[2:3]
	s_waitcnt vmcnt(4)
	s_delay_alu instid0(VALU_DEP_1) | instskip(SKIP_4) | instid1(VALU_DEP_1)
	v_fma_f64 v[2:3], v[120:121], v[116:117], v[2:3]
	scratch_load_b128 v[114:117], off, off offset:264
	s_waitcnt lgkmcnt(0)
	v_fma_f64 v[2:3], v[122:123], v[128:129], v[2:3]
	s_waitcnt vmcnt(4)
	v_fma_f64 v[2:3], v[124:125], v[130:131], v[2:3]
	ds_load_b128 v[118:121], v1 offset:624
	ds_load_b128 v[122:125], v1 offset:640
	s_waitcnt lgkmcnt(1)
	v_fma_f64 v[2:3], v[126:127], v[118:119], v[2:3]
	scratch_load_b128 v[126:129], off, off offset:280
	s_waitcnt vmcnt(4)
	v_fma_f64 v[2:3], v[136:137], v[120:121], v[2:3]
	scratch_load_b128 v[118:121], off, off offset:296
	s_waitcnt lgkmcnt(0)
	v_fma_f64 v[2:3], v[138:139], v[122:123], v[2:3]
	s_waitcnt vmcnt(4)
	s_delay_alu instid0(VALU_DEP_1)
	v_fma_f64 v[2:3], v[110:111], v[124:125], v[2:3]
	ds_load_b128 v[122:125], v1 offset:656
	ds_load_b128 v[136:139], v1 offset:672
	s_waitcnt lgkmcnt(1)
	v_fma_f64 v[2:3], v[112:113], v[122:123], v[2:3]
	scratch_load_b128 v[110:113], off, off offset:312
	s_waitcnt vmcnt(4)
	v_fma_f64 v[2:3], v[132:133], v[124:125], v[2:3]
	scratch_load_b128 v[122:125], off, off offset:328
	s_waitcnt lgkmcnt(0)
	v_fma_f64 v[2:3], v[134:135], v[136:137], v[2:3]
	ds_load_b128 v[130:133], v1 offset:688
	ds_load_b128 v[134:137], v1 offset:704
	s_waitcnt vmcnt(4)
	v_fma_f64 v[2:3], v[114:115], v[138:139], v[2:3]
	s_waitcnt lgkmcnt(1)
	s_delay_alu instid0(VALU_DEP_1) | instskip(SKIP_4) | instid1(VALU_DEP_1)
	v_fma_f64 v[2:3], v[116:117], v[130:131], v[2:3]
	scratch_load_b128 v[114:117], off, off offset:344
	s_waitcnt vmcnt(4)
	v_fma_f64 v[2:3], v[126:127], v[132:133], v[2:3]
	s_waitcnt lgkmcnt(0)
	v_fma_f64 v[2:3], v[128:129], v[134:135], v[2:3]
	scratch_load_b128 v[126:129], off, off offset:360
	s_waitcnt vmcnt(4)
	v_fma_f64 v[2:3], v[118:119], v[136:137], v[2:3]
	ds_load_b128 v[130:133], v1 offset:720
	ds_load_b128 v[134:137], v1 offset:736
	s_waitcnt lgkmcnt(1)
	v_fma_f64 v[2:3], v[120:121], v[130:131], v[2:3]
	scratch_load_b128 v[118:121], off, off offset:376
	s_waitcnt vmcnt(4)
	v_fma_f64 v[2:3], v[110:111], v[132:133], v[2:3]
	s_waitcnt lgkmcnt(0)
	s_delay_alu instid0(VALU_DEP_1)
	v_fma_f64 v[2:3], v[112:113], v[134:135], v[2:3]
	scratch_load_b128 v[110:113], off, off offset:392
	s_waitcnt vmcnt(4)
	v_fma_f64 v[2:3], v[122:123], v[136:137], v[2:3]
	ds_load_b128 v[130:133], v1 offset:752
	ds_load_b128 v[134:137], v1 offset:768
	s_waitcnt lgkmcnt(1)
	v_fma_f64 v[2:3], v[124:125], v[130:131], v[2:3]
	s_waitcnt vmcnt(3)
	s_delay_alu instid0(VALU_DEP_1) | instskip(SKIP_1) | instid1(VALU_DEP_1)
	v_fma_f64 v[2:3], v[114:115], v[132:133], v[2:3]
	s_waitcnt lgkmcnt(0)
	v_fma_f64 v[2:3], v[116:117], v[134:135], v[2:3]
	ds_load_b128 v[114:117], v1 offset:784
	ds_load_b128 v[122:125], v1 offset:800
	s_waitcnt vmcnt(2)
	v_fma_f64 v[2:3], v[126:127], v[136:137], v[2:3]
	s_waitcnt lgkmcnt(1)
	s_delay_alu instid0(VALU_DEP_1) | instskip(SKIP_1) | instid1(VALU_DEP_1)
	v_fma_f64 v[2:3], v[128:129], v[114:115], v[2:3]
	s_waitcnt vmcnt(1)
	v_fma_f64 v[2:3], v[118:119], v[116:117], v[2:3]
	s_waitcnt lgkmcnt(0)
	s_delay_alu instid0(VALU_DEP_1) | instskip(SKIP_1) | instid1(VALU_DEP_1)
	v_fma_f64 v[2:3], v[120:121], v[122:123], v[2:3]
	s_waitcnt vmcnt(0)
	v_fma_f64 v[2:3], v[110:111], v[124:125], v[2:3]
	ds_load_b64 v[110:111], v1 offset:816
	s_waitcnt lgkmcnt(0)
	v_fma_f64 v[2:3], v[112:113], v[110:111], v[2:3]
	s_delay_alu instid0(VALU_DEP_1)
	v_add_f64 v[2:3], v[108:109], -v[2:3]
	scratch_store_b64 off, v[2:3], off offset:136
	v_cmpx_lt_u32_e32 16, v0
	s_cbranch_execz .LBB114_283
; %bb.282:
	scratch_load_b64 v[3:4], off, off offset:128
	v_mov_b32_e32 v2, v1
	scratch_store_b64 off, v[1:2], off offset:128
	s_waitcnt vmcnt(0)
	ds_store_b64 v5, v[3:4]
.LBB114_283:
	s_or_b32 exec_lo, exec_lo, s0
	s_waitcnt lgkmcnt(0)
	s_waitcnt_vscnt null, 0x0
	s_barrier
	buffer_gl0_inv
	s_clause 0x4
	scratch_load_b128 v[108:111], off, off offset:128
	scratch_load_b128 v[112:115], off, off offset:144
	;; [unrolled: 1-line block ×5, first 2 shown]
	ds_load_2addr_b64 v[128:131], v1 offset0:69 offset1:70
	ds_load_2addr_b64 v[132:135], v1 offset0:71 offset1:72
	scratch_load_b128 v[136:139], off, off offset:208
	s_mov_b32 s0, exec_lo
	s_waitcnt vmcnt(5) lgkmcnt(1)
	v_fma_f64 v[2:3], v[110:111], v[128:129], 0
	s_waitcnt vmcnt(4)
	s_delay_alu instid0(VALU_DEP_1) | instskip(SKIP_4) | instid1(VALU_DEP_1)
	v_fma_f64 v[2:3], v[112:113], v[130:131], v[2:3]
	scratch_load_b128 v[110:113], off, off offset:224
	s_waitcnt lgkmcnt(0)
	v_fma_f64 v[2:3], v[114:115], v[132:133], v[2:3]
	s_waitcnt vmcnt(4)
	v_fma_f64 v[2:3], v[116:117], v[134:135], v[2:3]
	ds_load_2addr_b64 v[114:117], v1 offset0:73 offset1:74
	ds_load_2addr_b64 v[128:131], v1 offset0:75 offset1:76
	scratch_load_b128 v[132:135], off, off offset:240
	s_waitcnt lgkmcnt(1)
	v_fma_f64 v[2:3], v[118:119], v[114:115], v[2:3]
	s_waitcnt vmcnt(4)
	s_delay_alu instid0(VALU_DEP_1) | instskip(SKIP_4) | instid1(VALU_DEP_1)
	v_fma_f64 v[2:3], v[120:121], v[116:117], v[2:3]
	scratch_load_b128 v[114:117], off, off offset:256
	s_waitcnt lgkmcnt(0)
	v_fma_f64 v[2:3], v[122:123], v[128:129], v[2:3]
	s_waitcnt vmcnt(4)
	v_fma_f64 v[2:3], v[124:125], v[130:131], v[2:3]
	ds_load_2addr_b64 v[118:121], v1 offset0:77 offset1:78
	ds_load_2addr_b64 v[122:125], v1 offset0:79 offset1:80
	s_waitcnt lgkmcnt(1)
	v_fma_f64 v[2:3], v[126:127], v[118:119], v[2:3]
	scratch_load_b128 v[126:129], off, off offset:272
	s_waitcnt vmcnt(4)
	v_fma_f64 v[2:3], v[136:137], v[120:121], v[2:3]
	scratch_load_b128 v[118:121], off, off offset:288
	s_waitcnt lgkmcnt(0)
	v_fma_f64 v[2:3], v[138:139], v[122:123], v[2:3]
	s_waitcnt vmcnt(4)
	s_delay_alu instid0(VALU_DEP_1)
	v_fma_f64 v[2:3], v[110:111], v[124:125], v[2:3]
	ds_load_2addr_b64 v[122:125], v1 offset0:81 offset1:82
	ds_load_2addr_b64 v[136:139], v1 offset0:83 offset1:84
	s_waitcnt lgkmcnt(1)
	v_fma_f64 v[2:3], v[112:113], v[122:123], v[2:3]
	scratch_load_b128 v[110:113], off, off offset:304
	s_waitcnt vmcnt(4)
	v_fma_f64 v[2:3], v[132:133], v[124:125], v[2:3]
	scratch_load_b128 v[122:125], off, off offset:320
	s_waitcnt lgkmcnt(0)
	v_fma_f64 v[2:3], v[134:135], v[136:137], v[2:3]
	ds_load_2addr_b64 v[130:133], v1 offset0:85 offset1:86
	ds_load_2addr_b64 v[134:137], v1 offset0:87 offset1:88
	s_waitcnt vmcnt(4)
	v_fma_f64 v[2:3], v[114:115], v[138:139], v[2:3]
	s_waitcnt lgkmcnt(1)
	s_delay_alu instid0(VALU_DEP_1) | instskip(SKIP_4) | instid1(VALU_DEP_1)
	v_fma_f64 v[2:3], v[116:117], v[130:131], v[2:3]
	scratch_load_b128 v[114:117], off, off offset:336
	s_waitcnt vmcnt(4)
	v_fma_f64 v[2:3], v[126:127], v[132:133], v[2:3]
	s_waitcnt lgkmcnt(0)
	v_fma_f64 v[2:3], v[128:129], v[134:135], v[2:3]
	scratch_load_b128 v[126:129], off, off offset:352
	s_waitcnt vmcnt(4)
	v_fma_f64 v[2:3], v[118:119], v[136:137], v[2:3]
	ds_load_2addr_b64 v[130:133], v1 offset0:89 offset1:90
	ds_load_2addr_b64 v[134:137], v1 offset0:91 offset1:92
	s_waitcnt lgkmcnt(1)
	v_fma_f64 v[2:3], v[120:121], v[130:131], v[2:3]
	scratch_load_b128 v[118:121], off, off offset:368
	s_waitcnt vmcnt(4)
	v_fma_f64 v[2:3], v[110:111], v[132:133], v[2:3]
	s_waitcnt lgkmcnt(0)
	s_delay_alu instid0(VALU_DEP_1)
	v_fma_f64 v[2:3], v[112:113], v[134:135], v[2:3]
	scratch_load_b128 v[110:113], off, off offset:384
	s_waitcnt vmcnt(4)
	v_fma_f64 v[2:3], v[122:123], v[136:137], v[2:3]
	ds_load_2addr_b64 v[130:133], v1 offset0:93 offset1:94
	ds_load_2addr_b64 v[134:137], v1 offset0:95 offset1:96
	s_waitcnt lgkmcnt(1)
	v_fma_f64 v[2:3], v[124:125], v[130:131], v[2:3]
	scratch_load_b64 v[130:131], off, off offset:400
	s_waitcnt vmcnt(4)
	v_fma_f64 v[2:3], v[114:115], v[132:133], v[2:3]
	s_waitcnt lgkmcnt(0)
	s_delay_alu instid0(VALU_DEP_1)
	v_fma_f64 v[2:3], v[116:117], v[134:135], v[2:3]
	ds_load_2addr_b64 v[114:117], v1 offset0:97 offset1:98
	ds_load_2addr_b64 v[122:125], v1 offset0:99 offset1:100
	s_waitcnt vmcnt(3)
	v_fma_f64 v[2:3], v[126:127], v[136:137], v[2:3]
	s_waitcnt lgkmcnt(1)
	s_delay_alu instid0(VALU_DEP_1) | instskip(SKIP_1) | instid1(VALU_DEP_1)
	v_fma_f64 v[2:3], v[128:129], v[114:115], v[2:3]
	s_waitcnt vmcnt(2)
	v_fma_f64 v[2:3], v[118:119], v[116:117], v[2:3]
	s_waitcnt lgkmcnt(0)
	s_delay_alu instid0(VALU_DEP_1) | instskip(SKIP_1) | instid1(VALU_DEP_1)
	v_fma_f64 v[2:3], v[120:121], v[122:123], v[2:3]
	s_waitcnt vmcnt(1)
	v_fma_f64 v[110:111], v[110:111], v[124:125], v[2:3]
	ds_load_2addr_b64 v[1:4], v1 offset0:101 offset1:102
	s_waitcnt lgkmcnt(0)
	v_fma_f64 v[1:2], v[112:113], v[1:2], v[110:111]
	s_waitcnt vmcnt(0)
	s_delay_alu instid0(VALU_DEP_1) | instskip(NEXT) | instid1(VALU_DEP_1)
	v_fma_f64 v[1:2], v[130:131], v[3:4], v[1:2]
	v_add_f64 v[1:2], v[108:109], -v[1:2]
	scratch_store_b64 off, v[1:2], off offset:128
	v_cmpx_lt_u32_e32 15, v0
	s_cbranch_execz .LBB114_285
; %bb.284:
	scratch_load_b64 v[1:2], off, off offset:120
	v_mov_b32_e32 v3, 0
	s_delay_alu instid0(VALU_DEP_1)
	v_mov_b32_e32 v4, v3
	scratch_store_b64 off, v[3:4], off offset:120
	s_waitcnt vmcnt(0)
	ds_store_b64 v5, v[1:2]
.LBB114_285:
	s_or_b32 exec_lo, exec_lo, s0
	s_waitcnt lgkmcnt(0)
	s_waitcnt_vscnt null, 0x0
	s_barrier
	buffer_gl0_inv
	s_clause 0x4
	scratch_load_b128 v[108:111], off, off offset:120
	scratch_load_b128 v[112:115], off, off offset:136
	;; [unrolled: 1-line block ×5, first 2 shown]
	v_mov_b32_e32 v1, 0
	ds_load_b128 v[128:131], v1 offset:544
	ds_load_b128 v[132:135], v1 offset:560
	scratch_load_b128 v[136:139], off, off offset:200
	s_mov_b32 s0, exec_lo
	s_waitcnt vmcnt(5) lgkmcnt(1)
	v_fma_f64 v[2:3], v[110:111], v[128:129], 0
	s_waitcnt vmcnt(4)
	s_delay_alu instid0(VALU_DEP_1) | instskip(SKIP_4) | instid1(VALU_DEP_1)
	v_fma_f64 v[2:3], v[112:113], v[130:131], v[2:3]
	scratch_load_b128 v[110:113], off, off offset:216
	s_waitcnt lgkmcnt(0)
	v_fma_f64 v[2:3], v[114:115], v[132:133], v[2:3]
	s_waitcnt vmcnt(4)
	v_fma_f64 v[2:3], v[116:117], v[134:135], v[2:3]
	ds_load_b128 v[114:117], v1 offset:576
	ds_load_b128 v[128:131], v1 offset:592
	scratch_load_b128 v[132:135], off, off offset:232
	s_waitcnt lgkmcnt(1)
	v_fma_f64 v[2:3], v[118:119], v[114:115], v[2:3]
	s_waitcnt vmcnt(4)
	s_delay_alu instid0(VALU_DEP_1) | instskip(SKIP_4) | instid1(VALU_DEP_1)
	v_fma_f64 v[2:3], v[120:121], v[116:117], v[2:3]
	scratch_load_b128 v[114:117], off, off offset:248
	s_waitcnt lgkmcnt(0)
	v_fma_f64 v[2:3], v[122:123], v[128:129], v[2:3]
	s_waitcnt vmcnt(4)
	v_fma_f64 v[2:3], v[124:125], v[130:131], v[2:3]
	ds_load_b128 v[118:121], v1 offset:608
	ds_load_b128 v[122:125], v1 offset:624
	s_waitcnt lgkmcnt(1)
	v_fma_f64 v[2:3], v[126:127], v[118:119], v[2:3]
	scratch_load_b128 v[126:129], off, off offset:264
	s_waitcnt vmcnt(4)
	v_fma_f64 v[2:3], v[136:137], v[120:121], v[2:3]
	scratch_load_b128 v[118:121], off, off offset:280
	s_waitcnt lgkmcnt(0)
	v_fma_f64 v[2:3], v[138:139], v[122:123], v[2:3]
	s_waitcnt vmcnt(4)
	s_delay_alu instid0(VALU_DEP_1)
	v_fma_f64 v[2:3], v[110:111], v[124:125], v[2:3]
	ds_load_b128 v[122:125], v1 offset:640
	ds_load_b128 v[136:139], v1 offset:656
	s_waitcnt lgkmcnt(1)
	v_fma_f64 v[2:3], v[112:113], v[122:123], v[2:3]
	scratch_load_b128 v[110:113], off, off offset:296
	s_waitcnt vmcnt(4)
	v_fma_f64 v[2:3], v[132:133], v[124:125], v[2:3]
	scratch_load_b128 v[122:125], off, off offset:312
	s_waitcnt lgkmcnt(0)
	v_fma_f64 v[2:3], v[134:135], v[136:137], v[2:3]
	ds_load_b128 v[130:133], v1 offset:672
	ds_load_b128 v[134:137], v1 offset:688
	s_waitcnt vmcnt(4)
	v_fma_f64 v[2:3], v[114:115], v[138:139], v[2:3]
	s_waitcnt lgkmcnt(1)
	s_delay_alu instid0(VALU_DEP_1) | instskip(SKIP_4) | instid1(VALU_DEP_1)
	v_fma_f64 v[2:3], v[116:117], v[130:131], v[2:3]
	scratch_load_b128 v[114:117], off, off offset:328
	s_waitcnt vmcnt(4)
	v_fma_f64 v[2:3], v[126:127], v[132:133], v[2:3]
	s_waitcnt lgkmcnt(0)
	v_fma_f64 v[2:3], v[128:129], v[134:135], v[2:3]
	scratch_load_b128 v[126:129], off, off offset:344
	s_waitcnt vmcnt(4)
	v_fma_f64 v[2:3], v[118:119], v[136:137], v[2:3]
	ds_load_b128 v[130:133], v1 offset:704
	ds_load_b128 v[134:137], v1 offset:720
	s_waitcnt lgkmcnt(1)
	v_fma_f64 v[2:3], v[120:121], v[130:131], v[2:3]
	scratch_load_b128 v[118:121], off, off offset:360
	s_waitcnt vmcnt(4)
	v_fma_f64 v[2:3], v[110:111], v[132:133], v[2:3]
	s_waitcnt lgkmcnt(0)
	s_delay_alu instid0(VALU_DEP_1)
	v_fma_f64 v[2:3], v[112:113], v[134:135], v[2:3]
	scratch_load_b128 v[110:113], off, off offset:376
	s_waitcnt vmcnt(4)
	v_fma_f64 v[2:3], v[122:123], v[136:137], v[2:3]
	ds_load_b128 v[130:133], v1 offset:736
	ds_load_b128 v[134:137], v1 offset:752
	s_waitcnt lgkmcnt(1)
	v_fma_f64 v[2:3], v[124:125], v[130:131], v[2:3]
	scratch_load_b128 v[122:125], off, off offset:392
	s_waitcnt vmcnt(4)
	v_fma_f64 v[2:3], v[114:115], v[132:133], v[2:3]
	s_waitcnt lgkmcnt(0)
	s_delay_alu instid0(VALU_DEP_1)
	v_fma_f64 v[2:3], v[116:117], v[134:135], v[2:3]
	ds_load_b128 v[114:117], v1 offset:768
	ds_load_b128 v[130:133], v1 offset:784
	s_waitcnt vmcnt(3)
	v_fma_f64 v[2:3], v[126:127], v[136:137], v[2:3]
	s_waitcnt lgkmcnt(1)
	s_delay_alu instid0(VALU_DEP_1) | instskip(SKIP_1) | instid1(VALU_DEP_1)
	v_fma_f64 v[2:3], v[128:129], v[114:115], v[2:3]
	s_waitcnt vmcnt(2)
	v_fma_f64 v[2:3], v[118:119], v[116:117], v[2:3]
	s_waitcnt lgkmcnt(0)
	s_delay_alu instid0(VALU_DEP_1) | instskip(SKIP_1) | instid1(VALU_DEP_1)
	v_fma_f64 v[2:3], v[120:121], v[130:131], v[2:3]
	s_waitcnt vmcnt(1)
	v_fma_f64 v[2:3], v[110:111], v[132:133], v[2:3]
	ds_load_b128 v[114:117], v1 offset:800
	ds_load_b64 v[110:111], v1 offset:816
	s_waitcnt lgkmcnt(1)
	v_fma_f64 v[2:3], v[112:113], v[114:115], v[2:3]
	s_waitcnt vmcnt(0)
	s_delay_alu instid0(VALU_DEP_1) | instskip(SKIP_1) | instid1(VALU_DEP_1)
	v_fma_f64 v[2:3], v[122:123], v[116:117], v[2:3]
	s_waitcnt lgkmcnt(0)
	v_fma_f64 v[2:3], v[124:125], v[110:111], v[2:3]
	s_delay_alu instid0(VALU_DEP_1)
	v_add_f64 v[2:3], v[108:109], -v[2:3]
	scratch_store_b64 off, v[2:3], off offset:120
	v_cmpx_lt_u32_e32 14, v0
	s_cbranch_execz .LBB114_287
; %bb.286:
	scratch_load_b64 v[3:4], off, off offset:112
	v_mov_b32_e32 v2, v1
	scratch_store_b64 off, v[1:2], off offset:112
	s_waitcnt vmcnt(0)
	ds_store_b64 v5, v[3:4]
.LBB114_287:
	s_or_b32 exec_lo, exec_lo, s0
	s_waitcnt lgkmcnt(0)
	s_waitcnt_vscnt null, 0x0
	s_barrier
	buffer_gl0_inv
	s_clause 0x4
	scratch_load_b128 v[108:111], off, off offset:112
	scratch_load_b128 v[112:115], off, off offset:128
	;; [unrolled: 1-line block ×5, first 2 shown]
	ds_load_2addr_b64 v[128:131], v1 offset0:67 offset1:68
	ds_load_2addr_b64 v[132:135], v1 offset0:69 offset1:70
	scratch_load_b128 v[136:139], off, off offset:192
	s_mov_b32 s0, exec_lo
	s_waitcnt vmcnt(5) lgkmcnt(1)
	v_fma_f64 v[2:3], v[110:111], v[128:129], 0
	s_waitcnt vmcnt(4)
	s_delay_alu instid0(VALU_DEP_1) | instskip(SKIP_4) | instid1(VALU_DEP_1)
	v_fma_f64 v[2:3], v[112:113], v[130:131], v[2:3]
	scratch_load_b128 v[110:113], off, off offset:208
	s_waitcnt lgkmcnt(0)
	v_fma_f64 v[2:3], v[114:115], v[132:133], v[2:3]
	s_waitcnt vmcnt(4)
	v_fma_f64 v[2:3], v[116:117], v[134:135], v[2:3]
	ds_load_2addr_b64 v[114:117], v1 offset0:71 offset1:72
	ds_load_2addr_b64 v[128:131], v1 offset0:73 offset1:74
	scratch_load_b128 v[132:135], off, off offset:224
	s_waitcnt lgkmcnt(1)
	v_fma_f64 v[2:3], v[118:119], v[114:115], v[2:3]
	s_waitcnt vmcnt(4)
	s_delay_alu instid0(VALU_DEP_1) | instskip(SKIP_4) | instid1(VALU_DEP_1)
	v_fma_f64 v[2:3], v[120:121], v[116:117], v[2:3]
	scratch_load_b128 v[114:117], off, off offset:240
	s_waitcnt lgkmcnt(0)
	v_fma_f64 v[2:3], v[122:123], v[128:129], v[2:3]
	s_waitcnt vmcnt(4)
	v_fma_f64 v[2:3], v[124:125], v[130:131], v[2:3]
	ds_load_2addr_b64 v[118:121], v1 offset0:75 offset1:76
	ds_load_2addr_b64 v[122:125], v1 offset0:77 offset1:78
	s_waitcnt lgkmcnt(1)
	v_fma_f64 v[2:3], v[126:127], v[118:119], v[2:3]
	scratch_load_b128 v[126:129], off, off offset:256
	s_waitcnt vmcnt(4)
	v_fma_f64 v[2:3], v[136:137], v[120:121], v[2:3]
	scratch_load_b128 v[118:121], off, off offset:272
	s_waitcnt lgkmcnt(0)
	v_fma_f64 v[2:3], v[138:139], v[122:123], v[2:3]
	s_waitcnt vmcnt(4)
	s_delay_alu instid0(VALU_DEP_1)
	v_fma_f64 v[2:3], v[110:111], v[124:125], v[2:3]
	ds_load_2addr_b64 v[122:125], v1 offset0:79 offset1:80
	ds_load_2addr_b64 v[136:139], v1 offset0:81 offset1:82
	s_waitcnt lgkmcnt(1)
	v_fma_f64 v[2:3], v[112:113], v[122:123], v[2:3]
	scratch_load_b128 v[110:113], off, off offset:288
	s_waitcnt vmcnt(4)
	v_fma_f64 v[2:3], v[132:133], v[124:125], v[2:3]
	scratch_load_b128 v[122:125], off, off offset:304
	s_waitcnt lgkmcnt(0)
	v_fma_f64 v[2:3], v[134:135], v[136:137], v[2:3]
	ds_load_2addr_b64 v[130:133], v1 offset0:83 offset1:84
	ds_load_2addr_b64 v[134:137], v1 offset0:85 offset1:86
	s_waitcnt vmcnt(4)
	v_fma_f64 v[2:3], v[114:115], v[138:139], v[2:3]
	s_waitcnt lgkmcnt(1)
	s_delay_alu instid0(VALU_DEP_1) | instskip(SKIP_4) | instid1(VALU_DEP_1)
	v_fma_f64 v[2:3], v[116:117], v[130:131], v[2:3]
	scratch_load_b128 v[114:117], off, off offset:320
	s_waitcnt vmcnt(4)
	v_fma_f64 v[2:3], v[126:127], v[132:133], v[2:3]
	s_waitcnt lgkmcnt(0)
	v_fma_f64 v[2:3], v[128:129], v[134:135], v[2:3]
	scratch_load_b128 v[126:129], off, off offset:336
	s_waitcnt vmcnt(4)
	v_fma_f64 v[2:3], v[118:119], v[136:137], v[2:3]
	ds_load_2addr_b64 v[130:133], v1 offset0:87 offset1:88
	ds_load_2addr_b64 v[134:137], v1 offset0:89 offset1:90
	s_waitcnt lgkmcnt(1)
	v_fma_f64 v[2:3], v[120:121], v[130:131], v[2:3]
	scratch_load_b128 v[118:121], off, off offset:352
	s_waitcnt vmcnt(4)
	v_fma_f64 v[2:3], v[110:111], v[132:133], v[2:3]
	s_waitcnt lgkmcnt(0)
	s_delay_alu instid0(VALU_DEP_1)
	v_fma_f64 v[2:3], v[112:113], v[134:135], v[2:3]
	scratch_load_b128 v[110:113], off, off offset:368
	s_waitcnt vmcnt(4)
	v_fma_f64 v[2:3], v[122:123], v[136:137], v[2:3]
	ds_load_2addr_b64 v[130:133], v1 offset0:91 offset1:92
	ds_load_2addr_b64 v[134:137], v1 offset0:93 offset1:94
	s_waitcnt lgkmcnt(1)
	v_fma_f64 v[2:3], v[124:125], v[130:131], v[2:3]
	scratch_load_b128 v[122:125], off, off offset:384
	s_waitcnt vmcnt(4)
	v_fma_f64 v[2:3], v[114:115], v[132:133], v[2:3]
	s_waitcnt lgkmcnt(0)
	s_delay_alu instid0(VALU_DEP_1)
	v_fma_f64 v[2:3], v[116:117], v[134:135], v[2:3]
	scratch_load_b64 v[134:135], off, off offset:400
	ds_load_2addr_b64 v[114:117], v1 offset0:95 offset1:96
	ds_load_2addr_b64 v[130:133], v1 offset0:97 offset1:98
	s_waitcnt vmcnt(4)
	v_fma_f64 v[2:3], v[126:127], v[136:137], v[2:3]
	s_waitcnt lgkmcnt(1)
	s_delay_alu instid0(VALU_DEP_1) | instskip(SKIP_1) | instid1(VALU_DEP_1)
	v_fma_f64 v[2:3], v[128:129], v[114:115], v[2:3]
	s_waitcnt vmcnt(3)
	v_fma_f64 v[2:3], v[118:119], v[116:117], v[2:3]
	s_waitcnt lgkmcnt(0)
	s_delay_alu instid0(VALU_DEP_1) | instskip(SKIP_1) | instid1(VALU_DEP_1)
	v_fma_f64 v[2:3], v[120:121], v[130:131], v[2:3]
	s_waitcnt vmcnt(2)
	v_fma_f64 v[110:111], v[110:111], v[132:133], v[2:3]
	ds_load_2addr_b64 v[114:117], v1 offset0:99 offset1:100
	ds_load_2addr_b64 v[1:4], v1 offset0:101 offset1:102
	s_waitcnt lgkmcnt(1)
	v_fma_f64 v[110:111], v[112:113], v[114:115], v[110:111]
	s_waitcnt vmcnt(1)
	s_delay_alu instid0(VALU_DEP_1) | instskip(SKIP_1) | instid1(VALU_DEP_1)
	v_fma_f64 v[110:111], v[122:123], v[116:117], v[110:111]
	s_waitcnt lgkmcnt(0)
	v_fma_f64 v[1:2], v[124:125], v[1:2], v[110:111]
	s_waitcnt vmcnt(0)
	s_delay_alu instid0(VALU_DEP_1) | instskip(NEXT) | instid1(VALU_DEP_1)
	v_fma_f64 v[1:2], v[134:135], v[3:4], v[1:2]
	v_add_f64 v[1:2], v[108:109], -v[1:2]
	scratch_store_b64 off, v[1:2], off offset:112
	v_cmpx_lt_u32_e32 13, v0
	s_cbranch_execz .LBB114_289
; %bb.288:
	scratch_load_b64 v[1:2], off, off offset:104
	v_mov_b32_e32 v3, 0
	s_delay_alu instid0(VALU_DEP_1)
	v_mov_b32_e32 v4, v3
	scratch_store_b64 off, v[3:4], off offset:104
	s_waitcnt vmcnt(0)
	ds_store_b64 v5, v[1:2]
.LBB114_289:
	s_or_b32 exec_lo, exec_lo, s0
	s_waitcnt lgkmcnt(0)
	s_waitcnt_vscnt null, 0x0
	s_barrier
	buffer_gl0_inv
	s_clause 0x4
	scratch_load_b128 v[108:111], off, off offset:104
	scratch_load_b128 v[112:115], off, off offset:120
	;; [unrolled: 1-line block ×5, first 2 shown]
	v_mov_b32_e32 v1, 0
	ds_load_b128 v[128:131], v1 offset:528
	ds_load_b128 v[132:135], v1 offset:544
	scratch_load_b128 v[136:139], off, off offset:184
	s_mov_b32 s0, exec_lo
	s_waitcnt vmcnt(5) lgkmcnt(1)
	v_fma_f64 v[2:3], v[110:111], v[128:129], 0
	s_waitcnt vmcnt(4)
	s_delay_alu instid0(VALU_DEP_1) | instskip(SKIP_4) | instid1(VALU_DEP_1)
	v_fma_f64 v[2:3], v[112:113], v[130:131], v[2:3]
	scratch_load_b128 v[110:113], off, off offset:200
	s_waitcnt lgkmcnt(0)
	v_fma_f64 v[2:3], v[114:115], v[132:133], v[2:3]
	s_waitcnt vmcnt(4)
	v_fma_f64 v[2:3], v[116:117], v[134:135], v[2:3]
	ds_load_b128 v[114:117], v1 offset:560
	ds_load_b128 v[128:131], v1 offset:576
	scratch_load_b128 v[132:135], off, off offset:216
	s_waitcnt lgkmcnt(1)
	v_fma_f64 v[2:3], v[118:119], v[114:115], v[2:3]
	s_waitcnt vmcnt(4)
	s_delay_alu instid0(VALU_DEP_1) | instskip(SKIP_4) | instid1(VALU_DEP_1)
	v_fma_f64 v[2:3], v[120:121], v[116:117], v[2:3]
	scratch_load_b128 v[114:117], off, off offset:232
	s_waitcnt lgkmcnt(0)
	v_fma_f64 v[2:3], v[122:123], v[128:129], v[2:3]
	s_waitcnt vmcnt(4)
	v_fma_f64 v[2:3], v[124:125], v[130:131], v[2:3]
	ds_load_b128 v[118:121], v1 offset:592
	ds_load_b128 v[122:125], v1 offset:608
	s_waitcnt lgkmcnt(1)
	v_fma_f64 v[2:3], v[126:127], v[118:119], v[2:3]
	scratch_load_b128 v[126:129], off, off offset:248
	s_waitcnt vmcnt(4)
	v_fma_f64 v[2:3], v[136:137], v[120:121], v[2:3]
	scratch_load_b128 v[118:121], off, off offset:264
	s_waitcnt lgkmcnt(0)
	v_fma_f64 v[2:3], v[138:139], v[122:123], v[2:3]
	s_waitcnt vmcnt(4)
	s_delay_alu instid0(VALU_DEP_1)
	v_fma_f64 v[2:3], v[110:111], v[124:125], v[2:3]
	ds_load_b128 v[122:125], v1 offset:624
	ds_load_b128 v[136:139], v1 offset:640
	s_waitcnt lgkmcnt(1)
	v_fma_f64 v[2:3], v[112:113], v[122:123], v[2:3]
	scratch_load_b128 v[110:113], off, off offset:280
	s_waitcnt vmcnt(4)
	v_fma_f64 v[2:3], v[132:133], v[124:125], v[2:3]
	scratch_load_b128 v[122:125], off, off offset:296
	s_waitcnt lgkmcnt(0)
	v_fma_f64 v[2:3], v[134:135], v[136:137], v[2:3]
	ds_load_b128 v[130:133], v1 offset:656
	ds_load_b128 v[134:137], v1 offset:672
	s_waitcnt vmcnt(4)
	v_fma_f64 v[2:3], v[114:115], v[138:139], v[2:3]
	s_waitcnt lgkmcnt(1)
	s_delay_alu instid0(VALU_DEP_1) | instskip(SKIP_4) | instid1(VALU_DEP_1)
	v_fma_f64 v[2:3], v[116:117], v[130:131], v[2:3]
	scratch_load_b128 v[114:117], off, off offset:312
	s_waitcnt vmcnt(4)
	v_fma_f64 v[2:3], v[126:127], v[132:133], v[2:3]
	s_waitcnt lgkmcnt(0)
	v_fma_f64 v[2:3], v[128:129], v[134:135], v[2:3]
	scratch_load_b128 v[126:129], off, off offset:328
	s_waitcnt vmcnt(4)
	v_fma_f64 v[2:3], v[118:119], v[136:137], v[2:3]
	ds_load_b128 v[130:133], v1 offset:688
	ds_load_b128 v[134:137], v1 offset:704
	s_waitcnt lgkmcnt(1)
	v_fma_f64 v[2:3], v[120:121], v[130:131], v[2:3]
	scratch_load_b128 v[118:121], off, off offset:344
	s_waitcnt vmcnt(4)
	v_fma_f64 v[2:3], v[110:111], v[132:133], v[2:3]
	s_waitcnt lgkmcnt(0)
	s_delay_alu instid0(VALU_DEP_1)
	v_fma_f64 v[2:3], v[112:113], v[134:135], v[2:3]
	scratch_load_b128 v[110:113], off, off offset:360
	s_waitcnt vmcnt(4)
	v_fma_f64 v[2:3], v[122:123], v[136:137], v[2:3]
	ds_load_b128 v[130:133], v1 offset:720
	ds_load_b128 v[134:137], v1 offset:736
	s_waitcnt lgkmcnt(1)
	v_fma_f64 v[2:3], v[124:125], v[130:131], v[2:3]
	scratch_load_b128 v[122:125], off, off offset:376
	s_waitcnt vmcnt(4)
	v_fma_f64 v[2:3], v[114:115], v[132:133], v[2:3]
	s_waitcnt lgkmcnt(0)
	s_delay_alu instid0(VALU_DEP_1)
	v_fma_f64 v[2:3], v[116:117], v[134:135], v[2:3]
	scratch_load_b128 v[114:117], off, off offset:392
	s_waitcnt vmcnt(4)
	v_fma_f64 v[2:3], v[126:127], v[136:137], v[2:3]
	ds_load_b128 v[130:133], v1 offset:752
	ds_load_b128 v[134:137], v1 offset:768
	s_waitcnt lgkmcnt(1)
	v_fma_f64 v[2:3], v[128:129], v[130:131], v[2:3]
	s_waitcnt vmcnt(3)
	s_delay_alu instid0(VALU_DEP_1) | instskip(SKIP_1) | instid1(VALU_DEP_1)
	v_fma_f64 v[2:3], v[118:119], v[132:133], v[2:3]
	s_waitcnt lgkmcnt(0)
	v_fma_f64 v[2:3], v[120:121], v[134:135], v[2:3]
	ds_load_b128 v[118:121], v1 offset:784
	ds_load_b128 v[126:129], v1 offset:800
	s_waitcnt vmcnt(2)
	v_fma_f64 v[2:3], v[110:111], v[136:137], v[2:3]
	ds_load_b64 v[110:111], v1 offset:816
	s_waitcnt lgkmcnt(2)
	v_fma_f64 v[2:3], v[112:113], v[118:119], v[2:3]
	s_waitcnt vmcnt(1)
	s_delay_alu instid0(VALU_DEP_1) | instskip(SKIP_1) | instid1(VALU_DEP_1)
	v_fma_f64 v[2:3], v[122:123], v[120:121], v[2:3]
	s_waitcnt lgkmcnt(1)
	v_fma_f64 v[2:3], v[124:125], v[126:127], v[2:3]
	s_waitcnt vmcnt(0)
	s_delay_alu instid0(VALU_DEP_1) | instskip(SKIP_1) | instid1(VALU_DEP_1)
	v_fma_f64 v[2:3], v[114:115], v[128:129], v[2:3]
	s_waitcnt lgkmcnt(0)
	v_fma_f64 v[2:3], v[116:117], v[110:111], v[2:3]
	s_delay_alu instid0(VALU_DEP_1)
	v_add_f64 v[2:3], v[108:109], -v[2:3]
	scratch_store_b64 off, v[2:3], off offset:104
	v_cmpx_lt_u32_e32 12, v0
	s_cbranch_execz .LBB114_291
; %bb.290:
	scratch_load_b64 v[3:4], off, off offset:96
	v_mov_b32_e32 v2, v1
	scratch_store_b64 off, v[1:2], off offset:96
	s_waitcnt vmcnt(0)
	ds_store_b64 v5, v[3:4]
.LBB114_291:
	s_or_b32 exec_lo, exec_lo, s0
	s_waitcnt lgkmcnt(0)
	s_waitcnt_vscnt null, 0x0
	s_barrier
	buffer_gl0_inv
	s_clause 0x4
	scratch_load_b128 v[108:111], off, off offset:96
	scratch_load_b128 v[112:115], off, off offset:112
	;; [unrolled: 1-line block ×5, first 2 shown]
	ds_load_2addr_b64 v[128:131], v1 offset0:65 offset1:66
	ds_load_2addr_b64 v[132:135], v1 offset0:67 offset1:68
	scratch_load_b128 v[136:139], off, off offset:176
	s_mov_b32 s0, exec_lo
	s_waitcnt vmcnt(5) lgkmcnt(1)
	v_fma_f64 v[2:3], v[110:111], v[128:129], 0
	s_waitcnt vmcnt(4)
	s_delay_alu instid0(VALU_DEP_1) | instskip(SKIP_4) | instid1(VALU_DEP_1)
	v_fma_f64 v[2:3], v[112:113], v[130:131], v[2:3]
	scratch_load_b128 v[110:113], off, off offset:192
	s_waitcnt lgkmcnt(0)
	v_fma_f64 v[2:3], v[114:115], v[132:133], v[2:3]
	s_waitcnt vmcnt(4)
	v_fma_f64 v[2:3], v[116:117], v[134:135], v[2:3]
	ds_load_2addr_b64 v[114:117], v1 offset0:69 offset1:70
	ds_load_2addr_b64 v[128:131], v1 offset0:71 offset1:72
	scratch_load_b128 v[132:135], off, off offset:208
	s_waitcnt lgkmcnt(1)
	v_fma_f64 v[2:3], v[118:119], v[114:115], v[2:3]
	s_waitcnt vmcnt(4)
	s_delay_alu instid0(VALU_DEP_1) | instskip(SKIP_4) | instid1(VALU_DEP_1)
	v_fma_f64 v[2:3], v[120:121], v[116:117], v[2:3]
	scratch_load_b128 v[114:117], off, off offset:224
	s_waitcnt lgkmcnt(0)
	v_fma_f64 v[2:3], v[122:123], v[128:129], v[2:3]
	s_waitcnt vmcnt(4)
	v_fma_f64 v[2:3], v[124:125], v[130:131], v[2:3]
	ds_load_2addr_b64 v[118:121], v1 offset0:73 offset1:74
	ds_load_2addr_b64 v[122:125], v1 offset0:75 offset1:76
	s_waitcnt lgkmcnt(1)
	v_fma_f64 v[2:3], v[126:127], v[118:119], v[2:3]
	scratch_load_b128 v[126:129], off, off offset:240
	s_waitcnt vmcnt(4)
	v_fma_f64 v[2:3], v[136:137], v[120:121], v[2:3]
	scratch_load_b128 v[118:121], off, off offset:256
	s_waitcnt lgkmcnt(0)
	v_fma_f64 v[2:3], v[138:139], v[122:123], v[2:3]
	s_waitcnt vmcnt(4)
	s_delay_alu instid0(VALU_DEP_1)
	v_fma_f64 v[2:3], v[110:111], v[124:125], v[2:3]
	ds_load_2addr_b64 v[122:125], v1 offset0:77 offset1:78
	ds_load_2addr_b64 v[136:139], v1 offset0:79 offset1:80
	s_waitcnt lgkmcnt(1)
	v_fma_f64 v[2:3], v[112:113], v[122:123], v[2:3]
	scratch_load_b128 v[110:113], off, off offset:272
	s_waitcnt vmcnt(4)
	v_fma_f64 v[2:3], v[132:133], v[124:125], v[2:3]
	scratch_load_b128 v[122:125], off, off offset:288
	s_waitcnt lgkmcnt(0)
	v_fma_f64 v[2:3], v[134:135], v[136:137], v[2:3]
	ds_load_2addr_b64 v[130:133], v1 offset0:81 offset1:82
	ds_load_2addr_b64 v[134:137], v1 offset0:83 offset1:84
	s_waitcnt vmcnt(4)
	v_fma_f64 v[2:3], v[114:115], v[138:139], v[2:3]
	s_waitcnt lgkmcnt(1)
	s_delay_alu instid0(VALU_DEP_1) | instskip(SKIP_4) | instid1(VALU_DEP_1)
	v_fma_f64 v[2:3], v[116:117], v[130:131], v[2:3]
	scratch_load_b128 v[114:117], off, off offset:304
	s_waitcnt vmcnt(4)
	v_fma_f64 v[2:3], v[126:127], v[132:133], v[2:3]
	s_waitcnt lgkmcnt(0)
	v_fma_f64 v[2:3], v[128:129], v[134:135], v[2:3]
	scratch_load_b128 v[126:129], off, off offset:320
	s_waitcnt vmcnt(4)
	v_fma_f64 v[2:3], v[118:119], v[136:137], v[2:3]
	ds_load_2addr_b64 v[130:133], v1 offset0:85 offset1:86
	ds_load_2addr_b64 v[134:137], v1 offset0:87 offset1:88
	s_waitcnt lgkmcnt(1)
	v_fma_f64 v[2:3], v[120:121], v[130:131], v[2:3]
	scratch_load_b128 v[118:121], off, off offset:336
	s_waitcnt vmcnt(4)
	v_fma_f64 v[2:3], v[110:111], v[132:133], v[2:3]
	s_waitcnt lgkmcnt(0)
	s_delay_alu instid0(VALU_DEP_1)
	v_fma_f64 v[2:3], v[112:113], v[134:135], v[2:3]
	scratch_load_b128 v[110:113], off, off offset:352
	s_waitcnt vmcnt(4)
	v_fma_f64 v[2:3], v[122:123], v[136:137], v[2:3]
	ds_load_2addr_b64 v[130:133], v1 offset0:89 offset1:90
	ds_load_2addr_b64 v[134:137], v1 offset0:91 offset1:92
	s_waitcnt lgkmcnt(1)
	v_fma_f64 v[2:3], v[124:125], v[130:131], v[2:3]
	scratch_load_b128 v[122:125], off, off offset:368
	s_waitcnt vmcnt(4)
	v_fma_f64 v[2:3], v[114:115], v[132:133], v[2:3]
	s_waitcnt lgkmcnt(0)
	s_delay_alu instid0(VALU_DEP_1)
	v_fma_f64 v[2:3], v[116:117], v[134:135], v[2:3]
	scratch_load_b128 v[114:117], off, off offset:384
	s_waitcnt vmcnt(4)
	v_fma_f64 v[2:3], v[126:127], v[136:137], v[2:3]
	ds_load_2addr_b64 v[130:133], v1 offset0:93 offset1:94
	ds_load_2addr_b64 v[134:137], v1 offset0:95 offset1:96
	s_waitcnt lgkmcnt(1)
	v_fma_f64 v[2:3], v[128:129], v[130:131], v[2:3]
	scratch_load_b64 v[130:131], off, off offset:400
	s_waitcnt vmcnt(4)
	v_fma_f64 v[2:3], v[118:119], v[132:133], v[2:3]
	s_waitcnt lgkmcnt(0)
	s_delay_alu instid0(VALU_DEP_1)
	v_fma_f64 v[2:3], v[120:121], v[134:135], v[2:3]
	ds_load_2addr_b64 v[118:121], v1 offset0:97 offset1:98
	ds_load_2addr_b64 v[126:129], v1 offset0:99 offset1:100
	s_waitcnt vmcnt(3)
	v_fma_f64 v[2:3], v[110:111], v[136:137], v[2:3]
	s_waitcnt lgkmcnt(1)
	s_delay_alu instid0(VALU_DEP_1) | instskip(SKIP_1) | instid1(VALU_DEP_1)
	v_fma_f64 v[2:3], v[112:113], v[118:119], v[2:3]
	s_waitcnt vmcnt(2)
	v_fma_f64 v[2:3], v[122:123], v[120:121], v[2:3]
	s_waitcnt lgkmcnt(0)
	s_delay_alu instid0(VALU_DEP_1) | instskip(SKIP_1) | instid1(VALU_DEP_1)
	v_fma_f64 v[2:3], v[124:125], v[126:127], v[2:3]
	s_waitcnt vmcnt(1)
	v_fma_f64 v[110:111], v[114:115], v[128:129], v[2:3]
	ds_load_2addr_b64 v[1:4], v1 offset0:101 offset1:102
	s_waitcnt lgkmcnt(0)
	v_fma_f64 v[1:2], v[116:117], v[1:2], v[110:111]
	s_waitcnt vmcnt(0)
	s_delay_alu instid0(VALU_DEP_1) | instskip(NEXT) | instid1(VALU_DEP_1)
	v_fma_f64 v[1:2], v[130:131], v[3:4], v[1:2]
	v_add_f64 v[1:2], v[108:109], -v[1:2]
	scratch_store_b64 off, v[1:2], off offset:96
	v_cmpx_lt_u32_e32 11, v0
	s_cbranch_execz .LBB114_293
; %bb.292:
	scratch_load_b64 v[1:2], off, off offset:88
	v_mov_b32_e32 v3, 0
	s_delay_alu instid0(VALU_DEP_1)
	v_mov_b32_e32 v4, v3
	scratch_store_b64 off, v[3:4], off offset:88
	s_waitcnt vmcnt(0)
	ds_store_b64 v5, v[1:2]
.LBB114_293:
	s_or_b32 exec_lo, exec_lo, s0
	s_waitcnt lgkmcnt(0)
	s_waitcnt_vscnt null, 0x0
	s_barrier
	buffer_gl0_inv
	s_clause 0x4
	scratch_load_b128 v[108:111], off, off offset:88
	scratch_load_b128 v[112:115], off, off offset:104
	;; [unrolled: 1-line block ×5, first 2 shown]
	v_mov_b32_e32 v1, 0
	ds_load_b128 v[128:131], v1 offset:512
	ds_load_b128 v[132:135], v1 offset:528
	scratch_load_b128 v[136:139], off, off offset:168
	s_mov_b32 s0, exec_lo
	s_waitcnt vmcnt(5) lgkmcnt(1)
	v_fma_f64 v[2:3], v[110:111], v[128:129], 0
	s_waitcnt vmcnt(4)
	s_delay_alu instid0(VALU_DEP_1) | instskip(SKIP_4) | instid1(VALU_DEP_1)
	v_fma_f64 v[2:3], v[112:113], v[130:131], v[2:3]
	scratch_load_b128 v[110:113], off, off offset:184
	s_waitcnt lgkmcnt(0)
	v_fma_f64 v[2:3], v[114:115], v[132:133], v[2:3]
	s_waitcnt vmcnt(4)
	v_fma_f64 v[2:3], v[116:117], v[134:135], v[2:3]
	ds_load_b128 v[114:117], v1 offset:544
	ds_load_b128 v[128:131], v1 offset:560
	scratch_load_b128 v[132:135], off, off offset:200
	s_waitcnt lgkmcnt(1)
	v_fma_f64 v[2:3], v[118:119], v[114:115], v[2:3]
	s_waitcnt vmcnt(4)
	s_delay_alu instid0(VALU_DEP_1) | instskip(SKIP_4) | instid1(VALU_DEP_1)
	v_fma_f64 v[2:3], v[120:121], v[116:117], v[2:3]
	scratch_load_b128 v[114:117], off, off offset:216
	s_waitcnt lgkmcnt(0)
	v_fma_f64 v[2:3], v[122:123], v[128:129], v[2:3]
	s_waitcnt vmcnt(4)
	v_fma_f64 v[2:3], v[124:125], v[130:131], v[2:3]
	ds_load_b128 v[118:121], v1 offset:576
	ds_load_b128 v[122:125], v1 offset:592
	s_waitcnt lgkmcnt(1)
	v_fma_f64 v[2:3], v[126:127], v[118:119], v[2:3]
	scratch_load_b128 v[126:129], off, off offset:232
	s_waitcnt vmcnt(4)
	v_fma_f64 v[2:3], v[136:137], v[120:121], v[2:3]
	scratch_load_b128 v[118:121], off, off offset:248
	s_waitcnt lgkmcnt(0)
	v_fma_f64 v[2:3], v[138:139], v[122:123], v[2:3]
	s_waitcnt vmcnt(4)
	s_delay_alu instid0(VALU_DEP_1)
	v_fma_f64 v[2:3], v[110:111], v[124:125], v[2:3]
	ds_load_b128 v[122:125], v1 offset:608
	ds_load_b128 v[136:139], v1 offset:624
	s_waitcnt lgkmcnt(1)
	v_fma_f64 v[2:3], v[112:113], v[122:123], v[2:3]
	scratch_load_b128 v[110:113], off, off offset:264
	s_waitcnt vmcnt(4)
	v_fma_f64 v[2:3], v[132:133], v[124:125], v[2:3]
	scratch_load_b128 v[122:125], off, off offset:280
	s_waitcnt lgkmcnt(0)
	v_fma_f64 v[2:3], v[134:135], v[136:137], v[2:3]
	ds_load_b128 v[130:133], v1 offset:640
	ds_load_b128 v[134:137], v1 offset:656
	s_waitcnt vmcnt(4)
	v_fma_f64 v[2:3], v[114:115], v[138:139], v[2:3]
	s_waitcnt lgkmcnt(1)
	s_delay_alu instid0(VALU_DEP_1) | instskip(SKIP_4) | instid1(VALU_DEP_1)
	v_fma_f64 v[2:3], v[116:117], v[130:131], v[2:3]
	scratch_load_b128 v[114:117], off, off offset:296
	s_waitcnt vmcnt(4)
	v_fma_f64 v[2:3], v[126:127], v[132:133], v[2:3]
	s_waitcnt lgkmcnt(0)
	v_fma_f64 v[2:3], v[128:129], v[134:135], v[2:3]
	scratch_load_b128 v[126:129], off, off offset:312
	s_waitcnt vmcnt(4)
	v_fma_f64 v[2:3], v[118:119], v[136:137], v[2:3]
	ds_load_b128 v[130:133], v1 offset:672
	ds_load_b128 v[134:137], v1 offset:688
	s_waitcnt lgkmcnt(1)
	v_fma_f64 v[2:3], v[120:121], v[130:131], v[2:3]
	scratch_load_b128 v[118:121], off, off offset:328
	s_waitcnt vmcnt(4)
	v_fma_f64 v[2:3], v[110:111], v[132:133], v[2:3]
	s_waitcnt lgkmcnt(0)
	s_delay_alu instid0(VALU_DEP_1)
	v_fma_f64 v[2:3], v[112:113], v[134:135], v[2:3]
	scratch_load_b128 v[110:113], off, off offset:344
	s_waitcnt vmcnt(4)
	v_fma_f64 v[2:3], v[122:123], v[136:137], v[2:3]
	ds_load_b128 v[130:133], v1 offset:704
	ds_load_b128 v[134:137], v1 offset:720
	s_waitcnt lgkmcnt(1)
	v_fma_f64 v[2:3], v[124:125], v[130:131], v[2:3]
	scratch_load_b128 v[122:125], off, off offset:360
	s_waitcnt vmcnt(4)
	v_fma_f64 v[2:3], v[114:115], v[132:133], v[2:3]
	s_waitcnt lgkmcnt(0)
	s_delay_alu instid0(VALU_DEP_1)
	;; [unrolled: 13-line block ×3, first 2 shown]
	v_fma_f64 v[2:3], v[120:121], v[134:135], v[2:3]
	ds_load_b128 v[118:121], v1 offset:768
	ds_load_b128 v[130:133], v1 offset:784
	s_waitcnt vmcnt(3)
	v_fma_f64 v[2:3], v[110:111], v[136:137], v[2:3]
	s_waitcnt lgkmcnt(1)
	s_delay_alu instid0(VALU_DEP_1) | instskip(SKIP_1) | instid1(VALU_DEP_1)
	v_fma_f64 v[2:3], v[112:113], v[118:119], v[2:3]
	s_waitcnt vmcnt(2)
	v_fma_f64 v[2:3], v[122:123], v[120:121], v[2:3]
	s_waitcnt lgkmcnt(0)
	s_delay_alu instid0(VALU_DEP_1) | instskip(SKIP_1) | instid1(VALU_DEP_1)
	v_fma_f64 v[2:3], v[124:125], v[130:131], v[2:3]
	s_waitcnt vmcnt(1)
	v_fma_f64 v[2:3], v[114:115], v[132:133], v[2:3]
	ds_load_b128 v[110:113], v1 offset:800
	ds_load_b64 v[114:115], v1 offset:816
	s_waitcnt lgkmcnt(1)
	v_fma_f64 v[2:3], v[116:117], v[110:111], v[2:3]
	s_waitcnt vmcnt(0)
	s_delay_alu instid0(VALU_DEP_1) | instskip(SKIP_1) | instid1(VALU_DEP_1)
	v_fma_f64 v[2:3], v[126:127], v[112:113], v[2:3]
	s_waitcnt lgkmcnt(0)
	v_fma_f64 v[2:3], v[128:129], v[114:115], v[2:3]
	s_delay_alu instid0(VALU_DEP_1)
	v_add_f64 v[2:3], v[108:109], -v[2:3]
	scratch_store_b64 off, v[2:3], off offset:88
	v_cmpx_lt_u32_e32 10, v0
	s_cbranch_execz .LBB114_295
; %bb.294:
	scratch_load_b64 v[3:4], off, off offset:80
	v_mov_b32_e32 v2, v1
	scratch_store_b64 off, v[1:2], off offset:80
	s_waitcnt vmcnt(0)
	ds_store_b64 v5, v[3:4]
.LBB114_295:
	s_or_b32 exec_lo, exec_lo, s0
	s_waitcnt lgkmcnt(0)
	s_waitcnt_vscnt null, 0x0
	s_barrier
	buffer_gl0_inv
	s_clause 0x4
	scratch_load_b128 v[108:111], off, off offset:80
	scratch_load_b128 v[112:115], off, off offset:96
	;; [unrolled: 1-line block ×5, first 2 shown]
	ds_load_2addr_b64 v[128:131], v1 offset0:63 offset1:64
	ds_load_2addr_b64 v[132:135], v1 offset0:65 offset1:66
	scratch_load_b128 v[136:139], off, off offset:160
	s_mov_b32 s0, exec_lo
	s_waitcnt vmcnt(5) lgkmcnt(1)
	v_fma_f64 v[2:3], v[110:111], v[128:129], 0
	s_waitcnt vmcnt(4)
	s_delay_alu instid0(VALU_DEP_1) | instskip(SKIP_4) | instid1(VALU_DEP_1)
	v_fma_f64 v[2:3], v[112:113], v[130:131], v[2:3]
	scratch_load_b128 v[110:113], off, off offset:176
	s_waitcnt lgkmcnt(0)
	v_fma_f64 v[2:3], v[114:115], v[132:133], v[2:3]
	s_waitcnt vmcnt(4)
	v_fma_f64 v[2:3], v[116:117], v[134:135], v[2:3]
	ds_load_2addr_b64 v[114:117], v1 offset0:67 offset1:68
	ds_load_2addr_b64 v[128:131], v1 offset0:69 offset1:70
	scratch_load_b128 v[132:135], off, off offset:192
	s_waitcnt lgkmcnt(1)
	v_fma_f64 v[2:3], v[118:119], v[114:115], v[2:3]
	s_waitcnt vmcnt(4)
	s_delay_alu instid0(VALU_DEP_1) | instskip(SKIP_4) | instid1(VALU_DEP_1)
	v_fma_f64 v[2:3], v[120:121], v[116:117], v[2:3]
	scratch_load_b128 v[114:117], off, off offset:208
	s_waitcnt lgkmcnt(0)
	v_fma_f64 v[2:3], v[122:123], v[128:129], v[2:3]
	s_waitcnt vmcnt(4)
	v_fma_f64 v[2:3], v[124:125], v[130:131], v[2:3]
	ds_load_2addr_b64 v[118:121], v1 offset0:71 offset1:72
	ds_load_2addr_b64 v[122:125], v1 offset0:73 offset1:74
	s_waitcnt lgkmcnt(1)
	v_fma_f64 v[2:3], v[126:127], v[118:119], v[2:3]
	scratch_load_b128 v[126:129], off, off offset:224
	s_waitcnt vmcnt(4)
	v_fma_f64 v[2:3], v[136:137], v[120:121], v[2:3]
	scratch_load_b128 v[118:121], off, off offset:240
	s_waitcnt lgkmcnt(0)
	v_fma_f64 v[2:3], v[138:139], v[122:123], v[2:3]
	s_waitcnt vmcnt(4)
	s_delay_alu instid0(VALU_DEP_1)
	v_fma_f64 v[2:3], v[110:111], v[124:125], v[2:3]
	ds_load_2addr_b64 v[122:125], v1 offset0:75 offset1:76
	ds_load_2addr_b64 v[136:139], v1 offset0:77 offset1:78
	s_waitcnt lgkmcnt(1)
	v_fma_f64 v[2:3], v[112:113], v[122:123], v[2:3]
	scratch_load_b128 v[110:113], off, off offset:256
	s_waitcnt vmcnt(4)
	v_fma_f64 v[2:3], v[132:133], v[124:125], v[2:3]
	scratch_load_b128 v[122:125], off, off offset:272
	s_waitcnt lgkmcnt(0)
	v_fma_f64 v[2:3], v[134:135], v[136:137], v[2:3]
	ds_load_2addr_b64 v[130:133], v1 offset0:79 offset1:80
	ds_load_2addr_b64 v[134:137], v1 offset0:81 offset1:82
	s_waitcnt vmcnt(4)
	v_fma_f64 v[2:3], v[114:115], v[138:139], v[2:3]
	s_waitcnt lgkmcnt(1)
	s_delay_alu instid0(VALU_DEP_1) | instskip(SKIP_4) | instid1(VALU_DEP_1)
	v_fma_f64 v[2:3], v[116:117], v[130:131], v[2:3]
	scratch_load_b128 v[114:117], off, off offset:288
	s_waitcnt vmcnt(4)
	v_fma_f64 v[2:3], v[126:127], v[132:133], v[2:3]
	s_waitcnt lgkmcnt(0)
	v_fma_f64 v[2:3], v[128:129], v[134:135], v[2:3]
	scratch_load_b128 v[126:129], off, off offset:304
	s_waitcnt vmcnt(4)
	v_fma_f64 v[2:3], v[118:119], v[136:137], v[2:3]
	ds_load_2addr_b64 v[130:133], v1 offset0:83 offset1:84
	ds_load_2addr_b64 v[134:137], v1 offset0:85 offset1:86
	s_waitcnt lgkmcnt(1)
	v_fma_f64 v[2:3], v[120:121], v[130:131], v[2:3]
	scratch_load_b128 v[118:121], off, off offset:320
	s_waitcnt vmcnt(4)
	v_fma_f64 v[2:3], v[110:111], v[132:133], v[2:3]
	s_waitcnt lgkmcnt(0)
	s_delay_alu instid0(VALU_DEP_1)
	v_fma_f64 v[2:3], v[112:113], v[134:135], v[2:3]
	scratch_load_b128 v[110:113], off, off offset:336
	s_waitcnt vmcnt(4)
	v_fma_f64 v[2:3], v[122:123], v[136:137], v[2:3]
	ds_load_2addr_b64 v[130:133], v1 offset0:87 offset1:88
	ds_load_2addr_b64 v[134:137], v1 offset0:89 offset1:90
	s_waitcnt lgkmcnt(1)
	v_fma_f64 v[2:3], v[124:125], v[130:131], v[2:3]
	scratch_load_b128 v[122:125], off, off offset:352
	s_waitcnt vmcnt(4)
	v_fma_f64 v[2:3], v[114:115], v[132:133], v[2:3]
	s_waitcnt lgkmcnt(0)
	s_delay_alu instid0(VALU_DEP_1)
	;; [unrolled: 13-line block ×3, first 2 shown]
	v_fma_f64 v[2:3], v[120:121], v[134:135], v[2:3]
	scratch_load_b64 v[134:135], off, off offset:400
	ds_load_2addr_b64 v[118:121], v1 offset0:95 offset1:96
	ds_load_2addr_b64 v[130:133], v1 offset0:97 offset1:98
	s_waitcnt vmcnt(4)
	v_fma_f64 v[2:3], v[110:111], v[136:137], v[2:3]
	s_waitcnt lgkmcnt(1)
	s_delay_alu instid0(VALU_DEP_1) | instskip(SKIP_1) | instid1(VALU_DEP_1)
	v_fma_f64 v[2:3], v[112:113], v[118:119], v[2:3]
	s_waitcnt vmcnt(3)
	v_fma_f64 v[2:3], v[122:123], v[120:121], v[2:3]
	s_waitcnt lgkmcnt(0)
	s_delay_alu instid0(VALU_DEP_1) | instskip(SKIP_1) | instid1(VALU_DEP_1)
	v_fma_f64 v[2:3], v[124:125], v[130:131], v[2:3]
	s_waitcnt vmcnt(2)
	v_fma_f64 v[114:115], v[114:115], v[132:133], v[2:3]
	ds_load_2addr_b64 v[110:113], v1 offset0:99 offset1:100
	ds_load_2addr_b64 v[1:4], v1 offset0:101 offset1:102
	s_waitcnt lgkmcnt(1)
	v_fma_f64 v[110:111], v[116:117], v[110:111], v[114:115]
	s_waitcnt vmcnt(1)
	s_delay_alu instid0(VALU_DEP_1) | instskip(SKIP_1) | instid1(VALU_DEP_1)
	v_fma_f64 v[110:111], v[126:127], v[112:113], v[110:111]
	s_waitcnt lgkmcnt(0)
	v_fma_f64 v[1:2], v[128:129], v[1:2], v[110:111]
	s_waitcnt vmcnt(0)
	s_delay_alu instid0(VALU_DEP_1) | instskip(NEXT) | instid1(VALU_DEP_1)
	v_fma_f64 v[1:2], v[134:135], v[3:4], v[1:2]
	v_add_f64 v[1:2], v[108:109], -v[1:2]
	scratch_store_b64 off, v[1:2], off offset:80
	v_cmpx_lt_u32_e32 9, v0
	s_cbranch_execz .LBB114_297
; %bb.296:
	scratch_load_b64 v[1:2], off, off offset:72
	v_mov_b32_e32 v3, 0
	s_delay_alu instid0(VALU_DEP_1)
	v_mov_b32_e32 v4, v3
	scratch_store_b64 off, v[3:4], off offset:72
	s_waitcnt vmcnt(0)
	ds_store_b64 v5, v[1:2]
.LBB114_297:
	s_or_b32 exec_lo, exec_lo, s0
	s_waitcnt lgkmcnt(0)
	s_waitcnt_vscnt null, 0x0
	s_barrier
	buffer_gl0_inv
	s_clause 0x4
	scratch_load_b128 v[108:111], off, off offset:72
	scratch_load_b128 v[112:115], off, off offset:88
	;; [unrolled: 1-line block ×5, first 2 shown]
	v_mov_b32_e32 v1, 0
	ds_load_b128 v[128:131], v1 offset:496
	ds_load_b128 v[132:135], v1 offset:512
	scratch_load_b128 v[136:139], off, off offset:152
	s_mov_b32 s0, exec_lo
	s_waitcnt vmcnt(5) lgkmcnt(1)
	v_fma_f64 v[2:3], v[110:111], v[128:129], 0
	s_waitcnt vmcnt(4)
	s_delay_alu instid0(VALU_DEP_1) | instskip(SKIP_4) | instid1(VALU_DEP_1)
	v_fma_f64 v[2:3], v[112:113], v[130:131], v[2:3]
	scratch_load_b128 v[110:113], off, off offset:168
	s_waitcnt lgkmcnt(0)
	v_fma_f64 v[2:3], v[114:115], v[132:133], v[2:3]
	s_waitcnt vmcnt(4)
	v_fma_f64 v[2:3], v[116:117], v[134:135], v[2:3]
	ds_load_b128 v[114:117], v1 offset:528
	ds_load_b128 v[128:131], v1 offset:544
	scratch_load_b128 v[132:135], off, off offset:184
	s_waitcnt lgkmcnt(1)
	v_fma_f64 v[2:3], v[118:119], v[114:115], v[2:3]
	s_waitcnt vmcnt(4)
	s_delay_alu instid0(VALU_DEP_1) | instskip(SKIP_4) | instid1(VALU_DEP_1)
	v_fma_f64 v[2:3], v[120:121], v[116:117], v[2:3]
	scratch_load_b128 v[114:117], off, off offset:200
	s_waitcnt lgkmcnt(0)
	v_fma_f64 v[2:3], v[122:123], v[128:129], v[2:3]
	s_waitcnt vmcnt(4)
	v_fma_f64 v[2:3], v[124:125], v[130:131], v[2:3]
	ds_load_b128 v[118:121], v1 offset:560
	ds_load_b128 v[122:125], v1 offset:576
	s_waitcnt lgkmcnt(1)
	v_fma_f64 v[2:3], v[126:127], v[118:119], v[2:3]
	scratch_load_b128 v[126:129], off, off offset:216
	s_waitcnt vmcnt(4)
	v_fma_f64 v[2:3], v[136:137], v[120:121], v[2:3]
	scratch_load_b128 v[118:121], off, off offset:232
	s_waitcnt lgkmcnt(0)
	v_fma_f64 v[2:3], v[138:139], v[122:123], v[2:3]
	s_waitcnt vmcnt(4)
	s_delay_alu instid0(VALU_DEP_1)
	v_fma_f64 v[2:3], v[110:111], v[124:125], v[2:3]
	ds_load_b128 v[122:125], v1 offset:592
	ds_load_b128 v[136:139], v1 offset:608
	s_waitcnt lgkmcnt(1)
	v_fma_f64 v[2:3], v[112:113], v[122:123], v[2:3]
	scratch_load_b128 v[110:113], off, off offset:248
	s_waitcnt vmcnt(4)
	v_fma_f64 v[2:3], v[132:133], v[124:125], v[2:3]
	scratch_load_b128 v[122:125], off, off offset:264
	s_waitcnt lgkmcnt(0)
	v_fma_f64 v[2:3], v[134:135], v[136:137], v[2:3]
	ds_load_b128 v[130:133], v1 offset:624
	ds_load_b128 v[134:137], v1 offset:640
	s_waitcnt vmcnt(4)
	v_fma_f64 v[2:3], v[114:115], v[138:139], v[2:3]
	s_waitcnt lgkmcnt(1)
	s_delay_alu instid0(VALU_DEP_1) | instskip(SKIP_4) | instid1(VALU_DEP_1)
	v_fma_f64 v[2:3], v[116:117], v[130:131], v[2:3]
	scratch_load_b128 v[114:117], off, off offset:280
	s_waitcnt vmcnt(4)
	v_fma_f64 v[2:3], v[126:127], v[132:133], v[2:3]
	s_waitcnt lgkmcnt(0)
	v_fma_f64 v[2:3], v[128:129], v[134:135], v[2:3]
	scratch_load_b128 v[126:129], off, off offset:296
	s_waitcnt vmcnt(4)
	v_fma_f64 v[2:3], v[118:119], v[136:137], v[2:3]
	ds_load_b128 v[130:133], v1 offset:656
	ds_load_b128 v[134:137], v1 offset:672
	s_waitcnt lgkmcnt(1)
	v_fma_f64 v[2:3], v[120:121], v[130:131], v[2:3]
	scratch_load_b128 v[118:121], off, off offset:312
	s_waitcnt vmcnt(4)
	v_fma_f64 v[2:3], v[110:111], v[132:133], v[2:3]
	s_waitcnt lgkmcnt(0)
	s_delay_alu instid0(VALU_DEP_1)
	v_fma_f64 v[2:3], v[112:113], v[134:135], v[2:3]
	scratch_load_b128 v[110:113], off, off offset:328
	s_waitcnt vmcnt(4)
	v_fma_f64 v[2:3], v[122:123], v[136:137], v[2:3]
	ds_load_b128 v[130:133], v1 offset:688
	ds_load_b128 v[134:137], v1 offset:704
	s_waitcnt lgkmcnt(1)
	v_fma_f64 v[2:3], v[124:125], v[130:131], v[2:3]
	scratch_load_b128 v[122:125], off, off offset:344
	s_waitcnt vmcnt(4)
	v_fma_f64 v[2:3], v[114:115], v[132:133], v[2:3]
	s_waitcnt lgkmcnt(0)
	s_delay_alu instid0(VALU_DEP_1)
	;; [unrolled: 13-line block ×3, first 2 shown]
	v_fma_f64 v[2:3], v[120:121], v[134:135], v[2:3]
	scratch_load_b128 v[118:121], off, off offset:392
	s_waitcnt vmcnt(4)
	v_fma_f64 v[2:3], v[110:111], v[136:137], v[2:3]
	ds_load_b128 v[130:133], v1 offset:752
	ds_load_b128 v[134:137], v1 offset:768
	s_waitcnt lgkmcnt(1)
	v_fma_f64 v[2:3], v[112:113], v[130:131], v[2:3]
	s_waitcnt vmcnt(3)
	s_delay_alu instid0(VALU_DEP_1) | instskip(SKIP_1) | instid1(VALU_DEP_1)
	v_fma_f64 v[2:3], v[122:123], v[132:133], v[2:3]
	s_waitcnt lgkmcnt(0)
	v_fma_f64 v[2:3], v[124:125], v[134:135], v[2:3]
	ds_load_b128 v[110:113], v1 offset:784
	ds_load_b128 v[122:125], v1 offset:800
	s_waitcnt vmcnt(2)
	v_fma_f64 v[2:3], v[114:115], v[136:137], v[2:3]
	s_waitcnt lgkmcnt(1)
	s_delay_alu instid0(VALU_DEP_1) | instskip(SKIP_4) | instid1(VALU_DEP_1)
	v_fma_f64 v[2:3], v[116:117], v[110:111], v[2:3]
	ds_load_b64 v[110:111], v1 offset:816
	s_waitcnt vmcnt(1)
	v_fma_f64 v[2:3], v[126:127], v[112:113], v[2:3]
	s_waitcnt lgkmcnt(1)
	v_fma_f64 v[2:3], v[128:129], v[122:123], v[2:3]
	s_waitcnt vmcnt(0)
	s_delay_alu instid0(VALU_DEP_1) | instskip(SKIP_1) | instid1(VALU_DEP_1)
	v_fma_f64 v[2:3], v[118:119], v[124:125], v[2:3]
	s_waitcnt lgkmcnt(0)
	v_fma_f64 v[2:3], v[120:121], v[110:111], v[2:3]
	s_delay_alu instid0(VALU_DEP_1)
	v_add_f64 v[2:3], v[108:109], -v[2:3]
	scratch_store_b64 off, v[2:3], off offset:72
	v_cmpx_lt_u32_e32 8, v0
	s_cbranch_execz .LBB114_299
; %bb.298:
	scratch_load_b64 v[3:4], off, off offset:64
	v_mov_b32_e32 v2, v1
	scratch_store_b64 off, v[1:2], off offset:64
	s_waitcnt vmcnt(0)
	ds_store_b64 v5, v[3:4]
.LBB114_299:
	s_or_b32 exec_lo, exec_lo, s0
	s_waitcnt lgkmcnt(0)
	s_waitcnt_vscnt null, 0x0
	s_barrier
	buffer_gl0_inv
	s_clause 0x4
	scratch_load_b128 v[108:111], off, off offset:64
	scratch_load_b128 v[112:115], off, off offset:80
	;; [unrolled: 1-line block ×5, first 2 shown]
	ds_load_2addr_b64 v[128:131], v1 offset0:61 offset1:62
	ds_load_2addr_b64 v[132:135], v1 offset0:63 offset1:64
	scratch_load_b128 v[136:139], off, off offset:144
	s_mov_b32 s0, exec_lo
	s_waitcnt vmcnt(5) lgkmcnt(1)
	v_fma_f64 v[2:3], v[110:111], v[128:129], 0
	s_waitcnt vmcnt(4)
	s_delay_alu instid0(VALU_DEP_1) | instskip(SKIP_4) | instid1(VALU_DEP_1)
	v_fma_f64 v[2:3], v[112:113], v[130:131], v[2:3]
	scratch_load_b128 v[110:113], off, off offset:160
	s_waitcnt lgkmcnt(0)
	v_fma_f64 v[2:3], v[114:115], v[132:133], v[2:3]
	s_waitcnt vmcnt(4)
	v_fma_f64 v[2:3], v[116:117], v[134:135], v[2:3]
	ds_load_2addr_b64 v[114:117], v1 offset0:65 offset1:66
	ds_load_2addr_b64 v[128:131], v1 offset0:67 offset1:68
	scratch_load_b128 v[132:135], off, off offset:176
	s_waitcnt lgkmcnt(1)
	v_fma_f64 v[2:3], v[118:119], v[114:115], v[2:3]
	s_waitcnt vmcnt(4)
	s_delay_alu instid0(VALU_DEP_1) | instskip(SKIP_4) | instid1(VALU_DEP_1)
	v_fma_f64 v[2:3], v[120:121], v[116:117], v[2:3]
	scratch_load_b128 v[114:117], off, off offset:192
	s_waitcnt lgkmcnt(0)
	v_fma_f64 v[2:3], v[122:123], v[128:129], v[2:3]
	s_waitcnt vmcnt(4)
	v_fma_f64 v[2:3], v[124:125], v[130:131], v[2:3]
	ds_load_2addr_b64 v[118:121], v1 offset0:69 offset1:70
	ds_load_2addr_b64 v[122:125], v1 offset0:71 offset1:72
	s_waitcnt lgkmcnt(1)
	v_fma_f64 v[2:3], v[126:127], v[118:119], v[2:3]
	scratch_load_b128 v[126:129], off, off offset:208
	s_waitcnt vmcnt(4)
	v_fma_f64 v[2:3], v[136:137], v[120:121], v[2:3]
	scratch_load_b128 v[118:121], off, off offset:224
	s_waitcnt lgkmcnt(0)
	v_fma_f64 v[2:3], v[138:139], v[122:123], v[2:3]
	s_waitcnt vmcnt(4)
	s_delay_alu instid0(VALU_DEP_1)
	v_fma_f64 v[2:3], v[110:111], v[124:125], v[2:3]
	ds_load_2addr_b64 v[122:125], v1 offset0:73 offset1:74
	ds_load_2addr_b64 v[136:139], v1 offset0:75 offset1:76
	s_waitcnt lgkmcnt(1)
	v_fma_f64 v[2:3], v[112:113], v[122:123], v[2:3]
	scratch_load_b128 v[110:113], off, off offset:240
	s_waitcnt vmcnt(4)
	v_fma_f64 v[2:3], v[132:133], v[124:125], v[2:3]
	scratch_load_b128 v[122:125], off, off offset:256
	s_waitcnt lgkmcnt(0)
	v_fma_f64 v[2:3], v[134:135], v[136:137], v[2:3]
	ds_load_2addr_b64 v[130:133], v1 offset0:77 offset1:78
	ds_load_2addr_b64 v[134:137], v1 offset0:79 offset1:80
	s_waitcnt vmcnt(4)
	v_fma_f64 v[2:3], v[114:115], v[138:139], v[2:3]
	s_waitcnt lgkmcnt(1)
	s_delay_alu instid0(VALU_DEP_1) | instskip(SKIP_4) | instid1(VALU_DEP_1)
	v_fma_f64 v[2:3], v[116:117], v[130:131], v[2:3]
	scratch_load_b128 v[114:117], off, off offset:272
	s_waitcnt vmcnt(4)
	v_fma_f64 v[2:3], v[126:127], v[132:133], v[2:3]
	s_waitcnt lgkmcnt(0)
	v_fma_f64 v[2:3], v[128:129], v[134:135], v[2:3]
	scratch_load_b128 v[126:129], off, off offset:288
	s_waitcnt vmcnt(4)
	v_fma_f64 v[2:3], v[118:119], v[136:137], v[2:3]
	ds_load_2addr_b64 v[130:133], v1 offset0:81 offset1:82
	ds_load_2addr_b64 v[134:137], v1 offset0:83 offset1:84
	s_waitcnt lgkmcnt(1)
	v_fma_f64 v[2:3], v[120:121], v[130:131], v[2:3]
	scratch_load_b128 v[118:121], off, off offset:304
	s_waitcnt vmcnt(4)
	v_fma_f64 v[2:3], v[110:111], v[132:133], v[2:3]
	s_waitcnt lgkmcnt(0)
	s_delay_alu instid0(VALU_DEP_1)
	v_fma_f64 v[2:3], v[112:113], v[134:135], v[2:3]
	scratch_load_b128 v[110:113], off, off offset:320
	s_waitcnt vmcnt(4)
	v_fma_f64 v[2:3], v[122:123], v[136:137], v[2:3]
	ds_load_2addr_b64 v[130:133], v1 offset0:85 offset1:86
	ds_load_2addr_b64 v[134:137], v1 offset0:87 offset1:88
	s_waitcnt lgkmcnt(1)
	v_fma_f64 v[2:3], v[124:125], v[130:131], v[2:3]
	scratch_load_b128 v[122:125], off, off offset:336
	s_waitcnt vmcnt(4)
	v_fma_f64 v[2:3], v[114:115], v[132:133], v[2:3]
	s_waitcnt lgkmcnt(0)
	s_delay_alu instid0(VALU_DEP_1)
	;; [unrolled: 13-line block ×3, first 2 shown]
	v_fma_f64 v[2:3], v[120:121], v[134:135], v[2:3]
	scratch_load_b128 v[118:121], off, off offset:384
	s_waitcnt vmcnt(4)
	v_fma_f64 v[2:3], v[110:111], v[136:137], v[2:3]
	ds_load_2addr_b64 v[130:133], v1 offset0:93 offset1:94
	ds_load_2addr_b64 v[134:137], v1 offset0:95 offset1:96
	s_waitcnt lgkmcnt(1)
	v_fma_f64 v[2:3], v[112:113], v[130:131], v[2:3]
	scratch_load_b64 v[130:131], off, off offset:400
	s_waitcnt vmcnt(4)
	v_fma_f64 v[2:3], v[122:123], v[132:133], v[2:3]
	s_waitcnt lgkmcnt(0)
	s_delay_alu instid0(VALU_DEP_1)
	v_fma_f64 v[2:3], v[124:125], v[134:135], v[2:3]
	ds_load_2addr_b64 v[110:113], v1 offset0:97 offset1:98
	ds_load_2addr_b64 v[122:125], v1 offset0:99 offset1:100
	s_waitcnt vmcnt(3)
	v_fma_f64 v[2:3], v[114:115], v[136:137], v[2:3]
	s_waitcnt lgkmcnt(1)
	s_delay_alu instid0(VALU_DEP_1) | instskip(SKIP_1) | instid1(VALU_DEP_1)
	v_fma_f64 v[2:3], v[116:117], v[110:111], v[2:3]
	s_waitcnt vmcnt(2)
	v_fma_f64 v[2:3], v[126:127], v[112:113], v[2:3]
	s_waitcnt lgkmcnt(0)
	s_delay_alu instid0(VALU_DEP_1) | instskip(SKIP_1) | instid1(VALU_DEP_1)
	v_fma_f64 v[2:3], v[128:129], v[122:123], v[2:3]
	s_waitcnt vmcnt(1)
	v_fma_f64 v[110:111], v[118:119], v[124:125], v[2:3]
	ds_load_2addr_b64 v[1:4], v1 offset0:101 offset1:102
	s_waitcnt lgkmcnt(0)
	v_fma_f64 v[1:2], v[120:121], v[1:2], v[110:111]
	s_waitcnt vmcnt(0)
	s_delay_alu instid0(VALU_DEP_1) | instskip(NEXT) | instid1(VALU_DEP_1)
	v_fma_f64 v[1:2], v[130:131], v[3:4], v[1:2]
	v_add_f64 v[1:2], v[108:109], -v[1:2]
	scratch_store_b64 off, v[1:2], off offset:64
	v_cmpx_lt_u32_e32 7, v0
	s_cbranch_execz .LBB114_301
; %bb.300:
	scratch_load_b64 v[1:2], off, off offset:56
	v_mov_b32_e32 v3, 0
	s_delay_alu instid0(VALU_DEP_1)
	v_mov_b32_e32 v4, v3
	scratch_store_b64 off, v[3:4], off offset:56
	s_waitcnt vmcnt(0)
	ds_store_b64 v5, v[1:2]
.LBB114_301:
	s_or_b32 exec_lo, exec_lo, s0
	s_waitcnt lgkmcnt(0)
	s_waitcnt_vscnt null, 0x0
	s_barrier
	buffer_gl0_inv
	s_clause 0x4
	scratch_load_b128 v[108:111], off, off offset:56
	scratch_load_b128 v[112:115], off, off offset:72
	;; [unrolled: 1-line block ×5, first 2 shown]
	v_mov_b32_e32 v1, 0
	ds_load_b128 v[128:131], v1 offset:480
	ds_load_b128 v[132:135], v1 offset:496
	scratch_load_b128 v[136:139], off, off offset:136
	s_mov_b32 s0, exec_lo
	s_waitcnt vmcnt(5) lgkmcnt(1)
	v_fma_f64 v[2:3], v[110:111], v[128:129], 0
	s_waitcnt vmcnt(4)
	s_delay_alu instid0(VALU_DEP_1) | instskip(SKIP_4) | instid1(VALU_DEP_1)
	v_fma_f64 v[2:3], v[112:113], v[130:131], v[2:3]
	scratch_load_b128 v[110:113], off, off offset:152
	s_waitcnt lgkmcnt(0)
	v_fma_f64 v[2:3], v[114:115], v[132:133], v[2:3]
	s_waitcnt vmcnt(4)
	v_fma_f64 v[2:3], v[116:117], v[134:135], v[2:3]
	ds_load_b128 v[114:117], v1 offset:512
	ds_load_b128 v[128:131], v1 offset:528
	scratch_load_b128 v[132:135], off, off offset:168
	s_waitcnt lgkmcnt(1)
	v_fma_f64 v[2:3], v[118:119], v[114:115], v[2:3]
	s_waitcnt vmcnt(4)
	s_delay_alu instid0(VALU_DEP_1) | instskip(SKIP_4) | instid1(VALU_DEP_1)
	v_fma_f64 v[2:3], v[120:121], v[116:117], v[2:3]
	scratch_load_b128 v[114:117], off, off offset:184
	s_waitcnt lgkmcnt(0)
	v_fma_f64 v[2:3], v[122:123], v[128:129], v[2:3]
	s_waitcnt vmcnt(4)
	v_fma_f64 v[2:3], v[124:125], v[130:131], v[2:3]
	ds_load_b128 v[118:121], v1 offset:544
	ds_load_b128 v[122:125], v1 offset:560
	s_waitcnt lgkmcnt(1)
	v_fma_f64 v[2:3], v[126:127], v[118:119], v[2:3]
	scratch_load_b128 v[126:129], off, off offset:200
	s_waitcnt vmcnt(4)
	v_fma_f64 v[2:3], v[136:137], v[120:121], v[2:3]
	scratch_load_b128 v[118:121], off, off offset:216
	s_waitcnt lgkmcnt(0)
	v_fma_f64 v[2:3], v[138:139], v[122:123], v[2:3]
	s_waitcnt vmcnt(4)
	s_delay_alu instid0(VALU_DEP_1)
	v_fma_f64 v[2:3], v[110:111], v[124:125], v[2:3]
	ds_load_b128 v[122:125], v1 offset:576
	ds_load_b128 v[136:139], v1 offset:592
	s_waitcnt lgkmcnt(1)
	v_fma_f64 v[2:3], v[112:113], v[122:123], v[2:3]
	scratch_load_b128 v[110:113], off, off offset:232
	s_waitcnt vmcnt(4)
	v_fma_f64 v[2:3], v[132:133], v[124:125], v[2:3]
	scratch_load_b128 v[122:125], off, off offset:248
	s_waitcnt lgkmcnt(0)
	v_fma_f64 v[2:3], v[134:135], v[136:137], v[2:3]
	ds_load_b128 v[130:133], v1 offset:608
	ds_load_b128 v[134:137], v1 offset:624
	s_waitcnt vmcnt(4)
	v_fma_f64 v[2:3], v[114:115], v[138:139], v[2:3]
	s_waitcnt lgkmcnt(1)
	s_delay_alu instid0(VALU_DEP_1) | instskip(SKIP_4) | instid1(VALU_DEP_1)
	v_fma_f64 v[2:3], v[116:117], v[130:131], v[2:3]
	scratch_load_b128 v[114:117], off, off offset:264
	s_waitcnt vmcnt(4)
	v_fma_f64 v[2:3], v[126:127], v[132:133], v[2:3]
	s_waitcnt lgkmcnt(0)
	v_fma_f64 v[2:3], v[128:129], v[134:135], v[2:3]
	scratch_load_b128 v[126:129], off, off offset:280
	s_waitcnt vmcnt(4)
	v_fma_f64 v[2:3], v[118:119], v[136:137], v[2:3]
	ds_load_b128 v[130:133], v1 offset:640
	ds_load_b128 v[134:137], v1 offset:656
	s_waitcnt lgkmcnt(1)
	v_fma_f64 v[2:3], v[120:121], v[130:131], v[2:3]
	scratch_load_b128 v[118:121], off, off offset:296
	s_waitcnt vmcnt(4)
	v_fma_f64 v[2:3], v[110:111], v[132:133], v[2:3]
	s_waitcnt lgkmcnt(0)
	s_delay_alu instid0(VALU_DEP_1)
	v_fma_f64 v[2:3], v[112:113], v[134:135], v[2:3]
	scratch_load_b128 v[110:113], off, off offset:312
	s_waitcnt vmcnt(4)
	v_fma_f64 v[2:3], v[122:123], v[136:137], v[2:3]
	ds_load_b128 v[130:133], v1 offset:672
	ds_load_b128 v[134:137], v1 offset:688
	s_waitcnt lgkmcnt(1)
	v_fma_f64 v[2:3], v[124:125], v[130:131], v[2:3]
	scratch_load_b128 v[122:125], off, off offset:328
	s_waitcnt vmcnt(4)
	v_fma_f64 v[2:3], v[114:115], v[132:133], v[2:3]
	s_waitcnt lgkmcnt(0)
	s_delay_alu instid0(VALU_DEP_1)
	;; [unrolled: 13-line block ×4, first 2 shown]
	v_fma_f64 v[2:3], v[124:125], v[134:135], v[2:3]
	ds_load_b128 v[122:125], v1 offset:768
	ds_load_b128 v[130:133], v1 offset:784
	s_waitcnt vmcnt(3)
	v_fma_f64 v[2:3], v[114:115], v[136:137], v[2:3]
	s_waitcnt lgkmcnt(1)
	s_delay_alu instid0(VALU_DEP_1) | instskip(SKIP_1) | instid1(VALU_DEP_1)
	v_fma_f64 v[2:3], v[116:117], v[122:123], v[2:3]
	s_waitcnt vmcnt(2)
	v_fma_f64 v[2:3], v[126:127], v[124:125], v[2:3]
	s_waitcnt lgkmcnt(0)
	s_delay_alu instid0(VALU_DEP_1) | instskip(SKIP_1) | instid1(VALU_DEP_1)
	v_fma_f64 v[2:3], v[128:129], v[130:131], v[2:3]
	s_waitcnt vmcnt(1)
	v_fma_f64 v[2:3], v[118:119], v[132:133], v[2:3]
	ds_load_b128 v[114:117], v1 offset:800
	ds_load_b64 v[118:119], v1 offset:816
	s_waitcnt lgkmcnt(1)
	v_fma_f64 v[2:3], v[120:121], v[114:115], v[2:3]
	s_waitcnt vmcnt(0)
	s_delay_alu instid0(VALU_DEP_1) | instskip(SKIP_1) | instid1(VALU_DEP_1)
	v_fma_f64 v[2:3], v[110:111], v[116:117], v[2:3]
	s_waitcnt lgkmcnt(0)
	v_fma_f64 v[2:3], v[112:113], v[118:119], v[2:3]
	s_delay_alu instid0(VALU_DEP_1)
	v_add_f64 v[2:3], v[108:109], -v[2:3]
	scratch_store_b64 off, v[2:3], off offset:56
	v_cmpx_lt_u32_e32 6, v0
	s_cbranch_execz .LBB114_303
; %bb.302:
	scratch_load_b64 v[3:4], off, off offset:48
	v_mov_b32_e32 v2, v1
	scratch_store_b64 off, v[1:2], off offset:48
	s_waitcnt vmcnt(0)
	ds_store_b64 v5, v[3:4]
.LBB114_303:
	s_or_b32 exec_lo, exec_lo, s0
	s_waitcnt lgkmcnt(0)
	s_waitcnt_vscnt null, 0x0
	s_barrier
	buffer_gl0_inv
	s_clause 0x4
	scratch_load_b128 v[108:111], off, off offset:48
	scratch_load_b128 v[112:115], off, off offset:64
	;; [unrolled: 1-line block ×5, first 2 shown]
	ds_load_2addr_b64 v[128:131], v1 offset0:59 offset1:60
	ds_load_2addr_b64 v[132:135], v1 offset0:61 offset1:62
	scratch_load_b128 v[136:139], off, off offset:128
	s_mov_b32 s0, exec_lo
	s_waitcnt vmcnt(5) lgkmcnt(1)
	v_fma_f64 v[2:3], v[110:111], v[128:129], 0
	s_waitcnt vmcnt(4)
	s_delay_alu instid0(VALU_DEP_1) | instskip(SKIP_4) | instid1(VALU_DEP_1)
	v_fma_f64 v[2:3], v[112:113], v[130:131], v[2:3]
	scratch_load_b128 v[110:113], off, off offset:144
	s_waitcnt lgkmcnt(0)
	v_fma_f64 v[2:3], v[114:115], v[132:133], v[2:3]
	s_waitcnt vmcnt(4)
	v_fma_f64 v[2:3], v[116:117], v[134:135], v[2:3]
	ds_load_2addr_b64 v[114:117], v1 offset0:63 offset1:64
	ds_load_2addr_b64 v[128:131], v1 offset0:65 offset1:66
	scratch_load_b128 v[132:135], off, off offset:160
	s_waitcnt lgkmcnt(1)
	v_fma_f64 v[2:3], v[118:119], v[114:115], v[2:3]
	s_waitcnt vmcnt(4)
	s_delay_alu instid0(VALU_DEP_1) | instskip(SKIP_4) | instid1(VALU_DEP_1)
	v_fma_f64 v[2:3], v[120:121], v[116:117], v[2:3]
	scratch_load_b128 v[114:117], off, off offset:176
	s_waitcnt lgkmcnt(0)
	v_fma_f64 v[2:3], v[122:123], v[128:129], v[2:3]
	s_waitcnt vmcnt(4)
	v_fma_f64 v[2:3], v[124:125], v[130:131], v[2:3]
	ds_load_2addr_b64 v[118:121], v1 offset0:67 offset1:68
	ds_load_2addr_b64 v[122:125], v1 offset0:69 offset1:70
	s_waitcnt lgkmcnt(1)
	v_fma_f64 v[2:3], v[126:127], v[118:119], v[2:3]
	scratch_load_b128 v[126:129], off, off offset:192
	s_waitcnt vmcnt(4)
	v_fma_f64 v[2:3], v[136:137], v[120:121], v[2:3]
	scratch_load_b128 v[118:121], off, off offset:208
	s_waitcnt lgkmcnt(0)
	v_fma_f64 v[2:3], v[138:139], v[122:123], v[2:3]
	s_waitcnt vmcnt(4)
	s_delay_alu instid0(VALU_DEP_1)
	v_fma_f64 v[2:3], v[110:111], v[124:125], v[2:3]
	ds_load_2addr_b64 v[122:125], v1 offset0:71 offset1:72
	ds_load_2addr_b64 v[136:139], v1 offset0:73 offset1:74
	s_waitcnt lgkmcnt(1)
	v_fma_f64 v[2:3], v[112:113], v[122:123], v[2:3]
	scratch_load_b128 v[110:113], off, off offset:224
	s_waitcnt vmcnt(4)
	v_fma_f64 v[2:3], v[132:133], v[124:125], v[2:3]
	scratch_load_b128 v[122:125], off, off offset:240
	s_waitcnt lgkmcnt(0)
	v_fma_f64 v[2:3], v[134:135], v[136:137], v[2:3]
	ds_load_2addr_b64 v[130:133], v1 offset0:75 offset1:76
	ds_load_2addr_b64 v[134:137], v1 offset0:77 offset1:78
	s_waitcnt vmcnt(4)
	v_fma_f64 v[2:3], v[114:115], v[138:139], v[2:3]
	s_waitcnt lgkmcnt(1)
	s_delay_alu instid0(VALU_DEP_1) | instskip(SKIP_4) | instid1(VALU_DEP_1)
	v_fma_f64 v[2:3], v[116:117], v[130:131], v[2:3]
	scratch_load_b128 v[114:117], off, off offset:256
	s_waitcnt vmcnt(4)
	v_fma_f64 v[2:3], v[126:127], v[132:133], v[2:3]
	s_waitcnt lgkmcnt(0)
	v_fma_f64 v[2:3], v[128:129], v[134:135], v[2:3]
	scratch_load_b128 v[126:129], off, off offset:272
	s_waitcnt vmcnt(4)
	v_fma_f64 v[2:3], v[118:119], v[136:137], v[2:3]
	ds_load_2addr_b64 v[130:133], v1 offset0:79 offset1:80
	ds_load_2addr_b64 v[134:137], v1 offset0:81 offset1:82
	s_waitcnt lgkmcnt(1)
	v_fma_f64 v[2:3], v[120:121], v[130:131], v[2:3]
	scratch_load_b128 v[118:121], off, off offset:288
	s_waitcnt vmcnt(4)
	v_fma_f64 v[2:3], v[110:111], v[132:133], v[2:3]
	s_waitcnt lgkmcnt(0)
	s_delay_alu instid0(VALU_DEP_1)
	v_fma_f64 v[2:3], v[112:113], v[134:135], v[2:3]
	scratch_load_b128 v[110:113], off, off offset:304
	s_waitcnt vmcnt(4)
	v_fma_f64 v[2:3], v[122:123], v[136:137], v[2:3]
	ds_load_2addr_b64 v[130:133], v1 offset0:83 offset1:84
	ds_load_2addr_b64 v[134:137], v1 offset0:85 offset1:86
	s_waitcnt lgkmcnt(1)
	v_fma_f64 v[2:3], v[124:125], v[130:131], v[2:3]
	scratch_load_b128 v[122:125], off, off offset:320
	s_waitcnt vmcnt(4)
	v_fma_f64 v[2:3], v[114:115], v[132:133], v[2:3]
	s_waitcnt lgkmcnt(0)
	s_delay_alu instid0(VALU_DEP_1)
	;; [unrolled: 13-line block ×4, first 2 shown]
	v_fma_f64 v[2:3], v[124:125], v[134:135], v[2:3]
	scratch_load_b64 v[134:135], off, off offset:400
	ds_load_2addr_b64 v[122:125], v1 offset0:95 offset1:96
	ds_load_2addr_b64 v[130:133], v1 offset0:97 offset1:98
	s_waitcnt vmcnt(4)
	v_fma_f64 v[2:3], v[114:115], v[136:137], v[2:3]
	s_waitcnt lgkmcnt(1)
	s_delay_alu instid0(VALU_DEP_1) | instskip(SKIP_1) | instid1(VALU_DEP_1)
	v_fma_f64 v[2:3], v[116:117], v[122:123], v[2:3]
	s_waitcnt vmcnt(3)
	v_fma_f64 v[2:3], v[126:127], v[124:125], v[2:3]
	s_waitcnt lgkmcnt(0)
	s_delay_alu instid0(VALU_DEP_1) | instskip(SKIP_1) | instid1(VALU_DEP_1)
	v_fma_f64 v[2:3], v[128:129], v[130:131], v[2:3]
	s_waitcnt vmcnt(2)
	v_fma_f64 v[118:119], v[118:119], v[132:133], v[2:3]
	ds_load_2addr_b64 v[114:117], v1 offset0:99 offset1:100
	ds_load_2addr_b64 v[1:4], v1 offset0:101 offset1:102
	s_waitcnt lgkmcnt(1)
	v_fma_f64 v[114:115], v[120:121], v[114:115], v[118:119]
	s_waitcnt vmcnt(1)
	s_delay_alu instid0(VALU_DEP_1) | instskip(SKIP_1) | instid1(VALU_DEP_1)
	v_fma_f64 v[110:111], v[110:111], v[116:117], v[114:115]
	s_waitcnt lgkmcnt(0)
	v_fma_f64 v[1:2], v[112:113], v[1:2], v[110:111]
	s_waitcnt vmcnt(0)
	s_delay_alu instid0(VALU_DEP_1) | instskip(NEXT) | instid1(VALU_DEP_1)
	v_fma_f64 v[1:2], v[134:135], v[3:4], v[1:2]
	v_add_f64 v[1:2], v[108:109], -v[1:2]
	scratch_store_b64 off, v[1:2], off offset:48
	v_cmpx_lt_u32_e32 5, v0
	s_cbranch_execz .LBB114_305
; %bb.304:
	scratch_load_b64 v[1:2], off, off offset:40
	v_mov_b32_e32 v3, 0
	s_delay_alu instid0(VALU_DEP_1)
	v_mov_b32_e32 v4, v3
	scratch_store_b64 off, v[3:4], off offset:40
	s_waitcnt vmcnt(0)
	ds_store_b64 v5, v[1:2]
.LBB114_305:
	s_or_b32 exec_lo, exec_lo, s0
	s_waitcnt lgkmcnt(0)
	s_waitcnt_vscnt null, 0x0
	s_barrier
	buffer_gl0_inv
	s_clause 0x4
	scratch_load_b128 v[1:4], off, off offset:40
	scratch_load_b128 v[109:112], off, off offset:56
	scratch_load_b128 v[113:116], off, off offset:72
	scratch_load_b128 v[117:120], off, off offset:88
	scratch_load_b128 v[121:124], off, off offset:104
	v_mov_b32_e32 v108, 0
	ds_load_b128 v[125:128], v108 offset:464
	ds_load_b128 v[129:132], v108 offset:480
	scratch_load_b128 v[133:136], off, off offset:120
	s_mov_b32 s0, exec_lo
	s_waitcnt vmcnt(5) lgkmcnt(1)
	v_fma_f64 v[3:4], v[3:4], v[125:126], 0
	s_waitcnt vmcnt(4)
	s_delay_alu instid0(VALU_DEP_1) | instskip(SKIP_1) | instid1(VALU_DEP_1)
	v_fma_f64 v[3:4], v[109:110], v[127:128], v[3:4]
	s_waitcnt lgkmcnt(0)
	v_fma_f64 v[3:4], v[111:112], v[129:130], v[3:4]
	scratch_load_b128 v[109:112], off, off offset:136
	s_waitcnt vmcnt(4)
	v_fma_f64 v[3:4], v[113:114], v[131:132], v[3:4]
	ds_load_b128 v[125:128], v108 offset:496
	ds_load_b128 v[129:132], v108 offset:512
	s_waitcnt lgkmcnt(1)
	v_fma_f64 v[3:4], v[115:116], v[125:126], v[3:4]
	scratch_load_b128 v[113:116], off, off offset:152
	s_waitcnt vmcnt(4)
	v_fma_f64 v[3:4], v[117:118], v[127:128], v[3:4]
	s_waitcnt lgkmcnt(0)
	s_delay_alu instid0(VALU_DEP_1)
	v_fma_f64 v[3:4], v[119:120], v[129:130], v[3:4]
	scratch_load_b128 v[117:120], off, off offset:168
	s_waitcnt vmcnt(4)
	v_fma_f64 v[3:4], v[121:122], v[131:132], v[3:4]
	ds_load_b128 v[125:128], v108 offset:528
	ds_load_b128 v[129:132], v108 offset:544
	s_waitcnt lgkmcnt(1)
	v_fma_f64 v[3:4], v[123:124], v[125:126], v[3:4]
	scratch_load_b128 v[121:124], off, off offset:184
	s_waitcnt vmcnt(4)
	v_fma_f64 v[3:4], v[133:134], v[127:128], v[3:4]
	scratch_load_b128 v[125:128], off, off offset:200
	s_waitcnt lgkmcnt(0)
	v_fma_f64 v[3:4], v[135:136], v[129:130], v[3:4]
	s_waitcnt vmcnt(4)
	s_delay_alu instid0(VALU_DEP_1)
	v_fma_f64 v[3:4], v[109:110], v[131:132], v[3:4]
	ds_load_b128 v[129:132], v108 offset:560
	ds_load_b128 v[133:136], v108 offset:576
	s_waitcnt lgkmcnt(1)
	v_fma_f64 v[3:4], v[111:112], v[129:130], v[3:4]
	scratch_load_b128 v[109:112], off, off offset:216
	s_waitcnt vmcnt(4)
	v_fma_f64 v[3:4], v[113:114], v[131:132], v[3:4]
	s_waitcnt lgkmcnt(0)
	s_delay_alu instid0(VALU_DEP_1)
	v_fma_f64 v[3:4], v[115:116], v[133:134], v[3:4]
	scratch_load_b128 v[113:116], off, off offset:232
	s_waitcnt vmcnt(4)
	v_fma_f64 v[3:4], v[117:118], v[135:136], v[3:4]
	ds_load_b128 v[129:132], v108 offset:592
	ds_load_b128 v[133:136], v108 offset:608
	s_waitcnt lgkmcnt(1)
	v_fma_f64 v[3:4], v[119:120], v[129:130], v[3:4]
	scratch_load_b128 v[117:120], off, off offset:248
	s_waitcnt vmcnt(4)
	v_fma_f64 v[3:4], v[121:122], v[131:132], v[3:4]
	s_waitcnt lgkmcnt(0)
	s_delay_alu instid0(VALU_DEP_1)
	v_fma_f64 v[3:4], v[123:124], v[133:134], v[3:4]
	scratch_load_b128 v[121:124], off, off offset:264
	s_waitcnt vmcnt(4)
	;; [unrolled: 13-line block ×6, first 2 shown]
	v_fma_f64 v[3:4], v[117:118], v[135:136], v[3:4]
	ds_load_b128 v[129:132], v108 offset:752
	ds_load_b128 v[133:136], v108 offset:768
	s_waitcnt lgkmcnt(1)
	v_fma_f64 v[3:4], v[119:120], v[129:130], v[3:4]
	s_waitcnt vmcnt(3)
	s_delay_alu instid0(VALU_DEP_1) | instskip(SKIP_1) | instid1(VALU_DEP_1)
	v_fma_f64 v[3:4], v[121:122], v[131:132], v[3:4]
	s_waitcnt lgkmcnt(0)
	v_fma_f64 v[3:4], v[123:124], v[133:134], v[3:4]
	ds_load_b128 v[117:120], v108 offset:784
	ds_load_b128 v[121:124], v108 offset:800
	s_waitcnt vmcnt(2)
	v_fma_f64 v[3:4], v[125:126], v[135:136], v[3:4]
	s_waitcnt lgkmcnt(1)
	s_delay_alu instid0(VALU_DEP_1) | instskip(SKIP_1) | instid1(VALU_DEP_1)
	v_fma_f64 v[3:4], v[127:128], v[117:118], v[3:4]
	s_waitcnt vmcnt(1)
	v_fma_f64 v[3:4], v[109:110], v[119:120], v[3:4]
	ds_load_b64 v[109:110], v108 offset:816
	s_waitcnt lgkmcnt(1)
	v_fma_f64 v[3:4], v[111:112], v[121:122], v[3:4]
	s_waitcnt vmcnt(0)
	s_delay_alu instid0(VALU_DEP_1) | instskip(SKIP_1) | instid1(VALU_DEP_1)
	v_fma_f64 v[3:4], v[113:114], v[123:124], v[3:4]
	s_waitcnt lgkmcnt(0)
	v_fma_f64 v[3:4], v[115:116], v[109:110], v[3:4]
	s_delay_alu instid0(VALU_DEP_1)
	v_add_f64 v[1:2], v[1:2], -v[3:4]
	scratch_store_b64 off, v[1:2], off offset:40
	v_cmpx_lt_u32_e32 4, v0
	s_cbranch_execz .LBB114_307
; %bb.306:
	scratch_load_b64 v[1:2], off, off offset:32
	v_mov_b32_e32 v109, v108
	scratch_store_b64 off, v[108:109], off offset:32
	s_waitcnt vmcnt(0)
	ds_store_b64 v5, v[1:2]
.LBB114_307:
	s_or_b32 exec_lo, exec_lo, s0
	s_waitcnt lgkmcnt(0)
	s_waitcnt_vscnt null, 0x0
	s_barrier
	buffer_gl0_inv
	s_clause 0x4
	scratch_load_b128 v[1:4], off, off offset:32
	scratch_load_b128 v[109:112], off, off offset:48
	;; [unrolled: 1-line block ×5, first 2 shown]
	ds_load_2addr_b64 v[125:128], v108 offset0:57 offset1:58
	ds_load_2addr_b64 v[129:132], v108 offset0:59 offset1:60
	scratch_load_b128 v[133:136], off, off offset:112
	s_mov_b32 s0, exec_lo
	s_waitcnt vmcnt(5) lgkmcnt(1)
	v_fma_f64 v[3:4], v[3:4], v[125:126], 0
	s_waitcnt vmcnt(4)
	s_delay_alu instid0(VALU_DEP_1) | instskip(SKIP_1) | instid1(VALU_DEP_1)
	v_fma_f64 v[3:4], v[109:110], v[127:128], v[3:4]
	s_waitcnt lgkmcnt(0)
	v_fma_f64 v[3:4], v[111:112], v[129:130], v[3:4]
	scratch_load_b128 v[109:112], off, off offset:128
	s_waitcnt vmcnt(4)
	v_fma_f64 v[3:4], v[113:114], v[131:132], v[3:4]
	ds_load_2addr_b64 v[125:128], v108 offset0:61 offset1:62
	ds_load_2addr_b64 v[129:132], v108 offset0:63 offset1:64
	s_waitcnt lgkmcnt(1)
	v_fma_f64 v[3:4], v[115:116], v[125:126], v[3:4]
	scratch_load_b128 v[113:116], off, off offset:144
	s_waitcnt vmcnt(4)
	v_fma_f64 v[3:4], v[117:118], v[127:128], v[3:4]
	s_waitcnt lgkmcnt(0)
	s_delay_alu instid0(VALU_DEP_1)
	v_fma_f64 v[3:4], v[119:120], v[129:130], v[3:4]
	scratch_load_b128 v[117:120], off, off offset:160
	s_waitcnt vmcnt(4)
	v_fma_f64 v[3:4], v[121:122], v[131:132], v[3:4]
	ds_load_2addr_b64 v[125:128], v108 offset0:65 offset1:66
	ds_load_2addr_b64 v[129:132], v108 offset0:67 offset1:68
	s_waitcnt lgkmcnt(1)
	v_fma_f64 v[3:4], v[123:124], v[125:126], v[3:4]
	scratch_load_b128 v[121:124], off, off offset:176
	s_waitcnt vmcnt(4)
	v_fma_f64 v[3:4], v[133:134], v[127:128], v[3:4]
	scratch_load_b128 v[125:128], off, off offset:192
	s_waitcnt lgkmcnt(0)
	v_fma_f64 v[3:4], v[135:136], v[129:130], v[3:4]
	s_waitcnt vmcnt(4)
	s_delay_alu instid0(VALU_DEP_1)
	v_fma_f64 v[3:4], v[109:110], v[131:132], v[3:4]
	ds_load_2addr_b64 v[129:132], v108 offset0:69 offset1:70
	ds_load_2addr_b64 v[133:136], v108 offset0:71 offset1:72
	s_waitcnt lgkmcnt(1)
	v_fma_f64 v[3:4], v[111:112], v[129:130], v[3:4]
	scratch_load_b128 v[109:112], off, off offset:208
	s_waitcnt vmcnt(4)
	v_fma_f64 v[3:4], v[113:114], v[131:132], v[3:4]
	s_waitcnt lgkmcnt(0)
	s_delay_alu instid0(VALU_DEP_1)
	v_fma_f64 v[3:4], v[115:116], v[133:134], v[3:4]
	scratch_load_b128 v[113:116], off, off offset:224
	s_waitcnt vmcnt(4)
	v_fma_f64 v[3:4], v[117:118], v[135:136], v[3:4]
	ds_load_2addr_b64 v[129:132], v108 offset0:73 offset1:74
	ds_load_2addr_b64 v[133:136], v108 offset0:75 offset1:76
	s_waitcnt lgkmcnt(1)
	v_fma_f64 v[3:4], v[119:120], v[129:130], v[3:4]
	scratch_load_b128 v[117:120], off, off offset:240
	s_waitcnt vmcnt(4)
	v_fma_f64 v[3:4], v[121:122], v[131:132], v[3:4]
	s_waitcnt lgkmcnt(0)
	s_delay_alu instid0(VALU_DEP_1)
	v_fma_f64 v[3:4], v[123:124], v[133:134], v[3:4]
	scratch_load_b128 v[121:124], off, off offset:256
	s_waitcnt vmcnt(4)
	;; [unrolled: 13-line block ×6, first 2 shown]
	v_fma_f64 v[3:4], v[117:118], v[135:136], v[3:4]
	ds_load_2addr_b64 v[129:132], v108 offset0:93 offset1:94
	ds_load_2addr_b64 v[133:136], v108 offset0:95 offset1:96
	s_waitcnt lgkmcnt(1)
	v_fma_f64 v[3:4], v[119:120], v[129:130], v[3:4]
	scratch_load_b64 v[129:130], off, off offset:400
	s_waitcnt vmcnt(4)
	v_fma_f64 v[3:4], v[121:122], v[131:132], v[3:4]
	s_waitcnt lgkmcnt(0)
	s_delay_alu instid0(VALU_DEP_1)
	v_fma_f64 v[3:4], v[123:124], v[133:134], v[3:4]
	ds_load_2addr_b64 v[117:120], v108 offset0:97 offset1:98
	ds_load_2addr_b64 v[121:124], v108 offset0:99 offset1:100
	s_waitcnt vmcnt(3)
	v_fma_f64 v[3:4], v[125:126], v[135:136], v[3:4]
	s_waitcnt lgkmcnt(1)
	s_delay_alu instid0(VALU_DEP_1) | instskip(SKIP_1) | instid1(VALU_DEP_1)
	v_fma_f64 v[3:4], v[127:128], v[117:118], v[3:4]
	s_waitcnt vmcnt(2)
	v_fma_f64 v[3:4], v[109:110], v[119:120], v[3:4]
	s_waitcnt lgkmcnt(0)
	s_delay_alu instid0(VALU_DEP_1) | instskip(SKIP_4) | instid1(VALU_DEP_1)
	v_fma_f64 v[3:4], v[111:112], v[121:122], v[3:4]
	ds_load_2addr_b64 v[108:111], v108 offset0:101 offset1:102
	s_waitcnt vmcnt(1)
	v_fma_f64 v[3:4], v[113:114], v[123:124], v[3:4]
	s_waitcnt lgkmcnt(0)
	v_fma_f64 v[3:4], v[115:116], v[108:109], v[3:4]
	s_waitcnt vmcnt(0)
	s_delay_alu instid0(VALU_DEP_1) | instskip(NEXT) | instid1(VALU_DEP_1)
	v_fma_f64 v[3:4], v[129:130], v[110:111], v[3:4]
	v_add_f64 v[1:2], v[1:2], -v[3:4]
	scratch_store_b64 off, v[1:2], off offset:32
	v_cmpx_lt_u32_e32 3, v0
	s_cbranch_execz .LBB114_309
; %bb.308:
	scratch_load_b64 v[1:2], off, off offset:24
	v_mov_b32_e32 v3, 0
	s_delay_alu instid0(VALU_DEP_1)
	v_mov_b32_e32 v4, v3
	scratch_store_b64 off, v[3:4], off offset:24
	s_waitcnt vmcnt(0)
	ds_store_b64 v5, v[1:2]
.LBB114_309:
	s_or_b32 exec_lo, exec_lo, s0
	s_waitcnt lgkmcnt(0)
	s_waitcnt_vscnt null, 0x0
	s_barrier
	buffer_gl0_inv
	s_clause 0x4
	scratch_load_b128 v[1:4], off, off offset:24
	scratch_load_b128 v[109:112], off, off offset:40
	;; [unrolled: 1-line block ×5, first 2 shown]
	v_mov_b32_e32 v108, 0
	ds_load_b128 v[125:128], v108 offset:448
	ds_load_b128 v[129:132], v108 offset:464
	scratch_load_b128 v[133:136], off, off offset:104
	s_mov_b32 s0, exec_lo
	s_waitcnt vmcnt(5) lgkmcnt(1)
	v_fma_f64 v[3:4], v[3:4], v[125:126], 0
	s_waitcnt vmcnt(4)
	s_delay_alu instid0(VALU_DEP_1) | instskip(SKIP_1) | instid1(VALU_DEP_1)
	v_fma_f64 v[3:4], v[109:110], v[127:128], v[3:4]
	s_waitcnt lgkmcnt(0)
	v_fma_f64 v[3:4], v[111:112], v[129:130], v[3:4]
	scratch_load_b128 v[109:112], off, off offset:120
	s_waitcnt vmcnt(4)
	v_fma_f64 v[3:4], v[113:114], v[131:132], v[3:4]
	ds_load_b128 v[125:128], v108 offset:480
	ds_load_b128 v[129:132], v108 offset:496
	s_waitcnt lgkmcnt(1)
	v_fma_f64 v[3:4], v[115:116], v[125:126], v[3:4]
	scratch_load_b128 v[113:116], off, off offset:136
	s_waitcnt vmcnt(4)
	v_fma_f64 v[3:4], v[117:118], v[127:128], v[3:4]
	s_waitcnt lgkmcnt(0)
	s_delay_alu instid0(VALU_DEP_1)
	v_fma_f64 v[3:4], v[119:120], v[129:130], v[3:4]
	scratch_load_b128 v[117:120], off, off offset:152
	s_waitcnt vmcnt(4)
	v_fma_f64 v[3:4], v[121:122], v[131:132], v[3:4]
	ds_load_b128 v[125:128], v108 offset:512
	ds_load_b128 v[129:132], v108 offset:528
	s_waitcnt lgkmcnt(1)
	v_fma_f64 v[3:4], v[123:124], v[125:126], v[3:4]
	scratch_load_b128 v[121:124], off, off offset:168
	s_waitcnt vmcnt(4)
	v_fma_f64 v[3:4], v[133:134], v[127:128], v[3:4]
	scratch_load_b128 v[125:128], off, off offset:184
	s_waitcnt lgkmcnt(0)
	v_fma_f64 v[3:4], v[135:136], v[129:130], v[3:4]
	s_waitcnt vmcnt(4)
	s_delay_alu instid0(VALU_DEP_1)
	v_fma_f64 v[3:4], v[109:110], v[131:132], v[3:4]
	ds_load_b128 v[129:132], v108 offset:544
	ds_load_b128 v[133:136], v108 offset:560
	s_waitcnt lgkmcnt(1)
	v_fma_f64 v[3:4], v[111:112], v[129:130], v[3:4]
	scratch_load_b128 v[109:112], off, off offset:200
	s_waitcnt vmcnt(4)
	v_fma_f64 v[3:4], v[113:114], v[131:132], v[3:4]
	s_waitcnt lgkmcnt(0)
	s_delay_alu instid0(VALU_DEP_1)
	v_fma_f64 v[3:4], v[115:116], v[133:134], v[3:4]
	scratch_load_b128 v[113:116], off, off offset:216
	s_waitcnt vmcnt(4)
	v_fma_f64 v[3:4], v[117:118], v[135:136], v[3:4]
	ds_load_b128 v[129:132], v108 offset:576
	ds_load_b128 v[133:136], v108 offset:592
	s_waitcnt lgkmcnt(1)
	v_fma_f64 v[3:4], v[119:120], v[129:130], v[3:4]
	scratch_load_b128 v[117:120], off, off offset:232
	s_waitcnt vmcnt(4)
	v_fma_f64 v[3:4], v[121:122], v[131:132], v[3:4]
	s_waitcnt lgkmcnt(0)
	s_delay_alu instid0(VALU_DEP_1)
	v_fma_f64 v[3:4], v[123:124], v[133:134], v[3:4]
	scratch_load_b128 v[121:124], off, off offset:248
	s_waitcnt vmcnt(4)
	;; [unrolled: 13-line block ×6, first 2 shown]
	v_fma_f64 v[3:4], v[117:118], v[135:136], v[3:4]
	ds_load_b128 v[129:132], v108 offset:736
	ds_load_b128 v[133:136], v108 offset:752
	s_waitcnt lgkmcnt(1)
	v_fma_f64 v[3:4], v[119:120], v[129:130], v[3:4]
	scratch_load_b128 v[117:120], off, off offset:392
	s_waitcnt vmcnt(4)
	v_fma_f64 v[3:4], v[121:122], v[131:132], v[3:4]
	s_waitcnt lgkmcnt(0)
	s_delay_alu instid0(VALU_DEP_1)
	v_fma_f64 v[3:4], v[123:124], v[133:134], v[3:4]
	ds_load_b128 v[121:124], v108 offset:768
	ds_load_b128 v[129:132], v108 offset:784
	s_waitcnt vmcnt(3)
	v_fma_f64 v[3:4], v[125:126], v[135:136], v[3:4]
	s_waitcnt lgkmcnt(1)
	s_delay_alu instid0(VALU_DEP_1) | instskip(SKIP_1) | instid1(VALU_DEP_1)
	v_fma_f64 v[3:4], v[127:128], v[121:122], v[3:4]
	s_waitcnt vmcnt(2)
	v_fma_f64 v[3:4], v[109:110], v[123:124], v[3:4]
	s_waitcnt lgkmcnt(0)
	s_delay_alu instid0(VALU_DEP_1) | instskip(SKIP_1) | instid1(VALU_DEP_1)
	v_fma_f64 v[3:4], v[111:112], v[129:130], v[3:4]
	s_waitcnt vmcnt(1)
	v_fma_f64 v[3:4], v[113:114], v[131:132], v[3:4]
	ds_load_b128 v[109:112], v108 offset:800
	ds_load_b64 v[113:114], v108 offset:816
	s_waitcnt lgkmcnt(1)
	v_fma_f64 v[3:4], v[115:116], v[109:110], v[3:4]
	s_waitcnt vmcnt(0)
	s_delay_alu instid0(VALU_DEP_1) | instskip(SKIP_1) | instid1(VALU_DEP_1)
	v_fma_f64 v[3:4], v[117:118], v[111:112], v[3:4]
	s_waitcnt lgkmcnt(0)
	v_fma_f64 v[3:4], v[119:120], v[113:114], v[3:4]
	s_delay_alu instid0(VALU_DEP_1)
	v_add_f64 v[1:2], v[1:2], -v[3:4]
	scratch_store_b64 off, v[1:2], off offset:24
	v_cmpx_lt_u32_e32 2, v0
	s_cbranch_execz .LBB114_311
; %bb.310:
	scratch_load_b64 v[1:2], off, off offset:16
	v_mov_b32_e32 v109, v108
	scratch_store_b64 off, v[108:109], off offset:16
	s_waitcnt vmcnt(0)
	ds_store_b64 v5, v[1:2]
.LBB114_311:
	s_or_b32 exec_lo, exec_lo, s0
	s_waitcnt lgkmcnt(0)
	s_waitcnt_vscnt null, 0x0
	s_barrier
	buffer_gl0_inv
	s_clause 0x4
	scratch_load_b128 v[1:4], off, off offset:16
	scratch_load_b128 v[109:112], off, off offset:32
	scratch_load_b128 v[113:116], off, off offset:48
	scratch_load_b128 v[117:120], off, off offset:64
	scratch_load_b128 v[121:124], off, off offset:80
	ds_load_2addr_b64 v[125:128], v108 offset0:55 offset1:56
	ds_load_2addr_b64 v[129:132], v108 offset0:57 offset1:58
	scratch_load_b128 v[133:136], off, off offset:96
	s_mov_b32 s0, exec_lo
	s_waitcnt vmcnt(5) lgkmcnt(1)
	v_fma_f64 v[3:4], v[3:4], v[125:126], 0
	s_waitcnt vmcnt(4)
	s_delay_alu instid0(VALU_DEP_1) | instskip(SKIP_1) | instid1(VALU_DEP_1)
	v_fma_f64 v[3:4], v[109:110], v[127:128], v[3:4]
	s_waitcnt lgkmcnt(0)
	v_fma_f64 v[3:4], v[111:112], v[129:130], v[3:4]
	scratch_load_b128 v[109:112], off, off offset:112
	s_waitcnt vmcnt(4)
	v_fma_f64 v[3:4], v[113:114], v[131:132], v[3:4]
	ds_load_2addr_b64 v[125:128], v108 offset0:59 offset1:60
	ds_load_2addr_b64 v[129:132], v108 offset0:61 offset1:62
	s_waitcnt lgkmcnt(1)
	v_fma_f64 v[3:4], v[115:116], v[125:126], v[3:4]
	scratch_load_b128 v[113:116], off, off offset:128
	s_waitcnt vmcnt(4)
	v_fma_f64 v[3:4], v[117:118], v[127:128], v[3:4]
	s_waitcnt lgkmcnt(0)
	s_delay_alu instid0(VALU_DEP_1)
	v_fma_f64 v[3:4], v[119:120], v[129:130], v[3:4]
	scratch_load_b128 v[117:120], off, off offset:144
	s_waitcnt vmcnt(4)
	v_fma_f64 v[3:4], v[121:122], v[131:132], v[3:4]
	ds_load_2addr_b64 v[125:128], v108 offset0:63 offset1:64
	ds_load_2addr_b64 v[129:132], v108 offset0:65 offset1:66
	s_waitcnt lgkmcnt(1)
	v_fma_f64 v[3:4], v[123:124], v[125:126], v[3:4]
	scratch_load_b128 v[121:124], off, off offset:160
	s_waitcnt vmcnt(4)
	v_fma_f64 v[3:4], v[133:134], v[127:128], v[3:4]
	scratch_load_b128 v[125:128], off, off offset:176
	s_waitcnt lgkmcnt(0)
	v_fma_f64 v[3:4], v[135:136], v[129:130], v[3:4]
	s_waitcnt vmcnt(4)
	s_delay_alu instid0(VALU_DEP_1)
	v_fma_f64 v[3:4], v[109:110], v[131:132], v[3:4]
	ds_load_2addr_b64 v[129:132], v108 offset0:67 offset1:68
	ds_load_2addr_b64 v[133:136], v108 offset0:69 offset1:70
	s_waitcnt lgkmcnt(1)
	v_fma_f64 v[3:4], v[111:112], v[129:130], v[3:4]
	scratch_load_b128 v[109:112], off, off offset:192
	s_waitcnt vmcnt(4)
	v_fma_f64 v[3:4], v[113:114], v[131:132], v[3:4]
	s_waitcnt lgkmcnt(0)
	s_delay_alu instid0(VALU_DEP_1)
	v_fma_f64 v[3:4], v[115:116], v[133:134], v[3:4]
	scratch_load_b128 v[113:116], off, off offset:208
	s_waitcnt vmcnt(4)
	v_fma_f64 v[3:4], v[117:118], v[135:136], v[3:4]
	ds_load_2addr_b64 v[129:132], v108 offset0:71 offset1:72
	ds_load_2addr_b64 v[133:136], v108 offset0:73 offset1:74
	s_waitcnt lgkmcnt(1)
	v_fma_f64 v[3:4], v[119:120], v[129:130], v[3:4]
	scratch_load_b128 v[117:120], off, off offset:224
	s_waitcnt vmcnt(4)
	v_fma_f64 v[3:4], v[121:122], v[131:132], v[3:4]
	s_waitcnt lgkmcnt(0)
	s_delay_alu instid0(VALU_DEP_1)
	v_fma_f64 v[3:4], v[123:124], v[133:134], v[3:4]
	scratch_load_b128 v[121:124], off, off offset:240
	s_waitcnt vmcnt(4)
	;; [unrolled: 13-line block ×6, first 2 shown]
	v_fma_f64 v[3:4], v[117:118], v[135:136], v[3:4]
	ds_load_2addr_b64 v[129:132], v108 offset0:91 offset1:92
	ds_load_2addr_b64 v[133:136], v108 offset0:93 offset1:94
	s_waitcnt lgkmcnt(1)
	v_fma_f64 v[3:4], v[119:120], v[129:130], v[3:4]
	scratch_load_b128 v[117:120], off, off offset:384
	s_waitcnt vmcnt(4)
	v_fma_f64 v[3:4], v[121:122], v[131:132], v[3:4]
	s_waitcnt lgkmcnt(0)
	s_delay_alu instid0(VALU_DEP_1)
	v_fma_f64 v[3:4], v[123:124], v[133:134], v[3:4]
	scratch_load_b64 v[133:134], off, off offset:400
	ds_load_2addr_b64 v[121:124], v108 offset0:95 offset1:96
	ds_load_2addr_b64 v[129:132], v108 offset0:97 offset1:98
	s_waitcnt vmcnt(4)
	v_fma_f64 v[3:4], v[125:126], v[135:136], v[3:4]
	s_waitcnt lgkmcnt(1)
	s_delay_alu instid0(VALU_DEP_1) | instskip(SKIP_1) | instid1(VALU_DEP_1)
	v_fma_f64 v[3:4], v[127:128], v[121:122], v[3:4]
	s_waitcnt vmcnt(3)
	v_fma_f64 v[3:4], v[109:110], v[123:124], v[3:4]
	s_waitcnt lgkmcnt(0)
	s_delay_alu instid0(VALU_DEP_1)
	v_fma_f64 v[3:4], v[111:112], v[129:130], v[3:4]
	ds_load_2addr_b64 v[109:112], v108 offset0:99 offset1:100
	ds_load_2addr_b64 v[121:124], v108 offset0:101 offset1:102
	s_waitcnt vmcnt(2)
	v_fma_f64 v[3:4], v[113:114], v[131:132], v[3:4]
	s_waitcnt lgkmcnt(1)
	s_delay_alu instid0(VALU_DEP_1) | instskip(SKIP_1) | instid1(VALU_DEP_1)
	v_fma_f64 v[3:4], v[115:116], v[109:110], v[3:4]
	s_waitcnt vmcnt(1)
	v_fma_f64 v[3:4], v[117:118], v[111:112], v[3:4]
	s_waitcnt lgkmcnt(0)
	s_delay_alu instid0(VALU_DEP_1) | instskip(SKIP_1) | instid1(VALU_DEP_1)
	v_fma_f64 v[3:4], v[119:120], v[121:122], v[3:4]
	s_waitcnt vmcnt(0)
	v_fma_f64 v[3:4], v[133:134], v[123:124], v[3:4]
	s_delay_alu instid0(VALU_DEP_1)
	v_add_f64 v[1:2], v[1:2], -v[3:4]
	scratch_store_b64 off, v[1:2], off offset:16
	v_cmpx_lt_u32_e32 1, v0
	s_cbranch_execz .LBB114_313
; %bb.312:
	scratch_load_b64 v[1:2], off, off offset:8
	v_mov_b32_e32 v3, 0
	s_delay_alu instid0(VALU_DEP_1)
	v_mov_b32_e32 v4, v3
	scratch_store_b64 off, v[3:4], off offset:8
	s_waitcnt vmcnt(0)
	ds_store_b64 v5, v[1:2]
.LBB114_313:
	s_or_b32 exec_lo, exec_lo, s0
	s_waitcnt lgkmcnt(0)
	s_waitcnt_vscnt null, 0x0
	s_barrier
	buffer_gl0_inv
	s_clause 0x4
	scratch_load_b128 v[1:4], off, off offset:8
	scratch_load_b128 v[109:112], off, off offset:24
	;; [unrolled: 1-line block ×5, first 2 shown]
	v_mov_b32_e32 v108, 0
	ds_load_b128 v[125:128], v108 offset:432
	ds_load_b128 v[129:132], v108 offset:448
	scratch_load_b128 v[133:136], off, off offset:88
	s_mov_b32 s0, exec_lo
	s_waitcnt vmcnt(5) lgkmcnt(1)
	v_fma_f64 v[3:4], v[3:4], v[125:126], 0
	s_waitcnt vmcnt(4)
	s_delay_alu instid0(VALU_DEP_1) | instskip(SKIP_1) | instid1(VALU_DEP_1)
	v_fma_f64 v[3:4], v[109:110], v[127:128], v[3:4]
	s_waitcnt lgkmcnt(0)
	v_fma_f64 v[3:4], v[111:112], v[129:130], v[3:4]
	scratch_load_b128 v[109:112], off, off offset:104
	s_waitcnt vmcnt(4)
	v_fma_f64 v[3:4], v[113:114], v[131:132], v[3:4]
	ds_load_b128 v[125:128], v108 offset:464
	ds_load_b128 v[129:132], v108 offset:480
	s_waitcnt lgkmcnt(1)
	v_fma_f64 v[3:4], v[115:116], v[125:126], v[3:4]
	scratch_load_b128 v[113:116], off, off offset:120
	s_waitcnt vmcnt(4)
	v_fma_f64 v[3:4], v[117:118], v[127:128], v[3:4]
	s_waitcnt lgkmcnt(0)
	s_delay_alu instid0(VALU_DEP_1)
	v_fma_f64 v[3:4], v[119:120], v[129:130], v[3:4]
	scratch_load_b128 v[117:120], off, off offset:136
	s_waitcnt vmcnt(4)
	v_fma_f64 v[3:4], v[121:122], v[131:132], v[3:4]
	ds_load_b128 v[125:128], v108 offset:496
	ds_load_b128 v[129:132], v108 offset:512
	s_waitcnt lgkmcnt(1)
	v_fma_f64 v[3:4], v[123:124], v[125:126], v[3:4]
	scratch_load_b128 v[121:124], off, off offset:152
	s_waitcnt vmcnt(4)
	v_fma_f64 v[3:4], v[133:134], v[127:128], v[3:4]
	scratch_load_b128 v[125:128], off, off offset:168
	s_waitcnt lgkmcnt(0)
	v_fma_f64 v[3:4], v[135:136], v[129:130], v[3:4]
	s_waitcnt vmcnt(4)
	s_delay_alu instid0(VALU_DEP_1)
	v_fma_f64 v[3:4], v[109:110], v[131:132], v[3:4]
	ds_load_b128 v[129:132], v108 offset:528
	ds_load_b128 v[133:136], v108 offset:544
	s_waitcnt lgkmcnt(1)
	v_fma_f64 v[3:4], v[111:112], v[129:130], v[3:4]
	scratch_load_b128 v[109:112], off, off offset:184
	s_waitcnt vmcnt(4)
	v_fma_f64 v[3:4], v[113:114], v[131:132], v[3:4]
	s_waitcnt lgkmcnt(0)
	s_delay_alu instid0(VALU_DEP_1)
	v_fma_f64 v[3:4], v[115:116], v[133:134], v[3:4]
	scratch_load_b128 v[113:116], off, off offset:200
	s_waitcnt vmcnt(4)
	v_fma_f64 v[3:4], v[117:118], v[135:136], v[3:4]
	ds_load_b128 v[129:132], v108 offset:560
	ds_load_b128 v[133:136], v108 offset:576
	s_waitcnt lgkmcnt(1)
	v_fma_f64 v[3:4], v[119:120], v[129:130], v[3:4]
	scratch_load_b128 v[117:120], off, off offset:216
	s_waitcnt vmcnt(4)
	v_fma_f64 v[3:4], v[121:122], v[131:132], v[3:4]
	s_waitcnt lgkmcnt(0)
	s_delay_alu instid0(VALU_DEP_1)
	v_fma_f64 v[3:4], v[123:124], v[133:134], v[3:4]
	scratch_load_b128 v[121:124], off, off offset:232
	s_waitcnt vmcnt(4)
	;; [unrolled: 13-line block ×7, first 2 shown]
	v_fma_f64 v[3:4], v[125:126], v[135:136], v[3:4]
	ds_load_b128 v[129:132], v108 offset:752
	ds_load_b128 v[133:136], v108 offset:768
	s_waitcnt lgkmcnt(1)
	v_fma_f64 v[3:4], v[127:128], v[129:130], v[3:4]
	s_waitcnt vmcnt(3)
	s_delay_alu instid0(VALU_DEP_1) | instskip(SKIP_1) | instid1(VALU_DEP_1)
	v_fma_f64 v[3:4], v[109:110], v[131:132], v[3:4]
	s_waitcnt lgkmcnt(0)
	v_fma_f64 v[3:4], v[111:112], v[133:134], v[3:4]
	ds_load_b128 v[109:112], v108 offset:784
	ds_load_b128 v[125:128], v108 offset:800
	s_waitcnt vmcnt(2)
	v_fma_f64 v[3:4], v[113:114], v[135:136], v[3:4]
	s_waitcnt lgkmcnt(1)
	s_delay_alu instid0(VALU_DEP_1) | instskip(SKIP_4) | instid1(VALU_DEP_1)
	v_fma_f64 v[3:4], v[115:116], v[109:110], v[3:4]
	ds_load_b64 v[109:110], v108 offset:816
	s_waitcnt vmcnt(1)
	v_fma_f64 v[3:4], v[117:118], v[111:112], v[3:4]
	s_waitcnt lgkmcnt(1)
	v_fma_f64 v[3:4], v[119:120], v[125:126], v[3:4]
	s_waitcnt vmcnt(0)
	s_delay_alu instid0(VALU_DEP_1) | instskip(SKIP_1) | instid1(VALU_DEP_1)
	v_fma_f64 v[3:4], v[121:122], v[127:128], v[3:4]
	s_waitcnt lgkmcnt(0)
	v_fma_f64 v[3:4], v[123:124], v[109:110], v[3:4]
	s_delay_alu instid0(VALU_DEP_1)
	v_add_f64 v[1:2], v[1:2], -v[3:4]
	scratch_store_b64 off, v[1:2], off offset:8
	v_cmpx_ne_u32_e32 0, v0
	s_cbranch_execz .LBB114_315
; %bb.314:
	scratch_load_b64 v[0:1], off, off
	v_mov_b32_e32 v109, v108
	scratch_store_b64 off, v[108:109], off
	s_waitcnt vmcnt(0)
	ds_store_b64 v5, v[0:1]
.LBB114_315:
	s_or_b32 exec_lo, exec_lo, s0
	s_waitcnt lgkmcnt(0)
	s_waitcnt_vscnt null, 0x0
	s_barrier
	buffer_gl0_inv
	s_clause 0x4
	scratch_load_b128 v[0:3], off, off
	scratch_load_b128 v[109:112], off, off offset:16
	scratch_load_b128 v[113:116], off, off offset:32
	;; [unrolled: 1-line block ×4, first 2 shown]
	ds_load_2addr_b64 v[125:128], v108 offset0:53 offset1:54
	ds_load_2addr_b64 v[129:132], v108 offset0:55 offset1:56
	s_and_b32 vcc_lo, exec_lo, s12
	s_waitcnt vmcnt(4) lgkmcnt(1)
	v_fma_f64 v[125:126], v[2:3], v[125:126], 0
	scratch_load_b128 v[2:5], off, off offset:80
	s_waitcnt vmcnt(4)
	v_fma_f64 v[109:110], v[109:110], v[127:128], v[125:126]
	s_waitcnt lgkmcnt(0)
	s_delay_alu instid0(VALU_DEP_1)
	v_fma_f64 v[125:126], v[111:112], v[129:130], v[109:110]
	scratch_load_b128 v[109:112], off, off offset:96
	s_waitcnt vmcnt(4)
	v_fma_f64 v[113:114], v[113:114], v[131:132], v[125:126]
	ds_load_2addr_b64 v[125:128], v108 offset0:57 offset1:58
	ds_load_2addr_b64 v[129:132], v108 offset0:59 offset1:60
	s_waitcnt lgkmcnt(1)
	v_fma_f64 v[125:126], v[115:116], v[125:126], v[113:114]
	scratch_load_b128 v[113:116], off, off offset:112
	s_waitcnt vmcnt(4)
	v_fma_f64 v[117:118], v[117:118], v[127:128], v[125:126]
	s_waitcnt lgkmcnt(0)
	s_delay_alu instid0(VALU_DEP_1)
	v_fma_f64 v[125:126], v[119:120], v[129:130], v[117:118]
	scratch_load_b128 v[117:120], off, off offset:128
	s_waitcnt vmcnt(4)
	v_fma_f64 v[121:122], v[121:122], v[131:132], v[125:126]
	ds_load_2addr_b64 v[125:128], v108 offset0:61 offset1:62
	ds_load_2addr_b64 v[129:132], v108 offset0:63 offset1:64
	s_waitcnt lgkmcnt(1)
	;; [unrolled: 13-line block ×7, first 2 shown]
	v_fma_f64 v[125:126], v[123:124], v[125:126], v[121:122]
	scratch_load_b128 v[121:124], off, off offset:304
	s_waitcnt vmcnt(4)
	v_fma_f64 v[2:3], v[2:3], v[127:128], v[125:126]
	scratch_load_b128 v[125:128], off, off offset:320
	s_waitcnt lgkmcnt(0)
	v_fma_f64 v[2:3], v[4:5], v[129:130], v[2:3]
	s_waitcnt vmcnt(4)
	s_delay_alu instid0(VALU_DEP_1)
	v_fma_f64 v[109:110], v[109:110], v[131:132], v[2:3]
	ds_load_2addr_b64 v[2:5], v108 offset0:85 offset1:86
	ds_load_2addr_b64 v[129:132], v108 offset0:87 offset1:88
	s_waitcnt lgkmcnt(1)
	v_fma_f64 v[2:3], v[111:112], v[2:3], v[109:110]
	scratch_load_b128 v[109:112], off, off offset:336
	s_waitcnt vmcnt(4)
	v_fma_f64 v[2:3], v[113:114], v[4:5], v[2:3]
	s_waitcnt lgkmcnt(0)
	s_delay_alu instid0(VALU_DEP_1)
	v_fma_f64 v[2:3], v[115:116], v[129:130], v[2:3]
	scratch_load_b128 v[113:116], off, off offset:352
	s_waitcnt vmcnt(4)
	v_fma_f64 v[117:118], v[117:118], v[131:132], v[2:3]
	ds_load_2addr_b64 v[2:5], v108 offset0:89 offset1:90
	ds_load_2addr_b64 v[129:132], v108 offset0:91 offset1:92
	s_waitcnt lgkmcnt(1)
	v_fma_f64 v[2:3], v[119:120], v[2:3], v[117:118]
	scratch_load_b128 v[117:120], off, off offset:368
	s_waitcnt vmcnt(4)
	v_fma_f64 v[2:3], v[121:122], v[4:5], v[2:3]
	s_waitcnt lgkmcnt(0)
	s_delay_alu instid0(VALU_DEP_1)
	v_fma_f64 v[121:122], v[123:124], v[129:130], v[2:3]
	scratch_load_b128 v[2:5], off, off offset:384
	s_waitcnt vmcnt(4)
	v_fma_f64 v[125:126], v[125:126], v[131:132], v[121:122]
	ds_load_2addr_b64 v[121:124], v108 offset0:93 offset1:94
	ds_load_2addr_b64 v[129:132], v108 offset0:95 offset1:96
	s_waitcnt lgkmcnt(1)
	v_fma_f64 v[121:122], v[127:128], v[121:122], v[125:126]
	scratch_load_b64 v[125:126], off, off offset:400
	s_waitcnt vmcnt(4)
	v_fma_f64 v[109:110], v[109:110], v[123:124], v[121:122]
	s_waitcnt lgkmcnt(0)
	s_delay_alu instid0(VALU_DEP_1) | instskip(SKIP_1) | instid1(VALU_DEP_1)
	v_fma_f64 v[109:110], v[111:112], v[129:130], v[109:110]
	s_waitcnt vmcnt(3)
	v_fma_f64 v[113:114], v[113:114], v[131:132], v[109:110]
	ds_load_2addr_b64 v[109:112], v108 offset0:97 offset1:98
	ds_load_2addr_b64 v[121:124], v108 offset0:99 offset1:100
	s_waitcnt lgkmcnt(1)
	v_fma_f64 v[109:110], v[115:116], v[109:110], v[113:114]
	s_waitcnt vmcnt(2)
	s_delay_alu instid0(VALU_DEP_1) | instskip(SKIP_1) | instid1(VALU_DEP_1)
	v_fma_f64 v[109:110], v[117:118], v[111:112], v[109:110]
	s_waitcnt lgkmcnt(0)
	v_fma_f64 v[109:110], v[119:120], v[121:122], v[109:110]
	s_waitcnt vmcnt(1)
	s_delay_alu instid0(VALU_DEP_1) | instskip(SKIP_4) | instid1(VALU_DEP_1)
	v_fma_f64 v[2:3], v[2:3], v[123:124], v[109:110]
	ds_load_2addr_b64 v[108:111], v108 offset0:101 offset1:102
	s_waitcnt lgkmcnt(0)
	v_fma_f64 v[2:3], v[4:5], v[108:109], v[2:3]
	s_waitcnt vmcnt(0)
	v_fma_f64 v[2:3], v[125:126], v[110:111], v[2:3]
	s_delay_alu instid0(VALU_DEP_1)
	v_add_f64 v[0:1], v[0:1], -v[2:3]
	scratch_store_b64 off, v[0:1], off
	s_cbranch_vccz .LBB114_417
; %bb.316:
	v_dual_mov_b32 v0, s2 :: v_dual_mov_b32 v1, s3
	s_mov_b32 s0, exec_lo
	flat_load_b32 v0, v[0:1] offset:196
	s_waitcnt vmcnt(0) lgkmcnt(0)
	v_cmpx_ne_u32_e32 50, v0
	s_cbranch_execz .LBB114_318
; %bb.317:
	v_lshl_add_u32 v2, v0, 3, 0
	scratch_load_b64 v[0:1], v2, off offset:-8
	s_waitcnt vmcnt(0)
	scratch_store_b64 off, v[0:1], off offset:392
	scratch_store_b64 v2, v[4:5], off offset:-8
.LBB114_318:
	s_or_b32 exec_lo, exec_lo, s0
	v_dual_mov_b32 v0, s2 :: v_dual_mov_b32 v1, s3
	s_mov_b32 s0, exec_lo
	flat_load_b32 v0, v[0:1] offset:192
	s_waitcnt vmcnt(0) lgkmcnt(0)
	v_cmpx_ne_u32_e32 49, v0
	s_cbranch_execz .LBB114_320
; %bb.319:
	v_lshl_add_u32 v4, v0, 3, 0
	scratch_load_b64 v[0:1], v4, off offset:-8
	scratch_load_b64 v[2:3], off, off offset:384
	s_waitcnt vmcnt(1)
	scratch_store_b64 off, v[0:1], off offset:384
	s_waitcnt vmcnt(0)
	scratch_store_b64 v4, v[2:3], off offset:-8
.LBB114_320:
	s_or_b32 exec_lo, exec_lo, s0
	v_dual_mov_b32 v0, s2 :: v_dual_mov_b32 v1, s3
	s_mov_b32 s0, exec_lo
	flat_load_b32 v0, v[0:1] offset:188
	s_waitcnt vmcnt(0) lgkmcnt(0)
	v_cmpx_ne_u32_e32 48, v0
	s_cbranch_execz .LBB114_322
; %bb.321:
	v_lshl_add_u32 v4, v0, 3, 0
	scratch_load_b64 v[0:1], v4, off offset:-8
	scratch_load_b64 v[2:3], off, off offset:376
	s_waitcnt vmcnt(1)
	scratch_store_b64 off, v[0:1], off offset:376
	s_waitcnt vmcnt(0)
	scratch_store_b64 v4, v[2:3], off offset:-8
.LBB114_322:
	;; [unrolled: 16-line block ×48, first 2 shown]
	s_or_b32 exec_lo, exec_lo, s0
	v_dual_mov_b32 v0, s2 :: v_dual_mov_b32 v1, s3
	s_mov_b32 s0, exec_lo
	flat_load_b32 v2, v[0:1]
	scratch_load_b64 v[0:1], off, off
	s_waitcnt vmcnt(1) lgkmcnt(0)
	v_cmpx_ne_u32_e32 1, v2
	s_cbranch_execz .LBB114_416
; %bb.415:
	v_lshl_add_u32 v4, v2, 3, 0
	scratch_load_b64 v[2:3], v4, off offset:-8
	s_waitcnt vmcnt(0)
	scratch_store_b64 off, v[2:3], off
	scratch_store_b64 v4, v[0:1], off offset:-8
	scratch_load_b64 v[0:1], off, off
.LBB114_416:
	s_or_b32 exec_lo, exec_lo, s0
.LBB114_417:
	s_clause 0x7
	scratch_load_b128 v[2:5], off, off offset:8
	scratch_load_b128 v[108:111], off, off offset:24
	;; [unrolled: 1-line block ×8, first 2 shown]
	s_waitcnt vmcnt(8)
	global_store_b64 v[24:25], v[0:1], off
	s_clause 0x1
	scratch_load_b128 v[136:139], off, off offset:136
	scratch_load_b128 v[140:143], off, off offset:152
	s_waitcnt vmcnt(9)
	s_clause 0x1
	global_store_b64 v[8:9], v[2:3], off
	global_store_b64 v[48:49], v[4:5], off
	s_clause 0x1
	scratch_load_b128 v[0:3], off, off offset:168
	scratch_load_b128 v[144:147], off, off offset:184
	s_waitcnt vmcnt(10)
	s_clause 0x1
	global_store_b64 v[38:39], v[108:109], off
	;; [unrolled: 7-line block ×8, first 2 shown]
	global_store_b64 v[16:17], v[134:135], off
	scratch_load_b128 v[12:15], off, off offset:392
	s_waitcnt vmcnt(16)
	s_clause 0x1
	global_store_b64 v[10:11], v[136:137], off
	global_store_b64 v[30:31], v[138:139], off
	s_waitcnt vmcnt(15)
	s_clause 0x1
	global_store_b64 v[42:43], v[140:141], off
	global_store_b64 v[44:45], v[142:143], off
	;; [unrolled: 4-line block ×17, first 2 shown]
	s_endpgm
	.section	.rodata,"a",@progbits
	.p2align	6, 0x0
	.amdhsa_kernel _ZN9rocsolver6v33100L18getri_kernel_smallILi51EdPKPdEEvT1_iilPiilS6_bb
		.amdhsa_group_segment_fixed_size 824
		.amdhsa_private_segment_fixed_size 416
		.amdhsa_kernarg_size 60
		.amdhsa_user_sgpr_count 15
		.amdhsa_user_sgpr_dispatch_ptr 0
		.amdhsa_user_sgpr_queue_ptr 0
		.amdhsa_user_sgpr_kernarg_segment_ptr 1
		.amdhsa_user_sgpr_dispatch_id 0
		.amdhsa_user_sgpr_private_segment_size 0
		.amdhsa_wavefront_size32 1
		.amdhsa_uses_dynamic_stack 0
		.amdhsa_enable_private_segment 1
		.amdhsa_system_sgpr_workgroup_id_x 1
		.amdhsa_system_sgpr_workgroup_id_y 0
		.amdhsa_system_sgpr_workgroup_id_z 0
		.amdhsa_system_sgpr_workgroup_info 0
		.amdhsa_system_vgpr_workitem_id 0
		.amdhsa_next_free_vgpr 152
		.amdhsa_next_free_sgpr 17
		.amdhsa_reserve_vcc 1
		.amdhsa_float_round_mode_32 0
		.amdhsa_float_round_mode_16_64 0
		.amdhsa_float_denorm_mode_32 3
		.amdhsa_float_denorm_mode_16_64 3
		.amdhsa_dx10_clamp 1
		.amdhsa_ieee_mode 1
		.amdhsa_fp16_overflow 0
		.amdhsa_workgroup_processor_mode 1
		.amdhsa_memory_ordered 1
		.amdhsa_forward_progress 0
		.amdhsa_shared_vgpr_count 0
		.amdhsa_exception_fp_ieee_invalid_op 0
		.amdhsa_exception_fp_denorm_src 0
		.amdhsa_exception_fp_ieee_div_zero 0
		.amdhsa_exception_fp_ieee_overflow 0
		.amdhsa_exception_fp_ieee_underflow 0
		.amdhsa_exception_fp_ieee_inexact 0
		.amdhsa_exception_int_div_zero 0
	.end_amdhsa_kernel
	.section	.text._ZN9rocsolver6v33100L18getri_kernel_smallILi51EdPKPdEEvT1_iilPiilS6_bb,"axG",@progbits,_ZN9rocsolver6v33100L18getri_kernel_smallILi51EdPKPdEEvT1_iilPiilS6_bb,comdat
.Lfunc_end114:
	.size	_ZN9rocsolver6v33100L18getri_kernel_smallILi51EdPKPdEEvT1_iilPiilS6_bb, .Lfunc_end114-_ZN9rocsolver6v33100L18getri_kernel_smallILi51EdPKPdEEvT1_iilPiilS6_bb
                                        ; -- End function
	.section	.AMDGPU.csdata,"",@progbits
; Kernel info:
; codeLenInByte = 49756
; NumSgprs: 19
; NumVgprs: 152
; ScratchSize: 416
; MemoryBound: 0
; FloatMode: 240
; IeeeMode: 1
; LDSByteSize: 824 bytes/workgroup (compile time only)
; SGPRBlocks: 2
; VGPRBlocks: 18
; NumSGPRsForWavesPerEU: 19
; NumVGPRsForWavesPerEU: 152
; Occupancy: 9
; WaveLimiterHint : 1
; COMPUTE_PGM_RSRC2:SCRATCH_EN: 1
; COMPUTE_PGM_RSRC2:USER_SGPR: 15
; COMPUTE_PGM_RSRC2:TRAP_HANDLER: 0
; COMPUTE_PGM_RSRC2:TGID_X_EN: 1
; COMPUTE_PGM_RSRC2:TGID_Y_EN: 0
; COMPUTE_PGM_RSRC2:TGID_Z_EN: 0
; COMPUTE_PGM_RSRC2:TIDIG_COMP_CNT: 0
	.section	.text._ZN9rocsolver6v33100L18getri_kernel_smallILi52EdPKPdEEvT1_iilPiilS6_bb,"axG",@progbits,_ZN9rocsolver6v33100L18getri_kernel_smallILi52EdPKPdEEvT1_iilPiilS6_bb,comdat
	.globl	_ZN9rocsolver6v33100L18getri_kernel_smallILi52EdPKPdEEvT1_iilPiilS6_bb ; -- Begin function _ZN9rocsolver6v33100L18getri_kernel_smallILi52EdPKPdEEvT1_iilPiilS6_bb
	.p2align	8
	.type	_ZN9rocsolver6v33100L18getri_kernel_smallILi52EdPKPdEEvT1_iilPiilS6_bb,@function
_ZN9rocsolver6v33100L18getri_kernel_smallILi52EdPKPdEEvT1_iilPiilS6_bb: ; @_ZN9rocsolver6v33100L18getri_kernel_smallILi52EdPKPdEEvT1_iilPiilS6_bb
; %bb.0:
	s_mov_b32 s2, exec_lo
	v_cmpx_gt_u32_e32 52, v0
	s_cbranch_execz .LBB115_218
; %bb.1:
	s_clause 0x1
	s_load_b32 s13, s[0:1], 0x38
	s_load_b64 s[2:3], s[0:1], 0x0
	s_mov_b32 s8, s15
	s_load_b128 s[4:7], s[0:1], 0x28
	s_waitcnt lgkmcnt(0)
	s_bitcmp1_b32 s13, 8
	s_cselect_b32 s12, -1, 0
	s_ashr_i32 s9, s15, 31
	s_delay_alu instid0(SALU_CYCLE_1) | instskip(NEXT) | instid1(SALU_CYCLE_1)
	s_lshl_b64 s[10:11], s[8:9], 3
	s_add_u32 s2, s2, s10
	s_addc_u32 s3, s3, s11
	s_load_b64 s[10:11], s[2:3], 0x0
	s_bfe_u32 s2, s13, 0x10008
	s_delay_alu instid0(SALU_CYCLE_1)
	s_cmp_eq_u32 s2, 0
                                        ; implicit-def: $sgpr2_sgpr3
	s_cbranch_scc1 .LBB115_3
; %bb.2:
	s_clause 0x1
	s_load_b32 s2, s[0:1], 0x20
	s_load_b64 s[14:15], s[0:1], 0x18
	s_mul_i32 s3, s8, s5
	s_mul_hi_u32 s5, s8, s4
	s_mul_i32 s16, s9, s4
	s_add_i32 s3, s5, s3
	s_mul_i32 s4, s8, s4
	s_add_i32 s5, s3, s16
	s_delay_alu instid0(SALU_CYCLE_1)
	s_lshl_b64 s[4:5], s[4:5], 2
	s_waitcnt lgkmcnt(0)
	s_ashr_i32 s3, s2, 31
	s_add_u32 s4, s14, s4
	s_addc_u32 s5, s15, s5
	s_lshl_b64 s[2:3], s[2:3], 2
	s_delay_alu instid0(SALU_CYCLE_1)
	s_add_u32 s2, s4, s2
	s_addc_u32 s3, s5, s3
.LBB115_3:
	s_load_b64 s[0:1], s[0:1], 0x8
	v_lshlrev_b32_e32 v3, 3, v0
	s_waitcnt lgkmcnt(0)
	v_add3_u32 v1, s1, s1, v0
	s_ashr_i32 s5, s0, 31
	s_mov_b32 s4, s0
	s_mov_b32 s14, s1
	s_lshl_b64 s[4:5], s[4:5], 3
	v_ashrrev_i32_e32 v2, 31, v1
	s_add_u32 s4, s10, s4
	v_add_nc_u32_e32 v4, s1, v1
	s_addc_u32 s5, s11, s5
	v_add_co_u32 v40, s0, s4, v3
	s_ashr_i32 s15, s1, 31
	v_add_co_ci_u32_e64 v41, null, s5, 0, s0
	v_lshlrev_b64 v[1:2], 3, v[1:2]
	s_lshl_b64 s[10:11], s[14:15], 3
	v_ashrrev_i32_e32 v5, 31, v4
	v_add_co_u32 v28, vcc_lo, v40, s10
	v_add_co_ci_u32_e32 v29, vcc_lo, s11, v41, vcc_lo
	s_delay_alu instid0(VALU_DEP_4) | instskip(SKIP_4) | instid1(VALU_DEP_3)
	v_add_co_u32 v18, vcc_lo, s4, v1
	v_add_nc_u32_e32 v1, s1, v4
	v_lshlrev_b64 v[5:6], 3, v[4:5]
	v_add_co_ci_u32_e32 v19, vcc_lo, s5, v2, vcc_lo
	s_bitcmp0_b32 s13, 0
	v_add_nc_u32_e32 v4, s1, v1
	v_ashrrev_i32_e32 v2, 31, v1
	s_delay_alu instid0(VALU_DEP_4) | instskip(SKIP_1) | instid1(VALU_DEP_4)
	v_add_co_u32 v12, vcc_lo, s4, v5
	v_add_co_ci_u32_e32 v13, vcc_lo, s5, v6, vcc_lo
	v_add_nc_u32_e32 v6, s1, v4
	v_ashrrev_i32_e32 v5, 31, v4
	v_lshlrev_b64 v[1:2], 3, v[1:2]
	s_clause 0x3
	global_load_b64 v[24:25], v3, s[4:5]
	global_load_b64 v[26:27], v[28:29], off
	global_load_b64 v[46:47], v[18:19], off
	;; [unrolled: 1-line block ×3, first 2 shown]
	v_add_nc_u32_e32 v8, s1, v6
	v_lshlrev_b64 v[4:5], 3, v[4:5]
	v_ashrrev_i32_e32 v7, 31, v6
	v_add_co_u32 v20, vcc_lo, s4, v1
	s_delay_alu instid0(VALU_DEP_4) | instskip(SKIP_1) | instid1(VALU_DEP_4)
	v_ashrrev_i32_e32 v9, 31, v8
	v_add_co_ci_u32_e32 v21, vcc_lo, s5, v2, vcc_lo
	v_lshlrev_b64 v[1:2], 3, v[6:7]
	v_add_co_u32 v14, vcc_lo, s4, v4
	v_add_co_ci_u32_e32 v15, vcc_lo, s5, v5, vcc_lo
	v_lshlrev_b64 v[4:5], 3, v[8:9]
	s_delay_alu instid0(VALU_DEP_4)
	v_add_co_u32 v16, vcc_lo, s4, v1
	v_add_co_ci_u32_e32 v17, vcc_lo, s5, v2, vcc_lo
	s_clause 0x1
	global_load_b64 v[52:53], v[20:21], off
	global_load_b64 v[54:55], v[14:15], off
	v_add_co_u32 v10, vcc_lo, s4, v4
	v_add_co_ci_u32_e32 v11, vcc_lo, s5, v5, vcc_lo
	s_clause 0x1
	global_load_b64 v[56:57], v[16:17], off
	global_load_b64 v[58:59], v[10:11], off
	v_add_nc_u32_e32 v1, s1, v8
	s_delay_alu instid0(VALU_DEP_1) | instskip(SKIP_1) | instid1(VALU_DEP_2)
	v_add_nc_u32_e32 v4, s1, v1
	v_ashrrev_i32_e32 v2, 31, v1
	v_add_nc_u32_e32 v6, s1, v4
	s_delay_alu instid0(VALU_DEP_2) | instskip(SKIP_1) | instid1(VALU_DEP_3)
	v_lshlrev_b64 v[1:2], 3, v[1:2]
	v_ashrrev_i32_e32 v5, 31, v4
	v_add_nc_u32_e32 v8, s1, v6
	v_ashrrev_i32_e32 v7, 31, v6
	s_delay_alu instid0(VALU_DEP_4) | instskip(NEXT) | instid1(VALU_DEP_4)
	v_add_co_u32 v50, vcc_lo, s4, v1
	v_lshlrev_b64 v[4:5], 3, v[4:5]
	s_delay_alu instid0(VALU_DEP_4) | instskip(SKIP_3) | instid1(VALU_DEP_4)
	v_add_nc_u32_e32 v22, s1, v8
	v_ashrrev_i32_e32 v9, 31, v8
	v_add_co_ci_u32_e32 v51, vcc_lo, s5, v2, vcc_lo
	v_lshlrev_b64 v[6:7], 3, v[6:7]
	v_add_nc_u32_e32 v30, s1, v22
	v_add_co_u32 v44, vcc_lo, s4, v4
	v_add_co_ci_u32_e32 v45, vcc_lo, s5, v5, vcc_lo
	s_delay_alu instid0(VALU_DEP_3) | instskip(SKIP_3) | instid1(VALU_DEP_4)
	v_add_nc_u32_e32 v32, s1, v30
	v_lshlrev_b64 v[4:5], 3, v[8:9]
	v_add_co_u32 v36, vcc_lo, s4, v6
	v_add_co_ci_u32_e32 v37, vcc_lo, s5, v7, vcc_lo
	v_add_nc_u32_e32 v34, s1, v32
	s_delay_alu instid0(VALU_DEP_4) | instskip(SKIP_2) | instid1(VALU_DEP_4)
	v_add_co_u32 v42, vcc_lo, s4, v4
	v_ashrrev_i32_e32 v23, 31, v22
	v_ashrrev_i32_e32 v31, 31, v30
	v_add_nc_u32_e32 v72, s1, v34
	v_ashrrev_i32_e32 v33, 31, v32
	s_clause 0x1
	global_load_b64 v[60:61], v[50:51], off
	global_load_b64 v[62:63], v[44:45], off
	v_lshlrev_b64 v[6:7], 3, v[22:23]
	v_add_nc_u32_e32 v74, s1, v72
	v_lshlrev_b64 v[8:9], 3, v[30:31]
	v_add_co_ci_u32_e32 v43, vcc_lo, s5, v5, vcc_lo
	v_ashrrev_i32_e32 v35, 31, v34
	s_delay_alu instid0(VALU_DEP_4) | instskip(SKIP_3) | instid1(VALU_DEP_4)
	v_add_nc_u32_e32 v80, s1, v74
	v_add_co_u32 v38, vcc_lo, s4, v6
	v_lshlrev_b64 v[5:6], 3, v[32:33]
	v_add_co_ci_u32_e32 v39, vcc_lo, s5, v7, vcc_lo
	v_add_nc_u32_e32 v82, s1, v80
	v_add_co_u32 v32, vcc_lo, s4, v8
	v_ashrrev_i32_e32 v73, 31, v72
	v_add_co_ci_u32_e32 v33, vcc_lo, s5, v9, vcc_lo
	s_delay_alu instid0(VALU_DEP_4)
	v_add_nc_u32_e32 v84, s1, v82
	v_lshlrev_b64 v[7:8], 3, v[34:35]
	v_add_co_u32 v34, vcc_lo, s4, v5
	s_clause 0x1
	global_load_b64 v[64:65], v[36:37], off
	global_load_b64 v[66:67], v[42:43], off
	v_add_nc_u32_e32 v86, s1, v84
	v_add_co_ci_u32_e32 v35, vcc_lo, s5, v6, vcc_lo
	v_lshlrev_b64 v[5:6], 3, v[72:73]
	s_clause 0x1
	global_load_b64 v[68:69], v[38:39], off
	global_load_b64 v[70:71], v[32:33], off
	v_add_nc_u32_e32 v88, s1, v86
	v_add_co_u32 v30, vcc_lo, s4, v7
	v_ashrrev_i32_e32 v75, 31, v74
	v_add_co_ci_u32_e32 v31, vcc_lo, s5, v8, vcc_lo
	s_delay_alu instid0(VALU_DEP_4) | instskip(SKIP_1) | instid1(VALU_DEP_4)
	v_add_nc_u32_e32 v90, s1, v88
	v_ashrrev_i32_e32 v81, 31, v80
	v_lshlrev_b64 v[8:9], 3, v[74:75]
	v_ashrrev_i32_e32 v83, 31, v82
	v_ashrrev_i32_e32 v85, 31, v84
	v_add_nc_u32_e32 v92, s1, v90
	v_ashrrev_i32_e32 v87, 31, v86
	v_ashrrev_i32_e32 v89, 31, v88
	;; [unrolled: 1-line block ×3, first 2 shown]
	s_delay_alu instid0(VALU_DEP_4) | instskip(SKIP_1) | instid1(VALU_DEP_2)
	v_add_nc_u32_e32 v94, s1, v92
	v_ashrrev_i32_e32 v93, 31, v92
	v_add_nc_u32_e32 v96, s1, v94
	v_ashrrev_i32_e32 v95, 31, v94
	s_delay_alu instid0(VALU_DEP_2) | instskip(SKIP_1) | instid1(VALU_DEP_2)
	v_add_nc_u32_e32 v98, s1, v96
	v_ashrrev_i32_e32 v97, 31, v96
	v_add_nc_u32_e32 v100, s1, v98
	v_ashrrev_i32_e32 v99, 31, v98
	s_delay_alu instid0(VALU_DEP_2) | instskip(SKIP_1) | instid1(VALU_DEP_2)
	;; [unrolled: 5-line block ×9, first 2 shown]
	v_add_nc_u32_e32 v1, s1, v134
	v_ashrrev_i32_e32 v135, 31, v134
	v_add_nc_u32_e32 v136, s1, v1
	v_ashrrev_i32_e32 v2, 31, v1
	s_delay_alu instid0(VALU_DEP_2) | instskip(NEXT) | instid1(VALU_DEP_2)
	v_add_nc_u32_e32 v138, s1, v136
	v_lshlrev_b64 v[1:2], 3, v[1:2]
	v_ashrrev_i32_e32 v137, 31, v136
	s_delay_alu instid0(VALU_DEP_3) | instskip(SKIP_1) | instid1(VALU_DEP_2)
	v_add_nc_u32_e32 v140, s1, v138
	v_ashrrev_i32_e32 v139, 31, v138
	v_add_nc_u32_e32 v4, s1, v140
	v_ashrrev_i32_e32 v141, 31, v140
	s_delay_alu instid0(VALU_DEP_2) | instskip(NEXT) | instid1(VALU_DEP_1)
	v_add_nc_u32_e32 v142, s1, v4
	v_add_nc_u32_e32 v144, s1, v142
	v_ashrrev_i32_e32 v143, 31, v142
	s_delay_alu instid0(VALU_DEP_2) | instskip(SKIP_1) | instid1(VALU_DEP_2)
	v_add_nc_u32_e32 v146, s1, v144
	v_ashrrev_i32_e32 v145, 31, v144
	v_add_nc_u32_e32 v22, s1, v146
	v_ashrrev_i32_e32 v147, 31, v146
	s_mov_b32 s1, -1
	s_delay_alu instid0(VALU_DEP_2) | instskip(NEXT) | instid1(VALU_DEP_1)
	v_ashrrev_i32_e32 v23, 31, v22
	v_lshlrev_b64 v[72:73], 3, v[22:23]
	v_add_co_u32 v22, vcc_lo, s4, v5
	v_add_co_ci_u32_e32 v23, vcc_lo, s5, v6, vcc_lo
	v_ashrrev_i32_e32 v5, 31, v4
	s_delay_alu instid0(VALU_DEP_4)
	v_add_co_u32 v6, vcc_lo, s4, v72
	v_add_co_ci_u32_e32 v7, vcc_lo, s5, v73, vcc_lo
	v_add_co_u32 v8, vcc_lo, s4, v8
	v_add_co_ci_u32_e32 v9, vcc_lo, s5, v9, vcc_lo
	global_load_b64 v[112:113], v[6:7], off
	s_waitcnt vmcnt(13)
	scratch_store_b128 off, v[24:27], off
	s_waitcnt vmcnt(11)
	scratch_store_b128 off, v[46:49], off offset:16
	v_lshlrev_b64 v[24:25], 3, v[80:81]
	s_clause 0x3
	global_load_b64 v[72:73], v[34:35], off
	global_load_b64 v[74:75], v[30:31], off
	global_load_b64 v[76:77], v[22:23], off
	global_load_b64 v[78:79], v[8:9], off
	v_lshlrev_b64 v[26:27], 3, v[82:83]
	v_lshlrev_b64 v[46:47], 3, v[84:85]
	;; [unrolled: 1-line block ×3, first 2 shown]
	v_add_co_u32 v24, vcc_lo, s4, v24
	v_add_co_ci_u32_e32 v25, vcc_lo, s5, v25, vcc_lo
	v_add_co_u32 v26, vcc_lo, s4, v26
	v_add_co_ci_u32_e32 v27, vcc_lo, s5, v27, vcc_lo
	;; [unrolled: 2-line block ×4, first 2 shown]
	s_waitcnt vmcnt(13)
	scratch_store_b128 off, v[52:55], off offset:32
	s_clause 0x1
	global_load_b64 v[80:81], v[24:25], off
	global_load_b64 v[82:83], v[26:27], off
	v_lshlrev_b64 v[52:53], 3, v[88:89]
	v_lshlrev_b64 v[54:55], 3, v[90:91]
	s_waitcnt vmcnt(13)
	scratch_store_b128 off, v[56:59], off offset:48
	s_clause 0x1
	global_load_b64 v[84:85], v[46:47], off
	global_load_b64 v[86:87], v[48:49], off
	v_lshlrev_b64 v[56:57], 3, v[92:93]
	v_lshlrev_b64 v[58:59], 3, v[94:95]
	v_add_co_u32 v52, vcc_lo, s4, v52
	v_add_co_ci_u32_e32 v53, vcc_lo, s5, v53, vcc_lo
	v_add_co_u32 v54, vcc_lo, s4, v54
	v_add_co_ci_u32_e32 v55, vcc_lo, s5, v55, vcc_lo
	;; [unrolled: 2-line block ×4, first 2 shown]
	s_waitcnt vmcnt(13)
	scratch_store_b128 off, v[60:63], off offset:64
	v_lshlrev_b64 v[60:61], 3, v[96:97]
	s_clause 0x1
	global_load_b64 v[88:89], v[52:53], off
	global_load_b64 v[90:91], v[54:55], off
	v_lshlrev_b64 v[62:63], 3, v[98:99]
	global_load_b64 v[92:93], v[56:57], off
	v_add_co_u32 v60, vcc_lo, s4, v60
	v_add_co_ci_u32_e32 v61, vcc_lo, s5, v61, vcc_lo
	v_add_co_u32 v62, vcc_lo, s4, v62
	v_add_co_ci_u32_e32 v63, vcc_lo, s5, v63, vcc_lo
	s_waitcnt vmcnt(14)
	scratch_store_b128 off, v[64:67], off offset:80
	v_lshlrev_b64 v[64:65], 3, v[100:101]
	v_lshlrev_b64 v[66:67], 3, v[102:103]
	s_waitcnt vmcnt(12)
	scratch_store_b128 off, v[68:71], off offset:96
	s_clause 0x2
	global_load_b64 v[94:95], v[58:59], off
	global_load_b64 v[96:97], v[60:61], off
	;; [unrolled: 1-line block ×3, first 2 shown]
	v_add_co_u32 v64, vcc_lo, s4, v64
	v_lshlrev_b64 v[68:69], 3, v[104:105]
	v_add_co_ci_u32_e32 v65, vcc_lo, s5, v65, vcc_lo
	v_add_co_u32 v66, vcc_lo, s4, v66
	v_lshlrev_b64 v[70:71], 3, v[106:107]
	v_add_co_ci_u32_e32 v67, vcc_lo, s5, v67, vcc_lo
	v_add_co_u32 v68, vcc_lo, s4, v68
	v_add_co_ci_u32_e32 v69, vcc_lo, s5, v69, vcc_lo
	s_delay_alu instid0(VALU_DEP_4)
	v_add_co_u32 v70, vcc_lo, s4, v70
	v_add_co_ci_u32_e32 v71, vcc_lo, s5, v71, vcc_lo
	global_load_b64 v[100:101], v[64:65], off
	s_waitcnt vmcnt(13)
	scratch_store_b128 off, v[72:75], off offset:112
	v_lshlrev_b64 v[72:73], 3, v[108:109]
	s_waitcnt vmcnt(11)
	scratch_store_b128 off, v[76:79], off offset:128
	s_clause 0x2
	global_load_b64 v[102:103], v[66:67], off
	global_load_b64 v[104:105], v[68:69], off
	;; [unrolled: 1-line block ×3, first 2 shown]
	v_lshlrev_b64 v[74:75], 3, v[110:111]
	v_lshlrev_b64 v[76:77], 3, v[114:115]
	;; [unrolled: 1-line block ×3, first 2 shown]
	v_add_co_u32 v72, vcc_lo, s4, v72
	v_add_co_ci_u32_e32 v73, vcc_lo, s5, v73, vcc_lo
	v_add_co_u32 v74, vcc_lo, s4, v74
	v_add_co_ci_u32_e32 v75, vcc_lo, s5, v75, vcc_lo
	v_add_co_u32 v76, vcc_lo, s4, v76
	v_add_co_ci_u32_e32 v77, vcc_lo, s5, v77, vcc_lo
	v_add_co_u32 v78, vcc_lo, s4, v78
	v_add_co_ci_u32_e32 v79, vcc_lo, s5, v79, vcc_lo
	s_clause 0x1
	global_load_b64 v[114:115], v[72:73], off
	global_load_b64 v[116:117], v[74:75], off
	s_waitcnt vmcnt(14)
	scratch_store_b128 off, v[80:83], off offset:144
	v_lshlrev_b64 v[80:81], 3, v[122:123]
	v_lshlrev_b64 v[82:83], 3, v[124:125]
	s_waitcnt vmcnt(12)
	scratch_store_b128 off, v[84:87], off offset:160
	s_clause 0x1
	global_load_b64 v[118:119], v[76:77], off
	global_load_b64 v[120:121], v[78:79], off
	v_lshlrev_b64 v[84:85], 3, v[126:127]
	v_lshlrev_b64 v[86:87], 3, v[128:129]
	v_add_co_u32 v80, vcc_lo, s4, v80
	v_add_co_ci_u32_e32 v81, vcc_lo, s5, v81, vcc_lo
	v_add_co_u32 v82, vcc_lo, s4, v82
	v_add_co_ci_u32_e32 v83, vcc_lo, s5, v83, vcc_lo
	;; [unrolled: 2-line block ×4, first 2 shown]
	v_lshlrev_b64 v[108:109], 3, v[134:135]
	global_load_b64 v[122:123], v[80:81], off
	s_waitcnt vmcnt(13)
	scratch_store_b128 off, v[88:91], off offset:176
	v_lshlrev_b64 v[88:89], 3, v[130:131]
	v_lshlrev_b64 v[90:91], 3, v[132:133]
	s_waitcnt vmcnt(11)
	scratch_store_b128 off, v[92:95], off offset:192
	s_waitcnt vmcnt(9)
	scratch_store_b128 off, v[96:99], off offset:208
	v_add_co_u32 v88, vcc_lo, s4, v88
	v_add_co_ci_u32_e32 v89, vcc_lo, s5, v89, vcc_lo
	v_add_co_u32 v90, vcc_lo, s4, v90
	v_add_co_ci_u32_e32 v91, vcc_lo, s5, v91, vcc_lo
	;; [unrolled: 2-line block ×3, first 2 shown]
	v_lshlrev_b64 v[96:97], 3, v[136:137]
	v_add_co_u32 v94, vcc_lo, s4, v1
	v_add_co_ci_u32_e32 v95, vcc_lo, s5, v2, vcc_lo
	v_lshlrev_b64 v[1:2], 3, v[138:139]
	s_delay_alu instid0(VALU_DEP_4) | instskip(SKIP_2) | instid1(VALU_DEP_4)
	v_add_co_u32 v96, vcc_lo, s4, v96
	v_add_co_ci_u32_e32 v97, vcc_lo, s5, v97, vcc_lo
	v_lshlrev_b64 v[108:109], 3, v[140:141]
	v_add_co_u32 v98, vcc_lo, s4, v1
	v_add_co_ci_u32_e32 v99, vcc_lo, s5, v2, vcc_lo
	v_lshlrev_b64 v[1:2], 3, v[4:5]
	s_clause 0x3
	global_load_b64 v[124:125], v[82:83], off
	global_load_b64 v[126:127], v[84:85], off
	;; [unrolled: 1-line block ×4, first 2 shown]
	v_lshlrev_b64 v[4:5], 3, v[142:143]
	s_waitcnt vmcnt(11)
	scratch_store_b128 off, v[100:103], off offset:224
	s_waitcnt vmcnt(9)
	scratch_store_b128 off, v[104:107], off offset:240
	v_add_co_u32 v100, vcc_lo, s4, v108
	v_add_co_ci_u32_e32 v101, vcc_lo, s5, v109, vcc_lo
	v_add_co_u32 v102, vcc_lo, s4, v1
	v_add_co_ci_u32_e32 v103, vcc_lo, s5, v2, vcc_lo
	v_lshlrev_b64 v[1:2], 3, v[144:145]
	v_add_co_u32 v104, vcc_lo, s4, v4
	v_add_co_ci_u32_e32 v105, vcc_lo, s5, v5, vcc_lo
	v_lshlrev_b64 v[4:5], 3, v[146:147]
	s_delay_alu instid0(VALU_DEP_4)
	v_add_co_u32 v106, vcc_lo, s4, v1
	v_add_co_ci_u32_e32 v107, vcc_lo, s5, v2, vcc_lo
	s_clause 0x3
	global_load_b64 v[132:133], v[90:91], off
	global_load_b64 v[134:135], v[92:93], off
	;; [unrolled: 1-line block ×4, first 2 shown]
	v_add_co_u32 v108, vcc_lo, s4, v4
	v_add_co_ci_u32_e32 v109, vcc_lo, s5, v5, vcc_lo
	s_waitcnt vmcnt(11)
	scratch_store_b128 off, v[114:117], off offset:256
	s_clause 0x2
	global_load_b64 v[140:141], v[98:99], off
	global_load_b64 v[114:115], v[100:101], off
	;; [unrolled: 1-line block ×3, first 2 shown]
	s_waitcnt vmcnt(12)
	scratch_store_b128 off, v[118:121], off offset:272
	s_clause 0x2
	global_load_b64 v[118:119], v[104:105], off
	global_load_b64 v[120:121], v[106:107], off
	;; [unrolled: 1-line block ×3, first 2 shown]
	s_waitcnt vmcnt(13)
	scratch_store_b128 off, v[122:125], off offset:288
	s_waitcnt vmcnt(11)
	scratch_store_b128 off, v[126:129], off offset:304
	;; [unrolled: 2-line block ×8, first 2 shown]
	s_cbranch_scc1 .LBB115_216
; %bb.4:
	v_cmp_eq_u32_e64 s0, 0, v0
	s_delay_alu instid0(VALU_DEP_1)
	s_and_saveexec_b32 s1, s0
	s_cbranch_execz .LBB115_6
; %bb.5:
	v_mov_b32_e32 v1, 0
	ds_store_b32 v1, v1 offset:832
.LBB115_6:
	s_or_b32 exec_lo, exec_lo, s1
	s_waitcnt lgkmcnt(0)
	s_waitcnt_vscnt null, 0x0
	s_barrier
	buffer_gl0_inv
	scratch_load_b64 v[1:2], v3, off
	s_mov_b32 s4, exec_lo
	s_waitcnt vmcnt(0)
	v_cmpx_eq_f64_e32 0, v[1:2]
	s_cbranch_execz .LBB115_10
; %bb.7:
	v_mov_b32_e32 v1, 0
	s_mov_b32 s5, 0
	ds_load_b32 v2, v1 offset:832
	s_waitcnt lgkmcnt(0)
	v_readfirstlane_b32 s1, v2
	v_add_nc_u32_e32 v2, 1, v0
	s_delay_alu instid0(VALU_DEP_2) | instskip(NEXT) | instid1(VALU_DEP_1)
	s_cmp_eq_u32 s1, 0
	v_cmp_gt_i32_e32 vcc_lo, s1, v2
	s_cselect_b32 s10, -1, 0
	s_delay_alu instid0(SALU_CYCLE_1) | instskip(NEXT) | instid1(SALU_CYCLE_1)
	s_or_b32 s10, s10, vcc_lo
	s_and_b32 exec_lo, exec_lo, s10
	s_cbranch_execz .LBB115_10
; %bb.8:
	v_mov_b32_e32 v4, s1
.LBB115_9:                              ; =>This Inner Loop Header: Depth=1
	ds_cmpstore_rtn_b32 v4, v1, v2, v4 offset:832
	s_waitcnt lgkmcnt(0)
	v_cmp_ne_u32_e32 vcc_lo, 0, v4
	v_cmp_le_i32_e64 s1, v4, v2
	s_delay_alu instid0(VALU_DEP_1) | instskip(NEXT) | instid1(SALU_CYCLE_1)
	s_and_b32 s1, vcc_lo, s1
	s_and_b32 s1, exec_lo, s1
	s_delay_alu instid0(SALU_CYCLE_1) | instskip(NEXT) | instid1(SALU_CYCLE_1)
	s_or_b32 s5, s1, s5
	s_and_not1_b32 exec_lo, exec_lo, s5
	s_cbranch_execnz .LBB115_9
.LBB115_10:
	s_or_b32 exec_lo, exec_lo, s4
	v_mov_b32_e32 v1, 0
	s_barrier
	buffer_gl0_inv
	ds_load_b32 v2, v1 offset:832
	s_and_saveexec_b32 s1, s0
	s_cbranch_execz .LBB115_12
; %bb.11:
	s_lshl_b64 s[4:5], s[8:9], 2
	s_delay_alu instid0(SALU_CYCLE_1)
	s_add_u32 s4, s6, s4
	s_addc_u32 s5, s7, s5
	s_waitcnt lgkmcnt(0)
	global_store_b32 v1, v2, s[4:5]
.LBB115_12:
	s_or_b32 exec_lo, exec_lo, s1
	s_waitcnt lgkmcnt(0)
	v_cmp_ne_u32_e32 vcc_lo, 0, v2
	s_mov_b32 s1, 0
	s_cbranch_vccnz .LBB115_216
; %bb.13:
	v_add_nc_u32_e32 v4, 0, v3
	v_add_nc_u32_e32 v5, 0x1a0, v3
	scratch_load_b64 v[1:2], v4, off
	s_waitcnt vmcnt(0)
	v_div_scale_f64 v[110:111], null, v[1:2], v[1:2], 1.0
	v_div_scale_f64 v[116:117], vcc_lo, 1.0, v[1:2], 1.0
	s_delay_alu instid0(VALU_DEP_2) | instskip(SKIP_2) | instid1(VALU_DEP_1)
	v_rcp_f64_e32 v[112:113], v[110:111]
	s_waitcnt_depctr 0xfff
	v_fma_f64 v[114:115], -v[110:111], v[112:113], 1.0
	v_fma_f64 v[112:113], v[112:113], v[114:115], v[112:113]
	s_delay_alu instid0(VALU_DEP_1) | instskip(NEXT) | instid1(VALU_DEP_1)
	v_fma_f64 v[114:115], -v[110:111], v[112:113], 1.0
	v_fma_f64 v[112:113], v[112:113], v[114:115], v[112:113]
	s_delay_alu instid0(VALU_DEP_1) | instskip(NEXT) | instid1(VALU_DEP_1)
	v_mul_f64 v[114:115], v[116:117], v[112:113]
	v_fma_f64 v[110:111], -v[110:111], v[114:115], v[116:117]
	s_delay_alu instid0(VALU_DEP_1) | instskip(NEXT) | instid1(VALU_DEP_1)
	v_div_fmas_f64 v[110:111], v[110:111], v[112:113], v[114:115]
	v_div_fixup_f64 v[1:2], v[110:111], v[1:2], 1.0
	scratch_store_b64 v4, v[1:2], off
	scratch_load_b64 v[110:111], off, off offset:8
	v_xor_b32_e32 v2, 0x80000000, v2
	s_waitcnt vmcnt(0)
	ds_store_2addr_b64 v3, v[1:2], v[110:111] offset1:52
	s_waitcnt lgkmcnt(0)
	s_waitcnt_vscnt null, 0x0
	s_barrier
	buffer_gl0_inv
	s_and_saveexec_b32 s1, s0
	s_cbranch_execz .LBB115_15
; %bb.14:
	scratch_load_b64 v[1:2], v4, off
	ds_load_b64 v[110:111], v5
	s_waitcnt vmcnt(0) lgkmcnt(0)
	v_fma_f64 v[1:2], v[1:2], v[110:111], 0
	v_mov_b32_e32 v110, 0
	ds_load_b64 v[110:111], v110 offset:8
	s_waitcnt lgkmcnt(0)
	v_mul_f64 v[1:2], v[1:2], v[110:111]
	scratch_store_b64 off, v[1:2], off offset:8
.LBB115_15:
	s_or_b32 exec_lo, exec_lo, s1
	s_waitcnt_vscnt null, 0x0
	s_barrier
	buffer_gl0_inv
	scratch_load_b64 v[1:2], off, off offset:16
	s_mov_b32 s1, exec_lo
	s_waitcnt vmcnt(0)
	ds_store_b64 v5, v[1:2]
	s_waitcnt lgkmcnt(0)
	s_barrier
	buffer_gl0_inv
	v_cmpx_gt_u32_e32 2, v0
	s_cbranch_execz .LBB115_19
; %bb.16:
	scratch_load_b64 v[1:2], v4, off
	ds_load_b64 v[110:111], v5
	s_waitcnt vmcnt(0) lgkmcnt(0)
	v_fma_f64 v[1:2], v[1:2], v[110:111], 0
	s_and_saveexec_b32 s4, s0
	s_cbranch_execz .LBB115_18
; %bb.17:
	scratch_load_b64 v[110:111], off, off offset:8
	v_mov_b32_e32 v112, 0
	ds_load_b64 v[112:113], v112 offset:424
	s_waitcnt vmcnt(0) lgkmcnt(0)
	v_fma_f64 v[1:2], v[110:111], v[112:113], v[1:2]
.LBB115_18:
	s_or_b32 exec_lo, exec_lo, s4
	v_mov_b32_e32 v110, 0
	ds_load_b64 v[110:111], v110 offset:16
	s_waitcnt lgkmcnt(0)
	v_mul_f64 v[1:2], v[1:2], v[110:111]
	scratch_store_b64 off, v[1:2], off offset:16
.LBB115_19:
	s_or_b32 exec_lo, exec_lo, s1
	s_waitcnt_vscnt null, 0x0
	s_barrier
	buffer_gl0_inv
	scratch_load_b64 v[1:2], off, off offset:24
	v_add_nc_u32_e32 v110, -1, v0
	s_mov_b32 s0, exec_lo
	s_waitcnt vmcnt(0)
	ds_store_b64 v5, v[1:2]
	s_waitcnt lgkmcnt(0)
	s_barrier
	buffer_gl0_inv
	v_cmpx_gt_u32_e32 3, v0
	s_cbranch_execz .LBB115_23
; %bb.20:
	v_dual_mov_b32 v1, 0 :: v_dual_add_nc_u32 v112, 0x1a0, v3
	v_dual_mov_b32 v2, 0 :: v_dual_add_nc_u32 v111, -1, v0
	v_add_nc_u32_e32 v113, 0, v3
	s_mov_b32 s1, 0
.LBB115_21:                             ; =>This Inner Loop Header: Depth=1
	scratch_load_b64 v[114:115], v113, off
	ds_load_b64 v[116:117], v112
	v_add_nc_u32_e32 v111, 1, v111
	v_add_nc_u32_e32 v112, 8, v112
	v_add_nc_u32_e32 v113, 8, v113
	s_delay_alu instid0(VALU_DEP_3)
	v_cmp_lt_u32_e32 vcc_lo, 1, v111
	s_or_b32 s1, vcc_lo, s1
	s_waitcnt vmcnt(0) lgkmcnt(0)
	v_fma_f64 v[1:2], v[114:115], v[116:117], v[1:2]
	s_and_not1_b32 exec_lo, exec_lo, s1
	s_cbranch_execnz .LBB115_21
; %bb.22:
	s_or_b32 exec_lo, exec_lo, s1
	v_mov_b32_e32 v111, 0
	ds_load_b64 v[111:112], v111 offset:24
	s_waitcnt lgkmcnt(0)
	v_mul_f64 v[1:2], v[1:2], v[111:112]
	scratch_store_b64 off, v[1:2], off offset:24
.LBB115_23:
	s_or_b32 exec_lo, exec_lo, s0
	s_waitcnt_vscnt null, 0x0
	s_barrier
	buffer_gl0_inv
	scratch_load_b64 v[1:2], off, off offset:32
	s_mov_b32 s0, exec_lo
	s_waitcnt vmcnt(0)
	ds_store_b64 v5, v[1:2]
	s_waitcnt lgkmcnt(0)
	s_barrier
	buffer_gl0_inv
	v_cmpx_gt_u32_e32 4, v0
	s_cbranch_execz .LBB115_27
; %bb.24:
	v_dual_mov_b32 v1, 0 :: v_dual_add_nc_u32 v112, 0x1a0, v3
	v_dual_mov_b32 v2, 0 :: v_dual_add_nc_u32 v111, -1, v0
	v_add_nc_u32_e32 v113, 0, v3
	s_mov_b32 s1, 0
.LBB115_25:                             ; =>This Inner Loop Header: Depth=1
	scratch_load_b64 v[114:115], v113, off
	ds_load_b64 v[116:117], v112
	v_add_nc_u32_e32 v111, 1, v111
	v_add_nc_u32_e32 v112, 8, v112
	v_add_nc_u32_e32 v113, 8, v113
	s_delay_alu instid0(VALU_DEP_3)
	v_cmp_lt_u32_e32 vcc_lo, 2, v111
	s_or_b32 s1, vcc_lo, s1
	s_waitcnt vmcnt(0) lgkmcnt(0)
	v_fma_f64 v[1:2], v[114:115], v[116:117], v[1:2]
	s_and_not1_b32 exec_lo, exec_lo, s1
	s_cbranch_execnz .LBB115_25
; %bb.26:
	s_or_b32 exec_lo, exec_lo, s1
	v_mov_b32_e32 v111, 0
	ds_load_b64 v[111:112], v111 offset:32
	s_waitcnt lgkmcnt(0)
	v_mul_f64 v[1:2], v[1:2], v[111:112]
	scratch_store_b64 off, v[1:2], off offset:32
.LBB115_27:
	s_or_b32 exec_lo, exec_lo, s0
	s_waitcnt_vscnt null, 0x0
	s_barrier
	buffer_gl0_inv
	scratch_load_b64 v[1:2], off, off offset:40
	;; [unrolled: 39-line block ×20, first 2 shown]
	s_mov_b32 s0, exec_lo
	s_waitcnt vmcnt(0)
	ds_store_b64 v5, v[1:2]
	s_waitcnt lgkmcnt(0)
	s_barrier
	buffer_gl0_inv
	v_cmpx_gt_u32_e32 23, v0
	s_cbranch_execz .LBB115_103
; %bb.100:
	v_dual_mov_b32 v1, 0 :: v_dual_add_nc_u32 v112, 0x1a0, v3
	v_dual_mov_b32 v2, 0 :: v_dual_add_nc_u32 v111, -1, v0
	v_add_nc_u32_e32 v113, 0, v3
	s_mov_b32 s1, 0
.LBB115_101:                            ; =>This Inner Loop Header: Depth=1
	scratch_load_b64 v[114:115], v113, off
	ds_load_b64 v[116:117], v112
	v_add_nc_u32_e32 v111, 1, v111
	v_add_nc_u32_e32 v112, 8, v112
	v_add_nc_u32_e32 v113, 8, v113
	s_delay_alu instid0(VALU_DEP_3)
	v_cmp_lt_u32_e32 vcc_lo, 21, v111
	s_or_b32 s1, vcc_lo, s1
	s_waitcnt vmcnt(0) lgkmcnt(0)
	v_fma_f64 v[1:2], v[114:115], v[116:117], v[1:2]
	s_and_not1_b32 exec_lo, exec_lo, s1
	s_cbranch_execnz .LBB115_101
; %bb.102:
	s_or_b32 exec_lo, exec_lo, s1
	v_mov_b32_e32 v111, 0
	ds_load_b64 v[111:112], v111 offset:184
	s_waitcnt lgkmcnt(0)
	v_mul_f64 v[1:2], v[1:2], v[111:112]
	scratch_store_b64 off, v[1:2], off offset:184
.LBB115_103:
	s_or_b32 exec_lo, exec_lo, s0
	s_waitcnt_vscnt null, 0x0
	s_barrier
	buffer_gl0_inv
	scratch_load_b64 v[1:2], off, off offset:192
	s_mov_b32 s0, exec_lo
	s_waitcnt vmcnt(0)
	ds_store_b64 v5, v[1:2]
	s_waitcnt lgkmcnt(0)
	s_barrier
	buffer_gl0_inv
	v_cmpx_gt_u32_e32 24, v0
	s_cbranch_execz .LBB115_107
; %bb.104:
	v_dual_mov_b32 v1, 0 :: v_dual_add_nc_u32 v112, 0x1a0, v3
	v_dual_mov_b32 v2, 0 :: v_dual_add_nc_u32 v111, -1, v0
	v_add_nc_u32_e32 v113, 0, v3
	s_mov_b32 s1, 0
.LBB115_105:                            ; =>This Inner Loop Header: Depth=1
	scratch_load_b64 v[114:115], v113, off
	ds_load_b64 v[116:117], v112
	v_add_nc_u32_e32 v111, 1, v111
	v_add_nc_u32_e32 v112, 8, v112
	v_add_nc_u32_e32 v113, 8, v113
	s_delay_alu instid0(VALU_DEP_3)
	v_cmp_lt_u32_e32 vcc_lo, 22, v111
	s_or_b32 s1, vcc_lo, s1
	s_waitcnt vmcnt(0) lgkmcnt(0)
	v_fma_f64 v[1:2], v[114:115], v[116:117], v[1:2]
	s_and_not1_b32 exec_lo, exec_lo, s1
	s_cbranch_execnz .LBB115_105
; %bb.106:
	s_or_b32 exec_lo, exec_lo, s1
	v_mov_b32_e32 v111, 0
	ds_load_b64 v[111:112], v111 offset:192
	s_waitcnt lgkmcnt(0)
	v_mul_f64 v[1:2], v[1:2], v[111:112]
	scratch_store_b64 off, v[1:2], off offset:192
.LBB115_107:
	s_or_b32 exec_lo, exec_lo, s0
	s_waitcnt_vscnt null, 0x0
	s_barrier
	buffer_gl0_inv
	scratch_load_b64 v[1:2], off, off offset:200
	;; [unrolled: 39-line block ×28, first 2 shown]
	s_mov_b32 s0, exec_lo
	s_waitcnt vmcnt(0)
	ds_store_b64 v5, v[1:2]
	s_waitcnt lgkmcnt(0)
	s_barrier
	buffer_gl0_inv
	v_cmpx_ne_u32_e32 51, v0
	s_cbranch_execz .LBB115_215
; %bb.212:
	v_mov_b32_e32 v1, 0
	v_mov_b32_e32 v2, 0
	s_mov_b32 s1, 0
.LBB115_213:                            ; =>This Inner Loop Header: Depth=1
	scratch_load_b64 v[111:112], v4, off
	ds_load_b64 v[113:114], v5
	v_add_nc_u32_e32 v110, 1, v110
	v_add_nc_u32_e32 v5, 8, v5
	;; [unrolled: 1-line block ×3, first 2 shown]
	s_delay_alu instid0(VALU_DEP_3)
	v_cmp_lt_u32_e32 vcc_lo, 49, v110
	s_or_b32 s1, vcc_lo, s1
	s_waitcnt vmcnt(0) lgkmcnt(0)
	v_fma_f64 v[1:2], v[111:112], v[113:114], v[1:2]
	s_and_not1_b32 exec_lo, exec_lo, s1
	s_cbranch_execnz .LBB115_213
; %bb.214:
	s_or_b32 exec_lo, exec_lo, s1
	v_mov_b32_e32 v3, 0
	ds_load_b64 v[3:4], v3 offset:408
	s_waitcnt lgkmcnt(0)
	v_mul_f64 v[1:2], v[1:2], v[3:4]
	scratch_store_b64 off, v[1:2], off offset:408
.LBB115_215:
	s_or_b32 exec_lo, exec_lo, s0
	s_mov_b32 s1, -1
	s_waitcnt_vscnt null, 0x0
	s_barrier
	buffer_gl0_inv
.LBB115_216:
	s_and_b32 vcc_lo, exec_lo, s1
	s_cbranch_vccz .LBB115_218
; %bb.217:
	s_lshl_b64 s[0:1], s[8:9], 2
	v_mov_b32_e32 v1, 0
	s_add_u32 s0, s6, s0
	s_addc_u32 s1, s7, s1
	global_load_b32 v1, v1, s[0:1]
	s_waitcnt vmcnt(0)
	v_cmp_ne_u32_e32 vcc_lo, 0, v1
	s_cbranch_vccz .LBB115_219
.LBB115_218:
	s_endpgm
.LBB115_219:
	v_lshl_add_u32 v5, v0, 3, 0x1a0
	s_mov_b32 s0, exec_lo
	v_cmpx_eq_u32_e32 51, v0
	s_cbranch_execz .LBB115_221
; %bb.220:
	scratch_load_b64 v[1:2], off, off offset:400
	v_mov_b32_e32 v3, 0
	s_delay_alu instid0(VALU_DEP_1)
	v_mov_b32_e32 v4, v3
	scratch_store_b64 off, v[3:4], off offset:400
	s_waitcnt vmcnt(0)
	ds_store_b64 v5, v[1:2]
.LBB115_221:
	s_or_b32 exec_lo, exec_lo, s0
	s_waitcnt lgkmcnt(0)
	s_waitcnt_vscnt null, 0x0
	s_barrier
	buffer_gl0_inv
	scratch_load_b128 v[110:113], off, off offset:400
	v_mov_b32_e32 v1, 0
	s_mov_b32 s0, exec_lo
	ds_load_b64 v[2:3], v1 offset:824
	s_waitcnt vmcnt(0) lgkmcnt(0)
	v_fma_f64 v[2:3], v[112:113], v[2:3], 0
	s_delay_alu instid0(VALU_DEP_1)
	v_add_f64 v[2:3], v[110:111], -v[2:3]
	scratch_store_b64 off, v[2:3], off offset:400
	v_cmpx_lt_u32_e32 49, v0
	s_cbranch_execz .LBB115_223
; %bb.222:
	scratch_load_b64 v[3:4], off, off offset:392
	v_mov_b32_e32 v2, v1
	scratch_store_b64 off, v[1:2], off offset:392
	s_waitcnt vmcnt(0)
	ds_store_b64 v5, v[3:4]
.LBB115_223:
	s_or_b32 exec_lo, exec_lo, s0
	s_waitcnt lgkmcnt(0)
	s_waitcnt_vscnt null, 0x0
	s_barrier
	buffer_gl0_inv
	s_clause 0x1
	scratch_load_b128 v[110:113], off, off offset:392
	scratch_load_b64 v[114:115], off, off offset:408
	ds_load_b128 v[1:4], v1 offset:816
	s_mov_b32 s0, exec_lo
	s_waitcnt vmcnt(1) lgkmcnt(0)
	v_fma_f64 v[1:2], v[112:113], v[1:2], 0
	s_waitcnt vmcnt(0)
	s_delay_alu instid0(VALU_DEP_1) | instskip(NEXT) | instid1(VALU_DEP_1)
	v_fma_f64 v[1:2], v[114:115], v[3:4], v[1:2]
	v_add_f64 v[1:2], v[110:111], -v[1:2]
	scratch_store_b64 off, v[1:2], off offset:392
	v_cmpx_lt_u32_e32 48, v0
	s_cbranch_execz .LBB115_225
; %bb.224:
	scratch_load_b64 v[1:2], off, off offset:384
	v_mov_b32_e32 v3, 0
	s_delay_alu instid0(VALU_DEP_1)
	v_mov_b32_e32 v4, v3
	scratch_store_b64 off, v[3:4], off offset:384
	s_waitcnt vmcnt(0)
	ds_store_b64 v5, v[1:2]
.LBB115_225:
	s_or_b32 exec_lo, exec_lo, s0
	s_waitcnt lgkmcnt(0)
	s_waitcnt_vscnt null, 0x0
	s_barrier
	buffer_gl0_inv
	s_clause 0x1
	scratch_load_b128 v[110:113], off, off offset:384
	scratch_load_b128 v[114:117], off, off offset:400
	v_mov_b32_e32 v1, 0
	s_mov_b32 s0, exec_lo
	ds_load_2addr_b64 v[118:121], v1 offset0:101 offset1:102
	s_waitcnt vmcnt(1) lgkmcnt(0)
	v_fma_f64 v[2:3], v[112:113], v[118:119], 0
	ds_load_b64 v[112:113], v1 offset:824
	s_waitcnt vmcnt(0)
	v_fma_f64 v[2:3], v[114:115], v[120:121], v[2:3]
	s_waitcnt lgkmcnt(0)
	s_delay_alu instid0(VALU_DEP_1) | instskip(NEXT) | instid1(VALU_DEP_1)
	v_fma_f64 v[2:3], v[116:117], v[112:113], v[2:3]
	v_add_f64 v[2:3], v[110:111], -v[2:3]
	scratch_store_b64 off, v[2:3], off offset:384
	v_cmpx_lt_u32_e32 47, v0
	s_cbranch_execz .LBB115_227
; %bb.226:
	scratch_load_b64 v[3:4], off, off offset:376
	v_mov_b32_e32 v2, v1
	scratch_store_b64 off, v[1:2], off offset:376
	s_waitcnt vmcnt(0)
	ds_store_b64 v5, v[3:4]
.LBB115_227:
	s_or_b32 exec_lo, exec_lo, s0
	s_waitcnt lgkmcnt(0)
	s_waitcnt_vscnt null, 0x0
	s_barrier
	buffer_gl0_inv
	s_clause 0x2
	scratch_load_b128 v[110:113], off, off offset:376
	scratch_load_b128 v[114:117], off, off offset:392
	scratch_load_b64 v[122:123], off, off offset:408
	ds_load_b128 v[118:121], v1 offset:800
	ds_load_b128 v[1:4], v1 offset:816
	s_mov_b32 s0, exec_lo
	s_waitcnt vmcnt(2) lgkmcnt(1)
	v_fma_f64 v[112:113], v[112:113], v[118:119], 0
	s_waitcnt vmcnt(1)
	s_delay_alu instid0(VALU_DEP_1) | instskip(SKIP_1) | instid1(VALU_DEP_1)
	v_fma_f64 v[112:113], v[114:115], v[120:121], v[112:113]
	s_waitcnt lgkmcnt(0)
	v_fma_f64 v[1:2], v[116:117], v[1:2], v[112:113]
	s_waitcnt vmcnt(0)
	s_delay_alu instid0(VALU_DEP_1) | instskip(NEXT) | instid1(VALU_DEP_1)
	v_fma_f64 v[1:2], v[122:123], v[3:4], v[1:2]
	v_add_f64 v[1:2], v[110:111], -v[1:2]
	scratch_store_b64 off, v[1:2], off offset:376
	v_cmpx_lt_u32_e32 46, v0
	s_cbranch_execz .LBB115_229
; %bb.228:
	scratch_load_b64 v[1:2], off, off offset:368
	v_mov_b32_e32 v3, 0
	s_delay_alu instid0(VALU_DEP_1)
	v_mov_b32_e32 v4, v3
	scratch_store_b64 off, v[3:4], off offset:368
	s_waitcnt vmcnt(0)
	ds_store_b64 v5, v[1:2]
.LBB115_229:
	s_or_b32 exec_lo, exec_lo, s0
	s_waitcnt lgkmcnt(0)
	s_waitcnt_vscnt null, 0x0
	s_barrier
	buffer_gl0_inv
	s_clause 0x2
	scratch_load_b128 v[110:113], off, off offset:368
	scratch_load_b128 v[114:117], off, off offset:384
	;; [unrolled: 1-line block ×3, first 2 shown]
	v_mov_b32_e32 v1, 0
	ds_load_2addr_b64 v[122:125], v1 offset0:99 offset1:100
	ds_load_2addr_b64 v[126:129], v1 offset0:101 offset1:102
	s_mov_b32 s0, exec_lo
	s_waitcnt vmcnt(2) lgkmcnt(1)
	v_fma_f64 v[2:3], v[112:113], v[122:123], 0
	ds_load_b64 v[112:113], v1 offset:824
	s_waitcnt vmcnt(1)
	v_fma_f64 v[2:3], v[114:115], v[124:125], v[2:3]
	s_waitcnt lgkmcnt(1)
	s_delay_alu instid0(VALU_DEP_1) | instskip(SKIP_1) | instid1(VALU_DEP_1)
	v_fma_f64 v[2:3], v[116:117], v[126:127], v[2:3]
	s_waitcnt vmcnt(0)
	v_fma_f64 v[2:3], v[118:119], v[128:129], v[2:3]
	s_waitcnt lgkmcnt(0)
	s_delay_alu instid0(VALU_DEP_1) | instskip(NEXT) | instid1(VALU_DEP_1)
	v_fma_f64 v[2:3], v[120:121], v[112:113], v[2:3]
	v_add_f64 v[2:3], v[110:111], -v[2:3]
	scratch_store_b64 off, v[2:3], off offset:368
	v_cmpx_lt_u32_e32 45, v0
	s_cbranch_execz .LBB115_231
; %bb.230:
	scratch_load_b64 v[3:4], off, off offset:360
	v_mov_b32_e32 v2, v1
	scratch_store_b64 off, v[1:2], off offset:360
	s_waitcnt vmcnt(0)
	ds_store_b64 v5, v[3:4]
.LBB115_231:
	s_or_b32 exec_lo, exec_lo, s0
	s_waitcnt lgkmcnt(0)
	s_waitcnt_vscnt null, 0x0
	s_barrier
	buffer_gl0_inv
	s_clause 0x3
	scratch_load_b128 v[110:113], off, off offset:360
	scratch_load_b128 v[114:117], off, off offset:376
	;; [unrolled: 1-line block ×3, first 2 shown]
	scratch_load_b64 v[130:131], off, off offset:408
	ds_load_b128 v[122:125], v1 offset:784
	ds_load_b128 v[126:129], v1 offset:800
	s_mov_b32 s0, exec_lo
	s_waitcnt vmcnt(3) lgkmcnt(1)
	v_fma_f64 v[2:3], v[112:113], v[122:123], 0
	s_waitcnt vmcnt(2)
	s_delay_alu instid0(VALU_DEP_1) | instskip(SKIP_1) | instid1(VALU_DEP_1)
	v_fma_f64 v[2:3], v[114:115], v[124:125], v[2:3]
	s_waitcnt lgkmcnt(0)
	v_fma_f64 v[2:3], v[116:117], v[126:127], v[2:3]
	s_waitcnt vmcnt(1)
	s_delay_alu instid0(VALU_DEP_1) | instskip(SKIP_4) | instid1(VALU_DEP_1)
	v_fma_f64 v[112:113], v[118:119], v[128:129], v[2:3]
	ds_load_b128 v[1:4], v1 offset:816
	s_waitcnt lgkmcnt(0)
	v_fma_f64 v[1:2], v[120:121], v[1:2], v[112:113]
	s_waitcnt vmcnt(0)
	v_fma_f64 v[1:2], v[130:131], v[3:4], v[1:2]
	s_delay_alu instid0(VALU_DEP_1)
	v_add_f64 v[1:2], v[110:111], -v[1:2]
	scratch_store_b64 off, v[1:2], off offset:360
	v_cmpx_lt_u32_e32 44, v0
	s_cbranch_execz .LBB115_233
; %bb.232:
	scratch_load_b64 v[1:2], off, off offset:352
	v_mov_b32_e32 v3, 0
	s_delay_alu instid0(VALU_DEP_1)
	v_mov_b32_e32 v4, v3
	scratch_store_b64 off, v[3:4], off offset:352
	s_waitcnt vmcnt(0)
	ds_store_b64 v5, v[1:2]
.LBB115_233:
	s_or_b32 exec_lo, exec_lo, s0
	s_waitcnt lgkmcnt(0)
	s_waitcnt_vscnt null, 0x0
	s_barrier
	buffer_gl0_inv
	s_clause 0x3
	scratch_load_b128 v[110:113], off, off offset:352
	scratch_load_b128 v[114:117], off, off offset:368
	;; [unrolled: 1-line block ×4, first 2 shown]
	v_mov_b32_e32 v1, 0
	ds_load_2addr_b64 v[126:129], v1 offset0:97 offset1:98
	ds_load_2addr_b64 v[130:133], v1 offset0:99 offset1:100
	s_mov_b32 s0, exec_lo
	s_waitcnt vmcnt(3) lgkmcnt(1)
	v_fma_f64 v[2:3], v[112:113], v[126:127], 0
	s_waitcnt vmcnt(2)
	s_delay_alu instid0(VALU_DEP_1) | instskip(SKIP_1) | instid1(VALU_DEP_1)
	v_fma_f64 v[2:3], v[114:115], v[128:129], v[2:3]
	s_waitcnt lgkmcnt(0)
	v_fma_f64 v[2:3], v[116:117], v[130:131], v[2:3]
	ds_load_2addr_b64 v[112:115], v1 offset0:101 offset1:102
	ds_load_b64 v[116:117], v1 offset:824
	s_waitcnt vmcnt(1)
	v_fma_f64 v[2:3], v[118:119], v[132:133], v[2:3]
	s_waitcnt lgkmcnt(1)
	s_delay_alu instid0(VALU_DEP_1) | instskip(SKIP_1) | instid1(VALU_DEP_1)
	v_fma_f64 v[2:3], v[120:121], v[112:113], v[2:3]
	s_waitcnt vmcnt(0)
	v_fma_f64 v[2:3], v[122:123], v[114:115], v[2:3]
	s_waitcnt lgkmcnt(0)
	s_delay_alu instid0(VALU_DEP_1) | instskip(NEXT) | instid1(VALU_DEP_1)
	v_fma_f64 v[2:3], v[124:125], v[116:117], v[2:3]
	v_add_f64 v[2:3], v[110:111], -v[2:3]
	scratch_store_b64 off, v[2:3], off offset:352
	v_cmpx_lt_u32_e32 43, v0
	s_cbranch_execz .LBB115_235
; %bb.234:
	scratch_load_b64 v[3:4], off, off offset:344
	v_mov_b32_e32 v2, v1
	scratch_store_b64 off, v[1:2], off offset:344
	s_waitcnt vmcnt(0)
	ds_store_b64 v5, v[3:4]
.LBB115_235:
	s_or_b32 exec_lo, exec_lo, s0
	s_waitcnt lgkmcnt(0)
	s_waitcnt_vscnt null, 0x0
	s_barrier
	buffer_gl0_inv
	s_clause 0x4
	scratch_load_b128 v[110:113], off, off offset:344
	scratch_load_b128 v[114:117], off, off offset:360
	;; [unrolled: 1-line block ×4, first 2 shown]
	scratch_load_b64 v[134:135], off, off offset:408
	ds_load_b128 v[126:129], v1 offset:768
	ds_load_b128 v[130:133], v1 offset:784
	s_mov_b32 s0, exec_lo
	s_waitcnt vmcnt(4) lgkmcnt(1)
	v_fma_f64 v[2:3], v[112:113], v[126:127], 0
	s_waitcnt vmcnt(3)
	s_delay_alu instid0(VALU_DEP_1) | instskip(SKIP_1) | instid1(VALU_DEP_1)
	v_fma_f64 v[2:3], v[114:115], v[128:129], v[2:3]
	s_waitcnt lgkmcnt(0)
	v_fma_f64 v[2:3], v[116:117], v[130:131], v[2:3]
	s_waitcnt vmcnt(2)
	s_delay_alu instid0(VALU_DEP_1)
	v_fma_f64 v[116:117], v[118:119], v[132:133], v[2:3]
	ds_load_b128 v[112:115], v1 offset:800
	ds_load_b128 v[1:4], v1 offset:816
	s_waitcnt lgkmcnt(1)
	v_fma_f64 v[112:113], v[120:121], v[112:113], v[116:117]
	s_waitcnt vmcnt(1)
	s_delay_alu instid0(VALU_DEP_1) | instskip(SKIP_1) | instid1(VALU_DEP_1)
	v_fma_f64 v[112:113], v[122:123], v[114:115], v[112:113]
	s_waitcnt lgkmcnt(0)
	v_fma_f64 v[1:2], v[124:125], v[1:2], v[112:113]
	s_waitcnt vmcnt(0)
	s_delay_alu instid0(VALU_DEP_1) | instskip(NEXT) | instid1(VALU_DEP_1)
	v_fma_f64 v[1:2], v[134:135], v[3:4], v[1:2]
	v_add_f64 v[1:2], v[110:111], -v[1:2]
	scratch_store_b64 off, v[1:2], off offset:344
	v_cmpx_lt_u32_e32 42, v0
	s_cbranch_execz .LBB115_237
; %bb.236:
	scratch_load_b64 v[1:2], off, off offset:336
	v_mov_b32_e32 v3, 0
	s_delay_alu instid0(VALU_DEP_1)
	v_mov_b32_e32 v4, v3
	scratch_store_b64 off, v[3:4], off offset:336
	s_waitcnt vmcnt(0)
	ds_store_b64 v5, v[1:2]
.LBB115_237:
	s_or_b32 exec_lo, exec_lo, s0
	s_waitcnt lgkmcnt(0)
	s_waitcnt_vscnt null, 0x0
	s_barrier
	buffer_gl0_inv
	s_clause 0x4
	scratch_load_b128 v[110:113], off, off offset:336
	scratch_load_b128 v[114:117], off, off offset:352
	scratch_load_b128 v[118:121], off, off offset:368
	scratch_load_b128 v[122:125], off, off offset:384
	scratch_load_b128 v[126:129], off, off offset:400
	v_mov_b32_e32 v1, 0
	ds_load_2addr_b64 v[130:133], v1 offset0:95 offset1:96
	ds_load_2addr_b64 v[134:137], v1 offset0:97 offset1:98
	s_mov_b32 s0, exec_lo
	s_waitcnt vmcnt(4) lgkmcnt(1)
	v_fma_f64 v[2:3], v[112:113], v[130:131], 0
	s_waitcnt vmcnt(3)
	s_delay_alu instid0(VALU_DEP_1) | instskip(SKIP_1) | instid1(VALU_DEP_1)
	v_fma_f64 v[2:3], v[114:115], v[132:133], v[2:3]
	s_waitcnt lgkmcnt(0)
	v_fma_f64 v[2:3], v[116:117], v[134:135], v[2:3]
	s_waitcnt vmcnt(2)
	s_delay_alu instid0(VALU_DEP_1)
	v_fma_f64 v[2:3], v[118:119], v[136:137], v[2:3]
	ds_load_2addr_b64 v[112:115], v1 offset0:99 offset1:100
	ds_load_2addr_b64 v[116:119], v1 offset0:101 offset1:102
	s_waitcnt lgkmcnt(1)
	v_fma_f64 v[2:3], v[120:121], v[112:113], v[2:3]
	ds_load_b64 v[112:113], v1 offset:824
	s_waitcnt vmcnt(1)
	v_fma_f64 v[2:3], v[122:123], v[114:115], v[2:3]
	s_waitcnt lgkmcnt(1)
	s_delay_alu instid0(VALU_DEP_1) | instskip(SKIP_1) | instid1(VALU_DEP_1)
	v_fma_f64 v[2:3], v[124:125], v[116:117], v[2:3]
	s_waitcnt vmcnt(0)
	v_fma_f64 v[2:3], v[126:127], v[118:119], v[2:3]
	s_waitcnt lgkmcnt(0)
	s_delay_alu instid0(VALU_DEP_1) | instskip(NEXT) | instid1(VALU_DEP_1)
	v_fma_f64 v[2:3], v[128:129], v[112:113], v[2:3]
	v_add_f64 v[2:3], v[110:111], -v[2:3]
	scratch_store_b64 off, v[2:3], off offset:336
	v_cmpx_lt_u32_e32 41, v0
	s_cbranch_execz .LBB115_239
; %bb.238:
	scratch_load_b64 v[3:4], off, off offset:328
	v_mov_b32_e32 v2, v1
	scratch_store_b64 off, v[1:2], off offset:328
	s_waitcnt vmcnt(0)
	ds_store_b64 v5, v[3:4]
.LBB115_239:
	s_or_b32 exec_lo, exec_lo, s0
	s_waitcnt lgkmcnt(0)
	s_waitcnt_vscnt null, 0x0
	s_barrier
	buffer_gl0_inv
	s_clause 0x4
	scratch_load_b128 v[110:113], off, off offset:328
	scratch_load_b128 v[114:117], off, off offset:344
	;; [unrolled: 1-line block ×5, first 2 shown]
	ds_load_b128 v[130:133], v1 offset:752
	ds_load_b128 v[134:137], v1 offset:768
	s_mov_b32 s0, exec_lo
	s_waitcnt vmcnt(4) lgkmcnt(1)
	v_fma_f64 v[2:3], v[112:113], v[130:131], 0
	scratch_load_b64 v[130:131], off, off offset:408
	s_waitcnt vmcnt(4)
	v_fma_f64 v[2:3], v[114:115], v[132:133], v[2:3]
	s_waitcnt lgkmcnt(0)
	s_delay_alu instid0(VALU_DEP_1) | instskip(SKIP_1) | instid1(VALU_DEP_1)
	v_fma_f64 v[2:3], v[116:117], v[134:135], v[2:3]
	s_waitcnt vmcnt(3)
	v_fma_f64 v[2:3], v[118:119], v[136:137], v[2:3]
	ds_load_b128 v[112:115], v1 offset:784
	ds_load_b128 v[116:119], v1 offset:800
	s_waitcnt lgkmcnt(1)
	v_fma_f64 v[2:3], v[120:121], v[112:113], v[2:3]
	s_waitcnt vmcnt(2)
	s_delay_alu instid0(VALU_DEP_1) | instskip(SKIP_1) | instid1(VALU_DEP_1)
	v_fma_f64 v[2:3], v[122:123], v[114:115], v[2:3]
	s_waitcnt lgkmcnt(0)
	v_fma_f64 v[2:3], v[124:125], v[116:117], v[2:3]
	s_waitcnt vmcnt(1)
	s_delay_alu instid0(VALU_DEP_1) | instskip(SKIP_4) | instid1(VALU_DEP_1)
	v_fma_f64 v[112:113], v[126:127], v[118:119], v[2:3]
	ds_load_b128 v[1:4], v1 offset:816
	s_waitcnt lgkmcnt(0)
	v_fma_f64 v[1:2], v[128:129], v[1:2], v[112:113]
	s_waitcnt vmcnt(0)
	v_fma_f64 v[1:2], v[130:131], v[3:4], v[1:2]
	s_delay_alu instid0(VALU_DEP_1)
	v_add_f64 v[1:2], v[110:111], -v[1:2]
	scratch_store_b64 off, v[1:2], off offset:328
	v_cmpx_lt_u32_e32 40, v0
	s_cbranch_execz .LBB115_241
; %bb.240:
	scratch_load_b64 v[1:2], off, off offset:320
	v_mov_b32_e32 v3, 0
	s_delay_alu instid0(VALU_DEP_1)
	v_mov_b32_e32 v4, v3
	scratch_store_b64 off, v[3:4], off offset:320
	s_waitcnt vmcnt(0)
	ds_store_b64 v5, v[1:2]
.LBB115_241:
	s_or_b32 exec_lo, exec_lo, s0
	s_waitcnt lgkmcnt(0)
	s_waitcnt_vscnt null, 0x0
	s_barrier
	buffer_gl0_inv
	s_clause 0x4
	scratch_load_b128 v[110:113], off, off offset:320
	scratch_load_b128 v[114:117], off, off offset:336
	;; [unrolled: 1-line block ×5, first 2 shown]
	v_mov_b32_e32 v1, 0
	ds_load_2addr_b64 v[130:133], v1 offset0:93 offset1:94
	ds_load_2addr_b64 v[134:137], v1 offset0:95 offset1:96
	scratch_load_b128 v[138:141], off, off offset:400
	s_mov_b32 s0, exec_lo
	s_waitcnt vmcnt(5) lgkmcnt(1)
	v_fma_f64 v[2:3], v[112:113], v[130:131], 0
	s_waitcnt vmcnt(4)
	s_delay_alu instid0(VALU_DEP_1) | instskip(SKIP_1) | instid1(VALU_DEP_1)
	v_fma_f64 v[2:3], v[114:115], v[132:133], v[2:3]
	s_waitcnt lgkmcnt(0)
	v_fma_f64 v[2:3], v[116:117], v[134:135], v[2:3]
	s_waitcnt vmcnt(3)
	s_delay_alu instid0(VALU_DEP_1)
	v_fma_f64 v[2:3], v[118:119], v[136:137], v[2:3]
	ds_load_2addr_b64 v[112:115], v1 offset0:97 offset1:98
	ds_load_2addr_b64 v[116:119], v1 offset0:99 offset1:100
	s_waitcnt lgkmcnt(1)
	v_fma_f64 v[2:3], v[120:121], v[112:113], v[2:3]
	s_waitcnt vmcnt(2)
	s_delay_alu instid0(VALU_DEP_1) | instskip(SKIP_1) | instid1(VALU_DEP_1)
	v_fma_f64 v[2:3], v[122:123], v[114:115], v[2:3]
	s_waitcnt lgkmcnt(0)
	v_fma_f64 v[2:3], v[124:125], v[116:117], v[2:3]
	ds_load_2addr_b64 v[112:115], v1 offset0:101 offset1:102
	ds_load_b64 v[116:117], v1 offset:824
	s_waitcnt vmcnt(1)
	v_fma_f64 v[2:3], v[126:127], v[118:119], v[2:3]
	s_waitcnt lgkmcnt(1)
	s_delay_alu instid0(VALU_DEP_1) | instskip(SKIP_1) | instid1(VALU_DEP_1)
	v_fma_f64 v[2:3], v[128:129], v[112:113], v[2:3]
	s_waitcnt vmcnt(0)
	v_fma_f64 v[2:3], v[138:139], v[114:115], v[2:3]
	s_waitcnt lgkmcnt(0)
	s_delay_alu instid0(VALU_DEP_1) | instskip(NEXT) | instid1(VALU_DEP_1)
	v_fma_f64 v[2:3], v[140:141], v[116:117], v[2:3]
	v_add_f64 v[2:3], v[110:111], -v[2:3]
	scratch_store_b64 off, v[2:3], off offset:320
	v_cmpx_lt_u32_e32 39, v0
	s_cbranch_execz .LBB115_243
; %bb.242:
	scratch_load_b64 v[3:4], off, off offset:312
	v_mov_b32_e32 v2, v1
	scratch_store_b64 off, v[1:2], off offset:312
	s_waitcnt vmcnt(0)
	ds_store_b64 v5, v[3:4]
.LBB115_243:
	s_or_b32 exec_lo, exec_lo, s0
	s_waitcnt lgkmcnt(0)
	s_waitcnt_vscnt null, 0x0
	s_barrier
	buffer_gl0_inv
	s_clause 0x4
	scratch_load_b128 v[110:113], off, off offset:312
	scratch_load_b128 v[114:117], off, off offset:328
	;; [unrolled: 1-line block ×5, first 2 shown]
	ds_load_b128 v[130:133], v1 offset:736
	ds_load_b128 v[134:137], v1 offset:752
	scratch_load_b128 v[138:141], off, off offset:392
	s_mov_b32 s0, exec_lo
	s_waitcnt vmcnt(5) lgkmcnt(1)
	v_fma_f64 v[2:3], v[112:113], v[130:131], 0
	scratch_load_b64 v[130:131], off, off offset:408
	s_waitcnt vmcnt(5)
	v_fma_f64 v[2:3], v[114:115], v[132:133], v[2:3]
	s_waitcnt lgkmcnt(0)
	s_delay_alu instid0(VALU_DEP_1) | instskip(SKIP_1) | instid1(VALU_DEP_1)
	v_fma_f64 v[2:3], v[116:117], v[134:135], v[2:3]
	s_waitcnt vmcnt(4)
	v_fma_f64 v[2:3], v[118:119], v[136:137], v[2:3]
	ds_load_b128 v[112:115], v1 offset:768
	ds_load_b128 v[116:119], v1 offset:784
	s_waitcnt lgkmcnt(1)
	v_fma_f64 v[2:3], v[120:121], v[112:113], v[2:3]
	s_waitcnt vmcnt(3)
	s_delay_alu instid0(VALU_DEP_1) | instskip(SKIP_1) | instid1(VALU_DEP_1)
	v_fma_f64 v[2:3], v[122:123], v[114:115], v[2:3]
	s_waitcnt lgkmcnt(0)
	v_fma_f64 v[2:3], v[124:125], v[116:117], v[2:3]
	s_waitcnt vmcnt(2)
	s_delay_alu instid0(VALU_DEP_1)
	v_fma_f64 v[116:117], v[126:127], v[118:119], v[2:3]
	ds_load_b128 v[112:115], v1 offset:800
	ds_load_b128 v[1:4], v1 offset:816
	s_waitcnt lgkmcnt(1)
	v_fma_f64 v[112:113], v[128:129], v[112:113], v[116:117]
	s_waitcnt vmcnt(1)
	s_delay_alu instid0(VALU_DEP_1) | instskip(SKIP_1) | instid1(VALU_DEP_1)
	v_fma_f64 v[112:113], v[138:139], v[114:115], v[112:113]
	s_waitcnt lgkmcnt(0)
	v_fma_f64 v[1:2], v[140:141], v[1:2], v[112:113]
	s_waitcnt vmcnt(0)
	s_delay_alu instid0(VALU_DEP_1) | instskip(NEXT) | instid1(VALU_DEP_1)
	v_fma_f64 v[1:2], v[130:131], v[3:4], v[1:2]
	v_add_f64 v[1:2], v[110:111], -v[1:2]
	scratch_store_b64 off, v[1:2], off offset:312
	v_cmpx_lt_u32_e32 38, v0
	s_cbranch_execz .LBB115_245
; %bb.244:
	scratch_load_b64 v[1:2], off, off offset:304
	v_mov_b32_e32 v3, 0
	s_delay_alu instid0(VALU_DEP_1)
	v_mov_b32_e32 v4, v3
	scratch_store_b64 off, v[3:4], off offset:304
	s_waitcnt vmcnt(0)
	ds_store_b64 v5, v[1:2]
.LBB115_245:
	s_or_b32 exec_lo, exec_lo, s0
	s_waitcnt lgkmcnt(0)
	s_waitcnt_vscnt null, 0x0
	s_barrier
	buffer_gl0_inv
	s_clause 0x4
	scratch_load_b128 v[110:113], off, off offset:304
	scratch_load_b128 v[114:117], off, off offset:320
	;; [unrolled: 1-line block ×5, first 2 shown]
	v_mov_b32_e32 v1, 0
	ds_load_2addr_b64 v[130:133], v1 offset0:91 offset1:92
	ds_load_2addr_b64 v[134:137], v1 offset0:93 offset1:94
	scratch_load_b128 v[138:141], off, off offset:384
	s_mov_b32 s0, exec_lo
	s_waitcnt vmcnt(5) lgkmcnt(1)
	v_fma_f64 v[2:3], v[112:113], v[130:131], 0
	s_waitcnt vmcnt(4)
	s_delay_alu instid0(VALU_DEP_1) | instskip(SKIP_4) | instid1(VALU_DEP_1)
	v_fma_f64 v[2:3], v[114:115], v[132:133], v[2:3]
	scratch_load_b128 v[112:115], off, off offset:400
	s_waitcnt lgkmcnt(0)
	v_fma_f64 v[2:3], v[116:117], v[134:135], v[2:3]
	s_waitcnt vmcnt(4)
	v_fma_f64 v[2:3], v[118:119], v[136:137], v[2:3]
	ds_load_2addr_b64 v[116:119], v1 offset0:95 offset1:96
	ds_load_2addr_b64 v[130:133], v1 offset0:97 offset1:98
	s_waitcnt lgkmcnt(1)
	v_fma_f64 v[2:3], v[120:121], v[116:117], v[2:3]
	s_waitcnt vmcnt(3)
	s_delay_alu instid0(VALU_DEP_1)
	v_fma_f64 v[2:3], v[122:123], v[118:119], v[2:3]
	ds_load_2addr_b64 v[116:119], v1 offset0:99 offset1:100
	ds_load_2addr_b64 v[120:123], v1 offset0:101 offset1:102
	s_waitcnt lgkmcnt(2)
	v_fma_f64 v[2:3], v[124:125], v[130:131], v[2:3]
	s_waitcnt vmcnt(2)
	s_delay_alu instid0(VALU_DEP_1) | instskip(SKIP_1) | instid1(VALU_DEP_1)
	v_fma_f64 v[2:3], v[126:127], v[132:133], v[2:3]
	s_waitcnt lgkmcnt(1)
	v_fma_f64 v[2:3], v[128:129], v[116:117], v[2:3]
	s_waitcnt vmcnt(1)
	s_delay_alu instid0(VALU_DEP_1) | instskip(SKIP_1) | instid1(VALU_DEP_1)
	v_fma_f64 v[2:3], v[138:139], v[118:119], v[2:3]
	s_waitcnt lgkmcnt(0)
	v_fma_f64 v[2:3], v[140:141], v[120:121], v[2:3]
	s_waitcnt vmcnt(0)
	s_delay_alu instid0(VALU_DEP_1) | instskip(SKIP_3) | instid1(VALU_DEP_1)
	v_fma_f64 v[2:3], v[112:113], v[122:123], v[2:3]
	ds_load_b64 v[112:113], v1 offset:824
	s_waitcnt lgkmcnt(0)
	v_fma_f64 v[2:3], v[114:115], v[112:113], v[2:3]
	v_add_f64 v[2:3], v[110:111], -v[2:3]
	scratch_store_b64 off, v[2:3], off offset:304
	v_cmpx_lt_u32_e32 37, v0
	s_cbranch_execz .LBB115_247
; %bb.246:
	scratch_load_b64 v[3:4], off, off offset:296
	v_mov_b32_e32 v2, v1
	scratch_store_b64 off, v[1:2], off offset:296
	s_waitcnt vmcnt(0)
	ds_store_b64 v5, v[3:4]
.LBB115_247:
	s_or_b32 exec_lo, exec_lo, s0
	s_waitcnt lgkmcnt(0)
	s_waitcnt_vscnt null, 0x0
	s_barrier
	buffer_gl0_inv
	s_clause 0x4
	scratch_load_b128 v[110:113], off, off offset:296
	scratch_load_b128 v[114:117], off, off offset:312
	;; [unrolled: 1-line block ×5, first 2 shown]
	ds_load_b128 v[130:133], v1 offset:720
	ds_load_b128 v[134:137], v1 offset:736
	scratch_load_b128 v[138:141], off, off offset:376
	s_mov_b32 s0, exec_lo
	s_waitcnt vmcnt(5) lgkmcnt(1)
	v_fma_f64 v[2:3], v[112:113], v[130:131], 0
	s_waitcnt vmcnt(4)
	s_delay_alu instid0(VALU_DEP_1) | instskip(SKIP_4) | instid1(VALU_DEP_1)
	v_fma_f64 v[2:3], v[114:115], v[132:133], v[2:3]
	scratch_load_b128 v[112:115], off, off offset:392
	s_waitcnt lgkmcnt(0)
	v_fma_f64 v[2:3], v[116:117], v[134:135], v[2:3]
	s_waitcnt vmcnt(4)
	v_fma_f64 v[2:3], v[118:119], v[136:137], v[2:3]
	ds_load_b128 v[116:119], v1 offset:752
	ds_load_b128 v[130:133], v1 offset:768
	scratch_load_b64 v[134:135], off, off offset:408
	s_waitcnt lgkmcnt(1)
	v_fma_f64 v[2:3], v[120:121], v[116:117], v[2:3]
	s_waitcnt vmcnt(4)
	s_delay_alu instid0(VALU_DEP_1)
	v_fma_f64 v[2:3], v[122:123], v[118:119], v[2:3]
	ds_load_b128 v[116:119], v1 offset:784
	ds_load_b128 v[120:123], v1 offset:800
	s_waitcnt lgkmcnt(2)
	v_fma_f64 v[2:3], v[124:125], v[130:131], v[2:3]
	s_waitcnt vmcnt(3)
	s_delay_alu instid0(VALU_DEP_1) | instskip(SKIP_1) | instid1(VALU_DEP_1)
	v_fma_f64 v[2:3], v[126:127], v[132:133], v[2:3]
	s_waitcnt lgkmcnt(1)
	v_fma_f64 v[2:3], v[128:129], v[116:117], v[2:3]
	s_waitcnt vmcnt(2)
	s_delay_alu instid0(VALU_DEP_1) | instskip(SKIP_1) | instid1(VALU_DEP_1)
	v_fma_f64 v[2:3], v[138:139], v[118:119], v[2:3]
	s_waitcnt lgkmcnt(0)
	v_fma_f64 v[2:3], v[140:141], v[120:121], v[2:3]
	s_waitcnt vmcnt(1)
	s_delay_alu instid0(VALU_DEP_1) | instskip(SKIP_4) | instid1(VALU_DEP_1)
	v_fma_f64 v[112:113], v[112:113], v[122:123], v[2:3]
	ds_load_b128 v[1:4], v1 offset:816
	s_waitcnt lgkmcnt(0)
	v_fma_f64 v[1:2], v[114:115], v[1:2], v[112:113]
	s_waitcnt vmcnt(0)
	v_fma_f64 v[1:2], v[134:135], v[3:4], v[1:2]
	s_delay_alu instid0(VALU_DEP_1)
	v_add_f64 v[1:2], v[110:111], -v[1:2]
	scratch_store_b64 off, v[1:2], off offset:296
	v_cmpx_lt_u32_e32 36, v0
	s_cbranch_execz .LBB115_249
; %bb.248:
	scratch_load_b64 v[1:2], off, off offset:288
	v_mov_b32_e32 v3, 0
	s_delay_alu instid0(VALU_DEP_1)
	v_mov_b32_e32 v4, v3
	scratch_store_b64 off, v[3:4], off offset:288
	s_waitcnt vmcnt(0)
	ds_store_b64 v5, v[1:2]
.LBB115_249:
	s_or_b32 exec_lo, exec_lo, s0
	s_waitcnt lgkmcnt(0)
	s_waitcnt_vscnt null, 0x0
	s_barrier
	buffer_gl0_inv
	s_clause 0x4
	scratch_load_b128 v[110:113], off, off offset:288
	scratch_load_b128 v[114:117], off, off offset:304
	;; [unrolled: 1-line block ×5, first 2 shown]
	v_mov_b32_e32 v1, 0
	ds_load_2addr_b64 v[130:133], v1 offset0:89 offset1:90
	ds_load_2addr_b64 v[134:137], v1 offset0:91 offset1:92
	scratch_load_b128 v[138:141], off, off offset:368
	s_mov_b32 s0, exec_lo
	s_waitcnt vmcnt(5) lgkmcnt(1)
	v_fma_f64 v[2:3], v[112:113], v[130:131], 0
	s_waitcnt vmcnt(4)
	s_delay_alu instid0(VALU_DEP_1) | instskip(SKIP_4) | instid1(VALU_DEP_1)
	v_fma_f64 v[2:3], v[114:115], v[132:133], v[2:3]
	scratch_load_b128 v[112:115], off, off offset:384
	s_waitcnt lgkmcnt(0)
	v_fma_f64 v[2:3], v[116:117], v[134:135], v[2:3]
	s_waitcnt vmcnt(4)
	v_fma_f64 v[2:3], v[118:119], v[136:137], v[2:3]
	ds_load_2addr_b64 v[116:119], v1 offset0:93 offset1:94
	ds_load_2addr_b64 v[130:133], v1 offset0:95 offset1:96
	scratch_load_b128 v[134:137], off, off offset:400
	s_waitcnt lgkmcnt(1)
	v_fma_f64 v[2:3], v[120:121], v[116:117], v[2:3]
	s_waitcnt vmcnt(4)
	s_delay_alu instid0(VALU_DEP_1)
	v_fma_f64 v[2:3], v[122:123], v[118:119], v[2:3]
	ds_load_2addr_b64 v[116:119], v1 offset0:97 offset1:98
	ds_load_2addr_b64 v[120:123], v1 offset0:99 offset1:100
	s_waitcnt lgkmcnt(2)
	v_fma_f64 v[2:3], v[124:125], v[130:131], v[2:3]
	s_waitcnt vmcnt(3)
	s_delay_alu instid0(VALU_DEP_1) | instskip(SKIP_1) | instid1(VALU_DEP_1)
	v_fma_f64 v[2:3], v[126:127], v[132:133], v[2:3]
	s_waitcnt lgkmcnt(1)
	v_fma_f64 v[2:3], v[128:129], v[116:117], v[2:3]
	s_waitcnt vmcnt(2)
	s_delay_alu instid0(VALU_DEP_1) | instskip(SKIP_1) | instid1(VALU_DEP_1)
	v_fma_f64 v[2:3], v[138:139], v[118:119], v[2:3]
	s_waitcnt lgkmcnt(0)
	v_fma_f64 v[2:3], v[140:141], v[120:121], v[2:3]
	s_waitcnt vmcnt(1)
	s_delay_alu instid0(VALU_DEP_1)
	v_fma_f64 v[2:3], v[112:113], v[122:123], v[2:3]
	ds_load_2addr_b64 v[116:119], v1 offset0:101 offset1:102
	ds_load_b64 v[112:113], v1 offset:824
	s_waitcnt lgkmcnt(1)
	v_fma_f64 v[2:3], v[114:115], v[116:117], v[2:3]
	s_waitcnt vmcnt(0)
	s_delay_alu instid0(VALU_DEP_1) | instskip(SKIP_1) | instid1(VALU_DEP_1)
	v_fma_f64 v[2:3], v[134:135], v[118:119], v[2:3]
	s_waitcnt lgkmcnt(0)
	v_fma_f64 v[2:3], v[136:137], v[112:113], v[2:3]
	s_delay_alu instid0(VALU_DEP_1)
	v_add_f64 v[2:3], v[110:111], -v[2:3]
	scratch_store_b64 off, v[2:3], off offset:288
	v_cmpx_lt_u32_e32 35, v0
	s_cbranch_execz .LBB115_251
; %bb.250:
	scratch_load_b64 v[3:4], off, off offset:280
	v_mov_b32_e32 v2, v1
	scratch_store_b64 off, v[1:2], off offset:280
	s_waitcnt vmcnt(0)
	ds_store_b64 v5, v[3:4]
.LBB115_251:
	s_or_b32 exec_lo, exec_lo, s0
	s_waitcnt lgkmcnt(0)
	s_waitcnt_vscnt null, 0x0
	s_barrier
	buffer_gl0_inv
	s_clause 0x4
	scratch_load_b128 v[110:113], off, off offset:280
	scratch_load_b128 v[114:117], off, off offset:296
	;; [unrolled: 1-line block ×5, first 2 shown]
	ds_load_b128 v[130:133], v1 offset:704
	ds_load_b128 v[134:137], v1 offset:720
	scratch_load_b128 v[138:141], off, off offset:360
	s_mov_b32 s0, exec_lo
	s_waitcnt vmcnt(5) lgkmcnt(1)
	v_fma_f64 v[2:3], v[112:113], v[130:131], 0
	s_waitcnt vmcnt(4)
	s_delay_alu instid0(VALU_DEP_1) | instskip(SKIP_4) | instid1(VALU_DEP_1)
	v_fma_f64 v[2:3], v[114:115], v[132:133], v[2:3]
	scratch_load_b128 v[112:115], off, off offset:376
	s_waitcnt lgkmcnt(0)
	v_fma_f64 v[2:3], v[116:117], v[134:135], v[2:3]
	s_waitcnt vmcnt(4)
	v_fma_f64 v[2:3], v[118:119], v[136:137], v[2:3]
	ds_load_b128 v[116:119], v1 offset:736
	ds_load_b128 v[130:133], v1 offset:752
	scratch_load_b128 v[134:137], off, off offset:392
	s_waitcnt lgkmcnt(1)
	v_fma_f64 v[2:3], v[120:121], v[116:117], v[2:3]
	s_waitcnt vmcnt(4)
	s_delay_alu instid0(VALU_DEP_1) | instskip(SKIP_1) | instid1(VALU_DEP_1)
	v_fma_f64 v[2:3], v[122:123], v[118:119], v[2:3]
	s_waitcnt lgkmcnt(0)
	v_fma_f64 v[2:3], v[124:125], v[130:131], v[2:3]
	scratch_load_b64 v[124:125], off, off offset:408
	ds_load_b128 v[116:119], v1 offset:768
	ds_load_b128 v[120:123], v1 offset:784
	s_waitcnt vmcnt(4)
	v_fma_f64 v[2:3], v[126:127], v[132:133], v[2:3]
	s_waitcnt lgkmcnt(1)
	s_delay_alu instid0(VALU_DEP_1) | instskip(SKIP_1) | instid1(VALU_DEP_1)
	v_fma_f64 v[2:3], v[128:129], v[116:117], v[2:3]
	s_waitcnt vmcnt(3)
	v_fma_f64 v[2:3], v[138:139], v[118:119], v[2:3]
	s_waitcnt lgkmcnt(0)
	s_delay_alu instid0(VALU_DEP_1) | instskip(SKIP_1) | instid1(VALU_DEP_1)
	v_fma_f64 v[2:3], v[140:141], v[120:121], v[2:3]
	s_waitcnt vmcnt(2)
	v_fma_f64 v[112:113], v[112:113], v[122:123], v[2:3]
	ds_load_b128 v[116:119], v1 offset:800
	ds_load_b128 v[1:4], v1 offset:816
	s_waitcnt lgkmcnt(1)
	v_fma_f64 v[112:113], v[114:115], v[116:117], v[112:113]
	s_waitcnt vmcnt(1)
	s_delay_alu instid0(VALU_DEP_1) | instskip(SKIP_1) | instid1(VALU_DEP_1)
	v_fma_f64 v[112:113], v[134:135], v[118:119], v[112:113]
	s_waitcnt lgkmcnt(0)
	v_fma_f64 v[1:2], v[136:137], v[1:2], v[112:113]
	s_waitcnt vmcnt(0)
	s_delay_alu instid0(VALU_DEP_1) | instskip(NEXT) | instid1(VALU_DEP_1)
	v_fma_f64 v[1:2], v[124:125], v[3:4], v[1:2]
	v_add_f64 v[1:2], v[110:111], -v[1:2]
	scratch_store_b64 off, v[1:2], off offset:280
	v_cmpx_lt_u32_e32 34, v0
	s_cbranch_execz .LBB115_253
; %bb.252:
	scratch_load_b64 v[1:2], off, off offset:272
	v_mov_b32_e32 v3, 0
	s_delay_alu instid0(VALU_DEP_1)
	v_mov_b32_e32 v4, v3
	scratch_store_b64 off, v[3:4], off offset:272
	s_waitcnt vmcnt(0)
	ds_store_b64 v5, v[1:2]
.LBB115_253:
	s_or_b32 exec_lo, exec_lo, s0
	s_waitcnt lgkmcnt(0)
	s_waitcnt_vscnt null, 0x0
	s_barrier
	buffer_gl0_inv
	s_clause 0x4
	scratch_load_b128 v[110:113], off, off offset:272
	scratch_load_b128 v[114:117], off, off offset:288
	;; [unrolled: 1-line block ×5, first 2 shown]
	v_mov_b32_e32 v1, 0
	ds_load_2addr_b64 v[130:133], v1 offset0:87 offset1:88
	ds_load_2addr_b64 v[134:137], v1 offset0:89 offset1:90
	scratch_load_b128 v[138:141], off, off offset:352
	s_mov_b32 s0, exec_lo
	s_waitcnt vmcnt(5) lgkmcnt(1)
	v_fma_f64 v[2:3], v[112:113], v[130:131], 0
	s_waitcnt vmcnt(4)
	s_delay_alu instid0(VALU_DEP_1) | instskip(SKIP_4) | instid1(VALU_DEP_1)
	v_fma_f64 v[2:3], v[114:115], v[132:133], v[2:3]
	scratch_load_b128 v[112:115], off, off offset:368
	s_waitcnt lgkmcnt(0)
	v_fma_f64 v[2:3], v[116:117], v[134:135], v[2:3]
	s_waitcnt vmcnt(4)
	v_fma_f64 v[2:3], v[118:119], v[136:137], v[2:3]
	ds_load_2addr_b64 v[116:119], v1 offset0:91 offset1:92
	ds_load_2addr_b64 v[130:133], v1 offset0:93 offset1:94
	scratch_load_b128 v[134:137], off, off offset:384
	s_waitcnt lgkmcnt(1)
	v_fma_f64 v[2:3], v[120:121], v[116:117], v[2:3]
	s_waitcnt vmcnt(4)
	s_delay_alu instid0(VALU_DEP_1) | instskip(SKIP_4) | instid1(VALU_DEP_1)
	v_fma_f64 v[2:3], v[122:123], v[118:119], v[2:3]
	scratch_load_b128 v[116:119], off, off offset:400
	s_waitcnt lgkmcnt(0)
	v_fma_f64 v[2:3], v[124:125], v[130:131], v[2:3]
	s_waitcnt vmcnt(4)
	v_fma_f64 v[2:3], v[126:127], v[132:133], v[2:3]
	ds_load_2addr_b64 v[120:123], v1 offset0:95 offset1:96
	ds_load_2addr_b64 v[124:127], v1 offset0:97 offset1:98
	s_waitcnt lgkmcnt(1)
	v_fma_f64 v[2:3], v[128:129], v[120:121], v[2:3]
	s_waitcnt vmcnt(3)
	s_delay_alu instid0(VALU_DEP_1) | instskip(SKIP_1) | instid1(VALU_DEP_1)
	v_fma_f64 v[2:3], v[138:139], v[122:123], v[2:3]
	s_waitcnt lgkmcnt(0)
	v_fma_f64 v[2:3], v[140:141], v[124:125], v[2:3]
	s_waitcnt vmcnt(2)
	s_delay_alu instid0(VALU_DEP_1)
	v_fma_f64 v[2:3], v[112:113], v[126:127], v[2:3]
	ds_load_2addr_b64 v[120:123], v1 offset0:99 offset1:100
	ds_load_2addr_b64 v[124:127], v1 offset0:101 offset1:102
	ds_load_b64 v[112:113], v1 offset:824
	s_waitcnt lgkmcnt(2)
	v_fma_f64 v[2:3], v[114:115], v[120:121], v[2:3]
	s_waitcnt vmcnt(1)
	s_delay_alu instid0(VALU_DEP_1) | instskip(SKIP_1) | instid1(VALU_DEP_1)
	v_fma_f64 v[2:3], v[134:135], v[122:123], v[2:3]
	s_waitcnt lgkmcnt(1)
	v_fma_f64 v[2:3], v[136:137], v[124:125], v[2:3]
	s_waitcnt vmcnt(0)
	s_delay_alu instid0(VALU_DEP_1) | instskip(SKIP_1) | instid1(VALU_DEP_1)
	v_fma_f64 v[2:3], v[116:117], v[126:127], v[2:3]
	s_waitcnt lgkmcnt(0)
	v_fma_f64 v[2:3], v[118:119], v[112:113], v[2:3]
	s_delay_alu instid0(VALU_DEP_1)
	v_add_f64 v[2:3], v[110:111], -v[2:3]
	scratch_store_b64 off, v[2:3], off offset:272
	v_cmpx_lt_u32_e32 33, v0
	s_cbranch_execz .LBB115_255
; %bb.254:
	scratch_load_b64 v[3:4], off, off offset:264
	v_mov_b32_e32 v2, v1
	scratch_store_b64 off, v[1:2], off offset:264
	s_waitcnt vmcnt(0)
	ds_store_b64 v5, v[3:4]
.LBB115_255:
	s_or_b32 exec_lo, exec_lo, s0
	s_waitcnt lgkmcnt(0)
	s_waitcnt_vscnt null, 0x0
	s_barrier
	buffer_gl0_inv
	s_clause 0x4
	scratch_load_b128 v[110:113], off, off offset:264
	scratch_load_b128 v[114:117], off, off offset:280
	;; [unrolled: 1-line block ×5, first 2 shown]
	ds_load_b128 v[130:133], v1 offset:688
	ds_load_b128 v[134:137], v1 offset:704
	scratch_load_b128 v[138:141], off, off offset:344
	s_mov_b32 s0, exec_lo
	s_waitcnt vmcnt(5) lgkmcnt(1)
	v_fma_f64 v[2:3], v[112:113], v[130:131], 0
	s_waitcnt vmcnt(4)
	s_delay_alu instid0(VALU_DEP_1) | instskip(SKIP_4) | instid1(VALU_DEP_1)
	v_fma_f64 v[2:3], v[114:115], v[132:133], v[2:3]
	scratch_load_b128 v[112:115], off, off offset:360
	s_waitcnt lgkmcnt(0)
	v_fma_f64 v[2:3], v[116:117], v[134:135], v[2:3]
	s_waitcnt vmcnt(4)
	v_fma_f64 v[2:3], v[118:119], v[136:137], v[2:3]
	ds_load_b128 v[116:119], v1 offset:720
	ds_load_b128 v[130:133], v1 offset:736
	scratch_load_b128 v[134:137], off, off offset:376
	s_waitcnt lgkmcnt(1)
	v_fma_f64 v[2:3], v[120:121], v[116:117], v[2:3]
	s_waitcnt vmcnt(4)
	s_delay_alu instid0(VALU_DEP_1) | instskip(SKIP_4) | instid1(VALU_DEP_1)
	v_fma_f64 v[2:3], v[122:123], v[118:119], v[2:3]
	scratch_load_b128 v[116:119], off, off offset:392
	s_waitcnt lgkmcnt(0)
	v_fma_f64 v[2:3], v[124:125], v[130:131], v[2:3]
	s_waitcnt vmcnt(4)
	v_fma_f64 v[2:3], v[126:127], v[132:133], v[2:3]
	ds_load_b128 v[120:123], v1 offset:752
	ds_load_b128 v[124:127], v1 offset:768
	s_waitcnt lgkmcnt(1)
	v_fma_f64 v[2:3], v[128:129], v[120:121], v[2:3]
	scratch_load_b64 v[128:129], off, off offset:408
	s_waitcnt vmcnt(4)
	v_fma_f64 v[2:3], v[138:139], v[122:123], v[2:3]
	s_waitcnt lgkmcnt(0)
	s_delay_alu instid0(VALU_DEP_1) | instskip(SKIP_1) | instid1(VALU_DEP_1)
	v_fma_f64 v[2:3], v[140:141], v[124:125], v[2:3]
	s_waitcnt vmcnt(3)
	v_fma_f64 v[2:3], v[112:113], v[126:127], v[2:3]
	ds_load_b128 v[120:123], v1 offset:784
	ds_load_b128 v[124:127], v1 offset:800
	s_waitcnt lgkmcnt(1)
	v_fma_f64 v[2:3], v[114:115], v[120:121], v[2:3]
	s_waitcnt vmcnt(2)
	s_delay_alu instid0(VALU_DEP_1) | instskip(SKIP_1) | instid1(VALU_DEP_1)
	v_fma_f64 v[2:3], v[134:135], v[122:123], v[2:3]
	s_waitcnt lgkmcnt(0)
	v_fma_f64 v[2:3], v[136:137], v[124:125], v[2:3]
	s_waitcnt vmcnt(1)
	s_delay_alu instid0(VALU_DEP_1) | instskip(SKIP_4) | instid1(VALU_DEP_1)
	v_fma_f64 v[112:113], v[116:117], v[126:127], v[2:3]
	ds_load_b128 v[1:4], v1 offset:816
	s_waitcnt lgkmcnt(0)
	v_fma_f64 v[1:2], v[118:119], v[1:2], v[112:113]
	s_waitcnt vmcnt(0)
	v_fma_f64 v[1:2], v[128:129], v[3:4], v[1:2]
	s_delay_alu instid0(VALU_DEP_1)
	v_add_f64 v[1:2], v[110:111], -v[1:2]
	scratch_store_b64 off, v[1:2], off offset:264
	v_cmpx_lt_u32_e32 32, v0
	s_cbranch_execz .LBB115_257
; %bb.256:
	scratch_load_b64 v[1:2], off, off offset:256
	v_mov_b32_e32 v3, 0
	s_delay_alu instid0(VALU_DEP_1)
	v_mov_b32_e32 v4, v3
	scratch_store_b64 off, v[3:4], off offset:256
	s_waitcnt vmcnt(0)
	ds_store_b64 v5, v[1:2]
.LBB115_257:
	s_or_b32 exec_lo, exec_lo, s0
	s_waitcnt lgkmcnt(0)
	s_waitcnt_vscnt null, 0x0
	s_barrier
	buffer_gl0_inv
	s_clause 0x4
	scratch_load_b128 v[110:113], off, off offset:256
	scratch_load_b128 v[114:117], off, off offset:272
	;; [unrolled: 1-line block ×5, first 2 shown]
	v_mov_b32_e32 v1, 0
	ds_load_2addr_b64 v[130:133], v1 offset0:85 offset1:86
	ds_load_2addr_b64 v[134:137], v1 offset0:87 offset1:88
	scratch_load_b128 v[138:141], off, off offset:336
	s_mov_b32 s0, exec_lo
	s_waitcnt vmcnt(5) lgkmcnt(1)
	v_fma_f64 v[2:3], v[112:113], v[130:131], 0
	s_waitcnt vmcnt(4)
	s_delay_alu instid0(VALU_DEP_1) | instskip(SKIP_4) | instid1(VALU_DEP_1)
	v_fma_f64 v[2:3], v[114:115], v[132:133], v[2:3]
	scratch_load_b128 v[112:115], off, off offset:352
	s_waitcnt lgkmcnt(0)
	v_fma_f64 v[2:3], v[116:117], v[134:135], v[2:3]
	s_waitcnt vmcnt(4)
	v_fma_f64 v[2:3], v[118:119], v[136:137], v[2:3]
	ds_load_2addr_b64 v[116:119], v1 offset0:89 offset1:90
	ds_load_2addr_b64 v[130:133], v1 offset0:91 offset1:92
	scratch_load_b128 v[134:137], off, off offset:368
	s_waitcnt lgkmcnt(1)
	v_fma_f64 v[2:3], v[120:121], v[116:117], v[2:3]
	s_waitcnt vmcnt(4)
	s_delay_alu instid0(VALU_DEP_1) | instskip(SKIP_4) | instid1(VALU_DEP_1)
	v_fma_f64 v[2:3], v[122:123], v[118:119], v[2:3]
	scratch_load_b128 v[116:119], off, off offset:384
	s_waitcnt lgkmcnt(0)
	v_fma_f64 v[2:3], v[124:125], v[130:131], v[2:3]
	s_waitcnt vmcnt(4)
	v_fma_f64 v[2:3], v[126:127], v[132:133], v[2:3]
	ds_load_2addr_b64 v[120:123], v1 offset0:93 offset1:94
	ds_load_2addr_b64 v[124:127], v1 offset0:95 offset1:96
	s_waitcnt lgkmcnt(1)
	v_fma_f64 v[2:3], v[128:129], v[120:121], v[2:3]
	scratch_load_b128 v[128:131], off, off offset:400
	s_waitcnt vmcnt(4)
	v_fma_f64 v[2:3], v[138:139], v[122:123], v[2:3]
	s_waitcnt lgkmcnt(0)
	s_delay_alu instid0(VALU_DEP_1) | instskip(SKIP_1) | instid1(VALU_DEP_1)
	v_fma_f64 v[2:3], v[140:141], v[124:125], v[2:3]
	s_waitcnt vmcnt(3)
	v_fma_f64 v[2:3], v[112:113], v[126:127], v[2:3]
	ds_load_2addr_b64 v[120:123], v1 offset0:97 offset1:98
	ds_load_2addr_b64 v[124:127], v1 offset0:99 offset1:100
	s_waitcnt lgkmcnt(1)
	v_fma_f64 v[2:3], v[114:115], v[120:121], v[2:3]
	s_waitcnt vmcnt(2)
	s_delay_alu instid0(VALU_DEP_1) | instskip(SKIP_1) | instid1(VALU_DEP_1)
	v_fma_f64 v[2:3], v[134:135], v[122:123], v[2:3]
	s_waitcnt lgkmcnt(0)
	v_fma_f64 v[2:3], v[136:137], v[124:125], v[2:3]
	s_waitcnt vmcnt(1)
	s_delay_alu instid0(VALU_DEP_1)
	v_fma_f64 v[2:3], v[116:117], v[126:127], v[2:3]
	ds_load_2addr_b64 v[112:115], v1 offset0:101 offset1:102
	ds_load_b64 v[116:117], v1 offset:824
	s_waitcnt lgkmcnt(1)
	v_fma_f64 v[2:3], v[118:119], v[112:113], v[2:3]
	s_waitcnt vmcnt(0)
	s_delay_alu instid0(VALU_DEP_1) | instskip(SKIP_1) | instid1(VALU_DEP_1)
	v_fma_f64 v[2:3], v[128:129], v[114:115], v[2:3]
	s_waitcnt lgkmcnt(0)
	v_fma_f64 v[2:3], v[130:131], v[116:117], v[2:3]
	s_delay_alu instid0(VALU_DEP_1)
	v_add_f64 v[2:3], v[110:111], -v[2:3]
	scratch_store_b64 off, v[2:3], off offset:256
	v_cmpx_lt_u32_e32 31, v0
	s_cbranch_execz .LBB115_259
; %bb.258:
	scratch_load_b64 v[3:4], off, off offset:248
	v_mov_b32_e32 v2, v1
	scratch_store_b64 off, v[1:2], off offset:248
	s_waitcnt vmcnt(0)
	ds_store_b64 v5, v[3:4]
.LBB115_259:
	s_or_b32 exec_lo, exec_lo, s0
	s_waitcnt lgkmcnt(0)
	s_waitcnt_vscnt null, 0x0
	s_barrier
	buffer_gl0_inv
	s_clause 0x4
	scratch_load_b128 v[110:113], off, off offset:248
	scratch_load_b128 v[114:117], off, off offset:264
	;; [unrolled: 1-line block ×5, first 2 shown]
	ds_load_b128 v[130:133], v1 offset:672
	ds_load_b128 v[134:137], v1 offset:688
	scratch_load_b128 v[138:141], off, off offset:328
	s_mov_b32 s0, exec_lo
	s_waitcnt vmcnt(5) lgkmcnt(1)
	v_fma_f64 v[2:3], v[112:113], v[130:131], 0
	s_waitcnt vmcnt(4)
	s_delay_alu instid0(VALU_DEP_1) | instskip(SKIP_4) | instid1(VALU_DEP_1)
	v_fma_f64 v[2:3], v[114:115], v[132:133], v[2:3]
	scratch_load_b128 v[112:115], off, off offset:344
	s_waitcnt lgkmcnt(0)
	v_fma_f64 v[2:3], v[116:117], v[134:135], v[2:3]
	s_waitcnt vmcnt(4)
	v_fma_f64 v[2:3], v[118:119], v[136:137], v[2:3]
	ds_load_b128 v[116:119], v1 offset:704
	ds_load_b128 v[130:133], v1 offset:720
	scratch_load_b128 v[134:137], off, off offset:360
	s_waitcnt lgkmcnt(1)
	v_fma_f64 v[2:3], v[120:121], v[116:117], v[2:3]
	s_waitcnt vmcnt(4)
	s_delay_alu instid0(VALU_DEP_1) | instskip(SKIP_4) | instid1(VALU_DEP_1)
	v_fma_f64 v[2:3], v[122:123], v[118:119], v[2:3]
	scratch_load_b128 v[116:119], off, off offset:376
	s_waitcnt lgkmcnt(0)
	v_fma_f64 v[2:3], v[124:125], v[130:131], v[2:3]
	s_waitcnt vmcnt(4)
	v_fma_f64 v[2:3], v[126:127], v[132:133], v[2:3]
	ds_load_b128 v[120:123], v1 offset:736
	ds_load_b128 v[124:127], v1 offset:752
	scratch_load_b64 v[132:133], off, off offset:408
	s_waitcnt lgkmcnt(1)
	v_fma_f64 v[2:3], v[128:129], v[120:121], v[2:3]
	scratch_load_b128 v[128:131], off, off offset:392
	s_waitcnt vmcnt(5)
	v_fma_f64 v[2:3], v[138:139], v[122:123], v[2:3]
	s_waitcnt lgkmcnt(0)
	s_delay_alu instid0(VALU_DEP_1) | instskip(SKIP_1) | instid1(VALU_DEP_1)
	v_fma_f64 v[2:3], v[140:141], v[124:125], v[2:3]
	s_waitcnt vmcnt(4)
	v_fma_f64 v[2:3], v[112:113], v[126:127], v[2:3]
	ds_load_b128 v[120:123], v1 offset:768
	ds_load_b128 v[124:127], v1 offset:784
	s_waitcnt lgkmcnt(1)
	v_fma_f64 v[2:3], v[114:115], v[120:121], v[2:3]
	s_waitcnt vmcnt(3)
	s_delay_alu instid0(VALU_DEP_1) | instskip(SKIP_1) | instid1(VALU_DEP_1)
	v_fma_f64 v[2:3], v[134:135], v[122:123], v[2:3]
	s_waitcnt lgkmcnt(0)
	v_fma_f64 v[2:3], v[136:137], v[124:125], v[2:3]
	s_waitcnt vmcnt(2)
	s_delay_alu instid0(VALU_DEP_1)
	v_fma_f64 v[116:117], v[116:117], v[126:127], v[2:3]
	ds_load_b128 v[112:115], v1 offset:800
	ds_load_b128 v[1:4], v1 offset:816
	s_waitcnt lgkmcnt(1)
	v_fma_f64 v[112:113], v[118:119], v[112:113], v[116:117]
	s_waitcnt vmcnt(0)
	s_delay_alu instid0(VALU_DEP_1) | instskip(SKIP_1) | instid1(VALU_DEP_1)
	v_fma_f64 v[112:113], v[128:129], v[114:115], v[112:113]
	s_waitcnt lgkmcnt(0)
	v_fma_f64 v[1:2], v[130:131], v[1:2], v[112:113]
	s_delay_alu instid0(VALU_DEP_1) | instskip(NEXT) | instid1(VALU_DEP_1)
	v_fma_f64 v[1:2], v[132:133], v[3:4], v[1:2]
	v_add_f64 v[1:2], v[110:111], -v[1:2]
	scratch_store_b64 off, v[1:2], off offset:248
	v_cmpx_lt_u32_e32 30, v0
	s_cbranch_execz .LBB115_261
; %bb.260:
	scratch_load_b64 v[1:2], off, off offset:240
	v_mov_b32_e32 v3, 0
	s_delay_alu instid0(VALU_DEP_1)
	v_mov_b32_e32 v4, v3
	scratch_store_b64 off, v[3:4], off offset:240
	s_waitcnt vmcnt(0)
	ds_store_b64 v5, v[1:2]
.LBB115_261:
	s_or_b32 exec_lo, exec_lo, s0
	s_waitcnt lgkmcnt(0)
	s_waitcnt_vscnt null, 0x0
	s_barrier
	buffer_gl0_inv
	s_clause 0x4
	scratch_load_b128 v[110:113], off, off offset:240
	scratch_load_b128 v[114:117], off, off offset:256
	scratch_load_b128 v[118:121], off, off offset:272
	scratch_load_b128 v[122:125], off, off offset:288
	scratch_load_b128 v[126:129], off, off offset:304
	v_mov_b32_e32 v1, 0
	ds_load_2addr_b64 v[130:133], v1 offset0:83 offset1:84
	ds_load_2addr_b64 v[134:137], v1 offset0:85 offset1:86
	scratch_load_b128 v[138:141], off, off offset:320
	s_mov_b32 s0, exec_lo
	s_waitcnt vmcnt(5) lgkmcnt(1)
	v_fma_f64 v[2:3], v[112:113], v[130:131], 0
	s_waitcnt vmcnt(4)
	s_delay_alu instid0(VALU_DEP_1) | instskip(SKIP_4) | instid1(VALU_DEP_1)
	v_fma_f64 v[2:3], v[114:115], v[132:133], v[2:3]
	scratch_load_b128 v[112:115], off, off offset:336
	s_waitcnt lgkmcnt(0)
	v_fma_f64 v[2:3], v[116:117], v[134:135], v[2:3]
	s_waitcnt vmcnt(4)
	v_fma_f64 v[2:3], v[118:119], v[136:137], v[2:3]
	ds_load_2addr_b64 v[116:119], v1 offset0:87 offset1:88
	ds_load_2addr_b64 v[130:133], v1 offset0:89 offset1:90
	scratch_load_b128 v[134:137], off, off offset:352
	s_waitcnt lgkmcnt(1)
	v_fma_f64 v[2:3], v[120:121], v[116:117], v[2:3]
	s_waitcnt vmcnt(4)
	s_delay_alu instid0(VALU_DEP_1) | instskip(SKIP_4) | instid1(VALU_DEP_1)
	v_fma_f64 v[2:3], v[122:123], v[118:119], v[2:3]
	scratch_load_b128 v[116:119], off, off offset:368
	s_waitcnt lgkmcnt(0)
	v_fma_f64 v[2:3], v[124:125], v[130:131], v[2:3]
	s_waitcnt vmcnt(4)
	v_fma_f64 v[2:3], v[126:127], v[132:133], v[2:3]
	ds_load_2addr_b64 v[120:123], v1 offset0:91 offset1:92
	ds_load_2addr_b64 v[124:127], v1 offset0:93 offset1:94
	s_waitcnt lgkmcnt(1)
	v_fma_f64 v[2:3], v[128:129], v[120:121], v[2:3]
	scratch_load_b128 v[128:131], off, off offset:384
	s_waitcnt vmcnt(4)
	v_fma_f64 v[2:3], v[138:139], v[122:123], v[2:3]
	scratch_load_b128 v[120:123], off, off offset:400
	s_waitcnt lgkmcnt(0)
	v_fma_f64 v[2:3], v[140:141], v[124:125], v[2:3]
	s_waitcnt vmcnt(4)
	s_delay_alu instid0(VALU_DEP_1)
	v_fma_f64 v[2:3], v[112:113], v[126:127], v[2:3]
	ds_load_2addr_b64 v[124:127], v1 offset0:95 offset1:96
	ds_load_2addr_b64 v[138:141], v1 offset0:97 offset1:98
	s_waitcnt lgkmcnt(1)
	v_fma_f64 v[2:3], v[114:115], v[124:125], v[2:3]
	s_waitcnt vmcnt(3)
	s_delay_alu instid0(VALU_DEP_1)
	v_fma_f64 v[2:3], v[134:135], v[126:127], v[2:3]
	ds_load_2addr_b64 v[112:115], v1 offset0:99 offset1:100
	ds_load_2addr_b64 v[124:127], v1 offset0:101 offset1:102
	s_waitcnt lgkmcnt(2)
	v_fma_f64 v[2:3], v[136:137], v[138:139], v[2:3]
	s_waitcnt vmcnt(2)
	s_delay_alu instid0(VALU_DEP_1) | instskip(SKIP_1) | instid1(VALU_DEP_1)
	v_fma_f64 v[2:3], v[116:117], v[140:141], v[2:3]
	s_waitcnt lgkmcnt(1)
	v_fma_f64 v[2:3], v[118:119], v[112:113], v[2:3]
	ds_load_b64 v[112:113], v1 offset:824
	s_waitcnt vmcnt(1)
	v_fma_f64 v[2:3], v[128:129], v[114:115], v[2:3]
	s_waitcnt lgkmcnt(1)
	s_delay_alu instid0(VALU_DEP_1) | instskip(SKIP_1) | instid1(VALU_DEP_1)
	v_fma_f64 v[2:3], v[130:131], v[124:125], v[2:3]
	s_waitcnt vmcnt(0)
	v_fma_f64 v[2:3], v[120:121], v[126:127], v[2:3]
	s_waitcnt lgkmcnt(0)
	s_delay_alu instid0(VALU_DEP_1) | instskip(NEXT) | instid1(VALU_DEP_1)
	v_fma_f64 v[2:3], v[122:123], v[112:113], v[2:3]
	v_add_f64 v[2:3], v[110:111], -v[2:3]
	scratch_store_b64 off, v[2:3], off offset:240
	v_cmpx_lt_u32_e32 29, v0
	s_cbranch_execz .LBB115_263
; %bb.262:
	scratch_load_b64 v[3:4], off, off offset:232
	v_mov_b32_e32 v2, v1
	scratch_store_b64 off, v[1:2], off offset:232
	s_waitcnt vmcnt(0)
	ds_store_b64 v5, v[3:4]
.LBB115_263:
	s_or_b32 exec_lo, exec_lo, s0
	s_waitcnt lgkmcnt(0)
	s_waitcnt_vscnt null, 0x0
	s_barrier
	buffer_gl0_inv
	s_clause 0x4
	scratch_load_b128 v[110:113], off, off offset:232
	scratch_load_b128 v[114:117], off, off offset:248
	;; [unrolled: 1-line block ×5, first 2 shown]
	ds_load_b128 v[130:133], v1 offset:656
	ds_load_b128 v[134:137], v1 offset:672
	scratch_load_b128 v[138:141], off, off offset:312
	s_mov_b32 s0, exec_lo
	s_waitcnt vmcnt(5) lgkmcnt(1)
	v_fma_f64 v[2:3], v[112:113], v[130:131], 0
	s_waitcnt vmcnt(4)
	s_delay_alu instid0(VALU_DEP_1) | instskip(SKIP_4) | instid1(VALU_DEP_1)
	v_fma_f64 v[2:3], v[114:115], v[132:133], v[2:3]
	scratch_load_b128 v[112:115], off, off offset:328
	s_waitcnt lgkmcnt(0)
	v_fma_f64 v[2:3], v[116:117], v[134:135], v[2:3]
	s_waitcnt vmcnt(4)
	v_fma_f64 v[2:3], v[118:119], v[136:137], v[2:3]
	ds_load_b128 v[116:119], v1 offset:688
	ds_load_b128 v[130:133], v1 offset:704
	scratch_load_b128 v[134:137], off, off offset:344
	s_waitcnt lgkmcnt(1)
	v_fma_f64 v[2:3], v[120:121], v[116:117], v[2:3]
	s_waitcnt vmcnt(4)
	s_delay_alu instid0(VALU_DEP_1) | instskip(SKIP_4) | instid1(VALU_DEP_1)
	v_fma_f64 v[2:3], v[122:123], v[118:119], v[2:3]
	scratch_load_b128 v[116:119], off, off offset:360
	s_waitcnt lgkmcnt(0)
	v_fma_f64 v[2:3], v[124:125], v[130:131], v[2:3]
	s_waitcnt vmcnt(4)
	v_fma_f64 v[2:3], v[126:127], v[132:133], v[2:3]
	ds_load_b128 v[120:123], v1 offset:720
	ds_load_b128 v[124:127], v1 offset:736
	s_waitcnt lgkmcnt(1)
	v_fma_f64 v[2:3], v[128:129], v[120:121], v[2:3]
	scratch_load_b128 v[128:131], off, off offset:376
	s_waitcnt vmcnt(4)
	v_fma_f64 v[2:3], v[138:139], v[122:123], v[2:3]
	scratch_load_b128 v[120:123], off, off offset:392
	s_waitcnt lgkmcnt(0)
	v_fma_f64 v[2:3], v[140:141], v[124:125], v[2:3]
	s_waitcnt vmcnt(4)
	s_delay_alu instid0(VALU_DEP_1)
	v_fma_f64 v[2:3], v[112:113], v[126:127], v[2:3]
	ds_load_b128 v[124:127], v1 offset:752
	ds_load_b128 v[138:141], v1 offset:768
	scratch_load_b64 v[132:133], off, off offset:408
	s_waitcnt lgkmcnt(1)
	v_fma_f64 v[2:3], v[114:115], v[124:125], v[2:3]
	s_waitcnt vmcnt(4)
	s_delay_alu instid0(VALU_DEP_1)
	v_fma_f64 v[2:3], v[134:135], v[126:127], v[2:3]
	ds_load_b128 v[112:115], v1 offset:784
	ds_load_b128 v[124:127], v1 offset:800
	s_waitcnt lgkmcnt(2)
	v_fma_f64 v[2:3], v[136:137], v[138:139], v[2:3]
	s_waitcnt vmcnt(3)
	s_delay_alu instid0(VALU_DEP_1) | instskip(SKIP_1) | instid1(VALU_DEP_1)
	v_fma_f64 v[2:3], v[116:117], v[140:141], v[2:3]
	s_waitcnt lgkmcnt(1)
	v_fma_f64 v[2:3], v[118:119], v[112:113], v[2:3]
	s_waitcnt vmcnt(2)
	s_delay_alu instid0(VALU_DEP_1) | instskip(SKIP_1) | instid1(VALU_DEP_1)
	v_fma_f64 v[2:3], v[128:129], v[114:115], v[2:3]
	s_waitcnt lgkmcnt(0)
	v_fma_f64 v[2:3], v[130:131], v[124:125], v[2:3]
	s_waitcnt vmcnt(1)
	s_delay_alu instid0(VALU_DEP_1) | instskip(SKIP_4) | instid1(VALU_DEP_1)
	v_fma_f64 v[112:113], v[120:121], v[126:127], v[2:3]
	ds_load_b128 v[1:4], v1 offset:816
	s_waitcnt lgkmcnt(0)
	v_fma_f64 v[1:2], v[122:123], v[1:2], v[112:113]
	s_waitcnt vmcnt(0)
	v_fma_f64 v[1:2], v[132:133], v[3:4], v[1:2]
	s_delay_alu instid0(VALU_DEP_1)
	v_add_f64 v[1:2], v[110:111], -v[1:2]
	scratch_store_b64 off, v[1:2], off offset:232
	v_cmpx_lt_u32_e32 28, v0
	s_cbranch_execz .LBB115_265
; %bb.264:
	scratch_load_b64 v[1:2], off, off offset:224
	v_mov_b32_e32 v3, 0
	s_delay_alu instid0(VALU_DEP_1)
	v_mov_b32_e32 v4, v3
	scratch_store_b64 off, v[3:4], off offset:224
	s_waitcnt vmcnt(0)
	ds_store_b64 v5, v[1:2]
.LBB115_265:
	s_or_b32 exec_lo, exec_lo, s0
	s_waitcnt lgkmcnt(0)
	s_waitcnt_vscnt null, 0x0
	s_barrier
	buffer_gl0_inv
	s_clause 0x4
	scratch_load_b128 v[110:113], off, off offset:224
	scratch_load_b128 v[114:117], off, off offset:240
	;; [unrolled: 1-line block ×5, first 2 shown]
	v_mov_b32_e32 v1, 0
	ds_load_2addr_b64 v[130:133], v1 offset0:81 offset1:82
	ds_load_2addr_b64 v[134:137], v1 offset0:83 offset1:84
	scratch_load_b128 v[138:141], off, off offset:304
	s_mov_b32 s0, exec_lo
	s_waitcnt vmcnt(5) lgkmcnt(1)
	v_fma_f64 v[2:3], v[112:113], v[130:131], 0
	s_waitcnt vmcnt(4)
	s_delay_alu instid0(VALU_DEP_1) | instskip(SKIP_4) | instid1(VALU_DEP_1)
	v_fma_f64 v[2:3], v[114:115], v[132:133], v[2:3]
	scratch_load_b128 v[112:115], off, off offset:320
	s_waitcnt lgkmcnt(0)
	v_fma_f64 v[2:3], v[116:117], v[134:135], v[2:3]
	s_waitcnt vmcnt(4)
	v_fma_f64 v[2:3], v[118:119], v[136:137], v[2:3]
	ds_load_2addr_b64 v[116:119], v1 offset0:85 offset1:86
	ds_load_2addr_b64 v[130:133], v1 offset0:87 offset1:88
	scratch_load_b128 v[134:137], off, off offset:336
	s_waitcnt lgkmcnt(1)
	v_fma_f64 v[2:3], v[120:121], v[116:117], v[2:3]
	s_waitcnt vmcnt(4)
	s_delay_alu instid0(VALU_DEP_1) | instskip(SKIP_4) | instid1(VALU_DEP_1)
	v_fma_f64 v[2:3], v[122:123], v[118:119], v[2:3]
	scratch_load_b128 v[116:119], off, off offset:352
	s_waitcnt lgkmcnt(0)
	v_fma_f64 v[2:3], v[124:125], v[130:131], v[2:3]
	s_waitcnt vmcnt(4)
	v_fma_f64 v[2:3], v[126:127], v[132:133], v[2:3]
	ds_load_2addr_b64 v[120:123], v1 offset0:89 offset1:90
	ds_load_2addr_b64 v[124:127], v1 offset0:91 offset1:92
	s_waitcnt lgkmcnt(1)
	v_fma_f64 v[2:3], v[128:129], v[120:121], v[2:3]
	scratch_load_b128 v[128:131], off, off offset:368
	s_waitcnt vmcnt(4)
	v_fma_f64 v[2:3], v[138:139], v[122:123], v[2:3]
	scratch_load_b128 v[120:123], off, off offset:384
	s_waitcnt lgkmcnt(0)
	v_fma_f64 v[2:3], v[140:141], v[124:125], v[2:3]
	s_waitcnt vmcnt(4)
	s_delay_alu instid0(VALU_DEP_1)
	v_fma_f64 v[2:3], v[112:113], v[126:127], v[2:3]
	ds_load_2addr_b64 v[124:127], v1 offset0:93 offset1:94
	ds_load_2addr_b64 v[138:141], v1 offset0:95 offset1:96
	s_waitcnt lgkmcnt(1)
	v_fma_f64 v[2:3], v[114:115], v[124:125], v[2:3]
	scratch_load_b128 v[112:115], off, off offset:400
	s_waitcnt vmcnt(4)
	v_fma_f64 v[2:3], v[134:135], v[126:127], v[2:3]
	ds_load_2addr_b64 v[124:127], v1 offset0:97 offset1:98
	ds_load_2addr_b64 v[132:135], v1 offset0:99 offset1:100
	s_waitcnt lgkmcnt(2)
	v_fma_f64 v[2:3], v[136:137], v[138:139], v[2:3]
	s_waitcnt vmcnt(3)
	s_delay_alu instid0(VALU_DEP_1) | instskip(SKIP_1) | instid1(VALU_DEP_1)
	v_fma_f64 v[2:3], v[116:117], v[140:141], v[2:3]
	s_waitcnt lgkmcnt(1)
	v_fma_f64 v[2:3], v[118:119], v[124:125], v[2:3]
	s_waitcnt vmcnt(2)
	s_delay_alu instid0(VALU_DEP_1) | instskip(SKIP_1) | instid1(VALU_DEP_1)
	v_fma_f64 v[2:3], v[128:129], v[126:127], v[2:3]
	s_waitcnt lgkmcnt(0)
	v_fma_f64 v[2:3], v[130:131], v[132:133], v[2:3]
	s_waitcnt vmcnt(1)
	s_delay_alu instid0(VALU_DEP_1)
	v_fma_f64 v[2:3], v[120:121], v[134:135], v[2:3]
	ds_load_2addr_b64 v[116:119], v1 offset0:101 offset1:102
	ds_load_b64 v[120:121], v1 offset:824
	s_waitcnt lgkmcnt(1)
	v_fma_f64 v[2:3], v[122:123], v[116:117], v[2:3]
	s_waitcnt vmcnt(0)
	s_delay_alu instid0(VALU_DEP_1) | instskip(SKIP_1) | instid1(VALU_DEP_1)
	v_fma_f64 v[2:3], v[112:113], v[118:119], v[2:3]
	s_waitcnt lgkmcnt(0)
	v_fma_f64 v[2:3], v[114:115], v[120:121], v[2:3]
	s_delay_alu instid0(VALU_DEP_1)
	v_add_f64 v[2:3], v[110:111], -v[2:3]
	scratch_store_b64 off, v[2:3], off offset:224
	v_cmpx_lt_u32_e32 27, v0
	s_cbranch_execz .LBB115_267
; %bb.266:
	scratch_load_b64 v[3:4], off, off offset:216
	v_mov_b32_e32 v2, v1
	scratch_store_b64 off, v[1:2], off offset:216
	s_waitcnt vmcnt(0)
	ds_store_b64 v5, v[3:4]
.LBB115_267:
	s_or_b32 exec_lo, exec_lo, s0
	s_waitcnt lgkmcnt(0)
	s_waitcnt_vscnt null, 0x0
	s_barrier
	buffer_gl0_inv
	s_clause 0x4
	scratch_load_b128 v[110:113], off, off offset:216
	scratch_load_b128 v[114:117], off, off offset:232
	;; [unrolled: 1-line block ×5, first 2 shown]
	ds_load_b128 v[130:133], v1 offset:640
	ds_load_b128 v[134:137], v1 offset:656
	scratch_load_b128 v[138:141], off, off offset:296
	s_mov_b32 s0, exec_lo
	s_waitcnt vmcnt(5) lgkmcnt(1)
	v_fma_f64 v[2:3], v[112:113], v[130:131], 0
	s_waitcnt vmcnt(4)
	s_delay_alu instid0(VALU_DEP_1) | instskip(SKIP_4) | instid1(VALU_DEP_1)
	v_fma_f64 v[2:3], v[114:115], v[132:133], v[2:3]
	scratch_load_b128 v[112:115], off, off offset:312
	s_waitcnt lgkmcnt(0)
	v_fma_f64 v[2:3], v[116:117], v[134:135], v[2:3]
	s_waitcnt vmcnt(4)
	v_fma_f64 v[2:3], v[118:119], v[136:137], v[2:3]
	ds_load_b128 v[116:119], v1 offset:672
	ds_load_b128 v[130:133], v1 offset:688
	scratch_load_b128 v[134:137], off, off offset:328
	s_waitcnt lgkmcnt(1)
	v_fma_f64 v[2:3], v[120:121], v[116:117], v[2:3]
	s_waitcnt vmcnt(4)
	s_delay_alu instid0(VALU_DEP_1) | instskip(SKIP_4) | instid1(VALU_DEP_1)
	v_fma_f64 v[2:3], v[122:123], v[118:119], v[2:3]
	scratch_load_b128 v[116:119], off, off offset:344
	s_waitcnt lgkmcnt(0)
	v_fma_f64 v[2:3], v[124:125], v[130:131], v[2:3]
	s_waitcnt vmcnt(4)
	v_fma_f64 v[2:3], v[126:127], v[132:133], v[2:3]
	ds_load_b128 v[120:123], v1 offset:704
	ds_load_b128 v[124:127], v1 offset:720
	s_waitcnt lgkmcnt(1)
	v_fma_f64 v[2:3], v[128:129], v[120:121], v[2:3]
	scratch_load_b128 v[128:131], off, off offset:360
	s_waitcnt vmcnt(4)
	v_fma_f64 v[2:3], v[138:139], v[122:123], v[2:3]
	scratch_load_b128 v[120:123], off, off offset:376
	s_waitcnt lgkmcnt(0)
	v_fma_f64 v[2:3], v[140:141], v[124:125], v[2:3]
	s_waitcnt vmcnt(4)
	s_delay_alu instid0(VALU_DEP_1)
	v_fma_f64 v[2:3], v[112:113], v[126:127], v[2:3]
	ds_load_b128 v[124:127], v1 offset:736
	ds_load_b128 v[138:141], v1 offset:752
	s_waitcnt lgkmcnt(1)
	v_fma_f64 v[2:3], v[114:115], v[124:125], v[2:3]
	scratch_load_b128 v[112:115], off, off offset:392
	s_waitcnt vmcnt(4)
	v_fma_f64 v[2:3], v[134:135], v[126:127], v[2:3]
	s_waitcnt lgkmcnt(0)
	s_delay_alu instid0(VALU_DEP_1)
	v_fma_f64 v[2:3], v[136:137], v[138:139], v[2:3]
	scratch_load_b64 v[136:137], off, off offset:408
	ds_load_b128 v[124:127], v1 offset:768
	ds_load_b128 v[132:135], v1 offset:784
	s_waitcnt vmcnt(4)
	v_fma_f64 v[2:3], v[116:117], v[140:141], v[2:3]
	s_waitcnt lgkmcnt(1)
	s_delay_alu instid0(VALU_DEP_1) | instskip(SKIP_1) | instid1(VALU_DEP_1)
	v_fma_f64 v[2:3], v[118:119], v[124:125], v[2:3]
	s_waitcnt vmcnt(3)
	v_fma_f64 v[2:3], v[128:129], v[126:127], v[2:3]
	s_waitcnt lgkmcnt(0)
	s_delay_alu instid0(VALU_DEP_1) | instskip(SKIP_1) | instid1(VALU_DEP_1)
	v_fma_f64 v[2:3], v[130:131], v[132:133], v[2:3]
	s_waitcnt vmcnt(2)
	v_fma_f64 v[120:121], v[120:121], v[134:135], v[2:3]
	ds_load_b128 v[116:119], v1 offset:800
	ds_load_b128 v[1:4], v1 offset:816
	s_waitcnt lgkmcnt(1)
	v_fma_f64 v[116:117], v[122:123], v[116:117], v[120:121]
	s_waitcnt vmcnt(1)
	s_delay_alu instid0(VALU_DEP_1) | instskip(SKIP_1) | instid1(VALU_DEP_1)
	v_fma_f64 v[112:113], v[112:113], v[118:119], v[116:117]
	s_waitcnt lgkmcnt(0)
	v_fma_f64 v[1:2], v[114:115], v[1:2], v[112:113]
	s_waitcnt vmcnt(0)
	s_delay_alu instid0(VALU_DEP_1) | instskip(NEXT) | instid1(VALU_DEP_1)
	v_fma_f64 v[1:2], v[136:137], v[3:4], v[1:2]
	v_add_f64 v[1:2], v[110:111], -v[1:2]
	scratch_store_b64 off, v[1:2], off offset:216
	v_cmpx_lt_u32_e32 26, v0
	s_cbranch_execz .LBB115_269
; %bb.268:
	scratch_load_b64 v[1:2], off, off offset:208
	v_mov_b32_e32 v3, 0
	s_delay_alu instid0(VALU_DEP_1)
	v_mov_b32_e32 v4, v3
	scratch_store_b64 off, v[3:4], off offset:208
	s_waitcnt vmcnt(0)
	ds_store_b64 v5, v[1:2]
.LBB115_269:
	s_or_b32 exec_lo, exec_lo, s0
	s_waitcnt lgkmcnt(0)
	s_waitcnt_vscnt null, 0x0
	s_barrier
	buffer_gl0_inv
	s_clause 0x4
	scratch_load_b128 v[110:113], off, off offset:208
	scratch_load_b128 v[114:117], off, off offset:224
	;; [unrolled: 1-line block ×5, first 2 shown]
	v_mov_b32_e32 v1, 0
	ds_load_2addr_b64 v[130:133], v1 offset0:79 offset1:80
	ds_load_2addr_b64 v[134:137], v1 offset0:81 offset1:82
	scratch_load_b128 v[138:141], off, off offset:288
	s_mov_b32 s0, exec_lo
	s_waitcnt vmcnt(5) lgkmcnt(1)
	v_fma_f64 v[2:3], v[112:113], v[130:131], 0
	s_waitcnt vmcnt(4)
	s_delay_alu instid0(VALU_DEP_1) | instskip(SKIP_4) | instid1(VALU_DEP_1)
	v_fma_f64 v[2:3], v[114:115], v[132:133], v[2:3]
	scratch_load_b128 v[112:115], off, off offset:304
	s_waitcnt lgkmcnt(0)
	v_fma_f64 v[2:3], v[116:117], v[134:135], v[2:3]
	s_waitcnt vmcnt(4)
	v_fma_f64 v[2:3], v[118:119], v[136:137], v[2:3]
	ds_load_2addr_b64 v[116:119], v1 offset0:83 offset1:84
	ds_load_2addr_b64 v[130:133], v1 offset0:85 offset1:86
	scratch_load_b128 v[134:137], off, off offset:320
	s_waitcnt lgkmcnt(1)
	v_fma_f64 v[2:3], v[120:121], v[116:117], v[2:3]
	s_waitcnt vmcnt(4)
	s_delay_alu instid0(VALU_DEP_1) | instskip(SKIP_4) | instid1(VALU_DEP_1)
	v_fma_f64 v[2:3], v[122:123], v[118:119], v[2:3]
	scratch_load_b128 v[116:119], off, off offset:336
	s_waitcnt lgkmcnt(0)
	v_fma_f64 v[2:3], v[124:125], v[130:131], v[2:3]
	s_waitcnt vmcnt(4)
	v_fma_f64 v[2:3], v[126:127], v[132:133], v[2:3]
	ds_load_2addr_b64 v[120:123], v1 offset0:87 offset1:88
	ds_load_2addr_b64 v[124:127], v1 offset0:89 offset1:90
	s_waitcnt lgkmcnt(1)
	v_fma_f64 v[2:3], v[128:129], v[120:121], v[2:3]
	scratch_load_b128 v[128:131], off, off offset:352
	s_waitcnt vmcnt(4)
	v_fma_f64 v[2:3], v[138:139], v[122:123], v[2:3]
	scratch_load_b128 v[120:123], off, off offset:368
	s_waitcnt lgkmcnt(0)
	v_fma_f64 v[2:3], v[140:141], v[124:125], v[2:3]
	s_waitcnt vmcnt(4)
	s_delay_alu instid0(VALU_DEP_1)
	v_fma_f64 v[2:3], v[112:113], v[126:127], v[2:3]
	ds_load_2addr_b64 v[124:127], v1 offset0:91 offset1:92
	ds_load_2addr_b64 v[138:141], v1 offset0:93 offset1:94
	s_waitcnt lgkmcnt(1)
	v_fma_f64 v[2:3], v[114:115], v[124:125], v[2:3]
	scratch_load_b128 v[112:115], off, off offset:384
	s_waitcnt vmcnt(4)
	v_fma_f64 v[2:3], v[134:135], v[126:127], v[2:3]
	scratch_load_b128 v[124:127], off, off offset:400
	s_waitcnt lgkmcnt(0)
	v_fma_f64 v[2:3], v[136:137], v[138:139], v[2:3]
	ds_load_2addr_b64 v[132:135], v1 offset0:95 offset1:96
	ds_load_2addr_b64 v[136:139], v1 offset0:97 offset1:98
	s_waitcnt vmcnt(4)
	v_fma_f64 v[2:3], v[116:117], v[140:141], v[2:3]
	s_waitcnt lgkmcnt(1)
	s_delay_alu instid0(VALU_DEP_1) | instskip(SKIP_1) | instid1(VALU_DEP_1)
	v_fma_f64 v[2:3], v[118:119], v[132:133], v[2:3]
	s_waitcnt vmcnt(3)
	v_fma_f64 v[2:3], v[128:129], v[134:135], v[2:3]
	s_waitcnt lgkmcnt(0)
	s_delay_alu instid0(VALU_DEP_1)
	v_fma_f64 v[2:3], v[130:131], v[136:137], v[2:3]
	ds_load_2addr_b64 v[116:119], v1 offset0:99 offset1:100
	ds_load_2addr_b64 v[128:131], v1 offset0:101 offset1:102
	s_waitcnt vmcnt(2)
	v_fma_f64 v[2:3], v[120:121], v[138:139], v[2:3]
	s_waitcnt lgkmcnt(1)
	s_delay_alu instid0(VALU_DEP_1) | instskip(SKIP_1) | instid1(VALU_DEP_1)
	v_fma_f64 v[2:3], v[122:123], v[116:117], v[2:3]
	s_waitcnt vmcnt(1)
	v_fma_f64 v[2:3], v[112:113], v[118:119], v[2:3]
	ds_load_b64 v[112:113], v1 offset:824
	s_waitcnt lgkmcnt(1)
	v_fma_f64 v[2:3], v[114:115], v[128:129], v[2:3]
	s_waitcnt vmcnt(0)
	s_delay_alu instid0(VALU_DEP_1) | instskip(SKIP_1) | instid1(VALU_DEP_1)
	v_fma_f64 v[2:3], v[124:125], v[130:131], v[2:3]
	s_waitcnt lgkmcnt(0)
	v_fma_f64 v[2:3], v[126:127], v[112:113], v[2:3]
	s_delay_alu instid0(VALU_DEP_1)
	v_add_f64 v[2:3], v[110:111], -v[2:3]
	scratch_store_b64 off, v[2:3], off offset:208
	v_cmpx_lt_u32_e32 25, v0
	s_cbranch_execz .LBB115_271
; %bb.270:
	scratch_load_b64 v[3:4], off, off offset:200
	v_mov_b32_e32 v2, v1
	scratch_store_b64 off, v[1:2], off offset:200
	s_waitcnt vmcnt(0)
	ds_store_b64 v5, v[3:4]
.LBB115_271:
	s_or_b32 exec_lo, exec_lo, s0
	s_waitcnt lgkmcnt(0)
	s_waitcnt_vscnt null, 0x0
	s_barrier
	buffer_gl0_inv
	s_clause 0x4
	scratch_load_b128 v[110:113], off, off offset:200
	scratch_load_b128 v[114:117], off, off offset:216
	;; [unrolled: 1-line block ×5, first 2 shown]
	ds_load_b128 v[130:133], v1 offset:624
	ds_load_b128 v[134:137], v1 offset:640
	scratch_load_b128 v[138:141], off, off offset:280
	s_mov_b32 s0, exec_lo
	s_waitcnt vmcnt(5) lgkmcnt(1)
	v_fma_f64 v[2:3], v[112:113], v[130:131], 0
	s_waitcnt vmcnt(4)
	s_delay_alu instid0(VALU_DEP_1) | instskip(SKIP_4) | instid1(VALU_DEP_1)
	v_fma_f64 v[2:3], v[114:115], v[132:133], v[2:3]
	scratch_load_b128 v[112:115], off, off offset:296
	s_waitcnt lgkmcnt(0)
	v_fma_f64 v[2:3], v[116:117], v[134:135], v[2:3]
	s_waitcnt vmcnt(4)
	v_fma_f64 v[2:3], v[118:119], v[136:137], v[2:3]
	ds_load_b128 v[116:119], v1 offset:656
	ds_load_b128 v[130:133], v1 offset:672
	scratch_load_b128 v[134:137], off, off offset:312
	s_waitcnt lgkmcnt(1)
	v_fma_f64 v[2:3], v[120:121], v[116:117], v[2:3]
	s_waitcnt vmcnt(4)
	s_delay_alu instid0(VALU_DEP_1) | instskip(SKIP_4) | instid1(VALU_DEP_1)
	v_fma_f64 v[2:3], v[122:123], v[118:119], v[2:3]
	scratch_load_b128 v[116:119], off, off offset:328
	s_waitcnt lgkmcnt(0)
	v_fma_f64 v[2:3], v[124:125], v[130:131], v[2:3]
	s_waitcnt vmcnt(4)
	v_fma_f64 v[2:3], v[126:127], v[132:133], v[2:3]
	ds_load_b128 v[120:123], v1 offset:688
	ds_load_b128 v[124:127], v1 offset:704
	s_waitcnt lgkmcnt(1)
	v_fma_f64 v[2:3], v[128:129], v[120:121], v[2:3]
	scratch_load_b128 v[128:131], off, off offset:344
	s_waitcnt vmcnt(4)
	v_fma_f64 v[2:3], v[138:139], v[122:123], v[2:3]
	scratch_load_b128 v[120:123], off, off offset:360
	s_waitcnt lgkmcnt(0)
	v_fma_f64 v[2:3], v[140:141], v[124:125], v[2:3]
	s_waitcnt vmcnt(4)
	s_delay_alu instid0(VALU_DEP_1)
	v_fma_f64 v[2:3], v[112:113], v[126:127], v[2:3]
	ds_load_b128 v[124:127], v1 offset:720
	ds_load_b128 v[138:141], v1 offset:736
	s_waitcnt lgkmcnt(1)
	v_fma_f64 v[2:3], v[114:115], v[124:125], v[2:3]
	scratch_load_b128 v[112:115], off, off offset:376
	s_waitcnt vmcnt(4)
	v_fma_f64 v[2:3], v[134:135], v[126:127], v[2:3]
	scratch_load_b128 v[124:127], off, off offset:392
	s_waitcnt lgkmcnt(0)
	v_fma_f64 v[2:3], v[136:137], v[138:139], v[2:3]
	ds_load_b128 v[132:135], v1 offset:752
	ds_load_b128 v[136:139], v1 offset:768
	s_waitcnt vmcnt(4)
	v_fma_f64 v[2:3], v[116:117], v[140:141], v[2:3]
	s_waitcnt lgkmcnt(1)
	s_delay_alu instid0(VALU_DEP_1) | instskip(SKIP_4) | instid1(VALU_DEP_1)
	v_fma_f64 v[2:3], v[118:119], v[132:133], v[2:3]
	scratch_load_b64 v[132:133], off, off offset:408
	s_waitcnt vmcnt(4)
	v_fma_f64 v[2:3], v[128:129], v[134:135], v[2:3]
	s_waitcnt lgkmcnt(0)
	v_fma_f64 v[2:3], v[130:131], v[136:137], v[2:3]
	ds_load_b128 v[116:119], v1 offset:784
	ds_load_b128 v[128:131], v1 offset:800
	s_waitcnt vmcnt(3)
	v_fma_f64 v[2:3], v[120:121], v[138:139], v[2:3]
	s_waitcnt lgkmcnt(1)
	s_delay_alu instid0(VALU_DEP_1) | instskip(SKIP_1) | instid1(VALU_DEP_1)
	v_fma_f64 v[2:3], v[122:123], v[116:117], v[2:3]
	s_waitcnt vmcnt(2)
	v_fma_f64 v[2:3], v[112:113], v[118:119], v[2:3]
	s_waitcnt lgkmcnt(0)
	s_delay_alu instid0(VALU_DEP_1) | instskip(SKIP_1) | instid1(VALU_DEP_1)
	v_fma_f64 v[2:3], v[114:115], v[128:129], v[2:3]
	s_waitcnt vmcnt(1)
	v_fma_f64 v[112:113], v[124:125], v[130:131], v[2:3]
	ds_load_b128 v[1:4], v1 offset:816
	s_waitcnt lgkmcnt(0)
	v_fma_f64 v[1:2], v[126:127], v[1:2], v[112:113]
	s_waitcnt vmcnt(0)
	s_delay_alu instid0(VALU_DEP_1) | instskip(NEXT) | instid1(VALU_DEP_1)
	v_fma_f64 v[1:2], v[132:133], v[3:4], v[1:2]
	v_add_f64 v[1:2], v[110:111], -v[1:2]
	scratch_store_b64 off, v[1:2], off offset:200
	v_cmpx_lt_u32_e32 24, v0
	s_cbranch_execz .LBB115_273
; %bb.272:
	scratch_load_b64 v[1:2], off, off offset:192
	v_mov_b32_e32 v3, 0
	s_delay_alu instid0(VALU_DEP_1)
	v_mov_b32_e32 v4, v3
	scratch_store_b64 off, v[3:4], off offset:192
	s_waitcnt vmcnt(0)
	ds_store_b64 v5, v[1:2]
.LBB115_273:
	s_or_b32 exec_lo, exec_lo, s0
	s_waitcnt lgkmcnt(0)
	s_waitcnt_vscnt null, 0x0
	s_barrier
	buffer_gl0_inv
	s_clause 0x4
	scratch_load_b128 v[110:113], off, off offset:192
	scratch_load_b128 v[114:117], off, off offset:208
	;; [unrolled: 1-line block ×5, first 2 shown]
	v_mov_b32_e32 v1, 0
	ds_load_2addr_b64 v[130:133], v1 offset0:77 offset1:78
	ds_load_2addr_b64 v[134:137], v1 offset0:79 offset1:80
	scratch_load_b128 v[138:141], off, off offset:272
	s_mov_b32 s0, exec_lo
	s_waitcnt vmcnt(5) lgkmcnt(1)
	v_fma_f64 v[2:3], v[112:113], v[130:131], 0
	s_waitcnt vmcnt(4)
	s_delay_alu instid0(VALU_DEP_1) | instskip(SKIP_4) | instid1(VALU_DEP_1)
	v_fma_f64 v[2:3], v[114:115], v[132:133], v[2:3]
	scratch_load_b128 v[112:115], off, off offset:288
	s_waitcnt lgkmcnt(0)
	v_fma_f64 v[2:3], v[116:117], v[134:135], v[2:3]
	s_waitcnt vmcnt(4)
	v_fma_f64 v[2:3], v[118:119], v[136:137], v[2:3]
	ds_load_2addr_b64 v[116:119], v1 offset0:81 offset1:82
	ds_load_2addr_b64 v[130:133], v1 offset0:83 offset1:84
	scratch_load_b128 v[134:137], off, off offset:304
	s_waitcnt lgkmcnt(1)
	v_fma_f64 v[2:3], v[120:121], v[116:117], v[2:3]
	s_waitcnt vmcnt(4)
	s_delay_alu instid0(VALU_DEP_1) | instskip(SKIP_4) | instid1(VALU_DEP_1)
	v_fma_f64 v[2:3], v[122:123], v[118:119], v[2:3]
	scratch_load_b128 v[116:119], off, off offset:320
	s_waitcnt lgkmcnt(0)
	v_fma_f64 v[2:3], v[124:125], v[130:131], v[2:3]
	s_waitcnt vmcnt(4)
	v_fma_f64 v[2:3], v[126:127], v[132:133], v[2:3]
	ds_load_2addr_b64 v[120:123], v1 offset0:85 offset1:86
	ds_load_2addr_b64 v[124:127], v1 offset0:87 offset1:88
	s_waitcnt lgkmcnt(1)
	v_fma_f64 v[2:3], v[128:129], v[120:121], v[2:3]
	scratch_load_b128 v[128:131], off, off offset:336
	s_waitcnt vmcnt(4)
	v_fma_f64 v[2:3], v[138:139], v[122:123], v[2:3]
	scratch_load_b128 v[120:123], off, off offset:352
	s_waitcnt lgkmcnt(0)
	v_fma_f64 v[2:3], v[140:141], v[124:125], v[2:3]
	s_waitcnt vmcnt(4)
	s_delay_alu instid0(VALU_DEP_1)
	v_fma_f64 v[2:3], v[112:113], v[126:127], v[2:3]
	ds_load_2addr_b64 v[124:127], v1 offset0:89 offset1:90
	ds_load_2addr_b64 v[138:141], v1 offset0:91 offset1:92
	s_waitcnt lgkmcnt(1)
	v_fma_f64 v[2:3], v[114:115], v[124:125], v[2:3]
	scratch_load_b128 v[112:115], off, off offset:368
	s_waitcnt vmcnt(4)
	v_fma_f64 v[2:3], v[134:135], v[126:127], v[2:3]
	scratch_load_b128 v[124:127], off, off offset:384
	s_waitcnt lgkmcnt(0)
	v_fma_f64 v[2:3], v[136:137], v[138:139], v[2:3]
	ds_load_2addr_b64 v[132:135], v1 offset0:93 offset1:94
	ds_load_2addr_b64 v[136:139], v1 offset0:95 offset1:96
	s_waitcnt vmcnt(4)
	v_fma_f64 v[2:3], v[116:117], v[140:141], v[2:3]
	s_waitcnt lgkmcnt(1)
	s_delay_alu instid0(VALU_DEP_1) | instskip(SKIP_4) | instid1(VALU_DEP_1)
	v_fma_f64 v[2:3], v[118:119], v[132:133], v[2:3]
	scratch_load_b128 v[116:119], off, off offset:400
	s_waitcnt vmcnt(4)
	v_fma_f64 v[2:3], v[128:129], v[134:135], v[2:3]
	s_waitcnt lgkmcnt(0)
	v_fma_f64 v[2:3], v[130:131], v[136:137], v[2:3]
	ds_load_2addr_b64 v[128:131], v1 offset0:97 offset1:98
	ds_load_2addr_b64 v[132:135], v1 offset0:99 offset1:100
	s_waitcnt vmcnt(3)
	v_fma_f64 v[2:3], v[120:121], v[138:139], v[2:3]
	s_waitcnt lgkmcnt(1)
	s_delay_alu instid0(VALU_DEP_1) | instskip(SKIP_1) | instid1(VALU_DEP_1)
	v_fma_f64 v[2:3], v[122:123], v[128:129], v[2:3]
	s_waitcnt vmcnt(2)
	v_fma_f64 v[2:3], v[112:113], v[130:131], v[2:3]
	s_waitcnt lgkmcnt(0)
	s_delay_alu instid0(VALU_DEP_1)
	v_fma_f64 v[2:3], v[114:115], v[132:133], v[2:3]
	ds_load_2addr_b64 v[112:115], v1 offset0:101 offset1:102
	ds_load_b64 v[120:121], v1 offset:824
	s_waitcnt vmcnt(1)
	v_fma_f64 v[2:3], v[124:125], v[134:135], v[2:3]
	s_waitcnt lgkmcnt(1)
	s_delay_alu instid0(VALU_DEP_1) | instskip(SKIP_1) | instid1(VALU_DEP_1)
	v_fma_f64 v[2:3], v[126:127], v[112:113], v[2:3]
	s_waitcnt vmcnt(0)
	v_fma_f64 v[2:3], v[116:117], v[114:115], v[2:3]
	s_waitcnt lgkmcnt(0)
	s_delay_alu instid0(VALU_DEP_1) | instskip(NEXT) | instid1(VALU_DEP_1)
	v_fma_f64 v[2:3], v[118:119], v[120:121], v[2:3]
	v_add_f64 v[2:3], v[110:111], -v[2:3]
	scratch_store_b64 off, v[2:3], off offset:192
	v_cmpx_lt_u32_e32 23, v0
	s_cbranch_execz .LBB115_275
; %bb.274:
	scratch_load_b64 v[3:4], off, off offset:184
	v_mov_b32_e32 v2, v1
	scratch_store_b64 off, v[1:2], off offset:184
	s_waitcnt vmcnt(0)
	ds_store_b64 v5, v[3:4]
.LBB115_275:
	s_or_b32 exec_lo, exec_lo, s0
	s_waitcnt lgkmcnt(0)
	s_waitcnt_vscnt null, 0x0
	s_barrier
	buffer_gl0_inv
	s_clause 0x4
	scratch_load_b128 v[110:113], off, off offset:184
	scratch_load_b128 v[114:117], off, off offset:200
	;; [unrolled: 1-line block ×5, first 2 shown]
	ds_load_b128 v[130:133], v1 offset:608
	ds_load_b128 v[134:137], v1 offset:624
	scratch_load_b128 v[138:141], off, off offset:264
	s_mov_b32 s0, exec_lo
	s_waitcnt vmcnt(5) lgkmcnt(1)
	v_fma_f64 v[2:3], v[112:113], v[130:131], 0
	s_waitcnt vmcnt(4)
	s_delay_alu instid0(VALU_DEP_1) | instskip(SKIP_4) | instid1(VALU_DEP_1)
	v_fma_f64 v[2:3], v[114:115], v[132:133], v[2:3]
	scratch_load_b128 v[112:115], off, off offset:280
	s_waitcnt lgkmcnt(0)
	v_fma_f64 v[2:3], v[116:117], v[134:135], v[2:3]
	s_waitcnt vmcnt(4)
	v_fma_f64 v[2:3], v[118:119], v[136:137], v[2:3]
	ds_load_b128 v[116:119], v1 offset:640
	ds_load_b128 v[130:133], v1 offset:656
	scratch_load_b128 v[134:137], off, off offset:296
	s_waitcnt lgkmcnt(1)
	v_fma_f64 v[2:3], v[120:121], v[116:117], v[2:3]
	s_waitcnt vmcnt(4)
	s_delay_alu instid0(VALU_DEP_1) | instskip(SKIP_4) | instid1(VALU_DEP_1)
	v_fma_f64 v[2:3], v[122:123], v[118:119], v[2:3]
	scratch_load_b128 v[116:119], off, off offset:312
	s_waitcnt lgkmcnt(0)
	v_fma_f64 v[2:3], v[124:125], v[130:131], v[2:3]
	s_waitcnt vmcnt(4)
	v_fma_f64 v[2:3], v[126:127], v[132:133], v[2:3]
	ds_load_b128 v[120:123], v1 offset:672
	ds_load_b128 v[124:127], v1 offset:688
	s_waitcnt lgkmcnt(1)
	v_fma_f64 v[2:3], v[128:129], v[120:121], v[2:3]
	scratch_load_b128 v[128:131], off, off offset:328
	s_waitcnt vmcnt(4)
	v_fma_f64 v[2:3], v[138:139], v[122:123], v[2:3]
	scratch_load_b128 v[120:123], off, off offset:344
	s_waitcnt lgkmcnt(0)
	v_fma_f64 v[2:3], v[140:141], v[124:125], v[2:3]
	s_waitcnt vmcnt(4)
	s_delay_alu instid0(VALU_DEP_1)
	v_fma_f64 v[2:3], v[112:113], v[126:127], v[2:3]
	ds_load_b128 v[124:127], v1 offset:704
	ds_load_b128 v[138:141], v1 offset:720
	s_waitcnt lgkmcnt(1)
	v_fma_f64 v[2:3], v[114:115], v[124:125], v[2:3]
	scratch_load_b128 v[112:115], off, off offset:360
	s_waitcnt vmcnt(4)
	v_fma_f64 v[2:3], v[134:135], v[126:127], v[2:3]
	scratch_load_b128 v[124:127], off, off offset:376
	s_waitcnt lgkmcnt(0)
	v_fma_f64 v[2:3], v[136:137], v[138:139], v[2:3]
	ds_load_b128 v[132:135], v1 offset:736
	ds_load_b128 v[136:139], v1 offset:752
	s_waitcnt vmcnt(4)
	v_fma_f64 v[2:3], v[116:117], v[140:141], v[2:3]
	s_waitcnt lgkmcnt(1)
	s_delay_alu instid0(VALU_DEP_1) | instskip(SKIP_4) | instid1(VALU_DEP_1)
	v_fma_f64 v[2:3], v[118:119], v[132:133], v[2:3]
	scratch_load_b128 v[116:119], off, off offset:392
	s_waitcnt vmcnt(4)
	v_fma_f64 v[2:3], v[128:129], v[134:135], v[2:3]
	s_waitcnt lgkmcnt(0)
	v_fma_f64 v[2:3], v[130:131], v[136:137], v[2:3]
	scratch_load_b64 v[136:137], off, off offset:408
	ds_load_b128 v[128:131], v1 offset:768
	ds_load_b128 v[132:135], v1 offset:784
	s_waitcnt vmcnt(4)
	v_fma_f64 v[2:3], v[120:121], v[138:139], v[2:3]
	s_waitcnt lgkmcnt(1)
	s_delay_alu instid0(VALU_DEP_1) | instskip(SKIP_1) | instid1(VALU_DEP_1)
	v_fma_f64 v[2:3], v[122:123], v[128:129], v[2:3]
	s_waitcnt vmcnt(3)
	v_fma_f64 v[2:3], v[112:113], v[130:131], v[2:3]
	s_waitcnt lgkmcnt(0)
	s_delay_alu instid0(VALU_DEP_1) | instskip(SKIP_1) | instid1(VALU_DEP_1)
	v_fma_f64 v[2:3], v[114:115], v[132:133], v[2:3]
	s_waitcnt vmcnt(2)
	v_fma_f64 v[120:121], v[124:125], v[134:135], v[2:3]
	ds_load_b128 v[112:115], v1 offset:800
	ds_load_b128 v[1:4], v1 offset:816
	s_waitcnt lgkmcnt(1)
	v_fma_f64 v[112:113], v[126:127], v[112:113], v[120:121]
	s_waitcnt vmcnt(1)
	s_delay_alu instid0(VALU_DEP_1) | instskip(SKIP_1) | instid1(VALU_DEP_1)
	v_fma_f64 v[112:113], v[116:117], v[114:115], v[112:113]
	s_waitcnt lgkmcnt(0)
	v_fma_f64 v[1:2], v[118:119], v[1:2], v[112:113]
	s_waitcnt vmcnt(0)
	s_delay_alu instid0(VALU_DEP_1) | instskip(NEXT) | instid1(VALU_DEP_1)
	v_fma_f64 v[1:2], v[136:137], v[3:4], v[1:2]
	v_add_f64 v[1:2], v[110:111], -v[1:2]
	scratch_store_b64 off, v[1:2], off offset:184
	v_cmpx_lt_u32_e32 22, v0
	s_cbranch_execz .LBB115_277
; %bb.276:
	scratch_load_b64 v[1:2], off, off offset:176
	v_mov_b32_e32 v3, 0
	s_delay_alu instid0(VALU_DEP_1)
	v_mov_b32_e32 v4, v3
	scratch_store_b64 off, v[3:4], off offset:176
	s_waitcnt vmcnt(0)
	ds_store_b64 v5, v[1:2]
.LBB115_277:
	s_or_b32 exec_lo, exec_lo, s0
	s_waitcnt lgkmcnt(0)
	s_waitcnt_vscnt null, 0x0
	s_barrier
	buffer_gl0_inv
	s_clause 0x4
	scratch_load_b128 v[110:113], off, off offset:176
	scratch_load_b128 v[114:117], off, off offset:192
	;; [unrolled: 1-line block ×5, first 2 shown]
	v_mov_b32_e32 v1, 0
	ds_load_2addr_b64 v[130:133], v1 offset0:75 offset1:76
	ds_load_2addr_b64 v[134:137], v1 offset0:77 offset1:78
	scratch_load_b128 v[138:141], off, off offset:256
	s_mov_b32 s0, exec_lo
	s_waitcnt vmcnt(5) lgkmcnt(1)
	v_fma_f64 v[2:3], v[112:113], v[130:131], 0
	s_waitcnt vmcnt(4)
	s_delay_alu instid0(VALU_DEP_1) | instskip(SKIP_4) | instid1(VALU_DEP_1)
	v_fma_f64 v[2:3], v[114:115], v[132:133], v[2:3]
	scratch_load_b128 v[112:115], off, off offset:272
	s_waitcnt lgkmcnt(0)
	v_fma_f64 v[2:3], v[116:117], v[134:135], v[2:3]
	s_waitcnt vmcnt(4)
	v_fma_f64 v[2:3], v[118:119], v[136:137], v[2:3]
	ds_load_2addr_b64 v[116:119], v1 offset0:79 offset1:80
	ds_load_2addr_b64 v[130:133], v1 offset0:81 offset1:82
	scratch_load_b128 v[134:137], off, off offset:288
	s_waitcnt lgkmcnt(1)
	v_fma_f64 v[2:3], v[120:121], v[116:117], v[2:3]
	s_waitcnt vmcnt(4)
	s_delay_alu instid0(VALU_DEP_1) | instskip(SKIP_4) | instid1(VALU_DEP_1)
	v_fma_f64 v[2:3], v[122:123], v[118:119], v[2:3]
	scratch_load_b128 v[116:119], off, off offset:304
	s_waitcnt lgkmcnt(0)
	v_fma_f64 v[2:3], v[124:125], v[130:131], v[2:3]
	s_waitcnt vmcnt(4)
	v_fma_f64 v[2:3], v[126:127], v[132:133], v[2:3]
	ds_load_2addr_b64 v[120:123], v1 offset0:83 offset1:84
	ds_load_2addr_b64 v[124:127], v1 offset0:85 offset1:86
	s_waitcnt lgkmcnt(1)
	v_fma_f64 v[2:3], v[128:129], v[120:121], v[2:3]
	scratch_load_b128 v[128:131], off, off offset:320
	s_waitcnt vmcnt(4)
	v_fma_f64 v[2:3], v[138:139], v[122:123], v[2:3]
	scratch_load_b128 v[120:123], off, off offset:336
	s_waitcnt lgkmcnt(0)
	v_fma_f64 v[2:3], v[140:141], v[124:125], v[2:3]
	s_waitcnt vmcnt(4)
	s_delay_alu instid0(VALU_DEP_1)
	v_fma_f64 v[2:3], v[112:113], v[126:127], v[2:3]
	ds_load_2addr_b64 v[124:127], v1 offset0:87 offset1:88
	ds_load_2addr_b64 v[138:141], v1 offset0:89 offset1:90
	s_waitcnt lgkmcnt(1)
	v_fma_f64 v[2:3], v[114:115], v[124:125], v[2:3]
	scratch_load_b128 v[112:115], off, off offset:352
	s_waitcnt vmcnt(4)
	v_fma_f64 v[2:3], v[134:135], v[126:127], v[2:3]
	scratch_load_b128 v[124:127], off, off offset:368
	s_waitcnt lgkmcnt(0)
	v_fma_f64 v[2:3], v[136:137], v[138:139], v[2:3]
	ds_load_2addr_b64 v[132:135], v1 offset0:91 offset1:92
	ds_load_2addr_b64 v[136:139], v1 offset0:93 offset1:94
	s_waitcnt vmcnt(4)
	v_fma_f64 v[2:3], v[116:117], v[140:141], v[2:3]
	s_waitcnt lgkmcnt(1)
	s_delay_alu instid0(VALU_DEP_1) | instskip(SKIP_4) | instid1(VALU_DEP_1)
	v_fma_f64 v[2:3], v[118:119], v[132:133], v[2:3]
	scratch_load_b128 v[116:119], off, off offset:384
	s_waitcnt vmcnt(4)
	v_fma_f64 v[2:3], v[128:129], v[134:135], v[2:3]
	s_waitcnt lgkmcnt(0)
	v_fma_f64 v[2:3], v[130:131], v[136:137], v[2:3]
	scratch_load_b128 v[128:131], off, off offset:400
	s_waitcnt vmcnt(4)
	v_fma_f64 v[2:3], v[120:121], v[138:139], v[2:3]
	ds_load_2addr_b64 v[132:135], v1 offset0:95 offset1:96
	ds_load_2addr_b64 v[136:139], v1 offset0:97 offset1:98
	s_waitcnt lgkmcnt(1)
	v_fma_f64 v[2:3], v[122:123], v[132:133], v[2:3]
	s_waitcnt vmcnt(3)
	s_delay_alu instid0(VALU_DEP_1) | instskip(SKIP_1) | instid1(VALU_DEP_1)
	v_fma_f64 v[2:3], v[112:113], v[134:135], v[2:3]
	s_waitcnt lgkmcnt(0)
	v_fma_f64 v[2:3], v[114:115], v[136:137], v[2:3]
	ds_load_2addr_b64 v[112:115], v1 offset0:99 offset1:100
	ds_load_2addr_b64 v[120:123], v1 offset0:101 offset1:102
	s_waitcnt vmcnt(2)
	v_fma_f64 v[2:3], v[124:125], v[138:139], v[2:3]
	s_waitcnt lgkmcnt(1)
	s_delay_alu instid0(VALU_DEP_1) | instskip(SKIP_4) | instid1(VALU_DEP_1)
	v_fma_f64 v[2:3], v[126:127], v[112:113], v[2:3]
	ds_load_b64 v[112:113], v1 offset:824
	s_waitcnt vmcnt(1)
	v_fma_f64 v[2:3], v[116:117], v[114:115], v[2:3]
	s_waitcnt lgkmcnt(1)
	v_fma_f64 v[2:3], v[118:119], v[120:121], v[2:3]
	s_waitcnt vmcnt(0)
	s_delay_alu instid0(VALU_DEP_1) | instskip(SKIP_1) | instid1(VALU_DEP_1)
	v_fma_f64 v[2:3], v[128:129], v[122:123], v[2:3]
	s_waitcnt lgkmcnt(0)
	v_fma_f64 v[2:3], v[130:131], v[112:113], v[2:3]
	s_delay_alu instid0(VALU_DEP_1)
	v_add_f64 v[2:3], v[110:111], -v[2:3]
	scratch_store_b64 off, v[2:3], off offset:176
	v_cmpx_lt_u32_e32 21, v0
	s_cbranch_execz .LBB115_279
; %bb.278:
	scratch_load_b64 v[3:4], off, off offset:168
	v_mov_b32_e32 v2, v1
	scratch_store_b64 off, v[1:2], off offset:168
	s_waitcnt vmcnt(0)
	ds_store_b64 v5, v[3:4]
.LBB115_279:
	s_or_b32 exec_lo, exec_lo, s0
	s_waitcnt lgkmcnt(0)
	s_waitcnt_vscnt null, 0x0
	s_barrier
	buffer_gl0_inv
	s_clause 0x4
	scratch_load_b128 v[110:113], off, off offset:168
	scratch_load_b128 v[114:117], off, off offset:184
	;; [unrolled: 1-line block ×5, first 2 shown]
	ds_load_b128 v[130:133], v1 offset:592
	ds_load_b128 v[134:137], v1 offset:608
	scratch_load_b128 v[138:141], off, off offset:248
	s_mov_b32 s0, exec_lo
	s_waitcnt vmcnt(5) lgkmcnt(1)
	v_fma_f64 v[2:3], v[112:113], v[130:131], 0
	s_waitcnt vmcnt(4)
	s_delay_alu instid0(VALU_DEP_1) | instskip(SKIP_4) | instid1(VALU_DEP_1)
	v_fma_f64 v[2:3], v[114:115], v[132:133], v[2:3]
	scratch_load_b128 v[112:115], off, off offset:264
	s_waitcnt lgkmcnt(0)
	v_fma_f64 v[2:3], v[116:117], v[134:135], v[2:3]
	s_waitcnt vmcnt(4)
	v_fma_f64 v[2:3], v[118:119], v[136:137], v[2:3]
	ds_load_b128 v[116:119], v1 offset:624
	ds_load_b128 v[130:133], v1 offset:640
	scratch_load_b128 v[134:137], off, off offset:280
	s_waitcnt lgkmcnt(1)
	v_fma_f64 v[2:3], v[120:121], v[116:117], v[2:3]
	s_waitcnt vmcnt(4)
	s_delay_alu instid0(VALU_DEP_1) | instskip(SKIP_4) | instid1(VALU_DEP_1)
	v_fma_f64 v[2:3], v[122:123], v[118:119], v[2:3]
	scratch_load_b128 v[116:119], off, off offset:296
	s_waitcnt lgkmcnt(0)
	v_fma_f64 v[2:3], v[124:125], v[130:131], v[2:3]
	s_waitcnt vmcnt(4)
	v_fma_f64 v[2:3], v[126:127], v[132:133], v[2:3]
	ds_load_b128 v[120:123], v1 offset:656
	ds_load_b128 v[124:127], v1 offset:672
	s_waitcnt lgkmcnt(1)
	v_fma_f64 v[2:3], v[128:129], v[120:121], v[2:3]
	scratch_load_b128 v[128:131], off, off offset:312
	s_waitcnt vmcnt(4)
	v_fma_f64 v[2:3], v[138:139], v[122:123], v[2:3]
	scratch_load_b128 v[120:123], off, off offset:328
	s_waitcnt lgkmcnt(0)
	v_fma_f64 v[2:3], v[140:141], v[124:125], v[2:3]
	s_waitcnt vmcnt(4)
	s_delay_alu instid0(VALU_DEP_1)
	v_fma_f64 v[2:3], v[112:113], v[126:127], v[2:3]
	ds_load_b128 v[124:127], v1 offset:688
	ds_load_b128 v[138:141], v1 offset:704
	s_waitcnt lgkmcnt(1)
	v_fma_f64 v[2:3], v[114:115], v[124:125], v[2:3]
	scratch_load_b128 v[112:115], off, off offset:344
	s_waitcnt vmcnt(4)
	v_fma_f64 v[2:3], v[134:135], v[126:127], v[2:3]
	scratch_load_b128 v[124:127], off, off offset:360
	s_waitcnt lgkmcnt(0)
	v_fma_f64 v[2:3], v[136:137], v[138:139], v[2:3]
	ds_load_b128 v[132:135], v1 offset:720
	ds_load_b128 v[136:139], v1 offset:736
	s_waitcnt vmcnt(4)
	v_fma_f64 v[2:3], v[116:117], v[140:141], v[2:3]
	s_waitcnt lgkmcnt(1)
	s_delay_alu instid0(VALU_DEP_1) | instskip(SKIP_4) | instid1(VALU_DEP_1)
	v_fma_f64 v[2:3], v[118:119], v[132:133], v[2:3]
	scratch_load_b128 v[116:119], off, off offset:376
	s_waitcnt vmcnt(4)
	v_fma_f64 v[2:3], v[128:129], v[134:135], v[2:3]
	s_waitcnt lgkmcnt(0)
	v_fma_f64 v[2:3], v[130:131], v[136:137], v[2:3]
	scratch_load_b128 v[128:131], off, off offset:392
	s_waitcnt vmcnt(4)
	v_fma_f64 v[2:3], v[120:121], v[138:139], v[2:3]
	ds_load_b128 v[132:135], v1 offset:752
	ds_load_b128 v[136:139], v1 offset:768
	s_waitcnt lgkmcnt(1)
	v_fma_f64 v[2:3], v[122:123], v[132:133], v[2:3]
	scratch_load_b64 v[132:133], off, off offset:408
	s_waitcnt vmcnt(4)
	v_fma_f64 v[2:3], v[112:113], v[134:135], v[2:3]
	s_waitcnt lgkmcnt(0)
	s_delay_alu instid0(VALU_DEP_1)
	v_fma_f64 v[2:3], v[114:115], v[136:137], v[2:3]
	ds_load_b128 v[112:115], v1 offset:784
	ds_load_b128 v[120:123], v1 offset:800
	s_waitcnt vmcnt(3)
	v_fma_f64 v[2:3], v[124:125], v[138:139], v[2:3]
	s_waitcnt lgkmcnt(1)
	s_delay_alu instid0(VALU_DEP_1) | instskip(SKIP_1) | instid1(VALU_DEP_1)
	v_fma_f64 v[2:3], v[126:127], v[112:113], v[2:3]
	s_waitcnt vmcnt(2)
	v_fma_f64 v[2:3], v[116:117], v[114:115], v[2:3]
	s_waitcnt lgkmcnt(0)
	s_delay_alu instid0(VALU_DEP_1) | instskip(SKIP_1) | instid1(VALU_DEP_1)
	v_fma_f64 v[2:3], v[118:119], v[120:121], v[2:3]
	s_waitcnt vmcnt(1)
	v_fma_f64 v[112:113], v[128:129], v[122:123], v[2:3]
	ds_load_b128 v[1:4], v1 offset:816
	s_waitcnt lgkmcnt(0)
	v_fma_f64 v[1:2], v[130:131], v[1:2], v[112:113]
	s_waitcnt vmcnt(0)
	s_delay_alu instid0(VALU_DEP_1) | instskip(NEXT) | instid1(VALU_DEP_1)
	v_fma_f64 v[1:2], v[132:133], v[3:4], v[1:2]
	v_add_f64 v[1:2], v[110:111], -v[1:2]
	scratch_store_b64 off, v[1:2], off offset:168
	v_cmpx_lt_u32_e32 20, v0
	s_cbranch_execz .LBB115_281
; %bb.280:
	scratch_load_b64 v[1:2], off, off offset:160
	v_mov_b32_e32 v3, 0
	s_delay_alu instid0(VALU_DEP_1)
	v_mov_b32_e32 v4, v3
	scratch_store_b64 off, v[3:4], off offset:160
	s_waitcnt vmcnt(0)
	ds_store_b64 v5, v[1:2]
.LBB115_281:
	s_or_b32 exec_lo, exec_lo, s0
	s_waitcnt lgkmcnt(0)
	s_waitcnt_vscnt null, 0x0
	s_barrier
	buffer_gl0_inv
	s_clause 0x4
	scratch_load_b128 v[110:113], off, off offset:160
	scratch_load_b128 v[114:117], off, off offset:176
	;; [unrolled: 1-line block ×5, first 2 shown]
	v_mov_b32_e32 v1, 0
	ds_load_2addr_b64 v[130:133], v1 offset0:73 offset1:74
	ds_load_2addr_b64 v[134:137], v1 offset0:75 offset1:76
	scratch_load_b128 v[138:141], off, off offset:240
	s_mov_b32 s0, exec_lo
	s_waitcnt vmcnt(5) lgkmcnt(1)
	v_fma_f64 v[2:3], v[112:113], v[130:131], 0
	s_waitcnt vmcnt(4)
	s_delay_alu instid0(VALU_DEP_1) | instskip(SKIP_4) | instid1(VALU_DEP_1)
	v_fma_f64 v[2:3], v[114:115], v[132:133], v[2:3]
	scratch_load_b128 v[112:115], off, off offset:256
	s_waitcnt lgkmcnt(0)
	v_fma_f64 v[2:3], v[116:117], v[134:135], v[2:3]
	s_waitcnt vmcnt(4)
	v_fma_f64 v[2:3], v[118:119], v[136:137], v[2:3]
	ds_load_2addr_b64 v[116:119], v1 offset0:77 offset1:78
	ds_load_2addr_b64 v[130:133], v1 offset0:79 offset1:80
	scratch_load_b128 v[134:137], off, off offset:272
	s_waitcnt lgkmcnt(1)
	v_fma_f64 v[2:3], v[120:121], v[116:117], v[2:3]
	s_waitcnt vmcnt(4)
	s_delay_alu instid0(VALU_DEP_1) | instskip(SKIP_4) | instid1(VALU_DEP_1)
	v_fma_f64 v[2:3], v[122:123], v[118:119], v[2:3]
	scratch_load_b128 v[116:119], off, off offset:288
	s_waitcnt lgkmcnt(0)
	v_fma_f64 v[2:3], v[124:125], v[130:131], v[2:3]
	s_waitcnt vmcnt(4)
	v_fma_f64 v[2:3], v[126:127], v[132:133], v[2:3]
	ds_load_2addr_b64 v[120:123], v1 offset0:81 offset1:82
	ds_load_2addr_b64 v[124:127], v1 offset0:83 offset1:84
	s_waitcnt lgkmcnt(1)
	v_fma_f64 v[2:3], v[128:129], v[120:121], v[2:3]
	scratch_load_b128 v[128:131], off, off offset:304
	s_waitcnt vmcnt(4)
	v_fma_f64 v[2:3], v[138:139], v[122:123], v[2:3]
	scratch_load_b128 v[120:123], off, off offset:320
	s_waitcnt lgkmcnt(0)
	v_fma_f64 v[2:3], v[140:141], v[124:125], v[2:3]
	s_waitcnt vmcnt(4)
	s_delay_alu instid0(VALU_DEP_1)
	v_fma_f64 v[2:3], v[112:113], v[126:127], v[2:3]
	ds_load_2addr_b64 v[124:127], v1 offset0:85 offset1:86
	ds_load_2addr_b64 v[138:141], v1 offset0:87 offset1:88
	s_waitcnt lgkmcnt(1)
	v_fma_f64 v[2:3], v[114:115], v[124:125], v[2:3]
	scratch_load_b128 v[112:115], off, off offset:336
	s_waitcnt vmcnt(4)
	v_fma_f64 v[2:3], v[134:135], v[126:127], v[2:3]
	scratch_load_b128 v[124:127], off, off offset:352
	s_waitcnt lgkmcnt(0)
	v_fma_f64 v[2:3], v[136:137], v[138:139], v[2:3]
	ds_load_2addr_b64 v[132:135], v1 offset0:89 offset1:90
	ds_load_2addr_b64 v[136:139], v1 offset0:91 offset1:92
	s_waitcnt vmcnt(4)
	v_fma_f64 v[2:3], v[116:117], v[140:141], v[2:3]
	s_waitcnt lgkmcnt(1)
	s_delay_alu instid0(VALU_DEP_1) | instskip(SKIP_4) | instid1(VALU_DEP_1)
	v_fma_f64 v[2:3], v[118:119], v[132:133], v[2:3]
	scratch_load_b128 v[116:119], off, off offset:368
	s_waitcnt vmcnt(4)
	v_fma_f64 v[2:3], v[128:129], v[134:135], v[2:3]
	s_waitcnt lgkmcnt(0)
	v_fma_f64 v[2:3], v[130:131], v[136:137], v[2:3]
	scratch_load_b128 v[128:131], off, off offset:384
	s_waitcnt vmcnt(4)
	v_fma_f64 v[2:3], v[120:121], v[138:139], v[2:3]
	ds_load_2addr_b64 v[132:135], v1 offset0:93 offset1:94
	ds_load_2addr_b64 v[136:139], v1 offset0:95 offset1:96
	s_waitcnt lgkmcnt(1)
	v_fma_f64 v[2:3], v[122:123], v[132:133], v[2:3]
	scratch_load_b128 v[120:123], off, off offset:400
	s_waitcnt vmcnt(4)
	v_fma_f64 v[2:3], v[112:113], v[134:135], v[2:3]
	s_waitcnt lgkmcnt(0)
	s_delay_alu instid0(VALU_DEP_1)
	v_fma_f64 v[2:3], v[114:115], v[136:137], v[2:3]
	ds_load_2addr_b64 v[112:115], v1 offset0:97 offset1:98
	ds_load_2addr_b64 v[132:135], v1 offset0:99 offset1:100
	s_waitcnt vmcnt(3)
	v_fma_f64 v[2:3], v[124:125], v[138:139], v[2:3]
	s_waitcnt lgkmcnt(1)
	s_delay_alu instid0(VALU_DEP_1) | instskip(SKIP_1) | instid1(VALU_DEP_1)
	v_fma_f64 v[2:3], v[126:127], v[112:113], v[2:3]
	s_waitcnt vmcnt(2)
	v_fma_f64 v[2:3], v[116:117], v[114:115], v[2:3]
	ds_load_2addr_b64 v[112:115], v1 offset0:101 offset1:102
	ds_load_b64 v[116:117], v1 offset:824
	s_waitcnt lgkmcnt(2)
	v_fma_f64 v[2:3], v[118:119], v[132:133], v[2:3]
	s_waitcnt vmcnt(1)
	s_delay_alu instid0(VALU_DEP_1) | instskip(SKIP_1) | instid1(VALU_DEP_1)
	v_fma_f64 v[2:3], v[128:129], v[134:135], v[2:3]
	s_waitcnt lgkmcnt(1)
	v_fma_f64 v[2:3], v[130:131], v[112:113], v[2:3]
	s_waitcnt vmcnt(0)
	s_delay_alu instid0(VALU_DEP_1) | instskip(SKIP_1) | instid1(VALU_DEP_1)
	v_fma_f64 v[2:3], v[120:121], v[114:115], v[2:3]
	s_waitcnt lgkmcnt(0)
	v_fma_f64 v[2:3], v[122:123], v[116:117], v[2:3]
	s_delay_alu instid0(VALU_DEP_1)
	v_add_f64 v[2:3], v[110:111], -v[2:3]
	scratch_store_b64 off, v[2:3], off offset:160
	v_cmpx_lt_u32_e32 19, v0
	s_cbranch_execz .LBB115_283
; %bb.282:
	scratch_load_b64 v[3:4], off, off offset:152
	v_mov_b32_e32 v2, v1
	scratch_store_b64 off, v[1:2], off offset:152
	s_waitcnt vmcnt(0)
	ds_store_b64 v5, v[3:4]
.LBB115_283:
	s_or_b32 exec_lo, exec_lo, s0
	s_waitcnt lgkmcnt(0)
	s_waitcnt_vscnt null, 0x0
	s_barrier
	buffer_gl0_inv
	s_clause 0x4
	scratch_load_b128 v[110:113], off, off offset:152
	scratch_load_b128 v[114:117], off, off offset:168
	;; [unrolled: 1-line block ×5, first 2 shown]
	ds_load_b128 v[130:133], v1 offset:576
	ds_load_b128 v[134:137], v1 offset:592
	scratch_load_b128 v[138:141], off, off offset:232
	s_mov_b32 s0, exec_lo
	s_waitcnt vmcnt(5) lgkmcnt(1)
	v_fma_f64 v[2:3], v[112:113], v[130:131], 0
	s_waitcnt vmcnt(4)
	s_delay_alu instid0(VALU_DEP_1) | instskip(SKIP_4) | instid1(VALU_DEP_1)
	v_fma_f64 v[2:3], v[114:115], v[132:133], v[2:3]
	scratch_load_b128 v[112:115], off, off offset:248
	s_waitcnt lgkmcnt(0)
	v_fma_f64 v[2:3], v[116:117], v[134:135], v[2:3]
	s_waitcnt vmcnt(4)
	v_fma_f64 v[2:3], v[118:119], v[136:137], v[2:3]
	ds_load_b128 v[116:119], v1 offset:608
	ds_load_b128 v[130:133], v1 offset:624
	scratch_load_b128 v[134:137], off, off offset:264
	s_waitcnt lgkmcnt(1)
	v_fma_f64 v[2:3], v[120:121], v[116:117], v[2:3]
	s_waitcnt vmcnt(4)
	s_delay_alu instid0(VALU_DEP_1) | instskip(SKIP_4) | instid1(VALU_DEP_1)
	v_fma_f64 v[2:3], v[122:123], v[118:119], v[2:3]
	scratch_load_b128 v[116:119], off, off offset:280
	s_waitcnt lgkmcnt(0)
	v_fma_f64 v[2:3], v[124:125], v[130:131], v[2:3]
	s_waitcnt vmcnt(4)
	v_fma_f64 v[2:3], v[126:127], v[132:133], v[2:3]
	ds_load_b128 v[120:123], v1 offset:640
	ds_load_b128 v[124:127], v1 offset:656
	s_waitcnt lgkmcnt(1)
	v_fma_f64 v[2:3], v[128:129], v[120:121], v[2:3]
	scratch_load_b128 v[128:131], off, off offset:296
	s_waitcnt vmcnt(4)
	v_fma_f64 v[2:3], v[138:139], v[122:123], v[2:3]
	scratch_load_b128 v[120:123], off, off offset:312
	s_waitcnt lgkmcnt(0)
	v_fma_f64 v[2:3], v[140:141], v[124:125], v[2:3]
	s_waitcnt vmcnt(4)
	s_delay_alu instid0(VALU_DEP_1)
	v_fma_f64 v[2:3], v[112:113], v[126:127], v[2:3]
	ds_load_b128 v[124:127], v1 offset:672
	ds_load_b128 v[138:141], v1 offset:688
	s_waitcnt lgkmcnt(1)
	v_fma_f64 v[2:3], v[114:115], v[124:125], v[2:3]
	scratch_load_b128 v[112:115], off, off offset:328
	s_waitcnt vmcnt(4)
	v_fma_f64 v[2:3], v[134:135], v[126:127], v[2:3]
	scratch_load_b128 v[124:127], off, off offset:344
	s_waitcnt lgkmcnt(0)
	v_fma_f64 v[2:3], v[136:137], v[138:139], v[2:3]
	ds_load_b128 v[132:135], v1 offset:704
	ds_load_b128 v[136:139], v1 offset:720
	s_waitcnt vmcnt(4)
	v_fma_f64 v[2:3], v[116:117], v[140:141], v[2:3]
	s_waitcnt lgkmcnt(1)
	s_delay_alu instid0(VALU_DEP_1) | instskip(SKIP_4) | instid1(VALU_DEP_1)
	v_fma_f64 v[2:3], v[118:119], v[132:133], v[2:3]
	scratch_load_b128 v[116:119], off, off offset:360
	s_waitcnt vmcnt(4)
	v_fma_f64 v[2:3], v[128:129], v[134:135], v[2:3]
	s_waitcnt lgkmcnt(0)
	v_fma_f64 v[2:3], v[130:131], v[136:137], v[2:3]
	scratch_load_b128 v[128:131], off, off offset:376
	s_waitcnt vmcnt(4)
	v_fma_f64 v[2:3], v[120:121], v[138:139], v[2:3]
	ds_load_b128 v[132:135], v1 offset:736
	ds_load_b128 v[136:139], v1 offset:752
	s_waitcnt lgkmcnt(1)
	v_fma_f64 v[2:3], v[122:123], v[132:133], v[2:3]
	scratch_load_b128 v[120:123], off, off offset:392
	s_waitcnt vmcnt(4)
	v_fma_f64 v[2:3], v[112:113], v[134:135], v[2:3]
	s_waitcnt lgkmcnt(0)
	s_delay_alu instid0(VALU_DEP_1)
	v_fma_f64 v[2:3], v[114:115], v[136:137], v[2:3]
	scratch_load_b64 v[136:137], off, off offset:408
	ds_load_b128 v[112:115], v1 offset:768
	ds_load_b128 v[132:135], v1 offset:784
	s_waitcnt vmcnt(4)
	v_fma_f64 v[2:3], v[124:125], v[138:139], v[2:3]
	s_waitcnt lgkmcnt(1)
	s_delay_alu instid0(VALU_DEP_1) | instskip(SKIP_1) | instid1(VALU_DEP_1)
	v_fma_f64 v[2:3], v[126:127], v[112:113], v[2:3]
	s_waitcnt vmcnt(3)
	v_fma_f64 v[2:3], v[116:117], v[114:115], v[2:3]
	s_waitcnt lgkmcnt(0)
	s_delay_alu instid0(VALU_DEP_1) | instskip(SKIP_1) | instid1(VALU_DEP_1)
	v_fma_f64 v[2:3], v[118:119], v[132:133], v[2:3]
	s_waitcnt vmcnt(2)
	v_fma_f64 v[116:117], v[128:129], v[134:135], v[2:3]
	ds_load_b128 v[112:115], v1 offset:800
	ds_load_b128 v[1:4], v1 offset:816
	s_waitcnt lgkmcnt(1)
	v_fma_f64 v[112:113], v[130:131], v[112:113], v[116:117]
	s_waitcnt vmcnt(1)
	s_delay_alu instid0(VALU_DEP_1) | instskip(SKIP_1) | instid1(VALU_DEP_1)
	v_fma_f64 v[112:113], v[120:121], v[114:115], v[112:113]
	s_waitcnt lgkmcnt(0)
	v_fma_f64 v[1:2], v[122:123], v[1:2], v[112:113]
	s_waitcnt vmcnt(0)
	s_delay_alu instid0(VALU_DEP_1) | instskip(NEXT) | instid1(VALU_DEP_1)
	v_fma_f64 v[1:2], v[136:137], v[3:4], v[1:2]
	v_add_f64 v[1:2], v[110:111], -v[1:2]
	scratch_store_b64 off, v[1:2], off offset:152
	v_cmpx_lt_u32_e32 18, v0
	s_cbranch_execz .LBB115_285
; %bb.284:
	scratch_load_b64 v[1:2], off, off offset:144
	v_mov_b32_e32 v3, 0
	s_delay_alu instid0(VALU_DEP_1)
	v_mov_b32_e32 v4, v3
	scratch_store_b64 off, v[3:4], off offset:144
	s_waitcnt vmcnt(0)
	ds_store_b64 v5, v[1:2]
.LBB115_285:
	s_or_b32 exec_lo, exec_lo, s0
	s_waitcnt lgkmcnt(0)
	s_waitcnt_vscnt null, 0x0
	s_barrier
	buffer_gl0_inv
	s_clause 0x4
	scratch_load_b128 v[110:113], off, off offset:144
	scratch_load_b128 v[114:117], off, off offset:160
	;; [unrolled: 1-line block ×5, first 2 shown]
	v_mov_b32_e32 v1, 0
	ds_load_2addr_b64 v[130:133], v1 offset0:71 offset1:72
	ds_load_2addr_b64 v[134:137], v1 offset0:73 offset1:74
	scratch_load_b128 v[138:141], off, off offset:224
	s_mov_b32 s0, exec_lo
	s_waitcnt vmcnt(5) lgkmcnt(1)
	v_fma_f64 v[2:3], v[112:113], v[130:131], 0
	s_waitcnt vmcnt(4)
	s_delay_alu instid0(VALU_DEP_1) | instskip(SKIP_4) | instid1(VALU_DEP_1)
	v_fma_f64 v[2:3], v[114:115], v[132:133], v[2:3]
	scratch_load_b128 v[112:115], off, off offset:240
	s_waitcnt lgkmcnt(0)
	v_fma_f64 v[2:3], v[116:117], v[134:135], v[2:3]
	s_waitcnt vmcnt(4)
	v_fma_f64 v[2:3], v[118:119], v[136:137], v[2:3]
	ds_load_2addr_b64 v[116:119], v1 offset0:75 offset1:76
	ds_load_2addr_b64 v[130:133], v1 offset0:77 offset1:78
	scratch_load_b128 v[134:137], off, off offset:256
	s_waitcnt lgkmcnt(1)
	v_fma_f64 v[2:3], v[120:121], v[116:117], v[2:3]
	s_waitcnt vmcnt(4)
	s_delay_alu instid0(VALU_DEP_1) | instskip(SKIP_4) | instid1(VALU_DEP_1)
	v_fma_f64 v[2:3], v[122:123], v[118:119], v[2:3]
	scratch_load_b128 v[116:119], off, off offset:272
	s_waitcnt lgkmcnt(0)
	v_fma_f64 v[2:3], v[124:125], v[130:131], v[2:3]
	s_waitcnt vmcnt(4)
	v_fma_f64 v[2:3], v[126:127], v[132:133], v[2:3]
	ds_load_2addr_b64 v[120:123], v1 offset0:79 offset1:80
	ds_load_2addr_b64 v[124:127], v1 offset0:81 offset1:82
	s_waitcnt lgkmcnt(1)
	v_fma_f64 v[2:3], v[128:129], v[120:121], v[2:3]
	scratch_load_b128 v[128:131], off, off offset:288
	s_waitcnt vmcnt(4)
	v_fma_f64 v[2:3], v[138:139], v[122:123], v[2:3]
	scratch_load_b128 v[120:123], off, off offset:304
	s_waitcnt lgkmcnt(0)
	v_fma_f64 v[2:3], v[140:141], v[124:125], v[2:3]
	s_waitcnt vmcnt(4)
	s_delay_alu instid0(VALU_DEP_1)
	v_fma_f64 v[2:3], v[112:113], v[126:127], v[2:3]
	ds_load_2addr_b64 v[124:127], v1 offset0:83 offset1:84
	ds_load_2addr_b64 v[138:141], v1 offset0:85 offset1:86
	s_waitcnt lgkmcnt(1)
	v_fma_f64 v[2:3], v[114:115], v[124:125], v[2:3]
	scratch_load_b128 v[112:115], off, off offset:320
	s_waitcnt vmcnt(4)
	v_fma_f64 v[2:3], v[134:135], v[126:127], v[2:3]
	scratch_load_b128 v[124:127], off, off offset:336
	s_waitcnt lgkmcnt(0)
	v_fma_f64 v[2:3], v[136:137], v[138:139], v[2:3]
	ds_load_2addr_b64 v[132:135], v1 offset0:87 offset1:88
	ds_load_2addr_b64 v[136:139], v1 offset0:89 offset1:90
	s_waitcnt vmcnt(4)
	v_fma_f64 v[2:3], v[116:117], v[140:141], v[2:3]
	s_waitcnt lgkmcnt(1)
	s_delay_alu instid0(VALU_DEP_1) | instskip(SKIP_4) | instid1(VALU_DEP_1)
	v_fma_f64 v[2:3], v[118:119], v[132:133], v[2:3]
	scratch_load_b128 v[116:119], off, off offset:352
	s_waitcnt vmcnt(4)
	v_fma_f64 v[2:3], v[128:129], v[134:135], v[2:3]
	s_waitcnt lgkmcnt(0)
	v_fma_f64 v[2:3], v[130:131], v[136:137], v[2:3]
	scratch_load_b128 v[128:131], off, off offset:368
	s_waitcnt vmcnt(4)
	v_fma_f64 v[2:3], v[120:121], v[138:139], v[2:3]
	ds_load_2addr_b64 v[132:135], v1 offset0:91 offset1:92
	ds_load_2addr_b64 v[136:139], v1 offset0:93 offset1:94
	s_waitcnt lgkmcnt(1)
	v_fma_f64 v[2:3], v[122:123], v[132:133], v[2:3]
	scratch_load_b128 v[120:123], off, off offset:384
	s_waitcnt vmcnt(4)
	v_fma_f64 v[2:3], v[112:113], v[134:135], v[2:3]
	s_waitcnt lgkmcnt(0)
	s_delay_alu instid0(VALU_DEP_1)
	v_fma_f64 v[2:3], v[114:115], v[136:137], v[2:3]
	scratch_load_b128 v[112:115], off, off offset:400
	s_waitcnt vmcnt(4)
	v_fma_f64 v[2:3], v[124:125], v[138:139], v[2:3]
	ds_load_2addr_b64 v[132:135], v1 offset0:95 offset1:96
	ds_load_2addr_b64 v[136:139], v1 offset0:97 offset1:98
	s_waitcnt lgkmcnt(1)
	v_fma_f64 v[2:3], v[126:127], v[132:133], v[2:3]
	s_waitcnt vmcnt(3)
	s_delay_alu instid0(VALU_DEP_1) | instskip(SKIP_1) | instid1(VALU_DEP_1)
	v_fma_f64 v[2:3], v[116:117], v[134:135], v[2:3]
	s_waitcnt lgkmcnt(0)
	v_fma_f64 v[2:3], v[118:119], v[136:137], v[2:3]
	ds_load_2addr_b64 v[116:119], v1 offset0:99 offset1:100
	ds_load_2addr_b64 v[124:127], v1 offset0:101 offset1:102
	s_waitcnt vmcnt(2)
	v_fma_f64 v[2:3], v[128:129], v[138:139], v[2:3]
	s_waitcnt lgkmcnt(1)
	s_delay_alu instid0(VALU_DEP_1) | instskip(SKIP_1) | instid1(VALU_DEP_1)
	v_fma_f64 v[2:3], v[130:131], v[116:117], v[2:3]
	s_waitcnt vmcnt(1)
	v_fma_f64 v[2:3], v[120:121], v[118:119], v[2:3]
	s_waitcnt lgkmcnt(0)
	s_delay_alu instid0(VALU_DEP_1) | instskip(SKIP_1) | instid1(VALU_DEP_1)
	v_fma_f64 v[2:3], v[122:123], v[124:125], v[2:3]
	s_waitcnt vmcnt(0)
	v_fma_f64 v[2:3], v[112:113], v[126:127], v[2:3]
	ds_load_b64 v[112:113], v1 offset:824
	s_waitcnt lgkmcnt(0)
	v_fma_f64 v[2:3], v[114:115], v[112:113], v[2:3]
	s_delay_alu instid0(VALU_DEP_1)
	v_add_f64 v[2:3], v[110:111], -v[2:3]
	scratch_store_b64 off, v[2:3], off offset:144
	v_cmpx_lt_u32_e32 17, v0
	s_cbranch_execz .LBB115_287
; %bb.286:
	scratch_load_b64 v[3:4], off, off offset:136
	v_mov_b32_e32 v2, v1
	scratch_store_b64 off, v[1:2], off offset:136
	s_waitcnt vmcnt(0)
	ds_store_b64 v5, v[3:4]
.LBB115_287:
	s_or_b32 exec_lo, exec_lo, s0
	s_waitcnt lgkmcnt(0)
	s_waitcnt_vscnt null, 0x0
	s_barrier
	buffer_gl0_inv
	s_clause 0x4
	scratch_load_b128 v[110:113], off, off offset:136
	scratch_load_b128 v[114:117], off, off offset:152
	;; [unrolled: 1-line block ×5, first 2 shown]
	ds_load_b128 v[130:133], v1 offset:560
	ds_load_b128 v[134:137], v1 offset:576
	scratch_load_b128 v[138:141], off, off offset:216
	s_mov_b32 s0, exec_lo
	s_waitcnt vmcnt(5) lgkmcnt(1)
	v_fma_f64 v[2:3], v[112:113], v[130:131], 0
	s_waitcnt vmcnt(4)
	s_delay_alu instid0(VALU_DEP_1) | instskip(SKIP_4) | instid1(VALU_DEP_1)
	v_fma_f64 v[2:3], v[114:115], v[132:133], v[2:3]
	scratch_load_b128 v[112:115], off, off offset:232
	s_waitcnt lgkmcnt(0)
	v_fma_f64 v[2:3], v[116:117], v[134:135], v[2:3]
	s_waitcnt vmcnt(4)
	v_fma_f64 v[2:3], v[118:119], v[136:137], v[2:3]
	ds_load_b128 v[116:119], v1 offset:592
	ds_load_b128 v[130:133], v1 offset:608
	scratch_load_b128 v[134:137], off, off offset:248
	s_waitcnt lgkmcnt(1)
	v_fma_f64 v[2:3], v[120:121], v[116:117], v[2:3]
	s_waitcnt vmcnt(4)
	s_delay_alu instid0(VALU_DEP_1) | instskip(SKIP_4) | instid1(VALU_DEP_1)
	v_fma_f64 v[2:3], v[122:123], v[118:119], v[2:3]
	scratch_load_b128 v[116:119], off, off offset:264
	s_waitcnt lgkmcnt(0)
	v_fma_f64 v[2:3], v[124:125], v[130:131], v[2:3]
	s_waitcnt vmcnt(4)
	v_fma_f64 v[2:3], v[126:127], v[132:133], v[2:3]
	ds_load_b128 v[120:123], v1 offset:624
	ds_load_b128 v[124:127], v1 offset:640
	s_waitcnt lgkmcnt(1)
	v_fma_f64 v[2:3], v[128:129], v[120:121], v[2:3]
	scratch_load_b128 v[128:131], off, off offset:280
	s_waitcnt vmcnt(4)
	v_fma_f64 v[2:3], v[138:139], v[122:123], v[2:3]
	scratch_load_b128 v[120:123], off, off offset:296
	s_waitcnt lgkmcnt(0)
	v_fma_f64 v[2:3], v[140:141], v[124:125], v[2:3]
	s_waitcnt vmcnt(4)
	s_delay_alu instid0(VALU_DEP_1)
	v_fma_f64 v[2:3], v[112:113], v[126:127], v[2:3]
	ds_load_b128 v[124:127], v1 offset:656
	ds_load_b128 v[138:141], v1 offset:672
	s_waitcnt lgkmcnt(1)
	v_fma_f64 v[2:3], v[114:115], v[124:125], v[2:3]
	scratch_load_b128 v[112:115], off, off offset:312
	s_waitcnt vmcnt(4)
	v_fma_f64 v[2:3], v[134:135], v[126:127], v[2:3]
	scratch_load_b128 v[124:127], off, off offset:328
	s_waitcnt lgkmcnt(0)
	v_fma_f64 v[2:3], v[136:137], v[138:139], v[2:3]
	ds_load_b128 v[132:135], v1 offset:688
	ds_load_b128 v[136:139], v1 offset:704
	s_waitcnt vmcnt(4)
	v_fma_f64 v[2:3], v[116:117], v[140:141], v[2:3]
	s_waitcnt lgkmcnt(1)
	s_delay_alu instid0(VALU_DEP_1) | instskip(SKIP_4) | instid1(VALU_DEP_1)
	v_fma_f64 v[2:3], v[118:119], v[132:133], v[2:3]
	scratch_load_b128 v[116:119], off, off offset:344
	s_waitcnt vmcnt(4)
	v_fma_f64 v[2:3], v[128:129], v[134:135], v[2:3]
	s_waitcnt lgkmcnt(0)
	v_fma_f64 v[2:3], v[130:131], v[136:137], v[2:3]
	scratch_load_b128 v[128:131], off, off offset:360
	s_waitcnt vmcnt(4)
	v_fma_f64 v[2:3], v[120:121], v[138:139], v[2:3]
	ds_load_b128 v[132:135], v1 offset:720
	ds_load_b128 v[136:139], v1 offset:736
	s_waitcnt lgkmcnt(1)
	v_fma_f64 v[2:3], v[122:123], v[132:133], v[2:3]
	scratch_load_b128 v[120:123], off, off offset:376
	s_waitcnt vmcnt(4)
	v_fma_f64 v[2:3], v[112:113], v[134:135], v[2:3]
	s_waitcnt lgkmcnt(0)
	s_delay_alu instid0(VALU_DEP_1)
	v_fma_f64 v[2:3], v[114:115], v[136:137], v[2:3]
	scratch_load_b128 v[112:115], off, off offset:392
	s_waitcnt vmcnt(4)
	v_fma_f64 v[2:3], v[124:125], v[138:139], v[2:3]
	ds_load_b128 v[132:135], v1 offset:752
	ds_load_b128 v[136:139], v1 offset:768
	s_waitcnt lgkmcnt(1)
	v_fma_f64 v[2:3], v[126:127], v[132:133], v[2:3]
	scratch_load_b64 v[132:133], off, off offset:408
	s_waitcnt vmcnt(4)
	v_fma_f64 v[2:3], v[116:117], v[134:135], v[2:3]
	s_waitcnt lgkmcnt(0)
	s_delay_alu instid0(VALU_DEP_1)
	v_fma_f64 v[2:3], v[118:119], v[136:137], v[2:3]
	ds_load_b128 v[116:119], v1 offset:784
	ds_load_b128 v[124:127], v1 offset:800
	s_waitcnt vmcnt(3)
	v_fma_f64 v[2:3], v[128:129], v[138:139], v[2:3]
	s_waitcnt lgkmcnt(1)
	s_delay_alu instid0(VALU_DEP_1) | instskip(SKIP_1) | instid1(VALU_DEP_1)
	v_fma_f64 v[2:3], v[130:131], v[116:117], v[2:3]
	s_waitcnt vmcnt(2)
	v_fma_f64 v[2:3], v[120:121], v[118:119], v[2:3]
	s_waitcnt lgkmcnt(0)
	s_delay_alu instid0(VALU_DEP_1) | instskip(SKIP_1) | instid1(VALU_DEP_1)
	v_fma_f64 v[2:3], v[122:123], v[124:125], v[2:3]
	s_waitcnt vmcnt(1)
	v_fma_f64 v[112:113], v[112:113], v[126:127], v[2:3]
	ds_load_b128 v[1:4], v1 offset:816
	s_waitcnt lgkmcnt(0)
	v_fma_f64 v[1:2], v[114:115], v[1:2], v[112:113]
	s_waitcnt vmcnt(0)
	s_delay_alu instid0(VALU_DEP_1) | instskip(NEXT) | instid1(VALU_DEP_1)
	v_fma_f64 v[1:2], v[132:133], v[3:4], v[1:2]
	v_add_f64 v[1:2], v[110:111], -v[1:2]
	scratch_store_b64 off, v[1:2], off offset:136
	v_cmpx_lt_u32_e32 16, v0
	s_cbranch_execz .LBB115_289
; %bb.288:
	scratch_load_b64 v[1:2], off, off offset:128
	v_mov_b32_e32 v3, 0
	s_delay_alu instid0(VALU_DEP_1)
	v_mov_b32_e32 v4, v3
	scratch_store_b64 off, v[3:4], off offset:128
	s_waitcnt vmcnt(0)
	ds_store_b64 v5, v[1:2]
.LBB115_289:
	s_or_b32 exec_lo, exec_lo, s0
	s_waitcnt lgkmcnt(0)
	s_waitcnt_vscnt null, 0x0
	s_barrier
	buffer_gl0_inv
	s_clause 0x4
	scratch_load_b128 v[110:113], off, off offset:128
	scratch_load_b128 v[114:117], off, off offset:144
	;; [unrolled: 1-line block ×5, first 2 shown]
	v_mov_b32_e32 v1, 0
	ds_load_2addr_b64 v[130:133], v1 offset0:69 offset1:70
	ds_load_2addr_b64 v[134:137], v1 offset0:71 offset1:72
	scratch_load_b128 v[138:141], off, off offset:208
	s_mov_b32 s0, exec_lo
	s_waitcnt vmcnt(5) lgkmcnt(1)
	v_fma_f64 v[2:3], v[112:113], v[130:131], 0
	s_waitcnt vmcnt(4)
	s_delay_alu instid0(VALU_DEP_1) | instskip(SKIP_4) | instid1(VALU_DEP_1)
	v_fma_f64 v[2:3], v[114:115], v[132:133], v[2:3]
	scratch_load_b128 v[112:115], off, off offset:224
	s_waitcnt lgkmcnt(0)
	v_fma_f64 v[2:3], v[116:117], v[134:135], v[2:3]
	s_waitcnt vmcnt(4)
	v_fma_f64 v[2:3], v[118:119], v[136:137], v[2:3]
	ds_load_2addr_b64 v[116:119], v1 offset0:73 offset1:74
	ds_load_2addr_b64 v[130:133], v1 offset0:75 offset1:76
	scratch_load_b128 v[134:137], off, off offset:240
	s_waitcnt lgkmcnt(1)
	v_fma_f64 v[2:3], v[120:121], v[116:117], v[2:3]
	s_waitcnt vmcnt(4)
	s_delay_alu instid0(VALU_DEP_1) | instskip(SKIP_4) | instid1(VALU_DEP_1)
	v_fma_f64 v[2:3], v[122:123], v[118:119], v[2:3]
	scratch_load_b128 v[116:119], off, off offset:256
	s_waitcnt lgkmcnt(0)
	v_fma_f64 v[2:3], v[124:125], v[130:131], v[2:3]
	s_waitcnt vmcnt(4)
	v_fma_f64 v[2:3], v[126:127], v[132:133], v[2:3]
	ds_load_2addr_b64 v[120:123], v1 offset0:77 offset1:78
	ds_load_2addr_b64 v[124:127], v1 offset0:79 offset1:80
	s_waitcnt lgkmcnt(1)
	v_fma_f64 v[2:3], v[128:129], v[120:121], v[2:3]
	scratch_load_b128 v[128:131], off, off offset:272
	s_waitcnt vmcnt(4)
	v_fma_f64 v[2:3], v[138:139], v[122:123], v[2:3]
	scratch_load_b128 v[120:123], off, off offset:288
	s_waitcnt lgkmcnt(0)
	v_fma_f64 v[2:3], v[140:141], v[124:125], v[2:3]
	s_waitcnt vmcnt(4)
	s_delay_alu instid0(VALU_DEP_1)
	v_fma_f64 v[2:3], v[112:113], v[126:127], v[2:3]
	ds_load_2addr_b64 v[124:127], v1 offset0:81 offset1:82
	ds_load_2addr_b64 v[138:141], v1 offset0:83 offset1:84
	s_waitcnt lgkmcnt(1)
	v_fma_f64 v[2:3], v[114:115], v[124:125], v[2:3]
	scratch_load_b128 v[112:115], off, off offset:304
	s_waitcnt vmcnt(4)
	v_fma_f64 v[2:3], v[134:135], v[126:127], v[2:3]
	scratch_load_b128 v[124:127], off, off offset:320
	s_waitcnt lgkmcnt(0)
	v_fma_f64 v[2:3], v[136:137], v[138:139], v[2:3]
	ds_load_2addr_b64 v[132:135], v1 offset0:85 offset1:86
	ds_load_2addr_b64 v[136:139], v1 offset0:87 offset1:88
	s_waitcnt vmcnt(4)
	v_fma_f64 v[2:3], v[116:117], v[140:141], v[2:3]
	s_waitcnt lgkmcnt(1)
	s_delay_alu instid0(VALU_DEP_1) | instskip(SKIP_4) | instid1(VALU_DEP_1)
	v_fma_f64 v[2:3], v[118:119], v[132:133], v[2:3]
	scratch_load_b128 v[116:119], off, off offset:336
	s_waitcnt vmcnt(4)
	v_fma_f64 v[2:3], v[128:129], v[134:135], v[2:3]
	s_waitcnt lgkmcnt(0)
	v_fma_f64 v[2:3], v[130:131], v[136:137], v[2:3]
	scratch_load_b128 v[128:131], off, off offset:352
	s_waitcnt vmcnt(4)
	v_fma_f64 v[2:3], v[120:121], v[138:139], v[2:3]
	ds_load_2addr_b64 v[132:135], v1 offset0:89 offset1:90
	ds_load_2addr_b64 v[136:139], v1 offset0:91 offset1:92
	s_waitcnt lgkmcnt(1)
	v_fma_f64 v[2:3], v[122:123], v[132:133], v[2:3]
	scratch_load_b128 v[120:123], off, off offset:368
	s_waitcnt vmcnt(4)
	v_fma_f64 v[2:3], v[112:113], v[134:135], v[2:3]
	s_waitcnt lgkmcnt(0)
	s_delay_alu instid0(VALU_DEP_1)
	v_fma_f64 v[2:3], v[114:115], v[136:137], v[2:3]
	scratch_load_b128 v[112:115], off, off offset:384
	s_waitcnt vmcnt(4)
	v_fma_f64 v[2:3], v[124:125], v[138:139], v[2:3]
	ds_load_2addr_b64 v[132:135], v1 offset0:93 offset1:94
	ds_load_2addr_b64 v[136:139], v1 offset0:95 offset1:96
	s_waitcnt lgkmcnt(1)
	v_fma_f64 v[2:3], v[126:127], v[132:133], v[2:3]
	scratch_load_b128 v[124:127], off, off offset:400
	s_waitcnt vmcnt(4)
	v_fma_f64 v[2:3], v[116:117], v[134:135], v[2:3]
	s_waitcnt lgkmcnt(0)
	s_delay_alu instid0(VALU_DEP_1)
	v_fma_f64 v[2:3], v[118:119], v[136:137], v[2:3]
	ds_load_2addr_b64 v[116:119], v1 offset0:97 offset1:98
	ds_load_2addr_b64 v[132:135], v1 offset0:99 offset1:100
	s_waitcnt vmcnt(3)
	v_fma_f64 v[2:3], v[128:129], v[138:139], v[2:3]
	s_waitcnt lgkmcnt(1)
	s_delay_alu instid0(VALU_DEP_1) | instskip(SKIP_1) | instid1(VALU_DEP_1)
	v_fma_f64 v[2:3], v[130:131], v[116:117], v[2:3]
	s_waitcnt vmcnt(2)
	v_fma_f64 v[2:3], v[120:121], v[118:119], v[2:3]
	s_waitcnt lgkmcnt(0)
	s_delay_alu instid0(VALU_DEP_1) | instskip(SKIP_1) | instid1(VALU_DEP_1)
	v_fma_f64 v[2:3], v[122:123], v[132:133], v[2:3]
	s_waitcnt vmcnt(1)
	v_fma_f64 v[2:3], v[112:113], v[134:135], v[2:3]
	ds_load_2addr_b64 v[116:119], v1 offset0:101 offset1:102
	ds_load_b64 v[112:113], v1 offset:824
	s_waitcnt lgkmcnt(1)
	v_fma_f64 v[2:3], v[114:115], v[116:117], v[2:3]
	s_waitcnt vmcnt(0)
	s_delay_alu instid0(VALU_DEP_1) | instskip(SKIP_1) | instid1(VALU_DEP_1)
	v_fma_f64 v[2:3], v[124:125], v[118:119], v[2:3]
	s_waitcnt lgkmcnt(0)
	v_fma_f64 v[2:3], v[126:127], v[112:113], v[2:3]
	s_delay_alu instid0(VALU_DEP_1)
	v_add_f64 v[2:3], v[110:111], -v[2:3]
	scratch_store_b64 off, v[2:3], off offset:128
	v_cmpx_lt_u32_e32 15, v0
	s_cbranch_execz .LBB115_291
; %bb.290:
	scratch_load_b64 v[3:4], off, off offset:120
	v_mov_b32_e32 v2, v1
	scratch_store_b64 off, v[1:2], off offset:120
	s_waitcnt vmcnt(0)
	ds_store_b64 v5, v[3:4]
.LBB115_291:
	s_or_b32 exec_lo, exec_lo, s0
	s_waitcnt lgkmcnt(0)
	s_waitcnt_vscnt null, 0x0
	s_barrier
	buffer_gl0_inv
	s_clause 0x4
	scratch_load_b128 v[110:113], off, off offset:120
	scratch_load_b128 v[114:117], off, off offset:136
	;; [unrolled: 1-line block ×5, first 2 shown]
	ds_load_b128 v[130:133], v1 offset:544
	ds_load_b128 v[134:137], v1 offset:560
	scratch_load_b128 v[138:141], off, off offset:200
	s_mov_b32 s0, exec_lo
	s_waitcnt vmcnt(5) lgkmcnt(1)
	v_fma_f64 v[2:3], v[112:113], v[130:131], 0
	s_waitcnt vmcnt(4)
	s_delay_alu instid0(VALU_DEP_1) | instskip(SKIP_4) | instid1(VALU_DEP_1)
	v_fma_f64 v[2:3], v[114:115], v[132:133], v[2:3]
	scratch_load_b128 v[112:115], off, off offset:216
	s_waitcnt lgkmcnt(0)
	v_fma_f64 v[2:3], v[116:117], v[134:135], v[2:3]
	s_waitcnt vmcnt(4)
	v_fma_f64 v[2:3], v[118:119], v[136:137], v[2:3]
	ds_load_b128 v[116:119], v1 offset:576
	ds_load_b128 v[130:133], v1 offset:592
	scratch_load_b128 v[134:137], off, off offset:232
	s_waitcnt lgkmcnt(1)
	v_fma_f64 v[2:3], v[120:121], v[116:117], v[2:3]
	s_waitcnt vmcnt(4)
	s_delay_alu instid0(VALU_DEP_1) | instskip(SKIP_4) | instid1(VALU_DEP_1)
	v_fma_f64 v[2:3], v[122:123], v[118:119], v[2:3]
	scratch_load_b128 v[116:119], off, off offset:248
	s_waitcnt lgkmcnt(0)
	v_fma_f64 v[2:3], v[124:125], v[130:131], v[2:3]
	s_waitcnt vmcnt(4)
	v_fma_f64 v[2:3], v[126:127], v[132:133], v[2:3]
	ds_load_b128 v[120:123], v1 offset:608
	ds_load_b128 v[124:127], v1 offset:624
	s_waitcnt lgkmcnt(1)
	v_fma_f64 v[2:3], v[128:129], v[120:121], v[2:3]
	scratch_load_b128 v[128:131], off, off offset:264
	s_waitcnt vmcnt(4)
	v_fma_f64 v[2:3], v[138:139], v[122:123], v[2:3]
	scratch_load_b128 v[120:123], off, off offset:280
	s_waitcnt lgkmcnt(0)
	v_fma_f64 v[2:3], v[140:141], v[124:125], v[2:3]
	s_waitcnt vmcnt(4)
	s_delay_alu instid0(VALU_DEP_1)
	v_fma_f64 v[2:3], v[112:113], v[126:127], v[2:3]
	ds_load_b128 v[124:127], v1 offset:640
	ds_load_b128 v[138:141], v1 offset:656
	s_waitcnt lgkmcnt(1)
	v_fma_f64 v[2:3], v[114:115], v[124:125], v[2:3]
	scratch_load_b128 v[112:115], off, off offset:296
	s_waitcnt vmcnt(4)
	v_fma_f64 v[2:3], v[134:135], v[126:127], v[2:3]
	scratch_load_b128 v[124:127], off, off offset:312
	s_waitcnt lgkmcnt(0)
	v_fma_f64 v[2:3], v[136:137], v[138:139], v[2:3]
	ds_load_b128 v[132:135], v1 offset:672
	ds_load_b128 v[136:139], v1 offset:688
	s_waitcnt vmcnt(4)
	v_fma_f64 v[2:3], v[116:117], v[140:141], v[2:3]
	s_waitcnt lgkmcnt(1)
	s_delay_alu instid0(VALU_DEP_1) | instskip(SKIP_4) | instid1(VALU_DEP_1)
	v_fma_f64 v[2:3], v[118:119], v[132:133], v[2:3]
	scratch_load_b128 v[116:119], off, off offset:328
	s_waitcnt vmcnt(4)
	v_fma_f64 v[2:3], v[128:129], v[134:135], v[2:3]
	s_waitcnt lgkmcnt(0)
	v_fma_f64 v[2:3], v[130:131], v[136:137], v[2:3]
	scratch_load_b128 v[128:131], off, off offset:344
	s_waitcnt vmcnt(4)
	v_fma_f64 v[2:3], v[120:121], v[138:139], v[2:3]
	ds_load_b128 v[132:135], v1 offset:704
	ds_load_b128 v[136:139], v1 offset:720
	s_waitcnt lgkmcnt(1)
	v_fma_f64 v[2:3], v[122:123], v[132:133], v[2:3]
	scratch_load_b128 v[120:123], off, off offset:360
	s_waitcnt vmcnt(4)
	v_fma_f64 v[2:3], v[112:113], v[134:135], v[2:3]
	s_waitcnt lgkmcnt(0)
	s_delay_alu instid0(VALU_DEP_1)
	v_fma_f64 v[2:3], v[114:115], v[136:137], v[2:3]
	scratch_load_b128 v[112:115], off, off offset:376
	s_waitcnt vmcnt(4)
	v_fma_f64 v[2:3], v[124:125], v[138:139], v[2:3]
	ds_load_b128 v[132:135], v1 offset:736
	ds_load_b128 v[136:139], v1 offset:752
	s_waitcnt lgkmcnt(1)
	v_fma_f64 v[2:3], v[126:127], v[132:133], v[2:3]
	scratch_load_b128 v[124:127], off, off offset:392
	s_waitcnt vmcnt(4)
	v_fma_f64 v[2:3], v[116:117], v[134:135], v[2:3]
	s_waitcnt lgkmcnt(0)
	s_delay_alu instid0(VALU_DEP_1)
	v_fma_f64 v[2:3], v[118:119], v[136:137], v[2:3]
	scratch_load_b64 v[136:137], off, off offset:408
	ds_load_b128 v[116:119], v1 offset:768
	ds_load_b128 v[132:135], v1 offset:784
	s_waitcnt vmcnt(4)
	v_fma_f64 v[2:3], v[128:129], v[138:139], v[2:3]
	s_waitcnt lgkmcnt(1)
	s_delay_alu instid0(VALU_DEP_1) | instskip(SKIP_1) | instid1(VALU_DEP_1)
	v_fma_f64 v[2:3], v[130:131], v[116:117], v[2:3]
	s_waitcnt vmcnt(3)
	v_fma_f64 v[2:3], v[120:121], v[118:119], v[2:3]
	s_waitcnt lgkmcnt(0)
	s_delay_alu instid0(VALU_DEP_1) | instskip(SKIP_1) | instid1(VALU_DEP_1)
	v_fma_f64 v[2:3], v[122:123], v[132:133], v[2:3]
	s_waitcnt vmcnt(2)
	v_fma_f64 v[112:113], v[112:113], v[134:135], v[2:3]
	ds_load_b128 v[116:119], v1 offset:800
	ds_load_b128 v[1:4], v1 offset:816
	s_waitcnt lgkmcnt(1)
	v_fma_f64 v[112:113], v[114:115], v[116:117], v[112:113]
	s_waitcnt vmcnt(1)
	s_delay_alu instid0(VALU_DEP_1) | instskip(SKIP_1) | instid1(VALU_DEP_1)
	v_fma_f64 v[112:113], v[124:125], v[118:119], v[112:113]
	s_waitcnt lgkmcnt(0)
	v_fma_f64 v[1:2], v[126:127], v[1:2], v[112:113]
	s_waitcnt vmcnt(0)
	s_delay_alu instid0(VALU_DEP_1) | instskip(NEXT) | instid1(VALU_DEP_1)
	v_fma_f64 v[1:2], v[136:137], v[3:4], v[1:2]
	v_add_f64 v[1:2], v[110:111], -v[1:2]
	scratch_store_b64 off, v[1:2], off offset:120
	v_cmpx_lt_u32_e32 14, v0
	s_cbranch_execz .LBB115_293
; %bb.292:
	scratch_load_b64 v[1:2], off, off offset:112
	v_mov_b32_e32 v3, 0
	s_delay_alu instid0(VALU_DEP_1)
	v_mov_b32_e32 v4, v3
	scratch_store_b64 off, v[3:4], off offset:112
	s_waitcnt vmcnt(0)
	ds_store_b64 v5, v[1:2]
.LBB115_293:
	s_or_b32 exec_lo, exec_lo, s0
	s_waitcnt lgkmcnt(0)
	s_waitcnt_vscnt null, 0x0
	s_barrier
	buffer_gl0_inv
	s_clause 0x4
	scratch_load_b128 v[110:113], off, off offset:112
	scratch_load_b128 v[114:117], off, off offset:128
	;; [unrolled: 1-line block ×5, first 2 shown]
	v_mov_b32_e32 v1, 0
	ds_load_2addr_b64 v[130:133], v1 offset0:67 offset1:68
	ds_load_2addr_b64 v[134:137], v1 offset0:69 offset1:70
	scratch_load_b128 v[138:141], off, off offset:192
	s_mov_b32 s0, exec_lo
	s_waitcnt vmcnt(5) lgkmcnt(1)
	v_fma_f64 v[2:3], v[112:113], v[130:131], 0
	s_waitcnt vmcnt(4)
	s_delay_alu instid0(VALU_DEP_1) | instskip(SKIP_4) | instid1(VALU_DEP_1)
	v_fma_f64 v[2:3], v[114:115], v[132:133], v[2:3]
	scratch_load_b128 v[112:115], off, off offset:208
	s_waitcnt lgkmcnt(0)
	v_fma_f64 v[2:3], v[116:117], v[134:135], v[2:3]
	s_waitcnt vmcnt(4)
	v_fma_f64 v[2:3], v[118:119], v[136:137], v[2:3]
	ds_load_2addr_b64 v[116:119], v1 offset0:71 offset1:72
	ds_load_2addr_b64 v[130:133], v1 offset0:73 offset1:74
	scratch_load_b128 v[134:137], off, off offset:224
	s_waitcnt lgkmcnt(1)
	v_fma_f64 v[2:3], v[120:121], v[116:117], v[2:3]
	s_waitcnt vmcnt(4)
	s_delay_alu instid0(VALU_DEP_1) | instskip(SKIP_4) | instid1(VALU_DEP_1)
	v_fma_f64 v[2:3], v[122:123], v[118:119], v[2:3]
	scratch_load_b128 v[116:119], off, off offset:240
	s_waitcnt lgkmcnt(0)
	v_fma_f64 v[2:3], v[124:125], v[130:131], v[2:3]
	s_waitcnt vmcnt(4)
	v_fma_f64 v[2:3], v[126:127], v[132:133], v[2:3]
	ds_load_2addr_b64 v[120:123], v1 offset0:75 offset1:76
	ds_load_2addr_b64 v[124:127], v1 offset0:77 offset1:78
	s_waitcnt lgkmcnt(1)
	v_fma_f64 v[2:3], v[128:129], v[120:121], v[2:3]
	scratch_load_b128 v[128:131], off, off offset:256
	s_waitcnt vmcnt(4)
	v_fma_f64 v[2:3], v[138:139], v[122:123], v[2:3]
	scratch_load_b128 v[120:123], off, off offset:272
	s_waitcnt lgkmcnt(0)
	v_fma_f64 v[2:3], v[140:141], v[124:125], v[2:3]
	s_waitcnt vmcnt(4)
	s_delay_alu instid0(VALU_DEP_1)
	v_fma_f64 v[2:3], v[112:113], v[126:127], v[2:3]
	ds_load_2addr_b64 v[124:127], v1 offset0:79 offset1:80
	ds_load_2addr_b64 v[138:141], v1 offset0:81 offset1:82
	s_waitcnt lgkmcnt(1)
	v_fma_f64 v[2:3], v[114:115], v[124:125], v[2:3]
	scratch_load_b128 v[112:115], off, off offset:288
	s_waitcnt vmcnt(4)
	v_fma_f64 v[2:3], v[134:135], v[126:127], v[2:3]
	scratch_load_b128 v[124:127], off, off offset:304
	s_waitcnt lgkmcnt(0)
	v_fma_f64 v[2:3], v[136:137], v[138:139], v[2:3]
	ds_load_2addr_b64 v[132:135], v1 offset0:83 offset1:84
	ds_load_2addr_b64 v[136:139], v1 offset0:85 offset1:86
	s_waitcnt vmcnt(4)
	v_fma_f64 v[2:3], v[116:117], v[140:141], v[2:3]
	s_waitcnt lgkmcnt(1)
	s_delay_alu instid0(VALU_DEP_1) | instskip(SKIP_4) | instid1(VALU_DEP_1)
	v_fma_f64 v[2:3], v[118:119], v[132:133], v[2:3]
	scratch_load_b128 v[116:119], off, off offset:320
	s_waitcnt vmcnt(4)
	v_fma_f64 v[2:3], v[128:129], v[134:135], v[2:3]
	s_waitcnt lgkmcnt(0)
	v_fma_f64 v[2:3], v[130:131], v[136:137], v[2:3]
	scratch_load_b128 v[128:131], off, off offset:336
	s_waitcnt vmcnt(4)
	v_fma_f64 v[2:3], v[120:121], v[138:139], v[2:3]
	ds_load_2addr_b64 v[132:135], v1 offset0:87 offset1:88
	ds_load_2addr_b64 v[136:139], v1 offset0:89 offset1:90
	s_waitcnt lgkmcnt(1)
	v_fma_f64 v[2:3], v[122:123], v[132:133], v[2:3]
	scratch_load_b128 v[120:123], off, off offset:352
	s_waitcnt vmcnt(4)
	v_fma_f64 v[2:3], v[112:113], v[134:135], v[2:3]
	s_waitcnt lgkmcnt(0)
	s_delay_alu instid0(VALU_DEP_1)
	v_fma_f64 v[2:3], v[114:115], v[136:137], v[2:3]
	scratch_load_b128 v[112:115], off, off offset:368
	s_waitcnt vmcnt(4)
	v_fma_f64 v[2:3], v[124:125], v[138:139], v[2:3]
	ds_load_2addr_b64 v[132:135], v1 offset0:91 offset1:92
	ds_load_2addr_b64 v[136:139], v1 offset0:93 offset1:94
	s_waitcnt lgkmcnt(1)
	v_fma_f64 v[2:3], v[126:127], v[132:133], v[2:3]
	scratch_load_b128 v[124:127], off, off offset:384
	s_waitcnt vmcnt(4)
	v_fma_f64 v[2:3], v[116:117], v[134:135], v[2:3]
	s_waitcnt lgkmcnt(0)
	s_delay_alu instid0(VALU_DEP_1)
	v_fma_f64 v[2:3], v[118:119], v[136:137], v[2:3]
	scratch_load_b128 v[116:119], off, off offset:400
	s_waitcnt vmcnt(4)
	v_fma_f64 v[2:3], v[128:129], v[138:139], v[2:3]
	ds_load_2addr_b64 v[132:135], v1 offset0:95 offset1:96
	ds_load_2addr_b64 v[136:139], v1 offset0:97 offset1:98
	s_waitcnt lgkmcnt(1)
	v_fma_f64 v[2:3], v[130:131], v[132:133], v[2:3]
	s_waitcnt vmcnt(3)
	s_delay_alu instid0(VALU_DEP_1) | instskip(SKIP_1) | instid1(VALU_DEP_1)
	v_fma_f64 v[2:3], v[120:121], v[134:135], v[2:3]
	s_waitcnt lgkmcnt(0)
	v_fma_f64 v[2:3], v[122:123], v[136:137], v[2:3]
	ds_load_2addr_b64 v[120:123], v1 offset0:99 offset1:100
	ds_load_2addr_b64 v[128:131], v1 offset0:101 offset1:102
	s_waitcnt vmcnt(2)
	v_fma_f64 v[2:3], v[112:113], v[138:139], v[2:3]
	ds_load_b64 v[112:113], v1 offset:824
	s_waitcnt lgkmcnt(2)
	v_fma_f64 v[2:3], v[114:115], v[120:121], v[2:3]
	s_waitcnt vmcnt(1)
	s_delay_alu instid0(VALU_DEP_1) | instskip(SKIP_1) | instid1(VALU_DEP_1)
	v_fma_f64 v[2:3], v[124:125], v[122:123], v[2:3]
	s_waitcnt lgkmcnt(1)
	v_fma_f64 v[2:3], v[126:127], v[128:129], v[2:3]
	s_waitcnt vmcnt(0)
	s_delay_alu instid0(VALU_DEP_1) | instskip(SKIP_1) | instid1(VALU_DEP_1)
	v_fma_f64 v[2:3], v[116:117], v[130:131], v[2:3]
	s_waitcnt lgkmcnt(0)
	v_fma_f64 v[2:3], v[118:119], v[112:113], v[2:3]
	s_delay_alu instid0(VALU_DEP_1)
	v_add_f64 v[2:3], v[110:111], -v[2:3]
	scratch_store_b64 off, v[2:3], off offset:112
	v_cmpx_lt_u32_e32 13, v0
	s_cbranch_execz .LBB115_295
; %bb.294:
	scratch_load_b64 v[3:4], off, off offset:104
	v_mov_b32_e32 v2, v1
	scratch_store_b64 off, v[1:2], off offset:104
	s_waitcnt vmcnt(0)
	ds_store_b64 v5, v[3:4]
.LBB115_295:
	s_or_b32 exec_lo, exec_lo, s0
	s_waitcnt lgkmcnt(0)
	s_waitcnt_vscnt null, 0x0
	s_barrier
	buffer_gl0_inv
	s_clause 0x4
	scratch_load_b128 v[110:113], off, off offset:104
	scratch_load_b128 v[114:117], off, off offset:120
	;; [unrolled: 1-line block ×5, first 2 shown]
	ds_load_b128 v[130:133], v1 offset:528
	ds_load_b128 v[134:137], v1 offset:544
	scratch_load_b128 v[138:141], off, off offset:184
	s_mov_b32 s0, exec_lo
	s_waitcnt vmcnt(5) lgkmcnt(1)
	v_fma_f64 v[2:3], v[112:113], v[130:131], 0
	s_waitcnt vmcnt(4)
	s_delay_alu instid0(VALU_DEP_1) | instskip(SKIP_4) | instid1(VALU_DEP_1)
	v_fma_f64 v[2:3], v[114:115], v[132:133], v[2:3]
	scratch_load_b128 v[112:115], off, off offset:200
	s_waitcnt lgkmcnt(0)
	v_fma_f64 v[2:3], v[116:117], v[134:135], v[2:3]
	s_waitcnt vmcnt(4)
	v_fma_f64 v[2:3], v[118:119], v[136:137], v[2:3]
	ds_load_b128 v[116:119], v1 offset:560
	ds_load_b128 v[130:133], v1 offset:576
	scratch_load_b128 v[134:137], off, off offset:216
	s_waitcnt lgkmcnt(1)
	v_fma_f64 v[2:3], v[120:121], v[116:117], v[2:3]
	s_waitcnt vmcnt(4)
	s_delay_alu instid0(VALU_DEP_1) | instskip(SKIP_4) | instid1(VALU_DEP_1)
	v_fma_f64 v[2:3], v[122:123], v[118:119], v[2:3]
	scratch_load_b128 v[116:119], off, off offset:232
	s_waitcnt lgkmcnt(0)
	v_fma_f64 v[2:3], v[124:125], v[130:131], v[2:3]
	s_waitcnt vmcnt(4)
	v_fma_f64 v[2:3], v[126:127], v[132:133], v[2:3]
	ds_load_b128 v[120:123], v1 offset:592
	ds_load_b128 v[124:127], v1 offset:608
	s_waitcnt lgkmcnt(1)
	v_fma_f64 v[2:3], v[128:129], v[120:121], v[2:3]
	scratch_load_b128 v[128:131], off, off offset:248
	s_waitcnt vmcnt(4)
	v_fma_f64 v[2:3], v[138:139], v[122:123], v[2:3]
	scratch_load_b128 v[120:123], off, off offset:264
	s_waitcnt lgkmcnt(0)
	v_fma_f64 v[2:3], v[140:141], v[124:125], v[2:3]
	s_waitcnt vmcnt(4)
	s_delay_alu instid0(VALU_DEP_1)
	v_fma_f64 v[2:3], v[112:113], v[126:127], v[2:3]
	ds_load_b128 v[124:127], v1 offset:624
	ds_load_b128 v[138:141], v1 offset:640
	s_waitcnt lgkmcnt(1)
	v_fma_f64 v[2:3], v[114:115], v[124:125], v[2:3]
	scratch_load_b128 v[112:115], off, off offset:280
	s_waitcnt vmcnt(4)
	v_fma_f64 v[2:3], v[134:135], v[126:127], v[2:3]
	scratch_load_b128 v[124:127], off, off offset:296
	s_waitcnt lgkmcnt(0)
	v_fma_f64 v[2:3], v[136:137], v[138:139], v[2:3]
	ds_load_b128 v[132:135], v1 offset:656
	ds_load_b128 v[136:139], v1 offset:672
	s_waitcnt vmcnt(4)
	v_fma_f64 v[2:3], v[116:117], v[140:141], v[2:3]
	s_waitcnt lgkmcnt(1)
	s_delay_alu instid0(VALU_DEP_1) | instskip(SKIP_4) | instid1(VALU_DEP_1)
	v_fma_f64 v[2:3], v[118:119], v[132:133], v[2:3]
	scratch_load_b128 v[116:119], off, off offset:312
	s_waitcnt vmcnt(4)
	v_fma_f64 v[2:3], v[128:129], v[134:135], v[2:3]
	s_waitcnt lgkmcnt(0)
	v_fma_f64 v[2:3], v[130:131], v[136:137], v[2:3]
	scratch_load_b128 v[128:131], off, off offset:328
	s_waitcnt vmcnt(4)
	v_fma_f64 v[2:3], v[120:121], v[138:139], v[2:3]
	ds_load_b128 v[132:135], v1 offset:688
	ds_load_b128 v[136:139], v1 offset:704
	s_waitcnt lgkmcnt(1)
	v_fma_f64 v[2:3], v[122:123], v[132:133], v[2:3]
	scratch_load_b128 v[120:123], off, off offset:344
	s_waitcnt vmcnt(4)
	v_fma_f64 v[2:3], v[112:113], v[134:135], v[2:3]
	s_waitcnt lgkmcnt(0)
	s_delay_alu instid0(VALU_DEP_1)
	v_fma_f64 v[2:3], v[114:115], v[136:137], v[2:3]
	scratch_load_b128 v[112:115], off, off offset:360
	s_waitcnt vmcnt(4)
	v_fma_f64 v[2:3], v[124:125], v[138:139], v[2:3]
	ds_load_b128 v[132:135], v1 offset:720
	ds_load_b128 v[136:139], v1 offset:736
	s_waitcnt lgkmcnt(1)
	v_fma_f64 v[2:3], v[126:127], v[132:133], v[2:3]
	scratch_load_b128 v[124:127], off, off offset:376
	s_waitcnt vmcnt(4)
	v_fma_f64 v[2:3], v[116:117], v[134:135], v[2:3]
	s_waitcnt lgkmcnt(0)
	s_delay_alu instid0(VALU_DEP_1)
	v_fma_f64 v[2:3], v[118:119], v[136:137], v[2:3]
	scratch_load_b128 v[116:119], off, off offset:392
	s_waitcnt vmcnt(4)
	v_fma_f64 v[2:3], v[128:129], v[138:139], v[2:3]
	ds_load_b128 v[132:135], v1 offset:752
	ds_load_b128 v[136:139], v1 offset:768
	s_waitcnt lgkmcnt(1)
	v_fma_f64 v[2:3], v[130:131], v[132:133], v[2:3]
	scratch_load_b64 v[132:133], off, off offset:408
	s_waitcnt vmcnt(4)
	v_fma_f64 v[2:3], v[120:121], v[134:135], v[2:3]
	s_waitcnt lgkmcnt(0)
	s_delay_alu instid0(VALU_DEP_1)
	v_fma_f64 v[2:3], v[122:123], v[136:137], v[2:3]
	ds_load_b128 v[120:123], v1 offset:784
	ds_load_b128 v[128:131], v1 offset:800
	s_waitcnt vmcnt(3)
	v_fma_f64 v[2:3], v[112:113], v[138:139], v[2:3]
	s_waitcnt lgkmcnt(1)
	s_delay_alu instid0(VALU_DEP_1) | instskip(SKIP_1) | instid1(VALU_DEP_1)
	v_fma_f64 v[2:3], v[114:115], v[120:121], v[2:3]
	s_waitcnt vmcnt(2)
	v_fma_f64 v[2:3], v[124:125], v[122:123], v[2:3]
	s_waitcnt lgkmcnt(0)
	s_delay_alu instid0(VALU_DEP_1) | instskip(SKIP_1) | instid1(VALU_DEP_1)
	v_fma_f64 v[2:3], v[126:127], v[128:129], v[2:3]
	s_waitcnt vmcnt(1)
	v_fma_f64 v[112:113], v[116:117], v[130:131], v[2:3]
	ds_load_b128 v[1:4], v1 offset:816
	s_waitcnt lgkmcnt(0)
	v_fma_f64 v[1:2], v[118:119], v[1:2], v[112:113]
	s_waitcnt vmcnt(0)
	s_delay_alu instid0(VALU_DEP_1) | instskip(NEXT) | instid1(VALU_DEP_1)
	v_fma_f64 v[1:2], v[132:133], v[3:4], v[1:2]
	v_add_f64 v[1:2], v[110:111], -v[1:2]
	scratch_store_b64 off, v[1:2], off offset:104
	v_cmpx_lt_u32_e32 12, v0
	s_cbranch_execz .LBB115_297
; %bb.296:
	scratch_load_b64 v[1:2], off, off offset:96
	v_mov_b32_e32 v3, 0
	s_delay_alu instid0(VALU_DEP_1)
	v_mov_b32_e32 v4, v3
	scratch_store_b64 off, v[3:4], off offset:96
	s_waitcnt vmcnt(0)
	ds_store_b64 v5, v[1:2]
.LBB115_297:
	s_or_b32 exec_lo, exec_lo, s0
	s_waitcnt lgkmcnt(0)
	s_waitcnt_vscnt null, 0x0
	s_barrier
	buffer_gl0_inv
	s_clause 0x4
	scratch_load_b128 v[110:113], off, off offset:96
	scratch_load_b128 v[114:117], off, off offset:112
	;; [unrolled: 1-line block ×5, first 2 shown]
	v_mov_b32_e32 v1, 0
	ds_load_2addr_b64 v[130:133], v1 offset0:65 offset1:66
	ds_load_2addr_b64 v[134:137], v1 offset0:67 offset1:68
	scratch_load_b128 v[138:141], off, off offset:176
	s_mov_b32 s0, exec_lo
	s_waitcnt vmcnt(5) lgkmcnt(1)
	v_fma_f64 v[2:3], v[112:113], v[130:131], 0
	s_waitcnt vmcnt(4)
	s_delay_alu instid0(VALU_DEP_1) | instskip(SKIP_4) | instid1(VALU_DEP_1)
	v_fma_f64 v[2:3], v[114:115], v[132:133], v[2:3]
	scratch_load_b128 v[112:115], off, off offset:192
	s_waitcnt lgkmcnt(0)
	v_fma_f64 v[2:3], v[116:117], v[134:135], v[2:3]
	s_waitcnt vmcnt(4)
	v_fma_f64 v[2:3], v[118:119], v[136:137], v[2:3]
	ds_load_2addr_b64 v[116:119], v1 offset0:69 offset1:70
	ds_load_2addr_b64 v[130:133], v1 offset0:71 offset1:72
	scratch_load_b128 v[134:137], off, off offset:208
	s_waitcnt lgkmcnt(1)
	v_fma_f64 v[2:3], v[120:121], v[116:117], v[2:3]
	s_waitcnt vmcnt(4)
	s_delay_alu instid0(VALU_DEP_1) | instskip(SKIP_4) | instid1(VALU_DEP_1)
	v_fma_f64 v[2:3], v[122:123], v[118:119], v[2:3]
	scratch_load_b128 v[116:119], off, off offset:224
	s_waitcnt lgkmcnt(0)
	v_fma_f64 v[2:3], v[124:125], v[130:131], v[2:3]
	s_waitcnt vmcnt(4)
	v_fma_f64 v[2:3], v[126:127], v[132:133], v[2:3]
	ds_load_2addr_b64 v[120:123], v1 offset0:73 offset1:74
	ds_load_2addr_b64 v[124:127], v1 offset0:75 offset1:76
	s_waitcnt lgkmcnt(1)
	v_fma_f64 v[2:3], v[128:129], v[120:121], v[2:3]
	scratch_load_b128 v[128:131], off, off offset:240
	s_waitcnt vmcnt(4)
	v_fma_f64 v[2:3], v[138:139], v[122:123], v[2:3]
	scratch_load_b128 v[120:123], off, off offset:256
	s_waitcnt lgkmcnt(0)
	v_fma_f64 v[2:3], v[140:141], v[124:125], v[2:3]
	s_waitcnt vmcnt(4)
	s_delay_alu instid0(VALU_DEP_1)
	v_fma_f64 v[2:3], v[112:113], v[126:127], v[2:3]
	ds_load_2addr_b64 v[124:127], v1 offset0:77 offset1:78
	ds_load_2addr_b64 v[138:141], v1 offset0:79 offset1:80
	s_waitcnt lgkmcnt(1)
	v_fma_f64 v[2:3], v[114:115], v[124:125], v[2:3]
	scratch_load_b128 v[112:115], off, off offset:272
	s_waitcnt vmcnt(4)
	v_fma_f64 v[2:3], v[134:135], v[126:127], v[2:3]
	scratch_load_b128 v[124:127], off, off offset:288
	s_waitcnt lgkmcnt(0)
	v_fma_f64 v[2:3], v[136:137], v[138:139], v[2:3]
	ds_load_2addr_b64 v[132:135], v1 offset0:81 offset1:82
	ds_load_2addr_b64 v[136:139], v1 offset0:83 offset1:84
	s_waitcnt vmcnt(4)
	v_fma_f64 v[2:3], v[116:117], v[140:141], v[2:3]
	s_waitcnt lgkmcnt(1)
	s_delay_alu instid0(VALU_DEP_1) | instskip(SKIP_4) | instid1(VALU_DEP_1)
	v_fma_f64 v[2:3], v[118:119], v[132:133], v[2:3]
	scratch_load_b128 v[116:119], off, off offset:304
	s_waitcnt vmcnt(4)
	v_fma_f64 v[2:3], v[128:129], v[134:135], v[2:3]
	s_waitcnt lgkmcnt(0)
	v_fma_f64 v[2:3], v[130:131], v[136:137], v[2:3]
	scratch_load_b128 v[128:131], off, off offset:320
	s_waitcnt vmcnt(4)
	v_fma_f64 v[2:3], v[120:121], v[138:139], v[2:3]
	ds_load_2addr_b64 v[132:135], v1 offset0:85 offset1:86
	ds_load_2addr_b64 v[136:139], v1 offset0:87 offset1:88
	s_waitcnt lgkmcnt(1)
	v_fma_f64 v[2:3], v[122:123], v[132:133], v[2:3]
	scratch_load_b128 v[120:123], off, off offset:336
	s_waitcnt vmcnt(4)
	v_fma_f64 v[2:3], v[112:113], v[134:135], v[2:3]
	s_waitcnt lgkmcnt(0)
	s_delay_alu instid0(VALU_DEP_1)
	v_fma_f64 v[2:3], v[114:115], v[136:137], v[2:3]
	scratch_load_b128 v[112:115], off, off offset:352
	s_waitcnt vmcnt(4)
	v_fma_f64 v[2:3], v[124:125], v[138:139], v[2:3]
	ds_load_2addr_b64 v[132:135], v1 offset0:89 offset1:90
	ds_load_2addr_b64 v[136:139], v1 offset0:91 offset1:92
	s_waitcnt lgkmcnt(1)
	v_fma_f64 v[2:3], v[126:127], v[132:133], v[2:3]
	scratch_load_b128 v[124:127], off, off offset:368
	s_waitcnt vmcnt(4)
	v_fma_f64 v[2:3], v[116:117], v[134:135], v[2:3]
	s_waitcnt lgkmcnt(0)
	s_delay_alu instid0(VALU_DEP_1)
	;; [unrolled: 13-line block ×3, first 2 shown]
	v_fma_f64 v[2:3], v[122:123], v[136:137], v[2:3]
	ds_load_2addr_b64 v[120:123], v1 offset0:97 offset1:98
	ds_load_2addr_b64 v[132:135], v1 offset0:99 offset1:100
	s_waitcnt vmcnt(3)
	v_fma_f64 v[2:3], v[112:113], v[138:139], v[2:3]
	s_waitcnt lgkmcnt(1)
	s_delay_alu instid0(VALU_DEP_1) | instskip(SKIP_1) | instid1(VALU_DEP_1)
	v_fma_f64 v[2:3], v[114:115], v[120:121], v[2:3]
	s_waitcnt vmcnt(2)
	v_fma_f64 v[2:3], v[124:125], v[122:123], v[2:3]
	s_waitcnt lgkmcnt(0)
	s_delay_alu instid0(VALU_DEP_1) | instskip(SKIP_1) | instid1(VALU_DEP_1)
	v_fma_f64 v[2:3], v[126:127], v[132:133], v[2:3]
	s_waitcnt vmcnt(1)
	v_fma_f64 v[2:3], v[116:117], v[134:135], v[2:3]
	ds_load_2addr_b64 v[112:115], v1 offset0:101 offset1:102
	ds_load_b64 v[116:117], v1 offset:824
	s_waitcnt lgkmcnt(1)
	v_fma_f64 v[2:3], v[118:119], v[112:113], v[2:3]
	s_waitcnt vmcnt(0)
	s_delay_alu instid0(VALU_DEP_1) | instskip(SKIP_1) | instid1(VALU_DEP_1)
	v_fma_f64 v[2:3], v[128:129], v[114:115], v[2:3]
	s_waitcnt lgkmcnt(0)
	v_fma_f64 v[2:3], v[130:131], v[116:117], v[2:3]
	s_delay_alu instid0(VALU_DEP_1)
	v_add_f64 v[2:3], v[110:111], -v[2:3]
	scratch_store_b64 off, v[2:3], off offset:96
	v_cmpx_lt_u32_e32 11, v0
	s_cbranch_execz .LBB115_299
; %bb.298:
	scratch_load_b64 v[3:4], off, off offset:88
	v_mov_b32_e32 v2, v1
	scratch_store_b64 off, v[1:2], off offset:88
	s_waitcnt vmcnt(0)
	ds_store_b64 v5, v[3:4]
.LBB115_299:
	s_or_b32 exec_lo, exec_lo, s0
	s_waitcnt lgkmcnt(0)
	s_waitcnt_vscnt null, 0x0
	s_barrier
	buffer_gl0_inv
	s_clause 0x4
	scratch_load_b128 v[110:113], off, off offset:88
	scratch_load_b128 v[114:117], off, off offset:104
	;; [unrolled: 1-line block ×5, first 2 shown]
	ds_load_b128 v[130:133], v1 offset:512
	ds_load_b128 v[134:137], v1 offset:528
	scratch_load_b128 v[138:141], off, off offset:168
	s_mov_b32 s0, exec_lo
	s_waitcnt vmcnt(5) lgkmcnt(1)
	v_fma_f64 v[2:3], v[112:113], v[130:131], 0
	s_waitcnt vmcnt(4)
	s_delay_alu instid0(VALU_DEP_1) | instskip(SKIP_4) | instid1(VALU_DEP_1)
	v_fma_f64 v[2:3], v[114:115], v[132:133], v[2:3]
	scratch_load_b128 v[112:115], off, off offset:184
	s_waitcnt lgkmcnt(0)
	v_fma_f64 v[2:3], v[116:117], v[134:135], v[2:3]
	s_waitcnt vmcnt(4)
	v_fma_f64 v[2:3], v[118:119], v[136:137], v[2:3]
	ds_load_b128 v[116:119], v1 offset:544
	ds_load_b128 v[130:133], v1 offset:560
	scratch_load_b128 v[134:137], off, off offset:200
	s_waitcnt lgkmcnt(1)
	v_fma_f64 v[2:3], v[120:121], v[116:117], v[2:3]
	s_waitcnt vmcnt(4)
	s_delay_alu instid0(VALU_DEP_1) | instskip(SKIP_4) | instid1(VALU_DEP_1)
	v_fma_f64 v[2:3], v[122:123], v[118:119], v[2:3]
	scratch_load_b128 v[116:119], off, off offset:216
	s_waitcnt lgkmcnt(0)
	v_fma_f64 v[2:3], v[124:125], v[130:131], v[2:3]
	s_waitcnt vmcnt(4)
	v_fma_f64 v[2:3], v[126:127], v[132:133], v[2:3]
	ds_load_b128 v[120:123], v1 offset:576
	ds_load_b128 v[124:127], v1 offset:592
	s_waitcnt lgkmcnt(1)
	v_fma_f64 v[2:3], v[128:129], v[120:121], v[2:3]
	scratch_load_b128 v[128:131], off, off offset:232
	s_waitcnt vmcnt(4)
	v_fma_f64 v[2:3], v[138:139], v[122:123], v[2:3]
	scratch_load_b128 v[120:123], off, off offset:248
	s_waitcnt lgkmcnt(0)
	v_fma_f64 v[2:3], v[140:141], v[124:125], v[2:3]
	s_waitcnt vmcnt(4)
	s_delay_alu instid0(VALU_DEP_1)
	v_fma_f64 v[2:3], v[112:113], v[126:127], v[2:3]
	ds_load_b128 v[124:127], v1 offset:608
	ds_load_b128 v[138:141], v1 offset:624
	s_waitcnt lgkmcnt(1)
	v_fma_f64 v[2:3], v[114:115], v[124:125], v[2:3]
	scratch_load_b128 v[112:115], off, off offset:264
	s_waitcnt vmcnt(4)
	v_fma_f64 v[2:3], v[134:135], v[126:127], v[2:3]
	scratch_load_b128 v[124:127], off, off offset:280
	s_waitcnt lgkmcnt(0)
	v_fma_f64 v[2:3], v[136:137], v[138:139], v[2:3]
	ds_load_b128 v[132:135], v1 offset:640
	ds_load_b128 v[136:139], v1 offset:656
	s_waitcnt vmcnt(4)
	v_fma_f64 v[2:3], v[116:117], v[140:141], v[2:3]
	s_waitcnt lgkmcnt(1)
	s_delay_alu instid0(VALU_DEP_1) | instskip(SKIP_4) | instid1(VALU_DEP_1)
	v_fma_f64 v[2:3], v[118:119], v[132:133], v[2:3]
	scratch_load_b128 v[116:119], off, off offset:296
	s_waitcnt vmcnt(4)
	v_fma_f64 v[2:3], v[128:129], v[134:135], v[2:3]
	s_waitcnt lgkmcnt(0)
	v_fma_f64 v[2:3], v[130:131], v[136:137], v[2:3]
	scratch_load_b128 v[128:131], off, off offset:312
	s_waitcnt vmcnt(4)
	v_fma_f64 v[2:3], v[120:121], v[138:139], v[2:3]
	ds_load_b128 v[132:135], v1 offset:672
	ds_load_b128 v[136:139], v1 offset:688
	s_waitcnt lgkmcnt(1)
	v_fma_f64 v[2:3], v[122:123], v[132:133], v[2:3]
	scratch_load_b128 v[120:123], off, off offset:328
	s_waitcnt vmcnt(4)
	v_fma_f64 v[2:3], v[112:113], v[134:135], v[2:3]
	s_waitcnt lgkmcnt(0)
	s_delay_alu instid0(VALU_DEP_1)
	v_fma_f64 v[2:3], v[114:115], v[136:137], v[2:3]
	scratch_load_b128 v[112:115], off, off offset:344
	s_waitcnt vmcnt(4)
	v_fma_f64 v[2:3], v[124:125], v[138:139], v[2:3]
	ds_load_b128 v[132:135], v1 offset:704
	ds_load_b128 v[136:139], v1 offset:720
	s_waitcnt lgkmcnt(1)
	v_fma_f64 v[2:3], v[126:127], v[132:133], v[2:3]
	scratch_load_b128 v[124:127], off, off offset:360
	s_waitcnt vmcnt(4)
	v_fma_f64 v[2:3], v[116:117], v[134:135], v[2:3]
	s_waitcnt lgkmcnt(0)
	s_delay_alu instid0(VALU_DEP_1)
	;; [unrolled: 13-line block ×3, first 2 shown]
	v_fma_f64 v[2:3], v[122:123], v[136:137], v[2:3]
	scratch_load_b64 v[136:137], off, off offset:408
	ds_load_b128 v[120:123], v1 offset:768
	ds_load_b128 v[132:135], v1 offset:784
	s_waitcnt vmcnt(4)
	v_fma_f64 v[2:3], v[112:113], v[138:139], v[2:3]
	s_waitcnt lgkmcnt(1)
	s_delay_alu instid0(VALU_DEP_1) | instskip(SKIP_1) | instid1(VALU_DEP_1)
	v_fma_f64 v[2:3], v[114:115], v[120:121], v[2:3]
	s_waitcnt vmcnt(3)
	v_fma_f64 v[2:3], v[124:125], v[122:123], v[2:3]
	s_waitcnt lgkmcnt(0)
	s_delay_alu instid0(VALU_DEP_1) | instskip(SKIP_1) | instid1(VALU_DEP_1)
	v_fma_f64 v[2:3], v[126:127], v[132:133], v[2:3]
	s_waitcnt vmcnt(2)
	v_fma_f64 v[116:117], v[116:117], v[134:135], v[2:3]
	ds_load_b128 v[112:115], v1 offset:800
	ds_load_b128 v[1:4], v1 offset:816
	s_waitcnt lgkmcnt(1)
	v_fma_f64 v[112:113], v[118:119], v[112:113], v[116:117]
	s_waitcnt vmcnt(1)
	s_delay_alu instid0(VALU_DEP_1) | instskip(SKIP_1) | instid1(VALU_DEP_1)
	v_fma_f64 v[112:113], v[128:129], v[114:115], v[112:113]
	s_waitcnt lgkmcnt(0)
	v_fma_f64 v[1:2], v[130:131], v[1:2], v[112:113]
	s_waitcnt vmcnt(0)
	s_delay_alu instid0(VALU_DEP_1) | instskip(NEXT) | instid1(VALU_DEP_1)
	v_fma_f64 v[1:2], v[136:137], v[3:4], v[1:2]
	v_add_f64 v[1:2], v[110:111], -v[1:2]
	scratch_store_b64 off, v[1:2], off offset:88
	v_cmpx_lt_u32_e32 10, v0
	s_cbranch_execz .LBB115_301
; %bb.300:
	scratch_load_b64 v[1:2], off, off offset:80
	v_mov_b32_e32 v3, 0
	s_delay_alu instid0(VALU_DEP_1)
	v_mov_b32_e32 v4, v3
	scratch_store_b64 off, v[3:4], off offset:80
	s_waitcnt vmcnt(0)
	ds_store_b64 v5, v[1:2]
.LBB115_301:
	s_or_b32 exec_lo, exec_lo, s0
	s_waitcnt lgkmcnt(0)
	s_waitcnt_vscnt null, 0x0
	s_barrier
	buffer_gl0_inv
	s_clause 0x4
	scratch_load_b128 v[110:113], off, off offset:80
	scratch_load_b128 v[114:117], off, off offset:96
	;; [unrolled: 1-line block ×5, first 2 shown]
	v_mov_b32_e32 v1, 0
	ds_load_2addr_b64 v[130:133], v1 offset0:63 offset1:64
	ds_load_2addr_b64 v[134:137], v1 offset0:65 offset1:66
	scratch_load_b128 v[138:141], off, off offset:160
	s_mov_b32 s0, exec_lo
	s_waitcnt vmcnt(5) lgkmcnt(1)
	v_fma_f64 v[2:3], v[112:113], v[130:131], 0
	s_waitcnt vmcnt(4)
	s_delay_alu instid0(VALU_DEP_1) | instskip(SKIP_4) | instid1(VALU_DEP_1)
	v_fma_f64 v[2:3], v[114:115], v[132:133], v[2:3]
	scratch_load_b128 v[112:115], off, off offset:176
	s_waitcnt lgkmcnt(0)
	v_fma_f64 v[2:3], v[116:117], v[134:135], v[2:3]
	s_waitcnt vmcnt(4)
	v_fma_f64 v[2:3], v[118:119], v[136:137], v[2:3]
	ds_load_2addr_b64 v[116:119], v1 offset0:67 offset1:68
	ds_load_2addr_b64 v[130:133], v1 offset0:69 offset1:70
	scratch_load_b128 v[134:137], off, off offset:192
	s_waitcnt lgkmcnt(1)
	v_fma_f64 v[2:3], v[120:121], v[116:117], v[2:3]
	s_waitcnt vmcnt(4)
	s_delay_alu instid0(VALU_DEP_1) | instskip(SKIP_4) | instid1(VALU_DEP_1)
	v_fma_f64 v[2:3], v[122:123], v[118:119], v[2:3]
	scratch_load_b128 v[116:119], off, off offset:208
	s_waitcnt lgkmcnt(0)
	v_fma_f64 v[2:3], v[124:125], v[130:131], v[2:3]
	s_waitcnt vmcnt(4)
	v_fma_f64 v[2:3], v[126:127], v[132:133], v[2:3]
	ds_load_2addr_b64 v[120:123], v1 offset0:71 offset1:72
	ds_load_2addr_b64 v[124:127], v1 offset0:73 offset1:74
	s_waitcnt lgkmcnt(1)
	v_fma_f64 v[2:3], v[128:129], v[120:121], v[2:3]
	scratch_load_b128 v[128:131], off, off offset:224
	s_waitcnt vmcnt(4)
	v_fma_f64 v[2:3], v[138:139], v[122:123], v[2:3]
	scratch_load_b128 v[120:123], off, off offset:240
	s_waitcnt lgkmcnt(0)
	v_fma_f64 v[2:3], v[140:141], v[124:125], v[2:3]
	s_waitcnt vmcnt(4)
	s_delay_alu instid0(VALU_DEP_1)
	v_fma_f64 v[2:3], v[112:113], v[126:127], v[2:3]
	ds_load_2addr_b64 v[124:127], v1 offset0:75 offset1:76
	ds_load_2addr_b64 v[138:141], v1 offset0:77 offset1:78
	s_waitcnt lgkmcnt(1)
	v_fma_f64 v[2:3], v[114:115], v[124:125], v[2:3]
	scratch_load_b128 v[112:115], off, off offset:256
	s_waitcnt vmcnt(4)
	v_fma_f64 v[2:3], v[134:135], v[126:127], v[2:3]
	scratch_load_b128 v[124:127], off, off offset:272
	s_waitcnt lgkmcnt(0)
	v_fma_f64 v[2:3], v[136:137], v[138:139], v[2:3]
	ds_load_2addr_b64 v[132:135], v1 offset0:79 offset1:80
	ds_load_2addr_b64 v[136:139], v1 offset0:81 offset1:82
	s_waitcnt vmcnt(4)
	v_fma_f64 v[2:3], v[116:117], v[140:141], v[2:3]
	s_waitcnt lgkmcnt(1)
	s_delay_alu instid0(VALU_DEP_1) | instskip(SKIP_4) | instid1(VALU_DEP_1)
	v_fma_f64 v[2:3], v[118:119], v[132:133], v[2:3]
	scratch_load_b128 v[116:119], off, off offset:288
	s_waitcnt vmcnt(4)
	v_fma_f64 v[2:3], v[128:129], v[134:135], v[2:3]
	s_waitcnt lgkmcnt(0)
	v_fma_f64 v[2:3], v[130:131], v[136:137], v[2:3]
	scratch_load_b128 v[128:131], off, off offset:304
	s_waitcnt vmcnt(4)
	v_fma_f64 v[2:3], v[120:121], v[138:139], v[2:3]
	ds_load_2addr_b64 v[132:135], v1 offset0:83 offset1:84
	ds_load_2addr_b64 v[136:139], v1 offset0:85 offset1:86
	s_waitcnt lgkmcnt(1)
	v_fma_f64 v[2:3], v[122:123], v[132:133], v[2:3]
	scratch_load_b128 v[120:123], off, off offset:320
	s_waitcnt vmcnt(4)
	v_fma_f64 v[2:3], v[112:113], v[134:135], v[2:3]
	s_waitcnt lgkmcnt(0)
	s_delay_alu instid0(VALU_DEP_1)
	v_fma_f64 v[2:3], v[114:115], v[136:137], v[2:3]
	scratch_load_b128 v[112:115], off, off offset:336
	s_waitcnt vmcnt(4)
	v_fma_f64 v[2:3], v[124:125], v[138:139], v[2:3]
	ds_load_2addr_b64 v[132:135], v1 offset0:87 offset1:88
	ds_load_2addr_b64 v[136:139], v1 offset0:89 offset1:90
	s_waitcnt lgkmcnt(1)
	v_fma_f64 v[2:3], v[126:127], v[132:133], v[2:3]
	scratch_load_b128 v[124:127], off, off offset:352
	s_waitcnt vmcnt(4)
	v_fma_f64 v[2:3], v[116:117], v[134:135], v[2:3]
	s_waitcnt lgkmcnt(0)
	s_delay_alu instid0(VALU_DEP_1)
	;; [unrolled: 13-line block ×3, first 2 shown]
	v_fma_f64 v[2:3], v[122:123], v[136:137], v[2:3]
	scratch_load_b128 v[120:123], off, off offset:400
	s_waitcnt vmcnt(4)
	v_fma_f64 v[2:3], v[112:113], v[138:139], v[2:3]
	ds_load_2addr_b64 v[132:135], v1 offset0:95 offset1:96
	ds_load_2addr_b64 v[136:139], v1 offset0:97 offset1:98
	s_waitcnt lgkmcnt(1)
	v_fma_f64 v[2:3], v[114:115], v[132:133], v[2:3]
	s_waitcnt vmcnt(3)
	s_delay_alu instid0(VALU_DEP_1) | instskip(SKIP_1) | instid1(VALU_DEP_1)
	v_fma_f64 v[2:3], v[124:125], v[134:135], v[2:3]
	s_waitcnt lgkmcnt(0)
	v_fma_f64 v[2:3], v[126:127], v[136:137], v[2:3]
	ds_load_2addr_b64 v[112:115], v1 offset0:99 offset1:100
	ds_load_2addr_b64 v[124:127], v1 offset0:101 offset1:102
	s_waitcnt vmcnt(2)
	v_fma_f64 v[2:3], v[116:117], v[138:139], v[2:3]
	s_waitcnt lgkmcnt(1)
	s_delay_alu instid0(VALU_DEP_1) | instskip(SKIP_4) | instid1(VALU_DEP_1)
	v_fma_f64 v[2:3], v[118:119], v[112:113], v[2:3]
	ds_load_b64 v[112:113], v1 offset:824
	s_waitcnt vmcnt(1)
	v_fma_f64 v[2:3], v[128:129], v[114:115], v[2:3]
	s_waitcnt lgkmcnt(1)
	v_fma_f64 v[2:3], v[130:131], v[124:125], v[2:3]
	s_waitcnt vmcnt(0)
	s_delay_alu instid0(VALU_DEP_1) | instskip(SKIP_1) | instid1(VALU_DEP_1)
	v_fma_f64 v[2:3], v[120:121], v[126:127], v[2:3]
	s_waitcnt lgkmcnt(0)
	v_fma_f64 v[2:3], v[122:123], v[112:113], v[2:3]
	s_delay_alu instid0(VALU_DEP_1)
	v_add_f64 v[2:3], v[110:111], -v[2:3]
	scratch_store_b64 off, v[2:3], off offset:80
	v_cmpx_lt_u32_e32 9, v0
	s_cbranch_execz .LBB115_303
; %bb.302:
	scratch_load_b64 v[3:4], off, off offset:72
	v_mov_b32_e32 v2, v1
	scratch_store_b64 off, v[1:2], off offset:72
	s_waitcnt vmcnt(0)
	ds_store_b64 v5, v[3:4]
.LBB115_303:
	s_or_b32 exec_lo, exec_lo, s0
	s_waitcnt lgkmcnt(0)
	s_waitcnt_vscnt null, 0x0
	s_barrier
	buffer_gl0_inv
	s_clause 0x4
	scratch_load_b128 v[110:113], off, off offset:72
	scratch_load_b128 v[114:117], off, off offset:88
	;; [unrolled: 1-line block ×5, first 2 shown]
	ds_load_b128 v[130:133], v1 offset:496
	ds_load_b128 v[134:137], v1 offset:512
	scratch_load_b128 v[138:141], off, off offset:152
	s_mov_b32 s0, exec_lo
	s_waitcnt vmcnt(5) lgkmcnt(1)
	v_fma_f64 v[2:3], v[112:113], v[130:131], 0
	s_waitcnt vmcnt(4)
	s_delay_alu instid0(VALU_DEP_1) | instskip(SKIP_4) | instid1(VALU_DEP_1)
	v_fma_f64 v[2:3], v[114:115], v[132:133], v[2:3]
	scratch_load_b128 v[112:115], off, off offset:168
	s_waitcnt lgkmcnt(0)
	v_fma_f64 v[2:3], v[116:117], v[134:135], v[2:3]
	s_waitcnt vmcnt(4)
	v_fma_f64 v[2:3], v[118:119], v[136:137], v[2:3]
	ds_load_b128 v[116:119], v1 offset:528
	ds_load_b128 v[130:133], v1 offset:544
	scratch_load_b128 v[134:137], off, off offset:184
	s_waitcnt lgkmcnt(1)
	v_fma_f64 v[2:3], v[120:121], v[116:117], v[2:3]
	s_waitcnt vmcnt(4)
	s_delay_alu instid0(VALU_DEP_1) | instskip(SKIP_4) | instid1(VALU_DEP_1)
	v_fma_f64 v[2:3], v[122:123], v[118:119], v[2:3]
	scratch_load_b128 v[116:119], off, off offset:200
	s_waitcnt lgkmcnt(0)
	v_fma_f64 v[2:3], v[124:125], v[130:131], v[2:3]
	s_waitcnt vmcnt(4)
	v_fma_f64 v[2:3], v[126:127], v[132:133], v[2:3]
	ds_load_b128 v[120:123], v1 offset:560
	ds_load_b128 v[124:127], v1 offset:576
	s_waitcnt lgkmcnt(1)
	v_fma_f64 v[2:3], v[128:129], v[120:121], v[2:3]
	scratch_load_b128 v[128:131], off, off offset:216
	s_waitcnt vmcnt(4)
	v_fma_f64 v[2:3], v[138:139], v[122:123], v[2:3]
	scratch_load_b128 v[120:123], off, off offset:232
	s_waitcnt lgkmcnt(0)
	v_fma_f64 v[2:3], v[140:141], v[124:125], v[2:3]
	s_waitcnt vmcnt(4)
	s_delay_alu instid0(VALU_DEP_1)
	v_fma_f64 v[2:3], v[112:113], v[126:127], v[2:3]
	ds_load_b128 v[124:127], v1 offset:592
	ds_load_b128 v[138:141], v1 offset:608
	s_waitcnt lgkmcnt(1)
	v_fma_f64 v[2:3], v[114:115], v[124:125], v[2:3]
	scratch_load_b128 v[112:115], off, off offset:248
	s_waitcnt vmcnt(4)
	v_fma_f64 v[2:3], v[134:135], v[126:127], v[2:3]
	scratch_load_b128 v[124:127], off, off offset:264
	s_waitcnt lgkmcnt(0)
	v_fma_f64 v[2:3], v[136:137], v[138:139], v[2:3]
	ds_load_b128 v[132:135], v1 offset:624
	ds_load_b128 v[136:139], v1 offset:640
	s_waitcnt vmcnt(4)
	v_fma_f64 v[2:3], v[116:117], v[140:141], v[2:3]
	s_waitcnt lgkmcnt(1)
	s_delay_alu instid0(VALU_DEP_1) | instskip(SKIP_4) | instid1(VALU_DEP_1)
	v_fma_f64 v[2:3], v[118:119], v[132:133], v[2:3]
	scratch_load_b128 v[116:119], off, off offset:280
	s_waitcnt vmcnt(4)
	v_fma_f64 v[2:3], v[128:129], v[134:135], v[2:3]
	s_waitcnt lgkmcnt(0)
	v_fma_f64 v[2:3], v[130:131], v[136:137], v[2:3]
	scratch_load_b128 v[128:131], off, off offset:296
	s_waitcnt vmcnt(4)
	v_fma_f64 v[2:3], v[120:121], v[138:139], v[2:3]
	ds_load_b128 v[132:135], v1 offset:656
	ds_load_b128 v[136:139], v1 offset:672
	s_waitcnt lgkmcnt(1)
	v_fma_f64 v[2:3], v[122:123], v[132:133], v[2:3]
	scratch_load_b128 v[120:123], off, off offset:312
	s_waitcnt vmcnt(4)
	v_fma_f64 v[2:3], v[112:113], v[134:135], v[2:3]
	s_waitcnt lgkmcnt(0)
	s_delay_alu instid0(VALU_DEP_1)
	v_fma_f64 v[2:3], v[114:115], v[136:137], v[2:3]
	scratch_load_b128 v[112:115], off, off offset:328
	s_waitcnt vmcnt(4)
	v_fma_f64 v[2:3], v[124:125], v[138:139], v[2:3]
	ds_load_b128 v[132:135], v1 offset:688
	ds_load_b128 v[136:139], v1 offset:704
	s_waitcnt lgkmcnt(1)
	v_fma_f64 v[2:3], v[126:127], v[132:133], v[2:3]
	scratch_load_b128 v[124:127], off, off offset:344
	s_waitcnt vmcnt(4)
	v_fma_f64 v[2:3], v[116:117], v[134:135], v[2:3]
	s_waitcnt lgkmcnt(0)
	s_delay_alu instid0(VALU_DEP_1)
	v_fma_f64 v[2:3], v[118:119], v[136:137], v[2:3]
	scratch_load_b128 v[116:119], off, off offset:360
	s_waitcnt vmcnt(4)
	v_fma_f64 v[2:3], v[128:129], v[138:139], v[2:3]
	ds_load_b128 v[132:135], v1 offset:720
	ds_load_b128 v[136:139], v1 offset:736
	s_waitcnt lgkmcnt(1)
	v_fma_f64 v[2:3], v[130:131], v[132:133], v[2:3]
	scratch_load_b128 v[128:131], off, off offset:376
	s_waitcnt vmcnt(4)
	v_fma_f64 v[2:3], v[120:121], v[134:135], v[2:3]
	s_waitcnt lgkmcnt(0)
	s_delay_alu instid0(VALU_DEP_1)
	v_fma_f64 v[2:3], v[122:123], v[136:137], v[2:3]
	scratch_load_b128 v[120:123], off, off offset:392
	s_waitcnt vmcnt(4)
	v_fma_f64 v[2:3], v[112:113], v[138:139], v[2:3]
	ds_load_b128 v[132:135], v1 offset:752
	ds_load_b128 v[136:139], v1 offset:768
	s_waitcnt lgkmcnt(1)
	v_fma_f64 v[2:3], v[114:115], v[132:133], v[2:3]
	scratch_load_b64 v[132:133], off, off offset:408
	s_waitcnt vmcnt(4)
	v_fma_f64 v[2:3], v[124:125], v[134:135], v[2:3]
	s_waitcnt lgkmcnt(0)
	s_delay_alu instid0(VALU_DEP_1)
	v_fma_f64 v[2:3], v[126:127], v[136:137], v[2:3]
	ds_load_b128 v[112:115], v1 offset:784
	ds_load_b128 v[124:127], v1 offset:800
	s_waitcnt vmcnt(3)
	v_fma_f64 v[2:3], v[116:117], v[138:139], v[2:3]
	s_waitcnt lgkmcnt(1)
	s_delay_alu instid0(VALU_DEP_1) | instskip(SKIP_1) | instid1(VALU_DEP_1)
	v_fma_f64 v[2:3], v[118:119], v[112:113], v[2:3]
	s_waitcnt vmcnt(2)
	v_fma_f64 v[2:3], v[128:129], v[114:115], v[2:3]
	s_waitcnt lgkmcnt(0)
	s_delay_alu instid0(VALU_DEP_1) | instskip(SKIP_1) | instid1(VALU_DEP_1)
	v_fma_f64 v[2:3], v[130:131], v[124:125], v[2:3]
	s_waitcnt vmcnt(1)
	v_fma_f64 v[112:113], v[120:121], v[126:127], v[2:3]
	ds_load_b128 v[1:4], v1 offset:816
	s_waitcnt lgkmcnt(0)
	v_fma_f64 v[1:2], v[122:123], v[1:2], v[112:113]
	s_waitcnt vmcnt(0)
	s_delay_alu instid0(VALU_DEP_1) | instskip(NEXT) | instid1(VALU_DEP_1)
	v_fma_f64 v[1:2], v[132:133], v[3:4], v[1:2]
	v_add_f64 v[1:2], v[110:111], -v[1:2]
	scratch_store_b64 off, v[1:2], off offset:72
	v_cmpx_lt_u32_e32 8, v0
	s_cbranch_execz .LBB115_305
; %bb.304:
	scratch_load_b64 v[1:2], off, off offset:64
	v_mov_b32_e32 v3, 0
	s_delay_alu instid0(VALU_DEP_1)
	v_mov_b32_e32 v4, v3
	scratch_store_b64 off, v[3:4], off offset:64
	s_waitcnt vmcnt(0)
	ds_store_b64 v5, v[1:2]
.LBB115_305:
	s_or_b32 exec_lo, exec_lo, s0
	s_waitcnt lgkmcnt(0)
	s_waitcnt_vscnt null, 0x0
	s_barrier
	buffer_gl0_inv
	s_clause 0x4
	scratch_load_b128 v[110:113], off, off offset:64
	scratch_load_b128 v[114:117], off, off offset:80
	;; [unrolled: 1-line block ×5, first 2 shown]
	v_mov_b32_e32 v1, 0
	ds_load_2addr_b64 v[130:133], v1 offset0:61 offset1:62
	ds_load_2addr_b64 v[134:137], v1 offset0:63 offset1:64
	scratch_load_b128 v[138:141], off, off offset:144
	s_mov_b32 s0, exec_lo
	s_waitcnt vmcnt(5) lgkmcnt(1)
	v_fma_f64 v[2:3], v[112:113], v[130:131], 0
	s_waitcnt vmcnt(4)
	s_delay_alu instid0(VALU_DEP_1) | instskip(SKIP_4) | instid1(VALU_DEP_1)
	v_fma_f64 v[2:3], v[114:115], v[132:133], v[2:3]
	scratch_load_b128 v[112:115], off, off offset:160
	s_waitcnt lgkmcnt(0)
	v_fma_f64 v[2:3], v[116:117], v[134:135], v[2:3]
	s_waitcnt vmcnt(4)
	v_fma_f64 v[2:3], v[118:119], v[136:137], v[2:3]
	ds_load_2addr_b64 v[116:119], v1 offset0:65 offset1:66
	ds_load_2addr_b64 v[130:133], v1 offset0:67 offset1:68
	scratch_load_b128 v[134:137], off, off offset:176
	s_waitcnt lgkmcnt(1)
	v_fma_f64 v[2:3], v[120:121], v[116:117], v[2:3]
	s_waitcnt vmcnt(4)
	s_delay_alu instid0(VALU_DEP_1) | instskip(SKIP_4) | instid1(VALU_DEP_1)
	v_fma_f64 v[2:3], v[122:123], v[118:119], v[2:3]
	scratch_load_b128 v[116:119], off, off offset:192
	s_waitcnt lgkmcnt(0)
	v_fma_f64 v[2:3], v[124:125], v[130:131], v[2:3]
	s_waitcnt vmcnt(4)
	v_fma_f64 v[2:3], v[126:127], v[132:133], v[2:3]
	ds_load_2addr_b64 v[120:123], v1 offset0:69 offset1:70
	ds_load_2addr_b64 v[124:127], v1 offset0:71 offset1:72
	s_waitcnt lgkmcnt(1)
	v_fma_f64 v[2:3], v[128:129], v[120:121], v[2:3]
	scratch_load_b128 v[128:131], off, off offset:208
	s_waitcnt vmcnt(4)
	v_fma_f64 v[2:3], v[138:139], v[122:123], v[2:3]
	scratch_load_b128 v[120:123], off, off offset:224
	s_waitcnt lgkmcnt(0)
	v_fma_f64 v[2:3], v[140:141], v[124:125], v[2:3]
	s_waitcnt vmcnt(4)
	s_delay_alu instid0(VALU_DEP_1)
	v_fma_f64 v[2:3], v[112:113], v[126:127], v[2:3]
	ds_load_2addr_b64 v[124:127], v1 offset0:73 offset1:74
	ds_load_2addr_b64 v[138:141], v1 offset0:75 offset1:76
	s_waitcnt lgkmcnt(1)
	v_fma_f64 v[2:3], v[114:115], v[124:125], v[2:3]
	scratch_load_b128 v[112:115], off, off offset:240
	s_waitcnt vmcnt(4)
	v_fma_f64 v[2:3], v[134:135], v[126:127], v[2:3]
	scratch_load_b128 v[124:127], off, off offset:256
	s_waitcnt lgkmcnt(0)
	v_fma_f64 v[2:3], v[136:137], v[138:139], v[2:3]
	ds_load_2addr_b64 v[132:135], v1 offset0:77 offset1:78
	ds_load_2addr_b64 v[136:139], v1 offset0:79 offset1:80
	s_waitcnt vmcnt(4)
	v_fma_f64 v[2:3], v[116:117], v[140:141], v[2:3]
	s_waitcnt lgkmcnt(1)
	s_delay_alu instid0(VALU_DEP_1) | instskip(SKIP_4) | instid1(VALU_DEP_1)
	v_fma_f64 v[2:3], v[118:119], v[132:133], v[2:3]
	scratch_load_b128 v[116:119], off, off offset:272
	s_waitcnt vmcnt(4)
	v_fma_f64 v[2:3], v[128:129], v[134:135], v[2:3]
	s_waitcnt lgkmcnt(0)
	v_fma_f64 v[2:3], v[130:131], v[136:137], v[2:3]
	scratch_load_b128 v[128:131], off, off offset:288
	s_waitcnt vmcnt(4)
	v_fma_f64 v[2:3], v[120:121], v[138:139], v[2:3]
	ds_load_2addr_b64 v[132:135], v1 offset0:81 offset1:82
	ds_load_2addr_b64 v[136:139], v1 offset0:83 offset1:84
	s_waitcnt lgkmcnt(1)
	v_fma_f64 v[2:3], v[122:123], v[132:133], v[2:3]
	scratch_load_b128 v[120:123], off, off offset:304
	s_waitcnt vmcnt(4)
	v_fma_f64 v[2:3], v[112:113], v[134:135], v[2:3]
	s_waitcnt lgkmcnt(0)
	s_delay_alu instid0(VALU_DEP_1)
	v_fma_f64 v[2:3], v[114:115], v[136:137], v[2:3]
	scratch_load_b128 v[112:115], off, off offset:320
	s_waitcnt vmcnt(4)
	v_fma_f64 v[2:3], v[124:125], v[138:139], v[2:3]
	ds_load_2addr_b64 v[132:135], v1 offset0:85 offset1:86
	ds_load_2addr_b64 v[136:139], v1 offset0:87 offset1:88
	s_waitcnt lgkmcnt(1)
	v_fma_f64 v[2:3], v[126:127], v[132:133], v[2:3]
	scratch_load_b128 v[124:127], off, off offset:336
	s_waitcnt vmcnt(4)
	v_fma_f64 v[2:3], v[116:117], v[134:135], v[2:3]
	s_waitcnt lgkmcnt(0)
	s_delay_alu instid0(VALU_DEP_1)
	;; [unrolled: 13-line block ×4, first 2 shown]
	v_fma_f64 v[2:3], v[126:127], v[136:137], v[2:3]
	ds_load_2addr_b64 v[124:127], v1 offset0:97 offset1:98
	ds_load_2addr_b64 v[132:135], v1 offset0:99 offset1:100
	s_waitcnt vmcnt(3)
	v_fma_f64 v[2:3], v[116:117], v[138:139], v[2:3]
	s_waitcnt lgkmcnt(1)
	s_delay_alu instid0(VALU_DEP_1) | instskip(SKIP_1) | instid1(VALU_DEP_1)
	v_fma_f64 v[2:3], v[118:119], v[124:125], v[2:3]
	s_waitcnt vmcnt(2)
	v_fma_f64 v[2:3], v[128:129], v[126:127], v[2:3]
	s_waitcnt lgkmcnt(0)
	s_delay_alu instid0(VALU_DEP_1) | instskip(SKIP_1) | instid1(VALU_DEP_1)
	v_fma_f64 v[2:3], v[130:131], v[132:133], v[2:3]
	s_waitcnt vmcnt(1)
	v_fma_f64 v[2:3], v[120:121], v[134:135], v[2:3]
	ds_load_2addr_b64 v[116:119], v1 offset0:101 offset1:102
	ds_load_b64 v[120:121], v1 offset:824
	s_waitcnt lgkmcnt(1)
	v_fma_f64 v[2:3], v[122:123], v[116:117], v[2:3]
	s_waitcnt vmcnt(0)
	s_delay_alu instid0(VALU_DEP_1) | instskip(SKIP_1) | instid1(VALU_DEP_1)
	v_fma_f64 v[2:3], v[112:113], v[118:119], v[2:3]
	s_waitcnt lgkmcnt(0)
	v_fma_f64 v[2:3], v[114:115], v[120:121], v[2:3]
	s_delay_alu instid0(VALU_DEP_1)
	v_add_f64 v[2:3], v[110:111], -v[2:3]
	scratch_store_b64 off, v[2:3], off offset:64
	v_cmpx_lt_u32_e32 7, v0
	s_cbranch_execz .LBB115_307
; %bb.306:
	scratch_load_b64 v[3:4], off, off offset:56
	v_mov_b32_e32 v2, v1
	scratch_store_b64 off, v[1:2], off offset:56
	s_waitcnt vmcnt(0)
	ds_store_b64 v5, v[3:4]
.LBB115_307:
	s_or_b32 exec_lo, exec_lo, s0
	s_waitcnt lgkmcnt(0)
	s_waitcnt_vscnt null, 0x0
	s_barrier
	buffer_gl0_inv
	s_clause 0x4
	scratch_load_b128 v[110:113], off, off offset:56
	scratch_load_b128 v[114:117], off, off offset:72
	;; [unrolled: 1-line block ×5, first 2 shown]
	ds_load_b128 v[130:133], v1 offset:480
	ds_load_b128 v[134:137], v1 offset:496
	scratch_load_b128 v[138:141], off, off offset:136
	s_mov_b32 s0, exec_lo
	s_waitcnt vmcnt(5) lgkmcnt(1)
	v_fma_f64 v[2:3], v[112:113], v[130:131], 0
	s_waitcnt vmcnt(4)
	s_delay_alu instid0(VALU_DEP_1) | instskip(SKIP_4) | instid1(VALU_DEP_1)
	v_fma_f64 v[2:3], v[114:115], v[132:133], v[2:3]
	scratch_load_b128 v[112:115], off, off offset:152
	s_waitcnt lgkmcnt(0)
	v_fma_f64 v[2:3], v[116:117], v[134:135], v[2:3]
	s_waitcnt vmcnt(4)
	v_fma_f64 v[2:3], v[118:119], v[136:137], v[2:3]
	ds_load_b128 v[116:119], v1 offset:512
	ds_load_b128 v[130:133], v1 offset:528
	scratch_load_b128 v[134:137], off, off offset:168
	s_waitcnt lgkmcnt(1)
	v_fma_f64 v[2:3], v[120:121], v[116:117], v[2:3]
	s_waitcnt vmcnt(4)
	s_delay_alu instid0(VALU_DEP_1) | instskip(SKIP_4) | instid1(VALU_DEP_1)
	v_fma_f64 v[2:3], v[122:123], v[118:119], v[2:3]
	scratch_load_b128 v[116:119], off, off offset:184
	s_waitcnt lgkmcnt(0)
	v_fma_f64 v[2:3], v[124:125], v[130:131], v[2:3]
	s_waitcnt vmcnt(4)
	v_fma_f64 v[2:3], v[126:127], v[132:133], v[2:3]
	ds_load_b128 v[120:123], v1 offset:544
	ds_load_b128 v[124:127], v1 offset:560
	s_waitcnt lgkmcnt(1)
	v_fma_f64 v[2:3], v[128:129], v[120:121], v[2:3]
	scratch_load_b128 v[128:131], off, off offset:200
	s_waitcnt vmcnt(4)
	v_fma_f64 v[2:3], v[138:139], v[122:123], v[2:3]
	scratch_load_b128 v[120:123], off, off offset:216
	s_waitcnt lgkmcnt(0)
	v_fma_f64 v[2:3], v[140:141], v[124:125], v[2:3]
	s_waitcnt vmcnt(4)
	s_delay_alu instid0(VALU_DEP_1)
	v_fma_f64 v[2:3], v[112:113], v[126:127], v[2:3]
	ds_load_b128 v[124:127], v1 offset:576
	ds_load_b128 v[138:141], v1 offset:592
	s_waitcnt lgkmcnt(1)
	v_fma_f64 v[2:3], v[114:115], v[124:125], v[2:3]
	scratch_load_b128 v[112:115], off, off offset:232
	s_waitcnt vmcnt(4)
	v_fma_f64 v[2:3], v[134:135], v[126:127], v[2:3]
	scratch_load_b128 v[124:127], off, off offset:248
	s_waitcnt lgkmcnt(0)
	v_fma_f64 v[2:3], v[136:137], v[138:139], v[2:3]
	ds_load_b128 v[132:135], v1 offset:608
	ds_load_b128 v[136:139], v1 offset:624
	s_waitcnt vmcnt(4)
	v_fma_f64 v[2:3], v[116:117], v[140:141], v[2:3]
	s_waitcnt lgkmcnt(1)
	s_delay_alu instid0(VALU_DEP_1) | instskip(SKIP_4) | instid1(VALU_DEP_1)
	v_fma_f64 v[2:3], v[118:119], v[132:133], v[2:3]
	scratch_load_b128 v[116:119], off, off offset:264
	s_waitcnt vmcnt(4)
	v_fma_f64 v[2:3], v[128:129], v[134:135], v[2:3]
	s_waitcnt lgkmcnt(0)
	v_fma_f64 v[2:3], v[130:131], v[136:137], v[2:3]
	scratch_load_b128 v[128:131], off, off offset:280
	s_waitcnt vmcnt(4)
	v_fma_f64 v[2:3], v[120:121], v[138:139], v[2:3]
	ds_load_b128 v[132:135], v1 offset:640
	ds_load_b128 v[136:139], v1 offset:656
	s_waitcnt lgkmcnt(1)
	v_fma_f64 v[2:3], v[122:123], v[132:133], v[2:3]
	scratch_load_b128 v[120:123], off, off offset:296
	s_waitcnt vmcnt(4)
	v_fma_f64 v[2:3], v[112:113], v[134:135], v[2:3]
	s_waitcnt lgkmcnt(0)
	s_delay_alu instid0(VALU_DEP_1)
	v_fma_f64 v[2:3], v[114:115], v[136:137], v[2:3]
	scratch_load_b128 v[112:115], off, off offset:312
	s_waitcnt vmcnt(4)
	v_fma_f64 v[2:3], v[124:125], v[138:139], v[2:3]
	ds_load_b128 v[132:135], v1 offset:672
	ds_load_b128 v[136:139], v1 offset:688
	s_waitcnt lgkmcnt(1)
	v_fma_f64 v[2:3], v[126:127], v[132:133], v[2:3]
	scratch_load_b128 v[124:127], off, off offset:328
	s_waitcnt vmcnt(4)
	v_fma_f64 v[2:3], v[116:117], v[134:135], v[2:3]
	s_waitcnt lgkmcnt(0)
	s_delay_alu instid0(VALU_DEP_1)
	;; [unrolled: 13-line block ×4, first 2 shown]
	v_fma_f64 v[2:3], v[126:127], v[136:137], v[2:3]
	scratch_load_b64 v[136:137], off, off offset:408
	ds_load_b128 v[124:127], v1 offset:768
	ds_load_b128 v[132:135], v1 offset:784
	s_waitcnt vmcnt(4)
	v_fma_f64 v[2:3], v[116:117], v[138:139], v[2:3]
	s_waitcnt lgkmcnt(1)
	s_delay_alu instid0(VALU_DEP_1) | instskip(SKIP_1) | instid1(VALU_DEP_1)
	v_fma_f64 v[2:3], v[118:119], v[124:125], v[2:3]
	s_waitcnt vmcnt(3)
	v_fma_f64 v[2:3], v[128:129], v[126:127], v[2:3]
	s_waitcnt lgkmcnt(0)
	s_delay_alu instid0(VALU_DEP_1) | instskip(SKIP_1) | instid1(VALU_DEP_1)
	v_fma_f64 v[2:3], v[130:131], v[132:133], v[2:3]
	s_waitcnt vmcnt(2)
	v_fma_f64 v[120:121], v[120:121], v[134:135], v[2:3]
	ds_load_b128 v[116:119], v1 offset:800
	ds_load_b128 v[1:4], v1 offset:816
	s_waitcnt lgkmcnt(1)
	v_fma_f64 v[116:117], v[122:123], v[116:117], v[120:121]
	s_waitcnt vmcnt(1)
	s_delay_alu instid0(VALU_DEP_1) | instskip(SKIP_1) | instid1(VALU_DEP_1)
	v_fma_f64 v[112:113], v[112:113], v[118:119], v[116:117]
	s_waitcnt lgkmcnt(0)
	v_fma_f64 v[1:2], v[114:115], v[1:2], v[112:113]
	s_waitcnt vmcnt(0)
	s_delay_alu instid0(VALU_DEP_1) | instskip(NEXT) | instid1(VALU_DEP_1)
	v_fma_f64 v[1:2], v[136:137], v[3:4], v[1:2]
	v_add_f64 v[1:2], v[110:111], -v[1:2]
	scratch_store_b64 off, v[1:2], off offset:56
	v_cmpx_lt_u32_e32 6, v0
	s_cbranch_execz .LBB115_309
; %bb.308:
	scratch_load_b64 v[1:2], off, off offset:48
	v_mov_b32_e32 v3, 0
	s_delay_alu instid0(VALU_DEP_1)
	v_mov_b32_e32 v4, v3
	scratch_store_b64 off, v[3:4], off offset:48
	s_waitcnt vmcnt(0)
	ds_store_b64 v5, v[1:2]
.LBB115_309:
	s_or_b32 exec_lo, exec_lo, s0
	s_waitcnt lgkmcnt(0)
	s_waitcnt_vscnt null, 0x0
	s_barrier
	buffer_gl0_inv
	s_clause 0x4
	scratch_load_b128 v[1:4], off, off offset:48
	scratch_load_b128 v[111:114], off, off offset:64
	;; [unrolled: 1-line block ×5, first 2 shown]
	v_mov_b32_e32 v110, 0
	ds_load_2addr_b64 v[127:130], v110 offset0:59 offset1:60
	ds_load_2addr_b64 v[131:134], v110 offset0:61 offset1:62
	scratch_load_b128 v[135:138], off, off offset:128
	s_mov_b32 s0, exec_lo
	s_waitcnt vmcnt(5) lgkmcnt(1)
	v_fma_f64 v[3:4], v[3:4], v[127:128], 0
	s_waitcnt vmcnt(4)
	s_delay_alu instid0(VALU_DEP_1) | instskip(SKIP_1) | instid1(VALU_DEP_1)
	v_fma_f64 v[3:4], v[111:112], v[129:130], v[3:4]
	s_waitcnt lgkmcnt(0)
	v_fma_f64 v[3:4], v[113:114], v[131:132], v[3:4]
	scratch_load_b128 v[111:114], off, off offset:144
	s_waitcnt vmcnt(4)
	v_fma_f64 v[3:4], v[115:116], v[133:134], v[3:4]
	ds_load_2addr_b64 v[127:130], v110 offset0:63 offset1:64
	ds_load_2addr_b64 v[131:134], v110 offset0:65 offset1:66
	s_waitcnt lgkmcnt(1)
	v_fma_f64 v[3:4], v[117:118], v[127:128], v[3:4]
	scratch_load_b128 v[115:118], off, off offset:160
	s_waitcnt vmcnt(4)
	v_fma_f64 v[3:4], v[119:120], v[129:130], v[3:4]
	s_waitcnt lgkmcnt(0)
	s_delay_alu instid0(VALU_DEP_1)
	v_fma_f64 v[3:4], v[121:122], v[131:132], v[3:4]
	scratch_load_b128 v[119:122], off, off offset:176
	s_waitcnt vmcnt(4)
	v_fma_f64 v[3:4], v[123:124], v[133:134], v[3:4]
	ds_load_2addr_b64 v[127:130], v110 offset0:67 offset1:68
	ds_load_2addr_b64 v[131:134], v110 offset0:69 offset1:70
	s_waitcnt lgkmcnt(1)
	v_fma_f64 v[3:4], v[125:126], v[127:128], v[3:4]
	scratch_load_b128 v[123:126], off, off offset:192
	s_waitcnt vmcnt(4)
	v_fma_f64 v[3:4], v[135:136], v[129:130], v[3:4]
	scratch_load_b128 v[127:130], off, off offset:208
	s_waitcnt lgkmcnt(0)
	v_fma_f64 v[3:4], v[137:138], v[131:132], v[3:4]
	s_waitcnt vmcnt(4)
	s_delay_alu instid0(VALU_DEP_1)
	v_fma_f64 v[3:4], v[111:112], v[133:134], v[3:4]
	ds_load_2addr_b64 v[131:134], v110 offset0:71 offset1:72
	ds_load_2addr_b64 v[135:138], v110 offset0:73 offset1:74
	s_waitcnt lgkmcnt(1)
	v_fma_f64 v[3:4], v[113:114], v[131:132], v[3:4]
	scratch_load_b128 v[111:114], off, off offset:224
	s_waitcnt vmcnt(4)
	v_fma_f64 v[3:4], v[115:116], v[133:134], v[3:4]
	s_waitcnt lgkmcnt(0)
	s_delay_alu instid0(VALU_DEP_1)
	v_fma_f64 v[3:4], v[117:118], v[135:136], v[3:4]
	scratch_load_b128 v[115:118], off, off offset:240
	s_waitcnt vmcnt(4)
	v_fma_f64 v[3:4], v[119:120], v[137:138], v[3:4]
	ds_load_2addr_b64 v[131:134], v110 offset0:75 offset1:76
	ds_load_2addr_b64 v[135:138], v110 offset0:77 offset1:78
	s_waitcnt lgkmcnt(1)
	v_fma_f64 v[3:4], v[121:122], v[131:132], v[3:4]
	scratch_load_b128 v[119:122], off, off offset:256
	s_waitcnt vmcnt(4)
	v_fma_f64 v[3:4], v[123:124], v[133:134], v[3:4]
	s_waitcnt lgkmcnt(0)
	s_delay_alu instid0(VALU_DEP_1)
	v_fma_f64 v[3:4], v[125:126], v[135:136], v[3:4]
	scratch_load_b128 v[123:126], off, off offset:272
	s_waitcnt vmcnt(4)
	;; [unrolled: 13-line block ×6, first 2 shown]
	v_fma_f64 v[3:4], v[119:120], v[137:138], v[3:4]
	ds_load_2addr_b64 v[131:134], v110 offset0:95 offset1:96
	ds_load_2addr_b64 v[135:138], v110 offset0:97 offset1:98
	s_waitcnt lgkmcnt(1)
	v_fma_f64 v[3:4], v[121:122], v[131:132], v[3:4]
	s_waitcnt vmcnt(3)
	s_delay_alu instid0(VALU_DEP_1) | instskip(SKIP_1) | instid1(VALU_DEP_1)
	v_fma_f64 v[3:4], v[123:124], v[133:134], v[3:4]
	s_waitcnt lgkmcnt(0)
	v_fma_f64 v[3:4], v[125:126], v[135:136], v[3:4]
	ds_load_2addr_b64 v[119:122], v110 offset0:99 offset1:100
	ds_load_2addr_b64 v[123:126], v110 offset0:101 offset1:102
	s_waitcnt vmcnt(2)
	v_fma_f64 v[3:4], v[127:128], v[137:138], v[3:4]
	s_waitcnt lgkmcnt(1)
	s_delay_alu instid0(VALU_DEP_1) | instskip(SKIP_1) | instid1(VALU_DEP_1)
	v_fma_f64 v[3:4], v[129:130], v[119:120], v[3:4]
	s_waitcnt vmcnt(1)
	v_fma_f64 v[3:4], v[111:112], v[121:122], v[3:4]
	ds_load_b64 v[111:112], v110 offset:824
	s_waitcnt lgkmcnt(1)
	v_fma_f64 v[3:4], v[113:114], v[123:124], v[3:4]
	s_waitcnt vmcnt(0)
	s_delay_alu instid0(VALU_DEP_1) | instskip(SKIP_1) | instid1(VALU_DEP_1)
	v_fma_f64 v[3:4], v[115:116], v[125:126], v[3:4]
	s_waitcnt lgkmcnt(0)
	v_fma_f64 v[3:4], v[117:118], v[111:112], v[3:4]
	s_delay_alu instid0(VALU_DEP_1)
	v_add_f64 v[1:2], v[1:2], -v[3:4]
	scratch_store_b64 off, v[1:2], off offset:48
	v_cmpx_lt_u32_e32 5, v0
	s_cbranch_execz .LBB115_311
; %bb.310:
	scratch_load_b64 v[1:2], off, off offset:40
	v_mov_b32_e32 v111, v110
	scratch_store_b64 off, v[110:111], off offset:40
	s_waitcnt vmcnt(0)
	ds_store_b64 v5, v[1:2]
.LBB115_311:
	s_or_b32 exec_lo, exec_lo, s0
	s_waitcnt lgkmcnt(0)
	s_waitcnt_vscnt null, 0x0
	s_barrier
	buffer_gl0_inv
	s_clause 0x4
	scratch_load_b128 v[1:4], off, off offset:40
	scratch_load_b128 v[111:114], off, off offset:56
	;; [unrolled: 1-line block ×5, first 2 shown]
	ds_load_b128 v[127:130], v110 offset:464
	ds_load_b128 v[131:134], v110 offset:480
	scratch_load_b128 v[135:138], off, off offset:120
	s_mov_b32 s0, exec_lo
	s_waitcnt vmcnt(5) lgkmcnt(1)
	v_fma_f64 v[3:4], v[3:4], v[127:128], 0
	s_waitcnt vmcnt(4)
	s_delay_alu instid0(VALU_DEP_1) | instskip(SKIP_1) | instid1(VALU_DEP_1)
	v_fma_f64 v[3:4], v[111:112], v[129:130], v[3:4]
	s_waitcnt lgkmcnt(0)
	v_fma_f64 v[3:4], v[113:114], v[131:132], v[3:4]
	scratch_load_b128 v[111:114], off, off offset:136
	s_waitcnt vmcnt(4)
	v_fma_f64 v[3:4], v[115:116], v[133:134], v[3:4]
	ds_load_b128 v[127:130], v110 offset:496
	ds_load_b128 v[131:134], v110 offset:512
	s_waitcnt lgkmcnt(1)
	v_fma_f64 v[3:4], v[117:118], v[127:128], v[3:4]
	scratch_load_b128 v[115:118], off, off offset:152
	s_waitcnt vmcnt(4)
	v_fma_f64 v[3:4], v[119:120], v[129:130], v[3:4]
	s_waitcnt lgkmcnt(0)
	s_delay_alu instid0(VALU_DEP_1)
	v_fma_f64 v[3:4], v[121:122], v[131:132], v[3:4]
	scratch_load_b128 v[119:122], off, off offset:168
	s_waitcnt vmcnt(4)
	v_fma_f64 v[3:4], v[123:124], v[133:134], v[3:4]
	ds_load_b128 v[127:130], v110 offset:528
	ds_load_b128 v[131:134], v110 offset:544
	s_waitcnt lgkmcnt(1)
	v_fma_f64 v[3:4], v[125:126], v[127:128], v[3:4]
	scratch_load_b128 v[123:126], off, off offset:184
	s_waitcnt vmcnt(4)
	v_fma_f64 v[3:4], v[135:136], v[129:130], v[3:4]
	scratch_load_b128 v[127:130], off, off offset:200
	s_waitcnt lgkmcnt(0)
	v_fma_f64 v[3:4], v[137:138], v[131:132], v[3:4]
	s_waitcnt vmcnt(4)
	s_delay_alu instid0(VALU_DEP_1)
	v_fma_f64 v[3:4], v[111:112], v[133:134], v[3:4]
	ds_load_b128 v[131:134], v110 offset:560
	ds_load_b128 v[135:138], v110 offset:576
	s_waitcnt lgkmcnt(1)
	v_fma_f64 v[3:4], v[113:114], v[131:132], v[3:4]
	scratch_load_b128 v[111:114], off, off offset:216
	s_waitcnt vmcnt(4)
	v_fma_f64 v[3:4], v[115:116], v[133:134], v[3:4]
	s_waitcnt lgkmcnt(0)
	s_delay_alu instid0(VALU_DEP_1)
	v_fma_f64 v[3:4], v[117:118], v[135:136], v[3:4]
	scratch_load_b128 v[115:118], off, off offset:232
	s_waitcnt vmcnt(4)
	v_fma_f64 v[3:4], v[119:120], v[137:138], v[3:4]
	ds_load_b128 v[131:134], v110 offset:592
	ds_load_b128 v[135:138], v110 offset:608
	s_waitcnt lgkmcnt(1)
	v_fma_f64 v[3:4], v[121:122], v[131:132], v[3:4]
	scratch_load_b128 v[119:122], off, off offset:248
	s_waitcnt vmcnt(4)
	v_fma_f64 v[3:4], v[123:124], v[133:134], v[3:4]
	s_waitcnt lgkmcnt(0)
	s_delay_alu instid0(VALU_DEP_1)
	v_fma_f64 v[3:4], v[125:126], v[135:136], v[3:4]
	scratch_load_b128 v[123:126], off, off offset:264
	s_waitcnt vmcnt(4)
	;; [unrolled: 13-line block ×6, first 2 shown]
	v_fma_f64 v[3:4], v[119:120], v[137:138], v[3:4]
	ds_load_b128 v[131:134], v110 offset:752
	ds_load_b128 v[135:138], v110 offset:768
	s_waitcnt lgkmcnt(1)
	v_fma_f64 v[3:4], v[121:122], v[131:132], v[3:4]
	scratch_load_b64 v[131:132], off, off offset:408
	s_waitcnt vmcnt(4)
	v_fma_f64 v[3:4], v[123:124], v[133:134], v[3:4]
	s_waitcnt lgkmcnt(0)
	s_delay_alu instid0(VALU_DEP_1)
	v_fma_f64 v[3:4], v[125:126], v[135:136], v[3:4]
	ds_load_b128 v[119:122], v110 offset:784
	ds_load_b128 v[123:126], v110 offset:800
	s_waitcnt vmcnt(3)
	v_fma_f64 v[3:4], v[127:128], v[137:138], v[3:4]
	s_waitcnt lgkmcnt(1)
	s_delay_alu instid0(VALU_DEP_1) | instskip(SKIP_1) | instid1(VALU_DEP_1)
	v_fma_f64 v[3:4], v[129:130], v[119:120], v[3:4]
	s_waitcnt vmcnt(2)
	v_fma_f64 v[3:4], v[111:112], v[121:122], v[3:4]
	s_waitcnt lgkmcnt(0)
	s_delay_alu instid0(VALU_DEP_1) | instskip(SKIP_4) | instid1(VALU_DEP_1)
	v_fma_f64 v[3:4], v[113:114], v[123:124], v[3:4]
	ds_load_b128 v[110:113], v110 offset:816
	s_waitcnt vmcnt(1)
	v_fma_f64 v[3:4], v[115:116], v[125:126], v[3:4]
	s_waitcnt lgkmcnt(0)
	v_fma_f64 v[3:4], v[117:118], v[110:111], v[3:4]
	s_waitcnt vmcnt(0)
	s_delay_alu instid0(VALU_DEP_1) | instskip(NEXT) | instid1(VALU_DEP_1)
	v_fma_f64 v[3:4], v[131:132], v[112:113], v[3:4]
	v_add_f64 v[1:2], v[1:2], -v[3:4]
	scratch_store_b64 off, v[1:2], off offset:40
	v_cmpx_lt_u32_e32 4, v0
	s_cbranch_execz .LBB115_313
; %bb.312:
	scratch_load_b64 v[1:2], off, off offset:32
	v_mov_b32_e32 v3, 0
	s_delay_alu instid0(VALU_DEP_1)
	v_mov_b32_e32 v4, v3
	scratch_store_b64 off, v[3:4], off offset:32
	s_waitcnt vmcnt(0)
	ds_store_b64 v5, v[1:2]
.LBB115_313:
	s_or_b32 exec_lo, exec_lo, s0
	s_waitcnt lgkmcnt(0)
	s_waitcnt_vscnt null, 0x0
	s_barrier
	buffer_gl0_inv
	s_clause 0x4
	scratch_load_b128 v[1:4], off, off offset:32
	scratch_load_b128 v[111:114], off, off offset:48
	;; [unrolled: 1-line block ×5, first 2 shown]
	v_mov_b32_e32 v110, 0
	ds_load_2addr_b64 v[127:130], v110 offset0:57 offset1:58
	ds_load_2addr_b64 v[131:134], v110 offset0:59 offset1:60
	scratch_load_b128 v[135:138], off, off offset:112
	s_mov_b32 s0, exec_lo
	s_waitcnt vmcnt(5) lgkmcnt(1)
	v_fma_f64 v[3:4], v[3:4], v[127:128], 0
	s_waitcnt vmcnt(4)
	s_delay_alu instid0(VALU_DEP_1) | instskip(SKIP_1) | instid1(VALU_DEP_1)
	v_fma_f64 v[3:4], v[111:112], v[129:130], v[3:4]
	s_waitcnt lgkmcnt(0)
	v_fma_f64 v[3:4], v[113:114], v[131:132], v[3:4]
	scratch_load_b128 v[111:114], off, off offset:128
	s_waitcnt vmcnt(4)
	v_fma_f64 v[3:4], v[115:116], v[133:134], v[3:4]
	ds_load_2addr_b64 v[127:130], v110 offset0:61 offset1:62
	ds_load_2addr_b64 v[131:134], v110 offset0:63 offset1:64
	s_waitcnt lgkmcnt(1)
	v_fma_f64 v[3:4], v[117:118], v[127:128], v[3:4]
	scratch_load_b128 v[115:118], off, off offset:144
	s_waitcnt vmcnt(4)
	v_fma_f64 v[3:4], v[119:120], v[129:130], v[3:4]
	s_waitcnt lgkmcnt(0)
	s_delay_alu instid0(VALU_DEP_1)
	v_fma_f64 v[3:4], v[121:122], v[131:132], v[3:4]
	scratch_load_b128 v[119:122], off, off offset:160
	s_waitcnt vmcnt(4)
	v_fma_f64 v[3:4], v[123:124], v[133:134], v[3:4]
	ds_load_2addr_b64 v[127:130], v110 offset0:65 offset1:66
	ds_load_2addr_b64 v[131:134], v110 offset0:67 offset1:68
	s_waitcnt lgkmcnt(1)
	v_fma_f64 v[3:4], v[125:126], v[127:128], v[3:4]
	scratch_load_b128 v[123:126], off, off offset:176
	s_waitcnt vmcnt(4)
	v_fma_f64 v[3:4], v[135:136], v[129:130], v[3:4]
	scratch_load_b128 v[127:130], off, off offset:192
	s_waitcnt lgkmcnt(0)
	v_fma_f64 v[3:4], v[137:138], v[131:132], v[3:4]
	s_waitcnt vmcnt(4)
	s_delay_alu instid0(VALU_DEP_1)
	v_fma_f64 v[3:4], v[111:112], v[133:134], v[3:4]
	ds_load_2addr_b64 v[131:134], v110 offset0:69 offset1:70
	ds_load_2addr_b64 v[135:138], v110 offset0:71 offset1:72
	s_waitcnt lgkmcnt(1)
	v_fma_f64 v[3:4], v[113:114], v[131:132], v[3:4]
	scratch_load_b128 v[111:114], off, off offset:208
	s_waitcnt vmcnt(4)
	v_fma_f64 v[3:4], v[115:116], v[133:134], v[3:4]
	s_waitcnt lgkmcnt(0)
	s_delay_alu instid0(VALU_DEP_1)
	v_fma_f64 v[3:4], v[117:118], v[135:136], v[3:4]
	scratch_load_b128 v[115:118], off, off offset:224
	s_waitcnt vmcnt(4)
	v_fma_f64 v[3:4], v[119:120], v[137:138], v[3:4]
	ds_load_2addr_b64 v[131:134], v110 offset0:73 offset1:74
	ds_load_2addr_b64 v[135:138], v110 offset0:75 offset1:76
	s_waitcnt lgkmcnt(1)
	v_fma_f64 v[3:4], v[121:122], v[131:132], v[3:4]
	scratch_load_b128 v[119:122], off, off offset:240
	s_waitcnt vmcnt(4)
	v_fma_f64 v[3:4], v[123:124], v[133:134], v[3:4]
	s_waitcnt lgkmcnt(0)
	s_delay_alu instid0(VALU_DEP_1)
	v_fma_f64 v[3:4], v[125:126], v[135:136], v[3:4]
	scratch_load_b128 v[123:126], off, off offset:256
	s_waitcnt vmcnt(4)
	;; [unrolled: 13-line block ×6, first 2 shown]
	v_fma_f64 v[3:4], v[119:120], v[137:138], v[3:4]
	ds_load_2addr_b64 v[131:134], v110 offset0:93 offset1:94
	ds_load_2addr_b64 v[135:138], v110 offset0:95 offset1:96
	s_waitcnt lgkmcnt(1)
	v_fma_f64 v[3:4], v[121:122], v[131:132], v[3:4]
	scratch_load_b128 v[119:122], off, off offset:400
	s_waitcnt vmcnt(4)
	v_fma_f64 v[3:4], v[123:124], v[133:134], v[3:4]
	s_waitcnt lgkmcnt(0)
	s_delay_alu instid0(VALU_DEP_1)
	v_fma_f64 v[3:4], v[125:126], v[135:136], v[3:4]
	ds_load_2addr_b64 v[123:126], v110 offset0:97 offset1:98
	ds_load_2addr_b64 v[131:134], v110 offset0:99 offset1:100
	s_waitcnt vmcnt(3)
	v_fma_f64 v[3:4], v[127:128], v[137:138], v[3:4]
	s_waitcnt lgkmcnt(1)
	s_delay_alu instid0(VALU_DEP_1) | instskip(SKIP_1) | instid1(VALU_DEP_1)
	v_fma_f64 v[3:4], v[129:130], v[123:124], v[3:4]
	s_waitcnt vmcnt(2)
	v_fma_f64 v[3:4], v[111:112], v[125:126], v[3:4]
	s_waitcnt lgkmcnt(0)
	s_delay_alu instid0(VALU_DEP_1) | instskip(SKIP_1) | instid1(VALU_DEP_1)
	v_fma_f64 v[3:4], v[113:114], v[131:132], v[3:4]
	s_waitcnt vmcnt(1)
	v_fma_f64 v[3:4], v[115:116], v[133:134], v[3:4]
	ds_load_2addr_b64 v[111:114], v110 offset0:101 offset1:102
	ds_load_b64 v[115:116], v110 offset:824
	s_waitcnt lgkmcnt(1)
	v_fma_f64 v[3:4], v[117:118], v[111:112], v[3:4]
	s_waitcnt vmcnt(0)
	s_delay_alu instid0(VALU_DEP_1) | instskip(SKIP_1) | instid1(VALU_DEP_1)
	v_fma_f64 v[3:4], v[119:120], v[113:114], v[3:4]
	s_waitcnt lgkmcnt(0)
	v_fma_f64 v[3:4], v[121:122], v[115:116], v[3:4]
	s_delay_alu instid0(VALU_DEP_1)
	v_add_f64 v[1:2], v[1:2], -v[3:4]
	scratch_store_b64 off, v[1:2], off offset:32
	v_cmpx_lt_u32_e32 3, v0
	s_cbranch_execz .LBB115_315
; %bb.314:
	scratch_load_b64 v[1:2], off, off offset:24
	v_mov_b32_e32 v111, v110
	scratch_store_b64 off, v[110:111], off offset:24
	s_waitcnt vmcnt(0)
	ds_store_b64 v5, v[1:2]
.LBB115_315:
	s_or_b32 exec_lo, exec_lo, s0
	s_waitcnt lgkmcnt(0)
	s_waitcnt_vscnt null, 0x0
	s_barrier
	buffer_gl0_inv
	s_clause 0x4
	scratch_load_b128 v[1:4], off, off offset:24
	scratch_load_b128 v[111:114], off, off offset:40
	;; [unrolled: 1-line block ×5, first 2 shown]
	ds_load_b128 v[127:130], v110 offset:448
	ds_load_b128 v[131:134], v110 offset:464
	scratch_load_b128 v[135:138], off, off offset:104
	s_mov_b32 s0, exec_lo
	s_waitcnt vmcnt(5) lgkmcnt(1)
	v_fma_f64 v[3:4], v[3:4], v[127:128], 0
	s_waitcnt vmcnt(4)
	s_delay_alu instid0(VALU_DEP_1) | instskip(SKIP_1) | instid1(VALU_DEP_1)
	v_fma_f64 v[3:4], v[111:112], v[129:130], v[3:4]
	s_waitcnt lgkmcnt(0)
	v_fma_f64 v[3:4], v[113:114], v[131:132], v[3:4]
	scratch_load_b128 v[111:114], off, off offset:120
	s_waitcnt vmcnt(4)
	v_fma_f64 v[3:4], v[115:116], v[133:134], v[3:4]
	ds_load_b128 v[127:130], v110 offset:480
	ds_load_b128 v[131:134], v110 offset:496
	s_waitcnt lgkmcnt(1)
	v_fma_f64 v[3:4], v[117:118], v[127:128], v[3:4]
	scratch_load_b128 v[115:118], off, off offset:136
	s_waitcnt vmcnt(4)
	v_fma_f64 v[3:4], v[119:120], v[129:130], v[3:4]
	s_waitcnt lgkmcnt(0)
	s_delay_alu instid0(VALU_DEP_1)
	v_fma_f64 v[3:4], v[121:122], v[131:132], v[3:4]
	scratch_load_b128 v[119:122], off, off offset:152
	s_waitcnt vmcnt(4)
	v_fma_f64 v[3:4], v[123:124], v[133:134], v[3:4]
	ds_load_b128 v[127:130], v110 offset:512
	ds_load_b128 v[131:134], v110 offset:528
	s_waitcnt lgkmcnt(1)
	v_fma_f64 v[3:4], v[125:126], v[127:128], v[3:4]
	scratch_load_b128 v[123:126], off, off offset:168
	s_waitcnt vmcnt(4)
	v_fma_f64 v[3:4], v[135:136], v[129:130], v[3:4]
	scratch_load_b128 v[127:130], off, off offset:184
	s_waitcnt lgkmcnt(0)
	v_fma_f64 v[3:4], v[137:138], v[131:132], v[3:4]
	s_waitcnt vmcnt(4)
	s_delay_alu instid0(VALU_DEP_1)
	v_fma_f64 v[3:4], v[111:112], v[133:134], v[3:4]
	ds_load_b128 v[131:134], v110 offset:544
	ds_load_b128 v[135:138], v110 offset:560
	s_waitcnt lgkmcnt(1)
	v_fma_f64 v[3:4], v[113:114], v[131:132], v[3:4]
	scratch_load_b128 v[111:114], off, off offset:200
	s_waitcnt vmcnt(4)
	v_fma_f64 v[3:4], v[115:116], v[133:134], v[3:4]
	s_waitcnt lgkmcnt(0)
	s_delay_alu instid0(VALU_DEP_1)
	v_fma_f64 v[3:4], v[117:118], v[135:136], v[3:4]
	scratch_load_b128 v[115:118], off, off offset:216
	s_waitcnt vmcnt(4)
	v_fma_f64 v[3:4], v[119:120], v[137:138], v[3:4]
	ds_load_b128 v[131:134], v110 offset:576
	ds_load_b128 v[135:138], v110 offset:592
	s_waitcnt lgkmcnt(1)
	v_fma_f64 v[3:4], v[121:122], v[131:132], v[3:4]
	scratch_load_b128 v[119:122], off, off offset:232
	s_waitcnt vmcnt(4)
	v_fma_f64 v[3:4], v[123:124], v[133:134], v[3:4]
	s_waitcnt lgkmcnt(0)
	s_delay_alu instid0(VALU_DEP_1)
	v_fma_f64 v[3:4], v[125:126], v[135:136], v[3:4]
	scratch_load_b128 v[123:126], off, off offset:248
	s_waitcnt vmcnt(4)
	;; [unrolled: 13-line block ×6, first 2 shown]
	v_fma_f64 v[3:4], v[119:120], v[137:138], v[3:4]
	ds_load_b128 v[131:134], v110 offset:736
	ds_load_b128 v[135:138], v110 offset:752
	s_waitcnt lgkmcnt(1)
	v_fma_f64 v[3:4], v[121:122], v[131:132], v[3:4]
	scratch_load_b128 v[119:122], off, off offset:392
	s_waitcnt vmcnt(4)
	v_fma_f64 v[3:4], v[123:124], v[133:134], v[3:4]
	s_waitcnt lgkmcnt(0)
	s_delay_alu instid0(VALU_DEP_1)
	v_fma_f64 v[3:4], v[125:126], v[135:136], v[3:4]
	scratch_load_b64 v[135:136], off, off offset:408
	ds_load_b128 v[123:126], v110 offset:768
	ds_load_b128 v[131:134], v110 offset:784
	s_waitcnt vmcnt(4)
	v_fma_f64 v[3:4], v[127:128], v[137:138], v[3:4]
	s_waitcnt lgkmcnt(1)
	s_delay_alu instid0(VALU_DEP_1) | instskip(SKIP_1) | instid1(VALU_DEP_1)
	v_fma_f64 v[3:4], v[129:130], v[123:124], v[3:4]
	s_waitcnt vmcnt(3)
	v_fma_f64 v[3:4], v[111:112], v[125:126], v[3:4]
	s_waitcnt lgkmcnt(0)
	s_delay_alu instid0(VALU_DEP_1)
	v_fma_f64 v[3:4], v[113:114], v[131:132], v[3:4]
	ds_load_b128 v[111:114], v110 offset:800
	ds_load_b128 v[123:126], v110 offset:816
	s_waitcnt vmcnt(2)
	v_fma_f64 v[3:4], v[115:116], v[133:134], v[3:4]
	s_waitcnt lgkmcnt(1)
	s_delay_alu instid0(VALU_DEP_1) | instskip(SKIP_1) | instid1(VALU_DEP_1)
	v_fma_f64 v[3:4], v[117:118], v[111:112], v[3:4]
	s_waitcnt vmcnt(1)
	v_fma_f64 v[3:4], v[119:120], v[113:114], v[3:4]
	s_waitcnt lgkmcnt(0)
	s_delay_alu instid0(VALU_DEP_1) | instskip(SKIP_1) | instid1(VALU_DEP_1)
	v_fma_f64 v[3:4], v[121:122], v[123:124], v[3:4]
	s_waitcnt vmcnt(0)
	v_fma_f64 v[3:4], v[135:136], v[125:126], v[3:4]
	s_delay_alu instid0(VALU_DEP_1)
	v_add_f64 v[1:2], v[1:2], -v[3:4]
	scratch_store_b64 off, v[1:2], off offset:24
	v_cmpx_lt_u32_e32 2, v0
	s_cbranch_execz .LBB115_317
; %bb.316:
	scratch_load_b64 v[1:2], off, off offset:16
	v_mov_b32_e32 v3, 0
	s_delay_alu instid0(VALU_DEP_1)
	v_mov_b32_e32 v4, v3
	scratch_store_b64 off, v[3:4], off offset:16
	s_waitcnt vmcnt(0)
	ds_store_b64 v5, v[1:2]
.LBB115_317:
	s_or_b32 exec_lo, exec_lo, s0
	s_waitcnt lgkmcnt(0)
	s_waitcnt_vscnt null, 0x0
	s_barrier
	buffer_gl0_inv
	s_clause 0x4
	scratch_load_b128 v[1:4], off, off offset:16
	scratch_load_b128 v[111:114], off, off offset:32
	;; [unrolled: 1-line block ×5, first 2 shown]
	v_mov_b32_e32 v110, 0
	ds_load_2addr_b64 v[127:130], v110 offset0:55 offset1:56
	ds_load_2addr_b64 v[131:134], v110 offset0:57 offset1:58
	scratch_load_b128 v[135:138], off, off offset:96
	s_mov_b32 s0, exec_lo
	s_waitcnt vmcnt(5) lgkmcnt(1)
	v_fma_f64 v[3:4], v[3:4], v[127:128], 0
	s_waitcnt vmcnt(4)
	s_delay_alu instid0(VALU_DEP_1) | instskip(SKIP_1) | instid1(VALU_DEP_1)
	v_fma_f64 v[3:4], v[111:112], v[129:130], v[3:4]
	s_waitcnt lgkmcnt(0)
	v_fma_f64 v[3:4], v[113:114], v[131:132], v[3:4]
	scratch_load_b128 v[111:114], off, off offset:112
	s_waitcnt vmcnt(4)
	v_fma_f64 v[3:4], v[115:116], v[133:134], v[3:4]
	ds_load_2addr_b64 v[127:130], v110 offset0:59 offset1:60
	ds_load_2addr_b64 v[131:134], v110 offset0:61 offset1:62
	s_waitcnt lgkmcnt(1)
	v_fma_f64 v[3:4], v[117:118], v[127:128], v[3:4]
	scratch_load_b128 v[115:118], off, off offset:128
	s_waitcnt vmcnt(4)
	v_fma_f64 v[3:4], v[119:120], v[129:130], v[3:4]
	s_waitcnt lgkmcnt(0)
	s_delay_alu instid0(VALU_DEP_1)
	v_fma_f64 v[3:4], v[121:122], v[131:132], v[3:4]
	scratch_load_b128 v[119:122], off, off offset:144
	s_waitcnt vmcnt(4)
	v_fma_f64 v[3:4], v[123:124], v[133:134], v[3:4]
	ds_load_2addr_b64 v[127:130], v110 offset0:63 offset1:64
	ds_load_2addr_b64 v[131:134], v110 offset0:65 offset1:66
	s_waitcnt lgkmcnt(1)
	v_fma_f64 v[3:4], v[125:126], v[127:128], v[3:4]
	scratch_load_b128 v[123:126], off, off offset:160
	s_waitcnt vmcnt(4)
	v_fma_f64 v[3:4], v[135:136], v[129:130], v[3:4]
	scratch_load_b128 v[127:130], off, off offset:176
	s_waitcnt lgkmcnt(0)
	v_fma_f64 v[3:4], v[137:138], v[131:132], v[3:4]
	s_waitcnt vmcnt(4)
	s_delay_alu instid0(VALU_DEP_1)
	v_fma_f64 v[3:4], v[111:112], v[133:134], v[3:4]
	ds_load_2addr_b64 v[131:134], v110 offset0:67 offset1:68
	ds_load_2addr_b64 v[135:138], v110 offset0:69 offset1:70
	s_waitcnt lgkmcnt(1)
	v_fma_f64 v[3:4], v[113:114], v[131:132], v[3:4]
	scratch_load_b128 v[111:114], off, off offset:192
	s_waitcnt vmcnt(4)
	v_fma_f64 v[3:4], v[115:116], v[133:134], v[3:4]
	s_waitcnt lgkmcnt(0)
	s_delay_alu instid0(VALU_DEP_1)
	v_fma_f64 v[3:4], v[117:118], v[135:136], v[3:4]
	scratch_load_b128 v[115:118], off, off offset:208
	s_waitcnt vmcnt(4)
	v_fma_f64 v[3:4], v[119:120], v[137:138], v[3:4]
	ds_load_2addr_b64 v[131:134], v110 offset0:71 offset1:72
	ds_load_2addr_b64 v[135:138], v110 offset0:73 offset1:74
	s_waitcnt lgkmcnt(1)
	v_fma_f64 v[3:4], v[121:122], v[131:132], v[3:4]
	scratch_load_b128 v[119:122], off, off offset:224
	s_waitcnt vmcnt(4)
	v_fma_f64 v[3:4], v[123:124], v[133:134], v[3:4]
	s_waitcnt lgkmcnt(0)
	s_delay_alu instid0(VALU_DEP_1)
	v_fma_f64 v[3:4], v[125:126], v[135:136], v[3:4]
	scratch_load_b128 v[123:126], off, off offset:240
	s_waitcnt vmcnt(4)
	;; [unrolled: 13-line block ×7, first 2 shown]
	v_fma_f64 v[3:4], v[127:128], v[137:138], v[3:4]
	ds_load_2addr_b64 v[131:134], v110 offset0:95 offset1:96
	ds_load_2addr_b64 v[135:138], v110 offset0:97 offset1:98
	s_waitcnt lgkmcnt(1)
	v_fma_f64 v[3:4], v[129:130], v[131:132], v[3:4]
	s_waitcnt vmcnt(3)
	s_delay_alu instid0(VALU_DEP_1) | instskip(SKIP_1) | instid1(VALU_DEP_1)
	v_fma_f64 v[3:4], v[111:112], v[133:134], v[3:4]
	s_waitcnt lgkmcnt(0)
	v_fma_f64 v[3:4], v[113:114], v[135:136], v[3:4]
	ds_load_2addr_b64 v[111:114], v110 offset0:99 offset1:100
	ds_load_2addr_b64 v[127:130], v110 offset0:101 offset1:102
	s_waitcnt vmcnt(2)
	v_fma_f64 v[3:4], v[115:116], v[137:138], v[3:4]
	s_waitcnt lgkmcnt(1)
	s_delay_alu instid0(VALU_DEP_1) | instskip(SKIP_4) | instid1(VALU_DEP_1)
	v_fma_f64 v[3:4], v[117:118], v[111:112], v[3:4]
	ds_load_b64 v[111:112], v110 offset:824
	s_waitcnt vmcnt(1)
	v_fma_f64 v[3:4], v[119:120], v[113:114], v[3:4]
	s_waitcnt lgkmcnt(1)
	v_fma_f64 v[3:4], v[121:122], v[127:128], v[3:4]
	s_waitcnt vmcnt(0)
	s_delay_alu instid0(VALU_DEP_1) | instskip(SKIP_1) | instid1(VALU_DEP_1)
	v_fma_f64 v[3:4], v[123:124], v[129:130], v[3:4]
	s_waitcnt lgkmcnt(0)
	v_fma_f64 v[3:4], v[125:126], v[111:112], v[3:4]
	s_delay_alu instid0(VALU_DEP_1)
	v_add_f64 v[1:2], v[1:2], -v[3:4]
	scratch_store_b64 off, v[1:2], off offset:16
	v_cmpx_lt_u32_e32 1, v0
	s_cbranch_execz .LBB115_319
; %bb.318:
	scratch_load_b64 v[1:2], off, off offset:8
	v_mov_b32_e32 v111, v110
	scratch_store_b64 off, v[110:111], off offset:8
	s_waitcnt vmcnt(0)
	ds_store_b64 v5, v[1:2]
.LBB115_319:
	s_or_b32 exec_lo, exec_lo, s0
	s_waitcnt lgkmcnt(0)
	s_waitcnt_vscnt null, 0x0
	s_barrier
	buffer_gl0_inv
	s_clause 0x4
	scratch_load_b128 v[1:4], off, off offset:8
	scratch_load_b128 v[111:114], off, off offset:24
	;; [unrolled: 1-line block ×5, first 2 shown]
	ds_load_b128 v[127:130], v110 offset:432
	ds_load_b128 v[131:134], v110 offset:448
	scratch_load_b128 v[135:138], off, off offset:88
	s_mov_b32 s0, exec_lo
	s_waitcnt vmcnt(5) lgkmcnt(1)
	v_fma_f64 v[3:4], v[3:4], v[127:128], 0
	s_waitcnt vmcnt(4)
	s_delay_alu instid0(VALU_DEP_1) | instskip(SKIP_1) | instid1(VALU_DEP_1)
	v_fma_f64 v[3:4], v[111:112], v[129:130], v[3:4]
	s_waitcnt lgkmcnt(0)
	v_fma_f64 v[3:4], v[113:114], v[131:132], v[3:4]
	scratch_load_b128 v[111:114], off, off offset:104
	s_waitcnt vmcnt(4)
	v_fma_f64 v[3:4], v[115:116], v[133:134], v[3:4]
	ds_load_b128 v[127:130], v110 offset:464
	ds_load_b128 v[131:134], v110 offset:480
	s_waitcnt lgkmcnt(1)
	v_fma_f64 v[3:4], v[117:118], v[127:128], v[3:4]
	scratch_load_b128 v[115:118], off, off offset:120
	s_waitcnt vmcnt(4)
	v_fma_f64 v[3:4], v[119:120], v[129:130], v[3:4]
	s_waitcnt lgkmcnt(0)
	s_delay_alu instid0(VALU_DEP_1)
	v_fma_f64 v[3:4], v[121:122], v[131:132], v[3:4]
	scratch_load_b128 v[119:122], off, off offset:136
	s_waitcnt vmcnt(4)
	v_fma_f64 v[3:4], v[123:124], v[133:134], v[3:4]
	ds_load_b128 v[127:130], v110 offset:496
	ds_load_b128 v[131:134], v110 offset:512
	s_waitcnt lgkmcnt(1)
	v_fma_f64 v[3:4], v[125:126], v[127:128], v[3:4]
	scratch_load_b128 v[123:126], off, off offset:152
	s_waitcnt vmcnt(4)
	v_fma_f64 v[3:4], v[135:136], v[129:130], v[3:4]
	scratch_load_b128 v[127:130], off, off offset:168
	s_waitcnt lgkmcnt(0)
	v_fma_f64 v[3:4], v[137:138], v[131:132], v[3:4]
	s_waitcnt vmcnt(4)
	s_delay_alu instid0(VALU_DEP_1)
	v_fma_f64 v[3:4], v[111:112], v[133:134], v[3:4]
	ds_load_b128 v[131:134], v110 offset:528
	ds_load_b128 v[135:138], v110 offset:544
	s_waitcnt lgkmcnt(1)
	v_fma_f64 v[3:4], v[113:114], v[131:132], v[3:4]
	scratch_load_b128 v[111:114], off, off offset:184
	s_waitcnt vmcnt(4)
	v_fma_f64 v[3:4], v[115:116], v[133:134], v[3:4]
	s_waitcnt lgkmcnt(0)
	s_delay_alu instid0(VALU_DEP_1)
	v_fma_f64 v[3:4], v[117:118], v[135:136], v[3:4]
	scratch_load_b128 v[115:118], off, off offset:200
	s_waitcnt vmcnt(4)
	v_fma_f64 v[3:4], v[119:120], v[137:138], v[3:4]
	ds_load_b128 v[131:134], v110 offset:560
	ds_load_b128 v[135:138], v110 offset:576
	s_waitcnt lgkmcnt(1)
	v_fma_f64 v[3:4], v[121:122], v[131:132], v[3:4]
	scratch_load_b128 v[119:122], off, off offset:216
	s_waitcnt vmcnt(4)
	v_fma_f64 v[3:4], v[123:124], v[133:134], v[3:4]
	s_waitcnt lgkmcnt(0)
	s_delay_alu instid0(VALU_DEP_1)
	v_fma_f64 v[3:4], v[125:126], v[135:136], v[3:4]
	scratch_load_b128 v[123:126], off, off offset:232
	s_waitcnt vmcnt(4)
	;; [unrolled: 13-line block ×7, first 2 shown]
	v_fma_f64 v[3:4], v[127:128], v[137:138], v[3:4]
	ds_load_b128 v[131:134], v110 offset:752
	ds_load_b128 v[135:138], v110 offset:768
	s_waitcnt lgkmcnt(1)
	v_fma_f64 v[3:4], v[129:130], v[131:132], v[3:4]
	scratch_load_b64 v[131:132], off, off offset:408
	s_waitcnt vmcnt(4)
	v_fma_f64 v[3:4], v[111:112], v[133:134], v[3:4]
	s_waitcnt lgkmcnt(0)
	s_delay_alu instid0(VALU_DEP_1)
	v_fma_f64 v[3:4], v[113:114], v[135:136], v[3:4]
	ds_load_b128 v[111:114], v110 offset:784
	ds_load_b128 v[127:130], v110 offset:800
	s_waitcnt vmcnt(3)
	v_fma_f64 v[3:4], v[115:116], v[137:138], v[3:4]
	s_waitcnt lgkmcnt(1)
	s_delay_alu instid0(VALU_DEP_1) | instskip(SKIP_1) | instid1(VALU_DEP_1)
	v_fma_f64 v[3:4], v[117:118], v[111:112], v[3:4]
	s_waitcnt vmcnt(2)
	v_fma_f64 v[3:4], v[119:120], v[113:114], v[3:4]
	ds_load_b128 v[110:113], v110 offset:816
	s_waitcnt lgkmcnt(1)
	v_fma_f64 v[3:4], v[121:122], v[127:128], v[3:4]
	s_waitcnt vmcnt(1)
	s_delay_alu instid0(VALU_DEP_1) | instskip(SKIP_1) | instid1(VALU_DEP_1)
	v_fma_f64 v[3:4], v[123:124], v[129:130], v[3:4]
	s_waitcnt lgkmcnt(0)
	v_fma_f64 v[3:4], v[125:126], v[110:111], v[3:4]
	s_waitcnt vmcnt(0)
	s_delay_alu instid0(VALU_DEP_1) | instskip(NEXT) | instid1(VALU_DEP_1)
	v_fma_f64 v[3:4], v[131:132], v[112:113], v[3:4]
	v_add_f64 v[1:2], v[1:2], -v[3:4]
	scratch_store_b64 off, v[1:2], off offset:8
	v_cmpx_ne_u32_e32 0, v0
	s_cbranch_execz .LBB115_321
; %bb.320:
	scratch_load_b64 v[0:1], off, off
	v_mov_b32_e32 v2, 0
	s_delay_alu instid0(VALU_DEP_1)
	v_mov_b32_e32 v3, v2
	scratch_store_b64 off, v[2:3], off
	s_waitcnt vmcnt(0)
	ds_store_b64 v5, v[0:1]
.LBB115_321:
	s_or_b32 exec_lo, exec_lo, s0
	s_waitcnt lgkmcnt(0)
	s_waitcnt_vscnt null, 0x0
	s_barrier
	buffer_gl0_inv
	s_clause 0x4
	scratch_load_b128 v[0:3], off, off
	scratch_load_b128 v[110:113], off, off offset:16
	scratch_load_b128 v[114:117], off, off offset:32
	scratch_load_b128 v[118:121], off, off offset:48
	scratch_load_b128 v[122:125], off, off offset:64
	v_mov_b32_e32 v134, 0
	ds_load_2addr_b64 v[126:129], v134 offset0:53 offset1:54
	ds_load_2addr_b64 v[130:133], v134 offset0:55 offset1:56
	s_and_b32 vcc_lo, exec_lo, s12
	s_waitcnt vmcnt(4) lgkmcnt(1)
	v_fma_f64 v[126:127], v[2:3], v[126:127], 0
	scratch_load_b128 v[2:5], off, off offset:80
	s_waitcnt vmcnt(4)
	v_fma_f64 v[110:111], v[110:111], v[128:129], v[126:127]
	s_waitcnt lgkmcnt(0)
	s_delay_alu instid0(VALU_DEP_1)
	v_fma_f64 v[126:127], v[112:113], v[130:131], v[110:111]
	scratch_load_b128 v[110:113], off, off offset:96
	s_waitcnt vmcnt(4)
	v_fma_f64 v[114:115], v[114:115], v[132:133], v[126:127]
	ds_load_2addr_b64 v[126:129], v134 offset0:57 offset1:58
	ds_load_2addr_b64 v[130:133], v134 offset0:59 offset1:60
	s_waitcnt lgkmcnt(1)
	v_fma_f64 v[126:127], v[116:117], v[126:127], v[114:115]
	scratch_load_b128 v[114:117], off, off offset:112
	s_waitcnt vmcnt(4)
	v_fma_f64 v[118:119], v[118:119], v[128:129], v[126:127]
	s_waitcnt lgkmcnt(0)
	s_delay_alu instid0(VALU_DEP_1)
	v_fma_f64 v[126:127], v[120:121], v[130:131], v[118:119]
	scratch_load_b128 v[118:121], off, off offset:128
	s_waitcnt vmcnt(4)
	v_fma_f64 v[122:123], v[122:123], v[132:133], v[126:127]
	ds_load_2addr_b64 v[126:129], v134 offset0:61 offset1:62
	ds_load_2addr_b64 v[130:133], v134 offset0:63 offset1:64
	s_waitcnt lgkmcnt(1)
	;; [unrolled: 13-line block ×10, first 2 shown]
	v_fma_f64 v[126:127], v[4:5], v[126:127], v[2:3]
	scratch_load_b128 v[2:5], off, off offset:400
	s_waitcnt vmcnt(4)
	v_fma_f64 v[110:111], v[110:111], v[128:129], v[126:127]
	s_waitcnt lgkmcnt(0)
	s_delay_alu instid0(VALU_DEP_1) | instskip(SKIP_1) | instid1(VALU_DEP_1)
	v_fma_f64 v[110:111], v[112:113], v[130:131], v[110:111]
	s_waitcnt vmcnt(3)
	v_fma_f64 v[114:115], v[114:115], v[132:133], v[110:111]
	ds_load_2addr_b64 v[110:113], v134 offset0:97 offset1:98
	ds_load_2addr_b64 v[126:129], v134 offset0:99 offset1:100
	s_waitcnt lgkmcnt(1)
	v_fma_f64 v[110:111], v[116:117], v[110:111], v[114:115]
	s_waitcnt vmcnt(2)
	s_delay_alu instid0(VALU_DEP_1) | instskip(SKIP_1) | instid1(VALU_DEP_1)
	v_fma_f64 v[110:111], v[118:119], v[112:113], v[110:111]
	s_waitcnt lgkmcnt(0)
	v_fma_f64 v[110:111], v[120:121], v[126:127], v[110:111]
	s_waitcnt vmcnt(1)
	s_delay_alu instid0(VALU_DEP_1)
	v_fma_f64 v[114:115], v[122:123], v[128:129], v[110:111]
	ds_load_2addr_b64 v[110:113], v134 offset0:101 offset1:102
	ds_load_b64 v[116:117], v134 offset:824
	s_waitcnt lgkmcnt(1)
	v_fma_f64 v[110:111], v[124:125], v[110:111], v[114:115]
	s_waitcnt vmcnt(0)
	s_delay_alu instid0(VALU_DEP_1) | instskip(SKIP_1) | instid1(VALU_DEP_1)
	v_fma_f64 v[110:111], v[2:3], v[112:113], v[110:111]
	s_waitcnt lgkmcnt(0)
	v_fma_f64 v[4:5], v[4:5], v[116:117], v[110:111]
	s_delay_alu instid0(VALU_DEP_1)
	v_add_f64 v[0:1], v[0:1], -v[4:5]
	scratch_store_b64 off, v[0:1], off
	s_cbranch_vccz .LBB115_425
; %bb.322:
	v_dual_mov_b32 v0, s2 :: v_dual_mov_b32 v1, s3
	s_mov_b32 s0, exec_lo
	flat_load_b32 v0, v[0:1] offset:200
	s_waitcnt vmcnt(0) lgkmcnt(0)
	v_cmpx_ne_u32_e32 51, v0
	s_cbranch_execz .LBB115_324
; %bb.323:
	v_lshl_add_u32 v4, v0, 3, 0
	scratch_load_b64 v[0:1], v4, off offset:-8
	s_waitcnt vmcnt(0)
	scratch_store_b64 off, v[0:1], off offset:400
	scratch_store_b64 v4, v[2:3], off offset:-8
.LBB115_324:
	s_or_b32 exec_lo, exec_lo, s0
	v_dual_mov_b32 v0, s2 :: v_dual_mov_b32 v1, s3
	s_mov_b32 s0, exec_lo
	flat_load_b32 v0, v[0:1] offset:196
	s_waitcnt vmcnt(0) lgkmcnt(0)
	v_cmpx_ne_u32_e32 50, v0
	s_cbranch_execz .LBB115_326
; %bb.325:
	v_lshl_add_u32 v4, v0, 3, 0
	scratch_load_b64 v[0:1], v4, off offset:-8
	scratch_load_b64 v[2:3], off, off offset:392
	s_waitcnt vmcnt(1)
	scratch_store_b64 off, v[0:1], off offset:392
	s_waitcnt vmcnt(0)
	scratch_store_b64 v4, v[2:3], off offset:-8
.LBB115_326:
	s_or_b32 exec_lo, exec_lo, s0
	v_dual_mov_b32 v0, s2 :: v_dual_mov_b32 v1, s3
	s_mov_b32 s0, exec_lo
	flat_load_b32 v0, v[0:1] offset:192
	s_waitcnt vmcnt(0) lgkmcnt(0)
	v_cmpx_ne_u32_e32 49, v0
	s_cbranch_execz .LBB115_328
; %bb.327:
	v_lshl_add_u32 v4, v0, 3, 0
	scratch_load_b64 v[0:1], v4, off offset:-8
	scratch_load_b64 v[2:3], off, off offset:384
	s_waitcnt vmcnt(1)
	scratch_store_b64 off, v[0:1], off offset:384
	s_waitcnt vmcnt(0)
	scratch_store_b64 v4, v[2:3], off offset:-8
.LBB115_328:
	;; [unrolled: 16-line block ×49, first 2 shown]
	s_or_b32 exec_lo, exec_lo, s0
	v_dual_mov_b32 v0, s2 :: v_dual_mov_b32 v1, s3
	s_mov_b32 s0, exec_lo
	flat_load_b32 v2, v[0:1]
	scratch_load_b64 v[0:1], off, off
	s_waitcnt vmcnt(1) lgkmcnt(0)
	v_cmpx_ne_u32_e32 1, v2
	s_cbranch_execz .LBB115_424
; %bb.423:
	v_lshl_add_u32 v4, v2, 3, 0
	scratch_load_b64 v[2:3], v4, off offset:-8
	s_waitcnt vmcnt(0)
	scratch_store_b64 off, v[2:3], off
	scratch_store_b64 v4, v[0:1], off offset:-8
	scratch_load_b64 v[0:1], off, off
.LBB115_424:
	s_or_b32 exec_lo, exec_lo, s0
.LBB115_425:
	s_clause 0x7
	scratch_load_b128 v[2:5], off, off offset:8
	scratch_load_b128 v[110:113], off, off offset:24
	;; [unrolled: 1-line block ×8, first 2 shown]
	s_waitcnt vmcnt(8)
	global_store_b64 v[40:41], v[0:1], off
	s_clause 0x3
	scratch_load_b128 v[138:141], off, off offset:136
	scratch_load_b128 v[142:145], off, off offset:168
	scratch_load_b128 v[146:149], off, off offset:184
	scratch_load_b128 v[150:153], off, off offset:280
	s_waitcnt vmcnt(11)
	s_clause 0x1
	global_store_b64 v[28:29], v[2:3], off
	global_store_b64 v[18:19], v[4:5], off
	s_waitcnt vmcnt(10)
	s_clause 0x1
	global_store_b64 v[12:13], v[110:111], off
	global_store_b64 v[20:21], v[112:113], off
	;; [unrolled: 4-line block ×8, first 2 shown]
	s_clause 0xd
	scratch_load_b128 v[0:3], off, off offset:152
	scratch_load_b128 v[18:21], off, off offset:200
	;; [unrolled: 1-line block ×13, first 2 shown]
	scratch_load_b64 v[4:5], off, off offset:408
	s_waitcnt vmcnt(17)
	s_clause 0x1
	global_store_b64 v[8:9], v[138:139], off
	global_store_b64 v[24:25], v[140:141], off
	s_waitcnt vmcnt(13)
	s_clause 0x5
	global_store_b64 v[26:27], v[0:1], off
	global_store_b64 v[46:47], v[2:3], off
	;; [unrolled: 1-line block ×6, first 2 shown]
	s_waitcnt vmcnt(12)
	s_clause 0x1
	global_store_b64 v[58:59], v[18:19], off
	global_store_b64 v[60:61], v[20:21], off
	s_waitcnt vmcnt(11)
	s_clause 0x1
	global_store_b64 v[62:63], v[12:13], off
	global_store_b64 v[64:65], v[14:15], off
	;; [unrolled: 4-line block ×5, first 2 shown]
	global_store_b64 v[78:79], v[150:151], off
	global_store_b64 v[80:81], v[152:153], off
	s_waitcnt vmcnt(7)
	s_clause 0x1
	global_store_b64 v[82:83], v[122:123], off
	global_store_b64 v[84:85], v[124:125], off
	s_waitcnt vmcnt(6)
	s_clause 0x1
	;; [unrolled: 4-line block ×7, first 2 shown]
	global_store_b64 v[106:107], v[130:131], off
	global_store_b64 v[108:109], v[132:133], off
	s_waitcnt vmcnt(0)
	global_store_b64 v[6:7], v[4:5], off
	s_endpgm
	.section	.rodata,"a",@progbits
	.p2align	6, 0x0
	.amdhsa_kernel _ZN9rocsolver6v33100L18getri_kernel_smallILi52EdPKPdEEvT1_iilPiilS6_bb
		.amdhsa_group_segment_fixed_size 840
		.amdhsa_private_segment_fixed_size 432
		.amdhsa_kernarg_size 60
		.amdhsa_user_sgpr_count 15
		.amdhsa_user_sgpr_dispatch_ptr 0
		.amdhsa_user_sgpr_queue_ptr 0
		.amdhsa_user_sgpr_kernarg_segment_ptr 1
		.amdhsa_user_sgpr_dispatch_id 0
		.amdhsa_user_sgpr_private_segment_size 0
		.amdhsa_wavefront_size32 1
		.amdhsa_uses_dynamic_stack 0
		.amdhsa_enable_private_segment 1
		.amdhsa_system_sgpr_workgroup_id_x 1
		.amdhsa_system_sgpr_workgroup_id_y 0
		.amdhsa_system_sgpr_workgroup_id_z 0
		.amdhsa_system_sgpr_workgroup_info 0
		.amdhsa_system_vgpr_workitem_id 0
		.amdhsa_next_free_vgpr 154
		.amdhsa_next_free_sgpr 17
		.amdhsa_reserve_vcc 1
		.amdhsa_float_round_mode_32 0
		.amdhsa_float_round_mode_16_64 0
		.amdhsa_float_denorm_mode_32 3
		.amdhsa_float_denorm_mode_16_64 3
		.amdhsa_dx10_clamp 1
		.amdhsa_ieee_mode 1
		.amdhsa_fp16_overflow 0
		.amdhsa_workgroup_processor_mode 1
		.amdhsa_memory_ordered 1
		.amdhsa_forward_progress 0
		.amdhsa_shared_vgpr_count 0
		.amdhsa_exception_fp_ieee_invalid_op 0
		.amdhsa_exception_fp_denorm_src 0
		.amdhsa_exception_fp_ieee_div_zero 0
		.amdhsa_exception_fp_ieee_overflow 0
		.amdhsa_exception_fp_ieee_underflow 0
		.amdhsa_exception_fp_ieee_inexact 0
		.amdhsa_exception_int_div_zero 0
	.end_amdhsa_kernel
	.section	.text._ZN9rocsolver6v33100L18getri_kernel_smallILi52EdPKPdEEvT1_iilPiilS6_bb,"axG",@progbits,_ZN9rocsolver6v33100L18getri_kernel_smallILi52EdPKPdEEvT1_iilPiilS6_bb,comdat
.Lfunc_end115:
	.size	_ZN9rocsolver6v33100L18getri_kernel_smallILi52EdPKPdEEvT1_iilPiilS6_bb, .Lfunc_end115-_ZN9rocsolver6v33100L18getri_kernel_smallILi52EdPKPdEEvT1_iilPiilS6_bb
                                        ; -- End function
	.section	.AMDGPU.csdata,"",@progbits
; Kernel info:
; codeLenInByte = 51244
; NumSgprs: 19
; NumVgprs: 154
; ScratchSize: 432
; MemoryBound: 0
; FloatMode: 240
; IeeeMode: 1
; LDSByteSize: 840 bytes/workgroup (compile time only)
; SGPRBlocks: 2
; VGPRBlocks: 19
; NumSGPRsForWavesPerEU: 19
; NumVGPRsForWavesPerEU: 154
; Occupancy: 9
; WaveLimiterHint : 1
; COMPUTE_PGM_RSRC2:SCRATCH_EN: 1
; COMPUTE_PGM_RSRC2:USER_SGPR: 15
; COMPUTE_PGM_RSRC2:TRAP_HANDLER: 0
; COMPUTE_PGM_RSRC2:TGID_X_EN: 1
; COMPUTE_PGM_RSRC2:TGID_Y_EN: 0
; COMPUTE_PGM_RSRC2:TGID_Z_EN: 0
; COMPUTE_PGM_RSRC2:TIDIG_COMP_CNT: 0
	.section	.text._ZN9rocsolver6v33100L18getri_kernel_smallILi53EdPKPdEEvT1_iilPiilS6_bb,"axG",@progbits,_ZN9rocsolver6v33100L18getri_kernel_smallILi53EdPKPdEEvT1_iilPiilS6_bb,comdat
	.globl	_ZN9rocsolver6v33100L18getri_kernel_smallILi53EdPKPdEEvT1_iilPiilS6_bb ; -- Begin function _ZN9rocsolver6v33100L18getri_kernel_smallILi53EdPKPdEEvT1_iilPiilS6_bb
	.p2align	8
	.type	_ZN9rocsolver6v33100L18getri_kernel_smallILi53EdPKPdEEvT1_iilPiilS6_bb,@function
_ZN9rocsolver6v33100L18getri_kernel_smallILi53EdPKPdEEvT1_iilPiilS6_bb: ; @_ZN9rocsolver6v33100L18getri_kernel_smallILi53EdPKPdEEvT1_iilPiilS6_bb
; %bb.0:
	s_mov_b32 s2, exec_lo
	v_cmpx_gt_u32_e32 53, v0
	s_cbranch_execz .LBB116_222
; %bb.1:
	s_clause 0x1
	s_load_b32 s13, s[0:1], 0x38
	s_load_b64 s[2:3], s[0:1], 0x0
	s_mov_b32 s8, s15
	s_load_b128 s[4:7], s[0:1], 0x28
	s_waitcnt lgkmcnt(0)
	s_bitcmp1_b32 s13, 8
	s_cselect_b32 s12, -1, 0
	s_ashr_i32 s9, s15, 31
	s_delay_alu instid0(SALU_CYCLE_1) | instskip(NEXT) | instid1(SALU_CYCLE_1)
	s_lshl_b64 s[10:11], s[8:9], 3
	s_add_u32 s2, s2, s10
	s_addc_u32 s3, s3, s11
	s_load_b64 s[10:11], s[2:3], 0x0
	s_bfe_u32 s2, s13, 0x10008
	s_delay_alu instid0(SALU_CYCLE_1)
	s_cmp_eq_u32 s2, 0
                                        ; implicit-def: $sgpr2_sgpr3
	s_cbranch_scc1 .LBB116_3
; %bb.2:
	s_clause 0x1
	s_load_b32 s2, s[0:1], 0x20
	s_load_b64 s[14:15], s[0:1], 0x18
	s_mul_i32 s3, s8, s5
	s_mul_hi_u32 s5, s8, s4
	s_mul_i32 s16, s9, s4
	s_add_i32 s3, s5, s3
	s_mul_i32 s4, s8, s4
	s_add_i32 s5, s3, s16
	s_delay_alu instid0(SALU_CYCLE_1)
	s_lshl_b64 s[4:5], s[4:5], 2
	s_waitcnt lgkmcnt(0)
	s_ashr_i32 s3, s2, 31
	s_add_u32 s4, s14, s4
	s_addc_u32 s5, s15, s5
	s_lshl_b64 s[2:3], s[2:3], 2
	s_delay_alu instid0(SALU_CYCLE_1)
	s_add_u32 s2, s4, s2
	s_addc_u32 s3, s5, s3
.LBB116_3:
	s_load_b64 s[0:1], s[0:1], 0x8
	v_lshlrev_b32_e32 v113, 3, v0
	s_waitcnt lgkmcnt(0)
	v_add3_u32 v3, s1, s1, v0
	s_ashr_i32 s5, s0, 31
	s_mov_b32 s4, s0
	s_mov_b32 s14, s1
	s_lshl_b64 s[4:5], s[4:5], 3
	v_add_nc_u32_e32 v5, s1, v3
	v_ashrrev_i32_e32 v4, 31, v3
	s_add_u32 s4, s10, s4
	s_addc_u32 s5, s11, s5
	v_add_co_u32 v13, s0, s4, v113
	v_add_nc_u32_e32 v7, s1, v5
	v_ashrrev_i32_e32 v6, 31, v5
	s_ashr_i32 s15, s1, 31
	v_add_co_ci_u32_e64 v14, null, s5, 0, s0
	v_lshlrev_b64 v[3:4], 3, v[3:4]
	s_lshl_b64 s[10:11], s[14:15], 3
	v_add_nc_u32_e32 v9, s1, v7
	v_add_co_u32 v15, vcc_lo, v13, s10
	v_lshlrev_b64 v[5:6], 3, v[5:6]
	v_ashrrev_i32_e32 v8, 31, v7
	v_add_co_ci_u32_e32 v16, vcc_lo, s11, v14, vcc_lo
	v_add_co_u32 v17, vcc_lo, s4, v3
	v_ashrrev_i32_e32 v10, 31, v9
	v_add_co_ci_u32_e32 v18, vcc_lo, s5, v4, vcc_lo
	v_lshlrev_b64 v[21:22], 3, v[7:8]
	v_add_co_u32 v19, vcc_lo, s4, v5
	v_add_co_ci_u32_e32 v20, vcc_lo, s5, v6, vcc_lo
	v_add_nc_u32_e32 v11, s1, v9
	v_lshlrev_b64 v[9:10], 3, v[9:10]
	s_clause 0x3
	global_load_b64 v[1:2], v113, s[4:5]
	global_load_b64 v[3:4], v[15:16], off
	global_load_b64 v[5:6], v[17:18], off
	;; [unrolled: 1-line block ×3, first 2 shown]
	v_add_co_u32 v21, vcc_lo, s4, v21
	v_add_co_ci_u32_e32 v22, vcc_lo, s5, v22, vcc_lo
	v_add_co_u32 v23, vcc_lo, s4, v9
	v_ashrrev_i32_e32 v12, 31, v11
	v_add_co_ci_u32_e32 v24, vcc_lo, s5, v10, vcc_lo
	v_add_nc_u32_e32 v25, s1, v11
	s_bitcmp0_b32 s13, 0
	s_delay_alu instid0(VALU_DEP_3)
	v_lshlrev_b64 v[27:28], 3, v[11:12]
	s_clause 0x1
	global_load_b64 v[9:10], v[21:22], off
	global_load_b64 v[11:12], v[23:24], off
	v_add_nc_u32_e32 v29, s1, v25
	v_ashrrev_i32_e32 v26, 31, v25
	s_delay_alu instid0(VALU_DEP_2) | instskip(NEXT) | instid1(VALU_DEP_2)
	v_add_nc_u32_e32 v33, s1, v29
	v_lshlrev_b64 v[31:32], 3, v[25:26]
	v_add_co_u32 v25, vcc_lo, s4, v27
	v_ashrrev_i32_e32 v30, 31, v29
	s_delay_alu instid0(VALU_DEP_4)
	v_ashrrev_i32_e32 v34, 31, v33
	v_add_nc_u32_e32 v35, s1, v33
	v_add_co_ci_u32_e32 v26, vcc_lo, s5, v28, vcc_lo
	v_add_co_u32 v27, vcc_lo, s4, v31
	v_add_co_ci_u32_e32 v28, vcc_lo, s5, v32, vcc_lo
	v_lshlrev_b64 v[31:32], 3, v[33:34]
	v_add_nc_u32_e32 v33, s1, v35
	v_lshlrev_b64 v[29:30], 3, v[29:30]
	v_ashrrev_i32_e32 v36, 31, v35
	s_delay_alu instid0(VALU_DEP_3) | instskip(SKIP_1) | instid1(VALU_DEP_4)
	v_add_nc_u32_e32 v37, s1, v33
	v_ashrrev_i32_e32 v34, 31, v33
	v_add_co_u32 v29, vcc_lo, s4, v29
	s_delay_alu instid0(VALU_DEP_4)
	v_lshlrev_b64 v[35:36], 3, v[35:36]
	v_add_co_ci_u32_e32 v30, vcc_lo, s5, v30, vcc_lo
	v_add_co_u32 v31, vcc_lo, s4, v31
	v_ashrrev_i32_e32 v38, 31, v37
	v_add_nc_u32_e32 v39, s1, v37
	v_add_co_ci_u32_e32 v32, vcc_lo, s5, v32, vcc_lo
	v_lshlrev_b64 v[33:34], 3, v[33:34]
	v_add_co_u32 v75, vcc_lo, s4, v35
	v_add_co_ci_u32_e32 v76, vcc_lo, s5, v36, vcc_lo
	v_lshlrev_b64 v[35:36], 3, v[37:38]
	v_ashrrev_i32_e32 v40, 31, v39
	v_add_nc_u32_e32 v37, s1, v39
	v_add_co_u32 v69, vcc_lo, s4, v33
	v_add_co_ci_u32_e32 v70, vcc_lo, s5, v34, vcc_lo
	s_delay_alu instid0(VALU_DEP_4) | instskip(NEXT) | instid1(VALU_DEP_4)
	v_lshlrev_b64 v[33:34], 3, v[39:40]
	v_ashrrev_i32_e32 v38, 31, v37
	v_add_nc_u32_e32 v39, s1, v37
	v_add_co_u32 v65, vcc_lo, s4, v35
	v_add_co_ci_u32_e32 v66, vcc_lo, s5, v36, vcc_lo
	s_delay_alu instid0(VALU_DEP_4) | instskip(NEXT) | instid1(VALU_DEP_4)
	;; [unrolled: 6-line block ×4, first 2 shown]
	v_lshlrev_b64 v[35:36], 3, v[37:38]
	v_add_nc_u32_e32 v37, s1, v39
	v_ashrrev_i32_e32 v40, 31, v39
	v_add_co_u32 v51, vcc_lo, s4, v33
	v_add_co_ci_u32_e32 v52, vcc_lo, s5, v34, vcc_lo
	s_delay_alu instid0(VALU_DEP_4) | instskip(NEXT) | instid1(VALU_DEP_4)
	v_add_nc_u32_e32 v41, s1, v37
	v_lshlrev_b64 v[33:34], 3, v[39:40]
	v_ashrrev_i32_e32 v38, 31, v37
	v_add_co_u32 v45, vcc_lo, s4, v35
	s_delay_alu instid0(VALU_DEP_4)
	v_ashrrev_i32_e32 v42, 31, v41
	v_add_nc_u32_e32 v43, s1, v41
	v_add_co_ci_u32_e32 v46, vcc_lo, s5, v36, vcc_lo
	v_lshlrev_b64 v[35:36], 3, v[37:38]
	v_add_co_u32 v39, vcc_lo, s4, v33
	v_add_co_ci_u32_e32 v40, vcc_lo, s5, v34, vcc_lo
	v_lshlrev_b64 v[33:34], 3, v[41:42]
	v_ashrrev_i32_e32 v44, 31, v43
	v_add_nc_u32_e32 v41, s1, v43
	v_add_co_u32 v37, vcc_lo, s4, v35
	v_add_co_ci_u32_e32 v38, vcc_lo, s5, v36, vcc_lo
	s_delay_alu instid0(VALU_DEP_4) | instskip(NEXT) | instid1(VALU_DEP_4)
	v_lshlrev_b64 v[35:36], 3, v[43:44]
	v_add_nc_u32_e32 v43, s1, v41
	v_ashrrev_i32_e32 v42, 31, v41
	v_add_co_u32 v33, vcc_lo, s4, v33
	v_add_co_ci_u32_e32 v34, vcc_lo, s5, v34, vcc_lo
	s_delay_alu instid0(VALU_DEP_4) | instskip(SKIP_3) | instid1(VALU_DEP_4)
	v_add_nc_u32_e32 v47, s1, v43
	v_ashrrev_i32_e32 v44, 31, v43
	v_lshlrev_b64 v[41:42], 3, v[41:42]
	v_add_co_u32 v35, vcc_lo, s4, v35
	v_add_nc_u32_e32 v49, s1, v47
	v_ashrrev_i32_e32 v48, 31, v47
	v_lshlrev_b64 v[43:44], 3, v[43:44]
	v_add_co_ci_u32_e32 v36, vcc_lo, s5, v36, vcc_lo
	s_delay_alu instid0(VALU_DEP_4) | instskip(SKIP_3) | instid1(VALU_DEP_4)
	v_add_nc_u32_e32 v53, s1, v49
	v_ashrrev_i32_e32 v50, 31, v49
	v_add_co_u32 v41, vcc_lo, s4, v41
	v_lshlrev_b64 v[47:48], 3, v[47:48]
	v_add_nc_u32_e32 v55, s1, v53
	v_ashrrev_i32_e32 v54, 31, v53
	v_add_co_ci_u32_e32 v42, vcc_lo, s5, v42, vcc_lo
	v_add_co_u32 v43, vcc_lo, s4, v43
	s_delay_alu instid0(VALU_DEP_4) | instskip(SKIP_3) | instid1(VALU_DEP_4)
	v_add_nc_u32_e32 v61, s1, v55
	v_lshlrev_b64 v[49:50], 3, v[49:50]
	v_ashrrev_i32_e32 v56, 31, v55
	v_add_co_ci_u32_e32 v44, vcc_lo, s5, v44, vcc_lo
	v_add_nc_u32_e32 v63, s1, v61
	v_add_co_u32 v47, vcc_lo, s4, v47
	v_lshlrev_b64 v[53:54], 3, v[53:54]
	v_ashrrev_i32_e32 v62, 31, v61
	s_delay_alu instid0(VALU_DEP_4) | instskip(SKIP_2) | instid1(VALU_DEP_3)
	v_add_nc_u32_e32 v67, s1, v63
	v_add_co_ci_u32_e32 v48, vcc_lo, s5, v48, vcc_lo
	v_add_co_u32 v49, vcc_lo, s4, v49
	v_add_nc_u32_e32 v71, s1, v67
	v_lshlrev_b64 v[55:56], 3, v[55:56]
	v_ashrrev_i32_e32 v64, 31, v63
	v_add_co_ci_u32_e32 v50, vcc_lo, s5, v50, vcc_lo
	s_delay_alu instid0(VALU_DEP_4) | instskip(SKIP_3) | instid1(VALU_DEP_4)
	v_add_nc_u32_e32 v73, s1, v71
	v_add_co_u32 v53, vcc_lo, s4, v53
	v_lshlrev_b64 v[61:62], 3, v[61:62]
	v_ashrrev_i32_e32 v68, 31, v67
	v_add_nc_u32_e32 v77, s1, v73
	v_add_co_ci_u32_e32 v54, vcc_lo, s5, v54, vcc_lo
	v_add_co_u32 v55, vcc_lo, s4, v55
	s_delay_alu instid0(VALU_DEP_3) | instskip(SKIP_3) | instid1(VALU_DEP_4)
	v_add_nc_u32_e32 v79, s1, v77
	v_lshlrev_b64 v[63:64], 3, v[63:64]
	v_ashrrev_i32_e32 v72, 31, v71
	v_add_co_ci_u32_e32 v56, vcc_lo, s5, v56, vcc_lo
	v_add_nc_u32_e32 v81, s1, v79
	v_add_co_u32 v61, vcc_lo, s4, v61
	v_lshlrev_b64 v[67:68], 3, v[67:68]
	v_ashrrev_i32_e32 v74, 31, v73
	s_delay_alu instid0(VALU_DEP_4) | instskip(SKIP_2) | instid1(VALU_DEP_3)
	v_add_nc_u32_e32 v83, s1, v81
	v_add_co_ci_u32_e32 v62, vcc_lo, s5, v62, vcc_lo
	v_add_co_u32 v63, vcc_lo, s4, v63
	v_add_nc_u32_e32 v85, s1, v83
	v_lshlrev_b64 v[71:72], 3, v[71:72]
	v_ashrrev_i32_e32 v78, 31, v77
	v_add_co_ci_u32_e32 v64, vcc_lo, s5, v64, vcc_lo
	s_delay_alu instid0(VALU_DEP_4) | instskip(SKIP_3) | instid1(VALU_DEP_4)
	v_add_nc_u32_e32 v87, s1, v85
	v_add_co_u32 v67, vcc_lo, s4, v67
	v_lshlrev_b64 v[73:74], 3, v[73:74]
	v_ashrrev_i32_e32 v80, 31, v79
	v_add_nc_u32_e32 v89, s1, v87
	v_add_co_ci_u32_e32 v68, vcc_lo, s5, v68, vcc_lo
	v_add_co_u32 v71, vcc_lo, s4, v71
	s_delay_alu instid0(VALU_DEP_3) | instskip(SKIP_3) | instid1(VALU_DEP_4)
	v_add_nc_u32_e32 v91, s1, v89
	v_lshlrev_b64 v[77:78], 3, v[77:78]
	v_ashrrev_i32_e32 v82, 31, v81
	v_add_co_ci_u32_e32 v72, vcc_lo, s5, v72, vcc_lo
	v_add_nc_u32_e32 v93, s1, v91
	v_add_co_u32 v73, vcc_lo, s4, v73
	v_lshlrev_b64 v[79:80], 3, v[79:80]
	v_ashrrev_i32_e32 v84, 31, v83
	s_delay_alu instid0(VALU_DEP_4) | instskip(SKIP_3) | instid1(VALU_DEP_4)
	v_add_nc_u32_e32 v95, s1, v93
	v_add_co_ci_u32_e32 v74, vcc_lo, s5, v74, vcc_lo
	v_add_co_u32 v77, vcc_lo, s4, v77
	v_lshlrev_b64 v[81:82], 3, v[81:82]
	v_add_nc_u32_e32 v97, s1, v95
	v_ashrrev_i32_e32 v86, 31, v85
	v_add_co_ci_u32_e32 v78, vcc_lo, s5, v78, vcc_lo
	v_add_co_u32 v79, vcc_lo, s4, v79
	v_lshlrev_b64 v[83:84], 3, v[83:84]
	v_ashrrev_i32_e32 v88, 31, v87
	v_add_co_ci_u32_e32 v80, vcc_lo, s5, v80, vcc_lo
	v_add_nc_u32_e32 v99, s1, v97
	v_add_co_u32 v81, vcc_lo, s4, v81
	v_lshlrev_b64 v[85:86], 3, v[85:86]
	v_ashrrev_i32_e32 v90, 31, v89
	v_add_co_ci_u32_e32 v82, vcc_lo, s5, v82, vcc_lo
	v_add_co_u32 v83, vcc_lo, s4, v83
	v_lshlrev_b64 v[87:88], 3, v[87:88]
	v_ashrrev_i32_e32 v92, 31, v91
	v_add_nc_u32_e32 v101, s1, v99
	v_add_co_ci_u32_e32 v84, vcc_lo, s5, v84, vcc_lo
	v_add_co_u32 v85, vcc_lo, s4, v85
	v_lshlrev_b64 v[89:90], 3, v[89:90]
	v_ashrrev_i32_e32 v94, 31, v93
	v_add_co_ci_u32_e32 v86, vcc_lo, s5, v86, vcc_lo
	v_add_co_u32 v87, vcc_lo, s4, v87
	v_lshlrev_b64 v[91:92], 3, v[91:92]
	v_add_nc_u32_e32 v103, s1, v101
	v_ashrrev_i32_e32 v96, 31, v95
	v_add_co_ci_u32_e32 v88, vcc_lo, s5, v88, vcc_lo
	v_add_co_u32 v89, vcc_lo, s4, v89
	v_lshlrev_b64 v[93:94], 3, v[93:94]
	v_ashrrev_i32_e32 v98, 31, v97
	v_add_co_ci_u32_e32 v90, vcc_lo, s5, v90, vcc_lo
	v_add_nc_u32_e32 v105, s1, v103
	v_add_co_u32 v91, vcc_lo, s4, v91
	v_lshlrev_b64 v[95:96], 3, v[95:96]
	v_ashrrev_i32_e32 v100, 31, v99
	v_add_co_ci_u32_e32 v92, vcc_lo, s5, v92, vcc_lo
	v_add_co_u32 v93, vcc_lo, s4, v93
	v_lshlrev_b64 v[97:98], 3, v[97:98]
	v_ashrrev_i32_e32 v102, 31, v101
	v_add_nc_u32_e32 v107, s1, v105
	v_add_co_ci_u32_e32 v94, vcc_lo, s5, v94, vcc_lo
	v_add_co_u32 v95, vcc_lo, s4, v95
	v_lshlrev_b64 v[99:100], 3, v[99:100]
	v_ashrrev_i32_e32 v104, 31, v103
	v_add_co_ci_u32_e32 v96, vcc_lo, s5, v96, vcc_lo
	v_add_co_u32 v97, vcc_lo, s4, v97
	v_lshlrev_b64 v[101:102], 3, v[101:102]
	v_add_nc_u32_e32 v109, s1, v107
	v_ashrrev_i32_e32 v106, 31, v105
	v_add_co_ci_u32_e32 v98, vcc_lo, s5, v98, vcc_lo
	v_add_co_u32 v99, vcc_lo, s4, v99
	v_lshlrev_b64 v[103:104], 3, v[103:104]
	v_ashrrev_i32_e32 v108, 31, v107
	v_add_co_ci_u32_e32 v100, vcc_lo, s5, v100, vcc_lo
	v_add_nc_u32_e32 v111, s1, v109
	v_add_co_u32 v101, vcc_lo, s4, v101
	v_lshlrev_b64 v[105:106], 3, v[105:106]
	v_ashrrev_i32_e32 v110, 31, v109
	v_add_co_ci_u32_e32 v102, vcc_lo, s5, v102, vcc_lo
	v_add_co_u32 v103, vcc_lo, s4, v103
	v_lshlrev_b64 v[107:108], 3, v[107:108]
	v_add_nc_u32_e32 v138, s1, v111
	v_add_co_ci_u32_e32 v104, vcc_lo, s5, v104, vcc_lo
	v_add_co_u32 v105, vcc_lo, s4, v105
	v_lshlrev_b64 v[109:110], 3, v[109:110]
	s_clause 0xa
	global_load_b64 v[114:115], v[25:26], off
	global_load_b64 v[116:117], v[27:28], off
	;; [unrolled: 1-line block ×11, first 2 shown]
	v_add_co_ci_u32_e32 v106, vcc_lo, s5, v106, vcc_lo
	v_ashrrev_i32_e32 v112, 31, v111
	v_add_co_u32 v107, vcc_lo, s4, v107
	v_ashrrev_i32_e32 v139, 31, v138
	v_add_co_ci_u32_e32 v108, vcc_lo, s5, v108, vcc_lo
	s_waitcnt vmcnt(15)
	scratch_store_b128 off, v[1:4], off
	s_clause 0x2
	global_load_b64 v[136:137], v[39:40], off
	global_load_b64 v[1:2], v[37:38], off
	;; [unrolled: 1-line block ×3, first 2 shown]
	s_waitcnt vmcnt(16)
	scratch_store_b128 off, v[5:8], off offset:16
	v_add_nc_u32_e32 v8, s1, v138
	v_add_co_u32 v6, vcc_lo, s4, v109
	v_lshlrev_b64 v[111:112], 3, v[111:112]
	v_add_co_ci_u32_e32 v7, vcc_lo, s5, v110, vcc_lo
	v_lshlrev_b64 v[109:110], 3, v[138:139]
	v_add_nc_u32_e32 v138, s1, v8
	s_mov_b32 s1, -1
	s_waitcnt vmcnt(14)
	scratch_store_b128 off, v[9:12], off offset:32
	v_add_co_u32 v10, vcc_lo, s4, v111
	v_ashrrev_i32_e32 v139, 31, v138
	v_add_co_ci_u32_e32 v11, vcc_lo, s5, v112, vcc_lo
	v_add_co_u32 v111, vcc_lo, s4, v109
	v_add_co_ci_u32_e32 v112, vcc_lo, s5, v110, vcc_lo
	s_delay_alu instid0(VALU_DEP_4)
	v_lshlrev_b64 v[109:110], 3, v[138:139]
	s_clause 0x1
	global_load_b64 v[138:139], v[35:36], off
	global_load_b64 v[140:141], v[41:42], off
	v_ashrrev_i32_e32 v9, 31, v8
	s_waitcnt vmcnt(14)
	scratch_store_b128 off, v[114:117], off offset:48
	s_waitcnt vmcnt(12)
	scratch_store_b128 off, v[118:121], off offset:64
	s_clause 0x2
	global_load_b64 v[114:115], v[43:44], off
	global_load_b64 v[116:117], v[47:48], off
	;; [unrolled: 1-line block ×3, first 2 shown]
	s_waitcnt vmcnt(13)
	scratch_store_b128 off, v[122:125], off offset:80
	s_waitcnt vmcnt(11)
	scratch_store_b128 off, v[126:129], off offset:96
	s_clause 0x4
	global_load_b64 v[120:121], v[53:54], off
	global_load_b64 v[122:123], v[55:56], off
	;; [unrolled: 1-line block ×5, first 2 shown]
	s_waitcnt vmcnt(14)
	scratch_store_b128 off, v[130:133], off offset:112
	s_waitcnt vmcnt(12)
	scratch_store_b128 off, v[134:137], off offset:128
	s_clause 0x3
	global_load_b64 v[130:131], v[71:72], off
	global_load_b64 v[132:133], v[73:74], off
	global_load_b64 v[134:135], v[77:78], off
	global_load_b64 v[136:137], v[79:80], off
	s_waitcnt vmcnt(14)
	scratch_store_b128 off, v[1:4], off offset:144
	s_clause 0x1
	global_load_b64 v[1:2], v[81:82], off
	global_load_b64 v[3:4], v[83:84], off
	v_lshlrev_b64 v[8:9], 3, v[8:9]
	s_delay_alu instid0(VALU_DEP_1) | instskip(NEXT) | instid1(VALU_DEP_2)
	v_add_co_u32 v8, vcc_lo, s4, v8
	v_add_co_ci_u32_e32 v9, vcc_lo, s5, v9, vcc_lo
	v_add_co_u32 v109, vcc_lo, s4, v109
	v_add_co_ci_u32_e32 v110, vcc_lo, s5, v110, vcc_lo
	s_waitcnt vmcnt(14)
	scratch_store_b128 off, v[138:141], off offset:160
	s_clause 0x1
	global_load_b64 v[138:139], v[85:86], off
	global_load_b64 v[140:141], v[87:88], off
	s_waitcnt vmcnt(14)
	scratch_store_b128 off, v[114:117], off offset:176
	s_waitcnt vmcnt(12)
	scratch_store_b128 off, v[118:121], off offset:192
	s_clause 0x2
	global_load_b64 v[114:115], v[89:90], off
	global_load_b64 v[116:117], v[91:92], off
	;; [unrolled: 1-line block ×3, first 2 shown]
	s_waitcnt vmcnt(13)
	scratch_store_b128 off, v[122:125], off offset:208
	s_waitcnt vmcnt(11)
	scratch_store_b128 off, v[126:129], off offset:224
	s_clause 0x3
	global_load_b64 v[120:121], v[95:96], off
	global_load_b64 v[122:123], v[97:98], off
	;; [unrolled: 1-line block ×4, first 2 shown]
	s_waitcnt vmcnt(13)
	scratch_store_b128 off, v[130:133], off offset:240
	s_waitcnt vmcnt(11)
	scratch_store_b128 off, v[134:137], off offset:256
	s_clause 0x3
	global_load_b64 v[128:129], v[103:104], off
	global_load_b64 v[130:131], v[105:106], off
	;; [unrolled: 1-line block ×4, first 2 shown]
	s_waitcnt vmcnt(13)
	scratch_store_b128 off, v[1:4], off offset:272
	s_clause 0x2
	global_load_b64 v[136:137], v[10:11], off
	global_load_b64 v[1:2], v[111:112], off
	;; [unrolled: 1-line block ×3, first 2 shown]
	s_waitcnt vmcnt(14)
	scratch_store_b128 off, v[138:141], off offset:288
	global_load_b64 v[138:139], v[109:110], off
	s_waitcnt vmcnt(13)
	scratch_store_b128 off, v[114:117], off offset:304
	s_waitcnt vmcnt(11)
	scratch_store_b128 off, v[118:121], off offset:320
	;; [unrolled: 2-line block ×7, first 2 shown]
	s_waitcnt vmcnt(0)
	scratch_store_b64 off, v[138:139], off offset:416
	s_cbranch_scc1 .LBB116_220
; %bb.4:
	v_cmp_eq_u32_e64 s0, 0, v0
	s_delay_alu instid0(VALU_DEP_1)
	s_and_saveexec_b32 s1, s0
	s_cbranch_execz .LBB116_6
; %bb.5:
	v_mov_b32_e32 v1, 0
	ds_store_b32 v1, v1 offset:424
.LBB116_6:
	s_or_b32 exec_lo, exec_lo, s1
	s_waitcnt lgkmcnt(0)
	s_waitcnt_vscnt null, 0x0
	s_barrier
	buffer_gl0_inv
	scratch_load_b64 v[1:2], v113, off
	s_mov_b32 s4, exec_lo
	s_waitcnt vmcnt(0)
	v_cmpx_eq_f64_e32 0, v[1:2]
	s_cbranch_execz .LBB116_10
; %bb.7:
	v_mov_b32_e32 v1, 0
	s_mov_b32 s5, 0
	ds_load_b32 v2, v1 offset:424
	s_waitcnt lgkmcnt(0)
	v_readfirstlane_b32 s1, v2
	v_add_nc_u32_e32 v2, 1, v0
	s_delay_alu instid0(VALU_DEP_2) | instskip(NEXT) | instid1(VALU_DEP_1)
	s_cmp_eq_u32 s1, 0
	v_cmp_gt_i32_e32 vcc_lo, s1, v2
	s_cselect_b32 s10, -1, 0
	s_delay_alu instid0(SALU_CYCLE_1) | instskip(NEXT) | instid1(SALU_CYCLE_1)
	s_or_b32 s10, s10, vcc_lo
	s_and_b32 exec_lo, exec_lo, s10
	s_cbranch_execz .LBB116_10
; %bb.8:
	v_mov_b32_e32 v3, s1
.LBB116_9:                              ; =>This Inner Loop Header: Depth=1
	ds_cmpstore_rtn_b32 v3, v1, v2, v3 offset:424
	s_waitcnt lgkmcnt(0)
	v_cmp_ne_u32_e32 vcc_lo, 0, v3
	v_cmp_le_i32_e64 s1, v3, v2
	s_delay_alu instid0(VALU_DEP_1) | instskip(NEXT) | instid1(SALU_CYCLE_1)
	s_and_b32 s1, vcc_lo, s1
	s_and_b32 s1, exec_lo, s1
	s_delay_alu instid0(SALU_CYCLE_1) | instskip(NEXT) | instid1(SALU_CYCLE_1)
	s_or_b32 s5, s1, s5
	s_and_not1_b32 exec_lo, exec_lo, s5
	s_cbranch_execnz .LBB116_9
.LBB116_10:
	s_or_b32 exec_lo, exec_lo, s4
	v_mov_b32_e32 v1, 0
	s_barrier
	buffer_gl0_inv
	ds_load_b32 v2, v1 offset:424
	s_and_saveexec_b32 s1, s0
	s_cbranch_execz .LBB116_12
; %bb.11:
	s_lshl_b64 s[4:5], s[8:9], 2
	s_delay_alu instid0(SALU_CYCLE_1)
	s_add_u32 s4, s6, s4
	s_addc_u32 s5, s7, s5
	s_waitcnt lgkmcnt(0)
	global_store_b32 v1, v2, s[4:5]
.LBB116_12:
	s_or_b32 exec_lo, exec_lo, s1
	s_waitcnt lgkmcnt(0)
	v_cmp_ne_u32_e32 vcc_lo, 0, v2
	s_mov_b32 s1, 0
	s_cbranch_vccnz .LBB116_220
; %bb.13:
	v_add_nc_u32_e32 v3, 0, v113
	scratch_load_b64 v[1:2], v3, off
	s_waitcnt vmcnt(0)
	v_div_scale_f64 v[4:5], null, v[1:2], v[1:2], 1.0
	v_div_scale_f64 v[118:119], vcc_lo, 1.0, v[1:2], 1.0
	s_delay_alu instid0(VALU_DEP_2) | instskip(SKIP_2) | instid1(VALU_DEP_1)
	v_rcp_f64_e32 v[114:115], v[4:5]
	s_waitcnt_depctr 0xfff
	v_fma_f64 v[116:117], -v[4:5], v[114:115], 1.0
	v_fma_f64 v[114:115], v[114:115], v[116:117], v[114:115]
	s_delay_alu instid0(VALU_DEP_1) | instskip(NEXT) | instid1(VALU_DEP_1)
	v_fma_f64 v[116:117], -v[4:5], v[114:115], 1.0
	v_fma_f64 v[114:115], v[114:115], v[116:117], v[114:115]
	s_delay_alu instid0(VALU_DEP_1) | instskip(NEXT) | instid1(VALU_DEP_1)
	v_mul_f64 v[116:117], v[118:119], v[114:115]
	v_fma_f64 v[4:5], -v[4:5], v[116:117], v[118:119]
	s_delay_alu instid0(VALU_DEP_1) | instskip(NEXT) | instid1(VALU_DEP_1)
	v_div_fmas_f64 v[4:5], v[4:5], v[114:115], v[116:117]
	v_div_fixup_f64 v[1:2], v[4:5], v[1:2], 1.0
	v_add_nc_u32_e32 v4, 0x1b0, v113
	scratch_store_b64 v3, v[1:2], off
	scratch_load_b64 v[114:115], off, off offset:8
	v_xor_b32_e32 v2, 0x80000000, v2
	s_waitcnt vmcnt(0)
	ds_store_2addr_b64 v113, v[1:2], v[114:115] offset1:54
	s_waitcnt lgkmcnt(0)
	s_waitcnt_vscnt null, 0x0
	s_barrier
	buffer_gl0_inv
	s_and_saveexec_b32 s1, s0
	s_cbranch_execz .LBB116_15
; %bb.14:
	scratch_load_b64 v[1:2], v3, off
	ds_load_b64 v[114:115], v4
	v_mov_b32_e32 v5, 0
	s_waitcnt vmcnt(0) lgkmcnt(0)
	v_fma_f64 v[1:2], v[1:2], v[114:115], 0
	ds_load_b64 v[114:115], v5 offset:8
	s_waitcnt lgkmcnt(0)
	v_mul_f64 v[1:2], v[1:2], v[114:115]
	scratch_store_b64 off, v[1:2], off offset:8
.LBB116_15:
	s_or_b32 exec_lo, exec_lo, s1
	s_waitcnt_vscnt null, 0x0
	s_barrier
	buffer_gl0_inv
	scratch_load_b64 v[1:2], off, off offset:16
	s_mov_b32 s1, exec_lo
	s_waitcnt vmcnt(0)
	ds_store_b64 v4, v[1:2]
	s_waitcnt lgkmcnt(0)
	s_barrier
	buffer_gl0_inv
	v_cmpx_gt_u32_e32 2, v0
	s_cbranch_execz .LBB116_19
; %bb.16:
	scratch_load_b64 v[1:2], v3, off
	ds_load_b64 v[114:115], v4
	s_waitcnt vmcnt(0) lgkmcnt(0)
	v_fma_f64 v[1:2], v[1:2], v[114:115], 0
	s_and_saveexec_b32 s4, s0
	s_cbranch_execz .LBB116_18
; %bb.17:
	scratch_load_b64 v[114:115], off, off offset:8
	v_mov_b32_e32 v5, 0
	ds_load_b64 v[116:117], v5 offset:440
	s_waitcnt vmcnt(0) lgkmcnt(0)
	v_fma_f64 v[1:2], v[114:115], v[116:117], v[1:2]
.LBB116_18:
	s_or_b32 exec_lo, exec_lo, s4
	v_mov_b32_e32 v5, 0
	ds_load_b64 v[114:115], v5 offset:16
	s_waitcnt lgkmcnt(0)
	v_mul_f64 v[1:2], v[1:2], v[114:115]
	scratch_store_b64 off, v[1:2], off offset:16
.LBB116_19:
	s_or_b32 exec_lo, exec_lo, s1
	s_waitcnt_vscnt null, 0x0
	s_barrier
	buffer_gl0_inv
	scratch_load_b64 v[1:2], off, off offset:24
	v_add_nc_u32_e32 v5, -1, v0
	s_mov_b32 s0, exec_lo
	s_waitcnt vmcnt(0)
	ds_store_b64 v4, v[1:2]
	s_waitcnt lgkmcnt(0)
	s_barrier
	buffer_gl0_inv
	v_cmpx_gt_u32_e32 3, v0
	s_cbranch_execz .LBB116_23
; %bb.20:
	v_dual_mov_b32 v1, 0 :: v_dual_add_nc_u32 v12, -1, v0
	v_add_nc_u32_e32 v114, 0x1b0, v113
	v_dual_mov_b32 v2, 0 :: v_dual_add_nc_u32 v115, 0, v113
	s_mov_b32 s1, 0
.LBB116_21:                             ; =>This Inner Loop Header: Depth=1
	scratch_load_b64 v[116:117], v115, off
	ds_load_b64 v[118:119], v114
	v_add_nc_u32_e32 v12, 1, v12
	v_add_nc_u32_e32 v114, 8, v114
	v_add_nc_u32_e32 v115, 8, v115
	s_delay_alu instid0(VALU_DEP_3)
	v_cmp_lt_u32_e32 vcc_lo, 1, v12
	s_or_b32 s1, vcc_lo, s1
	s_waitcnt vmcnt(0) lgkmcnt(0)
	v_fma_f64 v[1:2], v[116:117], v[118:119], v[1:2]
	s_and_not1_b32 exec_lo, exec_lo, s1
	s_cbranch_execnz .LBB116_21
; %bb.22:
	s_or_b32 exec_lo, exec_lo, s1
	v_mov_b32_e32 v12, 0
	ds_load_b64 v[114:115], v12 offset:24
	s_waitcnt lgkmcnt(0)
	v_mul_f64 v[1:2], v[1:2], v[114:115]
	scratch_store_b64 off, v[1:2], off offset:24
.LBB116_23:
	s_or_b32 exec_lo, exec_lo, s0
	s_waitcnt_vscnt null, 0x0
	s_barrier
	buffer_gl0_inv
	scratch_load_b64 v[1:2], off, off offset:32
	s_mov_b32 s0, exec_lo
	s_waitcnt vmcnt(0)
	ds_store_b64 v4, v[1:2]
	s_waitcnt lgkmcnt(0)
	s_barrier
	buffer_gl0_inv
	v_cmpx_gt_u32_e32 4, v0
	s_cbranch_execz .LBB116_27
; %bb.24:
	v_dual_mov_b32 v1, 0 :: v_dual_add_nc_u32 v12, -1, v0
	v_add_nc_u32_e32 v114, 0x1b0, v113
	v_dual_mov_b32 v2, 0 :: v_dual_add_nc_u32 v115, 0, v113
	s_mov_b32 s1, 0
.LBB116_25:                             ; =>This Inner Loop Header: Depth=1
	scratch_load_b64 v[116:117], v115, off
	ds_load_b64 v[118:119], v114
	v_add_nc_u32_e32 v12, 1, v12
	v_add_nc_u32_e32 v114, 8, v114
	v_add_nc_u32_e32 v115, 8, v115
	s_delay_alu instid0(VALU_DEP_3)
	v_cmp_lt_u32_e32 vcc_lo, 2, v12
	s_or_b32 s1, vcc_lo, s1
	s_waitcnt vmcnt(0) lgkmcnt(0)
	v_fma_f64 v[1:2], v[116:117], v[118:119], v[1:2]
	s_and_not1_b32 exec_lo, exec_lo, s1
	s_cbranch_execnz .LBB116_25
; %bb.26:
	s_or_b32 exec_lo, exec_lo, s1
	v_mov_b32_e32 v12, 0
	ds_load_b64 v[114:115], v12 offset:32
	s_waitcnt lgkmcnt(0)
	v_mul_f64 v[1:2], v[1:2], v[114:115]
	scratch_store_b64 off, v[1:2], off offset:32
.LBB116_27:
	s_or_b32 exec_lo, exec_lo, s0
	s_waitcnt_vscnt null, 0x0
	s_barrier
	buffer_gl0_inv
	scratch_load_b64 v[1:2], off, off offset:40
	;; [unrolled: 39-line block ×20, first 2 shown]
	s_mov_b32 s0, exec_lo
	s_waitcnt vmcnt(0)
	ds_store_b64 v4, v[1:2]
	s_waitcnt lgkmcnt(0)
	s_barrier
	buffer_gl0_inv
	v_cmpx_gt_u32_e32 23, v0
	s_cbranch_execz .LBB116_103
; %bb.100:
	v_dual_mov_b32 v1, 0 :: v_dual_add_nc_u32 v12, -1, v0
	v_add_nc_u32_e32 v114, 0x1b0, v113
	v_dual_mov_b32 v2, 0 :: v_dual_add_nc_u32 v115, 0, v113
	s_mov_b32 s1, 0
.LBB116_101:                            ; =>This Inner Loop Header: Depth=1
	scratch_load_b64 v[116:117], v115, off
	ds_load_b64 v[118:119], v114
	v_add_nc_u32_e32 v12, 1, v12
	v_add_nc_u32_e32 v114, 8, v114
	v_add_nc_u32_e32 v115, 8, v115
	s_delay_alu instid0(VALU_DEP_3)
	v_cmp_lt_u32_e32 vcc_lo, 21, v12
	s_or_b32 s1, vcc_lo, s1
	s_waitcnt vmcnt(0) lgkmcnt(0)
	v_fma_f64 v[1:2], v[116:117], v[118:119], v[1:2]
	s_and_not1_b32 exec_lo, exec_lo, s1
	s_cbranch_execnz .LBB116_101
; %bb.102:
	s_or_b32 exec_lo, exec_lo, s1
	v_mov_b32_e32 v12, 0
	ds_load_b64 v[114:115], v12 offset:184
	s_waitcnt lgkmcnt(0)
	v_mul_f64 v[1:2], v[1:2], v[114:115]
	scratch_store_b64 off, v[1:2], off offset:184
.LBB116_103:
	s_or_b32 exec_lo, exec_lo, s0
	s_waitcnt_vscnt null, 0x0
	s_barrier
	buffer_gl0_inv
	scratch_load_b64 v[1:2], off, off offset:192
	s_mov_b32 s0, exec_lo
	s_waitcnt vmcnt(0)
	ds_store_b64 v4, v[1:2]
	s_waitcnt lgkmcnt(0)
	s_barrier
	buffer_gl0_inv
	v_cmpx_gt_u32_e32 24, v0
	s_cbranch_execz .LBB116_107
; %bb.104:
	v_dual_mov_b32 v1, 0 :: v_dual_add_nc_u32 v12, -1, v0
	v_add_nc_u32_e32 v114, 0x1b0, v113
	v_dual_mov_b32 v2, 0 :: v_dual_add_nc_u32 v115, 0, v113
	s_mov_b32 s1, 0
.LBB116_105:                            ; =>This Inner Loop Header: Depth=1
	scratch_load_b64 v[116:117], v115, off
	ds_load_b64 v[118:119], v114
	v_add_nc_u32_e32 v12, 1, v12
	v_add_nc_u32_e32 v114, 8, v114
	v_add_nc_u32_e32 v115, 8, v115
	s_delay_alu instid0(VALU_DEP_3)
	v_cmp_lt_u32_e32 vcc_lo, 22, v12
	s_or_b32 s1, vcc_lo, s1
	s_waitcnt vmcnt(0) lgkmcnt(0)
	v_fma_f64 v[1:2], v[116:117], v[118:119], v[1:2]
	s_and_not1_b32 exec_lo, exec_lo, s1
	s_cbranch_execnz .LBB116_105
; %bb.106:
	s_or_b32 exec_lo, exec_lo, s1
	v_mov_b32_e32 v12, 0
	ds_load_b64 v[114:115], v12 offset:192
	s_waitcnt lgkmcnt(0)
	v_mul_f64 v[1:2], v[1:2], v[114:115]
	scratch_store_b64 off, v[1:2], off offset:192
.LBB116_107:
	s_or_b32 exec_lo, exec_lo, s0
	s_waitcnt_vscnt null, 0x0
	s_barrier
	buffer_gl0_inv
	scratch_load_b64 v[1:2], off, off offset:200
	;; [unrolled: 39-line block ×29, first 2 shown]
	s_mov_b32 s0, exec_lo
	s_waitcnt vmcnt(0)
	ds_store_b64 v4, v[1:2]
	s_waitcnt lgkmcnt(0)
	s_barrier
	buffer_gl0_inv
	v_cmpx_ne_u32_e32 52, v0
	s_cbranch_execz .LBB116_219
; %bb.216:
	v_mov_b32_e32 v1, 0
	v_mov_b32_e32 v2, 0
	s_mov_b32 s1, 0
.LBB116_217:                            ; =>This Inner Loop Header: Depth=1
	scratch_load_b64 v[113:114], v3, off
	ds_load_b64 v[115:116], v4
	v_add_nc_u32_e32 v5, 1, v5
	v_add_nc_u32_e32 v4, 8, v4
	;; [unrolled: 1-line block ×3, first 2 shown]
	s_delay_alu instid0(VALU_DEP_3)
	v_cmp_lt_u32_e32 vcc_lo, 50, v5
	s_or_b32 s1, vcc_lo, s1
	s_waitcnt vmcnt(0) lgkmcnt(0)
	v_fma_f64 v[1:2], v[113:114], v[115:116], v[1:2]
	s_and_not1_b32 exec_lo, exec_lo, s1
	s_cbranch_execnz .LBB116_217
; %bb.218:
	s_or_b32 exec_lo, exec_lo, s1
	v_mov_b32_e32 v3, 0
	ds_load_b64 v[3:4], v3 offset:416
	s_waitcnt lgkmcnt(0)
	v_mul_f64 v[1:2], v[1:2], v[3:4]
	scratch_store_b64 off, v[1:2], off offset:416
.LBB116_219:
	s_or_b32 exec_lo, exec_lo, s0
	s_mov_b32 s1, -1
	s_waitcnt_vscnt null, 0x0
	s_barrier
	buffer_gl0_inv
.LBB116_220:
	s_and_b32 vcc_lo, exec_lo, s1
	s_cbranch_vccz .LBB116_222
; %bb.221:
	s_lshl_b64 s[0:1], s[8:9], 2
	v_mov_b32_e32 v1, 0
	s_add_u32 s0, s6, s0
	s_addc_u32 s1, s7, s1
	global_load_b32 v1, v1, s[0:1]
	s_waitcnt vmcnt(0)
	v_cmp_ne_u32_e32 vcc_lo, 0, v1
	s_cbranch_vccz .LBB116_223
.LBB116_222:
	s_endpgm
.LBB116_223:
	v_lshl_add_u32 v5, v0, 3, 0x1b0
	s_mov_b32 s0, exec_lo
	v_cmpx_eq_u32_e32 52, v0
	s_cbranch_execz .LBB116_225
; %bb.224:
	scratch_load_b64 v[1:2], off, off offset:408
	v_mov_b32_e32 v3, 0
	s_delay_alu instid0(VALU_DEP_1)
	v_mov_b32_e32 v4, v3
	scratch_store_b64 off, v[3:4], off offset:408
	s_waitcnt vmcnt(0)
	ds_store_b64 v5, v[1:2]
.LBB116_225:
	s_or_b32 exec_lo, exec_lo, s0
	s_waitcnt lgkmcnt(0)
	s_waitcnt_vscnt null, 0x0
	s_barrier
	buffer_gl0_inv
	scratch_load_b128 v[113:116], off, off offset:408
	v_mov_b32_e32 v1, 0
	s_mov_b32 s0, exec_lo
	ds_load_b64 v[2:3], v1 offset:848
	s_waitcnt vmcnt(0) lgkmcnt(0)
	v_fma_f64 v[2:3], v[115:116], v[2:3], 0
	s_delay_alu instid0(VALU_DEP_1)
	v_add_f64 v[2:3], v[113:114], -v[2:3]
	scratch_store_b64 off, v[2:3], off offset:408
	v_cmpx_lt_u32_e32 50, v0
	s_cbranch_execz .LBB116_227
; %bb.226:
	scratch_load_b64 v[3:4], off, off offset:400
	v_mov_b32_e32 v2, v1
	scratch_store_b64 off, v[1:2], off offset:400
	s_waitcnt vmcnt(0)
	ds_store_b64 v5, v[3:4]
.LBB116_227:
	s_or_b32 exec_lo, exec_lo, s0
	s_waitcnt lgkmcnt(0)
	s_waitcnt_vscnt null, 0x0
	s_barrier
	buffer_gl0_inv
	s_clause 0x1
	scratch_load_b128 v[113:116], off, off offset:400
	scratch_load_b64 v[117:118], off, off offset:416
	ds_load_2addr_b64 v[1:4], v1 offset0:105 offset1:106
	s_mov_b32 s0, exec_lo
	s_waitcnt vmcnt(1) lgkmcnt(0)
	v_fma_f64 v[1:2], v[115:116], v[1:2], 0
	s_waitcnt vmcnt(0)
	s_delay_alu instid0(VALU_DEP_1) | instskip(NEXT) | instid1(VALU_DEP_1)
	v_fma_f64 v[1:2], v[117:118], v[3:4], v[1:2]
	v_add_f64 v[1:2], v[113:114], -v[1:2]
	scratch_store_b64 off, v[1:2], off offset:400
	v_cmpx_lt_u32_e32 49, v0
	s_cbranch_execz .LBB116_229
; %bb.228:
	scratch_load_b64 v[1:2], off, off offset:392
	v_mov_b32_e32 v3, 0
	s_delay_alu instid0(VALU_DEP_1)
	v_mov_b32_e32 v4, v3
	scratch_store_b64 off, v[3:4], off offset:392
	s_waitcnt vmcnt(0)
	ds_store_b64 v5, v[1:2]
.LBB116_229:
	s_or_b32 exec_lo, exec_lo, s0
	s_waitcnt lgkmcnt(0)
	s_waitcnt_vscnt null, 0x0
	s_barrier
	buffer_gl0_inv
	s_clause 0x1
	scratch_load_b128 v[113:116], off, off offset:392
	scratch_load_b128 v[117:120], off, off offset:408
	v_mov_b32_e32 v1, 0
	ds_load_b128 v[121:124], v1 offset:832
	ds_load_b64 v[2:3], v1 offset:848
	s_mov_b32 s0, exec_lo
	s_waitcnt vmcnt(1) lgkmcnt(1)
	v_fma_f64 v[115:116], v[115:116], v[121:122], 0
	s_waitcnt vmcnt(0)
	s_delay_alu instid0(VALU_DEP_1) | instskip(SKIP_1) | instid1(VALU_DEP_1)
	v_fma_f64 v[115:116], v[117:118], v[123:124], v[115:116]
	s_waitcnt lgkmcnt(0)
	v_fma_f64 v[2:3], v[119:120], v[2:3], v[115:116]
	s_delay_alu instid0(VALU_DEP_1)
	v_add_f64 v[2:3], v[113:114], -v[2:3]
	scratch_store_b64 off, v[2:3], off offset:392
	v_cmpx_lt_u32_e32 48, v0
	s_cbranch_execz .LBB116_231
; %bb.230:
	scratch_load_b64 v[3:4], off, off offset:384
	v_mov_b32_e32 v2, v1
	scratch_store_b64 off, v[1:2], off offset:384
	s_waitcnt vmcnt(0)
	ds_store_b64 v5, v[3:4]
.LBB116_231:
	s_or_b32 exec_lo, exec_lo, s0
	s_waitcnt lgkmcnt(0)
	s_waitcnt_vscnt null, 0x0
	s_barrier
	buffer_gl0_inv
	s_clause 0x2
	scratch_load_b128 v[113:116], off, off offset:384
	scratch_load_b128 v[117:120], off, off offset:400
	scratch_load_b64 v[125:126], off, off offset:416
	ds_load_2addr_b64 v[121:124], v1 offset0:103 offset1:104
	ds_load_2addr_b64 v[1:4], v1 offset0:105 offset1:106
	s_mov_b32 s0, exec_lo
	s_waitcnt vmcnt(2) lgkmcnt(1)
	v_fma_f64 v[115:116], v[115:116], v[121:122], 0
	s_waitcnt vmcnt(1)
	s_delay_alu instid0(VALU_DEP_1) | instskip(SKIP_1) | instid1(VALU_DEP_1)
	v_fma_f64 v[115:116], v[117:118], v[123:124], v[115:116]
	s_waitcnt lgkmcnt(0)
	v_fma_f64 v[1:2], v[119:120], v[1:2], v[115:116]
	s_waitcnt vmcnt(0)
	s_delay_alu instid0(VALU_DEP_1) | instskip(NEXT) | instid1(VALU_DEP_1)
	v_fma_f64 v[1:2], v[125:126], v[3:4], v[1:2]
	v_add_f64 v[1:2], v[113:114], -v[1:2]
	scratch_store_b64 off, v[1:2], off offset:384
	v_cmpx_lt_u32_e32 47, v0
	s_cbranch_execz .LBB116_233
; %bb.232:
	scratch_load_b64 v[1:2], off, off offset:376
	v_mov_b32_e32 v3, 0
	s_delay_alu instid0(VALU_DEP_1)
	v_mov_b32_e32 v4, v3
	scratch_store_b64 off, v[3:4], off offset:376
	s_waitcnt vmcnt(0)
	ds_store_b64 v5, v[1:2]
.LBB116_233:
	s_or_b32 exec_lo, exec_lo, s0
	s_waitcnt lgkmcnt(0)
	s_waitcnt_vscnt null, 0x0
	s_barrier
	buffer_gl0_inv
	s_clause 0x2
	scratch_load_b128 v[113:116], off, off offset:376
	scratch_load_b128 v[117:120], off, off offset:392
	;; [unrolled: 1-line block ×3, first 2 shown]
	v_mov_b32_e32 v1, 0
	ds_load_b128 v[125:128], v1 offset:816
	ds_load_b128 v[129:132], v1 offset:832
	s_mov_b32 s0, exec_lo
	s_waitcnt vmcnt(2) lgkmcnt(1)
	v_fma_f64 v[2:3], v[115:116], v[125:126], 0
	ds_load_b64 v[115:116], v1 offset:848
	s_waitcnt vmcnt(1)
	v_fma_f64 v[2:3], v[117:118], v[127:128], v[2:3]
	s_waitcnt lgkmcnt(1)
	s_delay_alu instid0(VALU_DEP_1) | instskip(SKIP_1) | instid1(VALU_DEP_1)
	v_fma_f64 v[2:3], v[119:120], v[129:130], v[2:3]
	s_waitcnt vmcnt(0)
	v_fma_f64 v[2:3], v[121:122], v[131:132], v[2:3]
	s_waitcnt lgkmcnt(0)
	s_delay_alu instid0(VALU_DEP_1) | instskip(NEXT) | instid1(VALU_DEP_1)
	v_fma_f64 v[2:3], v[123:124], v[115:116], v[2:3]
	v_add_f64 v[2:3], v[113:114], -v[2:3]
	scratch_store_b64 off, v[2:3], off offset:376
	v_cmpx_lt_u32_e32 46, v0
	s_cbranch_execz .LBB116_235
; %bb.234:
	scratch_load_b64 v[3:4], off, off offset:368
	v_mov_b32_e32 v2, v1
	scratch_store_b64 off, v[1:2], off offset:368
	s_waitcnt vmcnt(0)
	ds_store_b64 v5, v[3:4]
.LBB116_235:
	s_or_b32 exec_lo, exec_lo, s0
	s_waitcnt lgkmcnt(0)
	s_waitcnt_vscnt null, 0x0
	s_barrier
	buffer_gl0_inv
	s_clause 0x3
	scratch_load_b128 v[113:116], off, off offset:368
	scratch_load_b128 v[117:120], off, off offset:384
	;; [unrolled: 1-line block ×3, first 2 shown]
	scratch_load_b64 v[133:134], off, off offset:416
	ds_load_2addr_b64 v[125:128], v1 offset0:101 offset1:102
	ds_load_2addr_b64 v[129:132], v1 offset0:103 offset1:104
	s_mov_b32 s0, exec_lo
	s_waitcnt vmcnt(3) lgkmcnt(1)
	v_fma_f64 v[2:3], v[115:116], v[125:126], 0
	s_waitcnt vmcnt(2)
	s_delay_alu instid0(VALU_DEP_1) | instskip(SKIP_1) | instid1(VALU_DEP_1)
	v_fma_f64 v[2:3], v[117:118], v[127:128], v[2:3]
	s_waitcnt lgkmcnt(0)
	v_fma_f64 v[2:3], v[119:120], v[129:130], v[2:3]
	s_waitcnt vmcnt(1)
	s_delay_alu instid0(VALU_DEP_1) | instskip(SKIP_4) | instid1(VALU_DEP_1)
	v_fma_f64 v[115:116], v[121:122], v[131:132], v[2:3]
	ds_load_2addr_b64 v[1:4], v1 offset0:105 offset1:106
	s_waitcnt lgkmcnt(0)
	v_fma_f64 v[1:2], v[123:124], v[1:2], v[115:116]
	s_waitcnt vmcnt(0)
	v_fma_f64 v[1:2], v[133:134], v[3:4], v[1:2]
	s_delay_alu instid0(VALU_DEP_1)
	v_add_f64 v[1:2], v[113:114], -v[1:2]
	scratch_store_b64 off, v[1:2], off offset:368
	v_cmpx_lt_u32_e32 45, v0
	s_cbranch_execz .LBB116_237
; %bb.236:
	scratch_load_b64 v[1:2], off, off offset:360
	v_mov_b32_e32 v3, 0
	s_delay_alu instid0(VALU_DEP_1)
	v_mov_b32_e32 v4, v3
	scratch_store_b64 off, v[3:4], off offset:360
	s_waitcnt vmcnt(0)
	ds_store_b64 v5, v[1:2]
.LBB116_237:
	s_or_b32 exec_lo, exec_lo, s0
	s_waitcnt lgkmcnt(0)
	s_waitcnt_vscnt null, 0x0
	s_barrier
	buffer_gl0_inv
	s_clause 0x3
	scratch_load_b128 v[113:116], off, off offset:360
	scratch_load_b128 v[117:120], off, off offset:376
	;; [unrolled: 1-line block ×4, first 2 shown]
	v_mov_b32_e32 v1, 0
	ds_load_b128 v[129:132], v1 offset:800
	ds_load_b128 v[133:136], v1 offset:816
	s_mov_b32 s0, exec_lo
	s_waitcnt vmcnt(3) lgkmcnt(1)
	v_fma_f64 v[2:3], v[115:116], v[129:130], 0
	s_waitcnt vmcnt(2)
	s_delay_alu instid0(VALU_DEP_1) | instskip(SKIP_1) | instid1(VALU_DEP_1)
	v_fma_f64 v[2:3], v[117:118], v[131:132], v[2:3]
	s_waitcnt lgkmcnt(0)
	v_fma_f64 v[2:3], v[119:120], v[133:134], v[2:3]
	ds_load_b128 v[115:118], v1 offset:832
	ds_load_b64 v[119:120], v1 offset:848
	s_waitcnt vmcnt(1)
	v_fma_f64 v[2:3], v[121:122], v[135:136], v[2:3]
	s_waitcnt lgkmcnt(1)
	s_delay_alu instid0(VALU_DEP_1) | instskip(SKIP_1) | instid1(VALU_DEP_1)
	v_fma_f64 v[2:3], v[123:124], v[115:116], v[2:3]
	s_waitcnt vmcnt(0)
	v_fma_f64 v[2:3], v[125:126], v[117:118], v[2:3]
	s_waitcnt lgkmcnt(0)
	s_delay_alu instid0(VALU_DEP_1) | instskip(NEXT) | instid1(VALU_DEP_1)
	v_fma_f64 v[2:3], v[127:128], v[119:120], v[2:3]
	v_add_f64 v[2:3], v[113:114], -v[2:3]
	scratch_store_b64 off, v[2:3], off offset:360
	v_cmpx_lt_u32_e32 44, v0
	s_cbranch_execz .LBB116_239
; %bb.238:
	scratch_load_b64 v[3:4], off, off offset:352
	v_mov_b32_e32 v2, v1
	scratch_store_b64 off, v[1:2], off offset:352
	s_waitcnt vmcnt(0)
	ds_store_b64 v5, v[3:4]
.LBB116_239:
	s_or_b32 exec_lo, exec_lo, s0
	s_waitcnt lgkmcnt(0)
	s_waitcnt_vscnt null, 0x0
	s_barrier
	buffer_gl0_inv
	s_clause 0x4
	scratch_load_b128 v[113:116], off, off offset:352
	scratch_load_b128 v[117:120], off, off offset:368
	;; [unrolled: 1-line block ×4, first 2 shown]
	scratch_load_b64 v[137:138], off, off offset:416
	ds_load_2addr_b64 v[129:132], v1 offset0:99 offset1:100
	ds_load_2addr_b64 v[133:136], v1 offset0:101 offset1:102
	s_mov_b32 s0, exec_lo
	s_waitcnt vmcnt(4) lgkmcnt(1)
	v_fma_f64 v[2:3], v[115:116], v[129:130], 0
	s_waitcnt vmcnt(3)
	s_delay_alu instid0(VALU_DEP_1) | instskip(SKIP_1) | instid1(VALU_DEP_1)
	v_fma_f64 v[2:3], v[117:118], v[131:132], v[2:3]
	s_waitcnt lgkmcnt(0)
	v_fma_f64 v[2:3], v[119:120], v[133:134], v[2:3]
	s_waitcnt vmcnt(2)
	s_delay_alu instid0(VALU_DEP_1)
	v_fma_f64 v[119:120], v[121:122], v[135:136], v[2:3]
	ds_load_2addr_b64 v[115:118], v1 offset0:103 offset1:104
	ds_load_2addr_b64 v[1:4], v1 offset0:105 offset1:106
	s_waitcnt lgkmcnt(1)
	v_fma_f64 v[115:116], v[123:124], v[115:116], v[119:120]
	s_waitcnt vmcnt(1)
	s_delay_alu instid0(VALU_DEP_1) | instskip(SKIP_1) | instid1(VALU_DEP_1)
	v_fma_f64 v[115:116], v[125:126], v[117:118], v[115:116]
	s_waitcnt lgkmcnt(0)
	v_fma_f64 v[1:2], v[127:128], v[1:2], v[115:116]
	s_waitcnt vmcnt(0)
	s_delay_alu instid0(VALU_DEP_1) | instskip(NEXT) | instid1(VALU_DEP_1)
	v_fma_f64 v[1:2], v[137:138], v[3:4], v[1:2]
	v_add_f64 v[1:2], v[113:114], -v[1:2]
	scratch_store_b64 off, v[1:2], off offset:352
	v_cmpx_lt_u32_e32 43, v0
	s_cbranch_execz .LBB116_241
; %bb.240:
	scratch_load_b64 v[1:2], off, off offset:344
	v_mov_b32_e32 v3, 0
	s_delay_alu instid0(VALU_DEP_1)
	v_mov_b32_e32 v4, v3
	scratch_store_b64 off, v[3:4], off offset:344
	s_waitcnt vmcnt(0)
	ds_store_b64 v5, v[1:2]
.LBB116_241:
	s_or_b32 exec_lo, exec_lo, s0
	s_waitcnt lgkmcnt(0)
	s_waitcnt_vscnt null, 0x0
	s_barrier
	buffer_gl0_inv
	s_clause 0x4
	scratch_load_b128 v[113:116], off, off offset:344
	scratch_load_b128 v[117:120], off, off offset:360
	;; [unrolled: 1-line block ×5, first 2 shown]
	v_mov_b32_e32 v1, 0
	ds_load_b128 v[133:136], v1 offset:784
	ds_load_b128 v[137:140], v1 offset:800
	s_mov_b32 s0, exec_lo
	s_waitcnt vmcnt(4) lgkmcnt(1)
	v_fma_f64 v[2:3], v[115:116], v[133:134], 0
	s_waitcnt vmcnt(3)
	s_delay_alu instid0(VALU_DEP_1) | instskip(SKIP_1) | instid1(VALU_DEP_1)
	v_fma_f64 v[2:3], v[117:118], v[135:136], v[2:3]
	s_waitcnt lgkmcnt(0)
	v_fma_f64 v[2:3], v[119:120], v[137:138], v[2:3]
	s_waitcnt vmcnt(2)
	s_delay_alu instid0(VALU_DEP_1)
	v_fma_f64 v[2:3], v[121:122], v[139:140], v[2:3]
	ds_load_b128 v[115:118], v1 offset:816
	ds_load_b128 v[119:122], v1 offset:832
	s_waitcnt lgkmcnt(1)
	v_fma_f64 v[2:3], v[123:124], v[115:116], v[2:3]
	ds_load_b64 v[115:116], v1 offset:848
	s_waitcnt vmcnt(1)
	v_fma_f64 v[2:3], v[125:126], v[117:118], v[2:3]
	s_waitcnt lgkmcnt(1)
	s_delay_alu instid0(VALU_DEP_1) | instskip(SKIP_1) | instid1(VALU_DEP_1)
	v_fma_f64 v[2:3], v[127:128], v[119:120], v[2:3]
	s_waitcnt vmcnt(0)
	v_fma_f64 v[2:3], v[129:130], v[121:122], v[2:3]
	s_waitcnt lgkmcnt(0)
	s_delay_alu instid0(VALU_DEP_1) | instskip(NEXT) | instid1(VALU_DEP_1)
	v_fma_f64 v[2:3], v[131:132], v[115:116], v[2:3]
	v_add_f64 v[2:3], v[113:114], -v[2:3]
	scratch_store_b64 off, v[2:3], off offset:344
	v_cmpx_lt_u32_e32 42, v0
	s_cbranch_execz .LBB116_243
; %bb.242:
	scratch_load_b64 v[3:4], off, off offset:336
	v_mov_b32_e32 v2, v1
	scratch_store_b64 off, v[1:2], off offset:336
	s_waitcnt vmcnt(0)
	ds_store_b64 v5, v[3:4]
.LBB116_243:
	s_or_b32 exec_lo, exec_lo, s0
	s_waitcnt lgkmcnt(0)
	s_waitcnt_vscnt null, 0x0
	s_barrier
	buffer_gl0_inv
	s_clause 0x4
	scratch_load_b128 v[113:116], off, off offset:336
	scratch_load_b128 v[117:120], off, off offset:352
	;; [unrolled: 1-line block ×5, first 2 shown]
	ds_load_2addr_b64 v[133:136], v1 offset0:97 offset1:98
	ds_load_2addr_b64 v[137:140], v1 offset0:99 offset1:100
	s_mov_b32 s0, exec_lo
	s_waitcnt vmcnt(4) lgkmcnt(1)
	v_fma_f64 v[2:3], v[115:116], v[133:134], 0
	scratch_load_b64 v[133:134], off, off offset:416
	s_waitcnt vmcnt(4)
	v_fma_f64 v[2:3], v[117:118], v[135:136], v[2:3]
	s_waitcnt lgkmcnt(0)
	s_delay_alu instid0(VALU_DEP_1) | instskip(SKIP_1) | instid1(VALU_DEP_1)
	v_fma_f64 v[2:3], v[119:120], v[137:138], v[2:3]
	s_waitcnt vmcnt(3)
	v_fma_f64 v[2:3], v[121:122], v[139:140], v[2:3]
	ds_load_2addr_b64 v[115:118], v1 offset0:101 offset1:102
	ds_load_2addr_b64 v[119:122], v1 offset0:103 offset1:104
	s_waitcnt lgkmcnt(1)
	v_fma_f64 v[2:3], v[123:124], v[115:116], v[2:3]
	s_waitcnt vmcnt(2)
	s_delay_alu instid0(VALU_DEP_1) | instskip(SKIP_1) | instid1(VALU_DEP_1)
	v_fma_f64 v[2:3], v[125:126], v[117:118], v[2:3]
	s_waitcnt lgkmcnt(0)
	v_fma_f64 v[2:3], v[127:128], v[119:120], v[2:3]
	s_waitcnt vmcnt(1)
	s_delay_alu instid0(VALU_DEP_1) | instskip(SKIP_4) | instid1(VALU_DEP_1)
	v_fma_f64 v[115:116], v[129:130], v[121:122], v[2:3]
	ds_load_2addr_b64 v[1:4], v1 offset0:105 offset1:106
	s_waitcnt lgkmcnt(0)
	v_fma_f64 v[1:2], v[131:132], v[1:2], v[115:116]
	s_waitcnt vmcnt(0)
	v_fma_f64 v[1:2], v[133:134], v[3:4], v[1:2]
	s_delay_alu instid0(VALU_DEP_1)
	v_add_f64 v[1:2], v[113:114], -v[1:2]
	scratch_store_b64 off, v[1:2], off offset:336
	v_cmpx_lt_u32_e32 41, v0
	s_cbranch_execz .LBB116_245
; %bb.244:
	scratch_load_b64 v[1:2], off, off offset:328
	v_mov_b32_e32 v3, 0
	s_delay_alu instid0(VALU_DEP_1)
	v_mov_b32_e32 v4, v3
	scratch_store_b64 off, v[3:4], off offset:328
	s_waitcnt vmcnt(0)
	ds_store_b64 v5, v[1:2]
.LBB116_245:
	s_or_b32 exec_lo, exec_lo, s0
	s_waitcnt lgkmcnt(0)
	s_waitcnt_vscnt null, 0x0
	s_barrier
	buffer_gl0_inv
	s_clause 0x4
	scratch_load_b128 v[113:116], off, off offset:328
	scratch_load_b128 v[117:120], off, off offset:344
	;; [unrolled: 1-line block ×5, first 2 shown]
	v_mov_b32_e32 v1, 0
	ds_load_b128 v[133:136], v1 offset:768
	ds_load_b128 v[137:140], v1 offset:784
	scratch_load_b128 v[141:144], off, off offset:408
	s_mov_b32 s0, exec_lo
	s_waitcnt vmcnt(5) lgkmcnt(1)
	v_fma_f64 v[2:3], v[115:116], v[133:134], 0
	s_waitcnt vmcnt(4)
	s_delay_alu instid0(VALU_DEP_1) | instskip(SKIP_1) | instid1(VALU_DEP_1)
	v_fma_f64 v[2:3], v[117:118], v[135:136], v[2:3]
	s_waitcnt lgkmcnt(0)
	v_fma_f64 v[2:3], v[119:120], v[137:138], v[2:3]
	s_waitcnt vmcnt(3)
	s_delay_alu instid0(VALU_DEP_1)
	v_fma_f64 v[2:3], v[121:122], v[139:140], v[2:3]
	ds_load_b128 v[115:118], v1 offset:800
	ds_load_b128 v[119:122], v1 offset:816
	s_waitcnt lgkmcnt(1)
	v_fma_f64 v[2:3], v[123:124], v[115:116], v[2:3]
	s_waitcnt vmcnt(2)
	s_delay_alu instid0(VALU_DEP_1) | instskip(SKIP_1) | instid1(VALU_DEP_1)
	v_fma_f64 v[2:3], v[125:126], v[117:118], v[2:3]
	s_waitcnt lgkmcnt(0)
	v_fma_f64 v[2:3], v[127:128], v[119:120], v[2:3]
	ds_load_b128 v[115:118], v1 offset:832
	ds_load_b64 v[119:120], v1 offset:848
	s_waitcnt vmcnt(1)
	v_fma_f64 v[2:3], v[129:130], v[121:122], v[2:3]
	s_waitcnt lgkmcnt(1)
	s_delay_alu instid0(VALU_DEP_1) | instskip(SKIP_1) | instid1(VALU_DEP_1)
	v_fma_f64 v[2:3], v[131:132], v[115:116], v[2:3]
	s_waitcnt vmcnt(0)
	v_fma_f64 v[2:3], v[141:142], v[117:118], v[2:3]
	s_waitcnt lgkmcnt(0)
	s_delay_alu instid0(VALU_DEP_1) | instskip(NEXT) | instid1(VALU_DEP_1)
	v_fma_f64 v[2:3], v[143:144], v[119:120], v[2:3]
	v_add_f64 v[2:3], v[113:114], -v[2:3]
	scratch_store_b64 off, v[2:3], off offset:328
	v_cmpx_lt_u32_e32 40, v0
	s_cbranch_execz .LBB116_247
; %bb.246:
	scratch_load_b64 v[3:4], off, off offset:320
	v_mov_b32_e32 v2, v1
	scratch_store_b64 off, v[1:2], off offset:320
	s_waitcnt vmcnt(0)
	ds_store_b64 v5, v[3:4]
.LBB116_247:
	s_or_b32 exec_lo, exec_lo, s0
	s_waitcnt lgkmcnt(0)
	s_waitcnt_vscnt null, 0x0
	s_barrier
	buffer_gl0_inv
	s_clause 0x4
	scratch_load_b128 v[113:116], off, off offset:320
	scratch_load_b128 v[117:120], off, off offset:336
	scratch_load_b128 v[121:124], off, off offset:352
	scratch_load_b128 v[125:128], off, off offset:368
	scratch_load_b128 v[129:132], off, off offset:384
	ds_load_2addr_b64 v[133:136], v1 offset0:95 offset1:96
	ds_load_2addr_b64 v[137:140], v1 offset0:97 offset1:98
	scratch_load_b128 v[141:144], off, off offset:400
	s_mov_b32 s0, exec_lo
	s_waitcnt vmcnt(5) lgkmcnt(1)
	v_fma_f64 v[2:3], v[115:116], v[133:134], 0
	scratch_load_b64 v[133:134], off, off offset:416
	s_waitcnt vmcnt(5)
	v_fma_f64 v[2:3], v[117:118], v[135:136], v[2:3]
	s_waitcnt lgkmcnt(0)
	s_delay_alu instid0(VALU_DEP_1) | instskip(SKIP_1) | instid1(VALU_DEP_1)
	v_fma_f64 v[2:3], v[119:120], v[137:138], v[2:3]
	s_waitcnt vmcnt(4)
	v_fma_f64 v[2:3], v[121:122], v[139:140], v[2:3]
	ds_load_2addr_b64 v[115:118], v1 offset0:99 offset1:100
	ds_load_2addr_b64 v[119:122], v1 offset0:101 offset1:102
	s_waitcnt lgkmcnt(1)
	v_fma_f64 v[2:3], v[123:124], v[115:116], v[2:3]
	s_waitcnt vmcnt(3)
	s_delay_alu instid0(VALU_DEP_1) | instskip(SKIP_1) | instid1(VALU_DEP_1)
	v_fma_f64 v[2:3], v[125:126], v[117:118], v[2:3]
	s_waitcnt lgkmcnt(0)
	v_fma_f64 v[2:3], v[127:128], v[119:120], v[2:3]
	s_waitcnt vmcnt(2)
	s_delay_alu instid0(VALU_DEP_1)
	v_fma_f64 v[119:120], v[129:130], v[121:122], v[2:3]
	ds_load_2addr_b64 v[115:118], v1 offset0:103 offset1:104
	ds_load_2addr_b64 v[1:4], v1 offset0:105 offset1:106
	s_waitcnt lgkmcnt(1)
	v_fma_f64 v[115:116], v[131:132], v[115:116], v[119:120]
	s_waitcnt vmcnt(1)
	s_delay_alu instid0(VALU_DEP_1) | instskip(SKIP_1) | instid1(VALU_DEP_1)
	v_fma_f64 v[115:116], v[141:142], v[117:118], v[115:116]
	s_waitcnt lgkmcnt(0)
	v_fma_f64 v[1:2], v[143:144], v[1:2], v[115:116]
	s_waitcnt vmcnt(0)
	s_delay_alu instid0(VALU_DEP_1) | instskip(NEXT) | instid1(VALU_DEP_1)
	v_fma_f64 v[1:2], v[133:134], v[3:4], v[1:2]
	v_add_f64 v[1:2], v[113:114], -v[1:2]
	scratch_store_b64 off, v[1:2], off offset:320
	v_cmpx_lt_u32_e32 39, v0
	s_cbranch_execz .LBB116_249
; %bb.248:
	scratch_load_b64 v[1:2], off, off offset:312
	v_mov_b32_e32 v3, 0
	s_delay_alu instid0(VALU_DEP_1)
	v_mov_b32_e32 v4, v3
	scratch_store_b64 off, v[3:4], off offset:312
	s_waitcnt vmcnt(0)
	ds_store_b64 v5, v[1:2]
.LBB116_249:
	s_or_b32 exec_lo, exec_lo, s0
	s_waitcnt lgkmcnt(0)
	s_waitcnt_vscnt null, 0x0
	s_barrier
	buffer_gl0_inv
	s_clause 0x4
	scratch_load_b128 v[113:116], off, off offset:312
	scratch_load_b128 v[117:120], off, off offset:328
	;; [unrolled: 1-line block ×5, first 2 shown]
	v_mov_b32_e32 v1, 0
	ds_load_b128 v[133:136], v1 offset:752
	ds_load_b128 v[137:140], v1 offset:768
	scratch_load_b128 v[141:144], off, off offset:392
	s_mov_b32 s0, exec_lo
	s_waitcnt vmcnt(5) lgkmcnt(1)
	v_fma_f64 v[2:3], v[115:116], v[133:134], 0
	s_waitcnt vmcnt(4)
	s_delay_alu instid0(VALU_DEP_1) | instskip(SKIP_4) | instid1(VALU_DEP_1)
	v_fma_f64 v[2:3], v[117:118], v[135:136], v[2:3]
	scratch_load_b128 v[115:118], off, off offset:408
	s_waitcnt lgkmcnt(0)
	v_fma_f64 v[2:3], v[119:120], v[137:138], v[2:3]
	s_waitcnt vmcnt(4)
	v_fma_f64 v[2:3], v[121:122], v[139:140], v[2:3]
	ds_load_b128 v[119:122], v1 offset:784
	ds_load_b128 v[133:136], v1 offset:800
	s_waitcnt lgkmcnt(1)
	v_fma_f64 v[2:3], v[123:124], v[119:120], v[2:3]
	s_waitcnt vmcnt(3)
	s_delay_alu instid0(VALU_DEP_1)
	v_fma_f64 v[2:3], v[125:126], v[121:122], v[2:3]
	ds_load_b128 v[119:122], v1 offset:816
	ds_load_b128 v[123:126], v1 offset:832
	s_waitcnt lgkmcnt(2)
	v_fma_f64 v[2:3], v[127:128], v[133:134], v[2:3]
	s_waitcnt vmcnt(2)
	s_delay_alu instid0(VALU_DEP_1) | instskip(SKIP_1) | instid1(VALU_DEP_1)
	v_fma_f64 v[2:3], v[129:130], v[135:136], v[2:3]
	s_waitcnt lgkmcnt(1)
	v_fma_f64 v[2:3], v[131:132], v[119:120], v[2:3]
	s_waitcnt vmcnt(1)
	s_delay_alu instid0(VALU_DEP_1) | instskip(SKIP_1) | instid1(VALU_DEP_1)
	v_fma_f64 v[2:3], v[141:142], v[121:122], v[2:3]
	s_waitcnt lgkmcnt(0)
	v_fma_f64 v[2:3], v[143:144], v[123:124], v[2:3]
	s_waitcnt vmcnt(0)
	s_delay_alu instid0(VALU_DEP_1) | instskip(SKIP_3) | instid1(VALU_DEP_1)
	v_fma_f64 v[2:3], v[115:116], v[125:126], v[2:3]
	ds_load_b64 v[115:116], v1 offset:848
	s_waitcnt lgkmcnt(0)
	v_fma_f64 v[2:3], v[117:118], v[115:116], v[2:3]
	v_add_f64 v[2:3], v[113:114], -v[2:3]
	scratch_store_b64 off, v[2:3], off offset:312
	v_cmpx_lt_u32_e32 38, v0
	s_cbranch_execz .LBB116_251
; %bb.250:
	scratch_load_b64 v[3:4], off, off offset:304
	v_mov_b32_e32 v2, v1
	scratch_store_b64 off, v[1:2], off offset:304
	s_waitcnt vmcnt(0)
	ds_store_b64 v5, v[3:4]
.LBB116_251:
	s_or_b32 exec_lo, exec_lo, s0
	s_waitcnt lgkmcnt(0)
	s_waitcnt_vscnt null, 0x0
	s_barrier
	buffer_gl0_inv
	s_clause 0x4
	scratch_load_b128 v[113:116], off, off offset:304
	scratch_load_b128 v[117:120], off, off offset:320
	;; [unrolled: 1-line block ×5, first 2 shown]
	ds_load_2addr_b64 v[133:136], v1 offset0:93 offset1:94
	ds_load_2addr_b64 v[137:140], v1 offset0:95 offset1:96
	scratch_load_b128 v[141:144], off, off offset:384
	s_mov_b32 s0, exec_lo
	s_waitcnt vmcnt(5) lgkmcnt(1)
	v_fma_f64 v[2:3], v[115:116], v[133:134], 0
	s_waitcnt vmcnt(4)
	s_delay_alu instid0(VALU_DEP_1) | instskip(SKIP_4) | instid1(VALU_DEP_1)
	v_fma_f64 v[2:3], v[117:118], v[135:136], v[2:3]
	scratch_load_b128 v[115:118], off, off offset:400
	s_waitcnt lgkmcnt(0)
	v_fma_f64 v[2:3], v[119:120], v[137:138], v[2:3]
	s_waitcnt vmcnt(4)
	v_fma_f64 v[2:3], v[121:122], v[139:140], v[2:3]
	ds_load_2addr_b64 v[119:122], v1 offset0:97 offset1:98
	ds_load_2addr_b64 v[133:136], v1 offset0:99 offset1:100
	scratch_load_b64 v[137:138], off, off offset:416
	s_waitcnt lgkmcnt(1)
	v_fma_f64 v[2:3], v[123:124], v[119:120], v[2:3]
	s_waitcnt vmcnt(4)
	s_delay_alu instid0(VALU_DEP_1)
	v_fma_f64 v[2:3], v[125:126], v[121:122], v[2:3]
	ds_load_2addr_b64 v[119:122], v1 offset0:101 offset1:102
	ds_load_2addr_b64 v[123:126], v1 offset0:103 offset1:104
	s_waitcnt lgkmcnt(2)
	v_fma_f64 v[2:3], v[127:128], v[133:134], v[2:3]
	s_waitcnt vmcnt(3)
	s_delay_alu instid0(VALU_DEP_1) | instskip(SKIP_1) | instid1(VALU_DEP_1)
	v_fma_f64 v[2:3], v[129:130], v[135:136], v[2:3]
	s_waitcnt lgkmcnt(1)
	v_fma_f64 v[2:3], v[131:132], v[119:120], v[2:3]
	s_waitcnt vmcnt(2)
	s_delay_alu instid0(VALU_DEP_1) | instskip(SKIP_1) | instid1(VALU_DEP_1)
	v_fma_f64 v[2:3], v[141:142], v[121:122], v[2:3]
	s_waitcnt lgkmcnt(0)
	v_fma_f64 v[2:3], v[143:144], v[123:124], v[2:3]
	s_waitcnt vmcnt(1)
	s_delay_alu instid0(VALU_DEP_1) | instskip(SKIP_4) | instid1(VALU_DEP_1)
	v_fma_f64 v[115:116], v[115:116], v[125:126], v[2:3]
	ds_load_2addr_b64 v[1:4], v1 offset0:105 offset1:106
	s_waitcnt lgkmcnt(0)
	v_fma_f64 v[1:2], v[117:118], v[1:2], v[115:116]
	s_waitcnt vmcnt(0)
	v_fma_f64 v[1:2], v[137:138], v[3:4], v[1:2]
	s_delay_alu instid0(VALU_DEP_1)
	v_add_f64 v[1:2], v[113:114], -v[1:2]
	scratch_store_b64 off, v[1:2], off offset:304
	v_cmpx_lt_u32_e32 37, v0
	s_cbranch_execz .LBB116_253
; %bb.252:
	scratch_load_b64 v[1:2], off, off offset:296
	v_mov_b32_e32 v3, 0
	s_delay_alu instid0(VALU_DEP_1)
	v_mov_b32_e32 v4, v3
	scratch_store_b64 off, v[3:4], off offset:296
	s_waitcnt vmcnt(0)
	ds_store_b64 v5, v[1:2]
.LBB116_253:
	s_or_b32 exec_lo, exec_lo, s0
	s_waitcnt lgkmcnt(0)
	s_waitcnt_vscnt null, 0x0
	s_barrier
	buffer_gl0_inv
	s_clause 0x4
	scratch_load_b128 v[113:116], off, off offset:296
	scratch_load_b128 v[117:120], off, off offset:312
	;; [unrolled: 1-line block ×5, first 2 shown]
	v_mov_b32_e32 v1, 0
	ds_load_b128 v[133:136], v1 offset:736
	ds_load_b128 v[137:140], v1 offset:752
	scratch_load_b128 v[141:144], off, off offset:376
	s_mov_b32 s0, exec_lo
	s_waitcnt vmcnt(5) lgkmcnt(1)
	v_fma_f64 v[2:3], v[115:116], v[133:134], 0
	s_waitcnt vmcnt(4)
	s_delay_alu instid0(VALU_DEP_1) | instskip(SKIP_4) | instid1(VALU_DEP_1)
	v_fma_f64 v[2:3], v[117:118], v[135:136], v[2:3]
	scratch_load_b128 v[115:118], off, off offset:392
	s_waitcnt lgkmcnt(0)
	v_fma_f64 v[2:3], v[119:120], v[137:138], v[2:3]
	s_waitcnt vmcnt(4)
	v_fma_f64 v[2:3], v[121:122], v[139:140], v[2:3]
	ds_load_b128 v[119:122], v1 offset:768
	ds_load_b128 v[133:136], v1 offset:784
	scratch_load_b128 v[137:140], off, off offset:408
	s_waitcnt lgkmcnt(1)
	v_fma_f64 v[2:3], v[123:124], v[119:120], v[2:3]
	s_waitcnt vmcnt(4)
	s_delay_alu instid0(VALU_DEP_1)
	v_fma_f64 v[2:3], v[125:126], v[121:122], v[2:3]
	ds_load_b128 v[119:122], v1 offset:800
	ds_load_b128 v[123:126], v1 offset:816
	s_waitcnt lgkmcnt(2)
	v_fma_f64 v[2:3], v[127:128], v[133:134], v[2:3]
	s_waitcnt vmcnt(3)
	s_delay_alu instid0(VALU_DEP_1) | instskip(SKIP_1) | instid1(VALU_DEP_1)
	v_fma_f64 v[2:3], v[129:130], v[135:136], v[2:3]
	s_waitcnt lgkmcnt(1)
	v_fma_f64 v[2:3], v[131:132], v[119:120], v[2:3]
	s_waitcnt vmcnt(2)
	s_delay_alu instid0(VALU_DEP_1) | instskip(SKIP_1) | instid1(VALU_DEP_1)
	v_fma_f64 v[2:3], v[141:142], v[121:122], v[2:3]
	s_waitcnt lgkmcnt(0)
	v_fma_f64 v[2:3], v[143:144], v[123:124], v[2:3]
	s_waitcnt vmcnt(1)
	s_delay_alu instid0(VALU_DEP_1)
	v_fma_f64 v[2:3], v[115:116], v[125:126], v[2:3]
	ds_load_b128 v[119:122], v1 offset:832
	ds_load_b64 v[115:116], v1 offset:848
	s_waitcnt lgkmcnt(1)
	v_fma_f64 v[2:3], v[117:118], v[119:120], v[2:3]
	s_waitcnt vmcnt(0)
	s_delay_alu instid0(VALU_DEP_1) | instskip(SKIP_1) | instid1(VALU_DEP_1)
	v_fma_f64 v[2:3], v[137:138], v[121:122], v[2:3]
	s_waitcnt lgkmcnt(0)
	v_fma_f64 v[2:3], v[139:140], v[115:116], v[2:3]
	s_delay_alu instid0(VALU_DEP_1)
	v_add_f64 v[2:3], v[113:114], -v[2:3]
	scratch_store_b64 off, v[2:3], off offset:296
	v_cmpx_lt_u32_e32 36, v0
	s_cbranch_execz .LBB116_255
; %bb.254:
	scratch_load_b64 v[3:4], off, off offset:288
	v_mov_b32_e32 v2, v1
	scratch_store_b64 off, v[1:2], off offset:288
	s_waitcnt vmcnt(0)
	ds_store_b64 v5, v[3:4]
.LBB116_255:
	s_or_b32 exec_lo, exec_lo, s0
	s_waitcnt lgkmcnt(0)
	s_waitcnt_vscnt null, 0x0
	s_barrier
	buffer_gl0_inv
	s_clause 0x4
	scratch_load_b128 v[113:116], off, off offset:288
	scratch_load_b128 v[117:120], off, off offset:304
	;; [unrolled: 1-line block ×5, first 2 shown]
	ds_load_2addr_b64 v[133:136], v1 offset0:91 offset1:92
	ds_load_2addr_b64 v[137:140], v1 offset0:93 offset1:94
	scratch_load_b128 v[141:144], off, off offset:368
	s_mov_b32 s0, exec_lo
	s_waitcnt vmcnt(5) lgkmcnt(1)
	v_fma_f64 v[2:3], v[115:116], v[133:134], 0
	s_waitcnt vmcnt(4)
	s_delay_alu instid0(VALU_DEP_1) | instskip(SKIP_4) | instid1(VALU_DEP_1)
	v_fma_f64 v[2:3], v[117:118], v[135:136], v[2:3]
	scratch_load_b128 v[115:118], off, off offset:384
	s_waitcnt lgkmcnt(0)
	v_fma_f64 v[2:3], v[119:120], v[137:138], v[2:3]
	s_waitcnt vmcnt(4)
	v_fma_f64 v[2:3], v[121:122], v[139:140], v[2:3]
	ds_load_2addr_b64 v[119:122], v1 offset0:95 offset1:96
	ds_load_2addr_b64 v[133:136], v1 offset0:97 offset1:98
	scratch_load_b128 v[137:140], off, off offset:400
	s_waitcnt lgkmcnt(1)
	v_fma_f64 v[2:3], v[123:124], v[119:120], v[2:3]
	s_waitcnt vmcnt(4)
	s_delay_alu instid0(VALU_DEP_1) | instskip(SKIP_1) | instid1(VALU_DEP_1)
	v_fma_f64 v[2:3], v[125:126], v[121:122], v[2:3]
	s_waitcnt lgkmcnt(0)
	v_fma_f64 v[2:3], v[127:128], v[133:134], v[2:3]
	scratch_load_b64 v[127:128], off, off offset:416
	ds_load_2addr_b64 v[119:122], v1 offset0:99 offset1:100
	ds_load_2addr_b64 v[123:126], v1 offset0:101 offset1:102
	s_waitcnt vmcnt(4)
	v_fma_f64 v[2:3], v[129:130], v[135:136], v[2:3]
	s_waitcnt lgkmcnt(1)
	s_delay_alu instid0(VALU_DEP_1) | instskip(SKIP_1) | instid1(VALU_DEP_1)
	v_fma_f64 v[2:3], v[131:132], v[119:120], v[2:3]
	s_waitcnt vmcnt(3)
	v_fma_f64 v[2:3], v[141:142], v[121:122], v[2:3]
	s_waitcnt lgkmcnt(0)
	s_delay_alu instid0(VALU_DEP_1) | instskip(SKIP_1) | instid1(VALU_DEP_1)
	v_fma_f64 v[2:3], v[143:144], v[123:124], v[2:3]
	s_waitcnt vmcnt(2)
	v_fma_f64 v[115:116], v[115:116], v[125:126], v[2:3]
	ds_load_2addr_b64 v[119:122], v1 offset0:103 offset1:104
	ds_load_2addr_b64 v[1:4], v1 offset0:105 offset1:106
	s_waitcnt lgkmcnt(1)
	v_fma_f64 v[115:116], v[117:118], v[119:120], v[115:116]
	s_waitcnt vmcnt(1)
	s_delay_alu instid0(VALU_DEP_1) | instskip(SKIP_1) | instid1(VALU_DEP_1)
	v_fma_f64 v[115:116], v[137:138], v[121:122], v[115:116]
	s_waitcnt lgkmcnt(0)
	v_fma_f64 v[1:2], v[139:140], v[1:2], v[115:116]
	s_waitcnt vmcnt(0)
	s_delay_alu instid0(VALU_DEP_1) | instskip(NEXT) | instid1(VALU_DEP_1)
	v_fma_f64 v[1:2], v[127:128], v[3:4], v[1:2]
	v_add_f64 v[1:2], v[113:114], -v[1:2]
	scratch_store_b64 off, v[1:2], off offset:288
	v_cmpx_lt_u32_e32 35, v0
	s_cbranch_execz .LBB116_257
; %bb.256:
	scratch_load_b64 v[1:2], off, off offset:280
	v_mov_b32_e32 v3, 0
	s_delay_alu instid0(VALU_DEP_1)
	v_mov_b32_e32 v4, v3
	scratch_store_b64 off, v[3:4], off offset:280
	s_waitcnt vmcnt(0)
	ds_store_b64 v5, v[1:2]
.LBB116_257:
	s_or_b32 exec_lo, exec_lo, s0
	s_waitcnt lgkmcnt(0)
	s_waitcnt_vscnt null, 0x0
	s_barrier
	buffer_gl0_inv
	s_clause 0x4
	scratch_load_b128 v[113:116], off, off offset:280
	scratch_load_b128 v[117:120], off, off offset:296
	;; [unrolled: 1-line block ×5, first 2 shown]
	v_mov_b32_e32 v1, 0
	ds_load_b128 v[133:136], v1 offset:720
	ds_load_b128 v[137:140], v1 offset:736
	scratch_load_b128 v[141:144], off, off offset:360
	s_mov_b32 s0, exec_lo
	s_waitcnt vmcnt(5) lgkmcnt(1)
	v_fma_f64 v[2:3], v[115:116], v[133:134], 0
	s_waitcnt vmcnt(4)
	s_delay_alu instid0(VALU_DEP_1) | instskip(SKIP_4) | instid1(VALU_DEP_1)
	v_fma_f64 v[2:3], v[117:118], v[135:136], v[2:3]
	scratch_load_b128 v[115:118], off, off offset:376
	s_waitcnt lgkmcnt(0)
	v_fma_f64 v[2:3], v[119:120], v[137:138], v[2:3]
	s_waitcnt vmcnt(4)
	v_fma_f64 v[2:3], v[121:122], v[139:140], v[2:3]
	ds_load_b128 v[119:122], v1 offset:752
	ds_load_b128 v[133:136], v1 offset:768
	scratch_load_b128 v[137:140], off, off offset:392
	s_waitcnt lgkmcnt(1)
	v_fma_f64 v[2:3], v[123:124], v[119:120], v[2:3]
	s_waitcnt vmcnt(4)
	s_delay_alu instid0(VALU_DEP_1) | instskip(SKIP_4) | instid1(VALU_DEP_1)
	v_fma_f64 v[2:3], v[125:126], v[121:122], v[2:3]
	scratch_load_b128 v[119:122], off, off offset:408
	s_waitcnt lgkmcnt(0)
	v_fma_f64 v[2:3], v[127:128], v[133:134], v[2:3]
	s_waitcnt vmcnt(4)
	v_fma_f64 v[2:3], v[129:130], v[135:136], v[2:3]
	ds_load_b128 v[123:126], v1 offset:784
	ds_load_b128 v[127:130], v1 offset:800
	s_waitcnt lgkmcnt(1)
	v_fma_f64 v[2:3], v[131:132], v[123:124], v[2:3]
	s_waitcnt vmcnt(3)
	s_delay_alu instid0(VALU_DEP_1) | instskip(SKIP_1) | instid1(VALU_DEP_1)
	v_fma_f64 v[2:3], v[141:142], v[125:126], v[2:3]
	s_waitcnt lgkmcnt(0)
	v_fma_f64 v[2:3], v[143:144], v[127:128], v[2:3]
	s_waitcnt vmcnt(2)
	s_delay_alu instid0(VALU_DEP_1)
	v_fma_f64 v[2:3], v[115:116], v[129:130], v[2:3]
	ds_load_b128 v[123:126], v1 offset:816
	ds_load_b128 v[127:130], v1 offset:832
	ds_load_b64 v[115:116], v1 offset:848
	s_waitcnt lgkmcnt(2)
	v_fma_f64 v[2:3], v[117:118], v[123:124], v[2:3]
	s_waitcnt vmcnt(1)
	s_delay_alu instid0(VALU_DEP_1) | instskip(SKIP_1) | instid1(VALU_DEP_1)
	v_fma_f64 v[2:3], v[137:138], v[125:126], v[2:3]
	s_waitcnt lgkmcnt(1)
	v_fma_f64 v[2:3], v[139:140], v[127:128], v[2:3]
	s_waitcnt vmcnt(0)
	s_delay_alu instid0(VALU_DEP_1) | instskip(SKIP_1) | instid1(VALU_DEP_1)
	v_fma_f64 v[2:3], v[119:120], v[129:130], v[2:3]
	s_waitcnt lgkmcnt(0)
	v_fma_f64 v[2:3], v[121:122], v[115:116], v[2:3]
	s_delay_alu instid0(VALU_DEP_1)
	v_add_f64 v[2:3], v[113:114], -v[2:3]
	scratch_store_b64 off, v[2:3], off offset:280
	v_cmpx_lt_u32_e32 34, v0
	s_cbranch_execz .LBB116_259
; %bb.258:
	scratch_load_b64 v[3:4], off, off offset:272
	v_mov_b32_e32 v2, v1
	scratch_store_b64 off, v[1:2], off offset:272
	s_waitcnt vmcnt(0)
	ds_store_b64 v5, v[3:4]
.LBB116_259:
	s_or_b32 exec_lo, exec_lo, s0
	s_waitcnt lgkmcnt(0)
	s_waitcnt_vscnt null, 0x0
	s_barrier
	buffer_gl0_inv
	s_clause 0x4
	scratch_load_b128 v[113:116], off, off offset:272
	scratch_load_b128 v[117:120], off, off offset:288
	scratch_load_b128 v[121:124], off, off offset:304
	scratch_load_b128 v[125:128], off, off offset:320
	scratch_load_b128 v[129:132], off, off offset:336
	ds_load_2addr_b64 v[133:136], v1 offset0:89 offset1:90
	ds_load_2addr_b64 v[137:140], v1 offset0:91 offset1:92
	scratch_load_b128 v[141:144], off, off offset:352
	s_mov_b32 s0, exec_lo
	s_waitcnt vmcnt(5) lgkmcnt(1)
	v_fma_f64 v[2:3], v[115:116], v[133:134], 0
	s_waitcnt vmcnt(4)
	s_delay_alu instid0(VALU_DEP_1) | instskip(SKIP_4) | instid1(VALU_DEP_1)
	v_fma_f64 v[2:3], v[117:118], v[135:136], v[2:3]
	scratch_load_b128 v[115:118], off, off offset:368
	s_waitcnt lgkmcnt(0)
	v_fma_f64 v[2:3], v[119:120], v[137:138], v[2:3]
	s_waitcnt vmcnt(4)
	v_fma_f64 v[2:3], v[121:122], v[139:140], v[2:3]
	ds_load_2addr_b64 v[119:122], v1 offset0:93 offset1:94
	ds_load_2addr_b64 v[133:136], v1 offset0:95 offset1:96
	scratch_load_b128 v[137:140], off, off offset:384
	s_waitcnt lgkmcnt(1)
	v_fma_f64 v[2:3], v[123:124], v[119:120], v[2:3]
	s_waitcnt vmcnt(4)
	s_delay_alu instid0(VALU_DEP_1) | instskip(SKIP_4) | instid1(VALU_DEP_1)
	v_fma_f64 v[2:3], v[125:126], v[121:122], v[2:3]
	scratch_load_b128 v[119:122], off, off offset:400
	s_waitcnt lgkmcnt(0)
	v_fma_f64 v[2:3], v[127:128], v[133:134], v[2:3]
	s_waitcnt vmcnt(4)
	v_fma_f64 v[2:3], v[129:130], v[135:136], v[2:3]
	ds_load_2addr_b64 v[123:126], v1 offset0:97 offset1:98
	ds_load_2addr_b64 v[127:130], v1 offset0:99 offset1:100
	s_waitcnt lgkmcnt(1)
	v_fma_f64 v[2:3], v[131:132], v[123:124], v[2:3]
	scratch_load_b64 v[131:132], off, off offset:416
	s_waitcnt vmcnt(4)
	v_fma_f64 v[2:3], v[141:142], v[125:126], v[2:3]
	s_waitcnt lgkmcnt(0)
	s_delay_alu instid0(VALU_DEP_1) | instskip(SKIP_1) | instid1(VALU_DEP_1)
	v_fma_f64 v[2:3], v[143:144], v[127:128], v[2:3]
	s_waitcnt vmcnt(3)
	v_fma_f64 v[2:3], v[115:116], v[129:130], v[2:3]
	ds_load_2addr_b64 v[123:126], v1 offset0:101 offset1:102
	ds_load_2addr_b64 v[127:130], v1 offset0:103 offset1:104
	s_waitcnt lgkmcnt(1)
	v_fma_f64 v[2:3], v[117:118], v[123:124], v[2:3]
	s_waitcnt vmcnt(2)
	s_delay_alu instid0(VALU_DEP_1) | instskip(SKIP_1) | instid1(VALU_DEP_1)
	v_fma_f64 v[2:3], v[137:138], v[125:126], v[2:3]
	s_waitcnt lgkmcnt(0)
	v_fma_f64 v[2:3], v[139:140], v[127:128], v[2:3]
	s_waitcnt vmcnt(1)
	s_delay_alu instid0(VALU_DEP_1) | instskip(SKIP_4) | instid1(VALU_DEP_1)
	v_fma_f64 v[115:116], v[119:120], v[129:130], v[2:3]
	ds_load_2addr_b64 v[1:4], v1 offset0:105 offset1:106
	s_waitcnt lgkmcnt(0)
	v_fma_f64 v[1:2], v[121:122], v[1:2], v[115:116]
	s_waitcnt vmcnt(0)
	v_fma_f64 v[1:2], v[131:132], v[3:4], v[1:2]
	s_delay_alu instid0(VALU_DEP_1)
	v_add_f64 v[1:2], v[113:114], -v[1:2]
	scratch_store_b64 off, v[1:2], off offset:272
	v_cmpx_lt_u32_e32 33, v0
	s_cbranch_execz .LBB116_261
; %bb.260:
	scratch_load_b64 v[1:2], off, off offset:264
	v_mov_b32_e32 v3, 0
	s_delay_alu instid0(VALU_DEP_1)
	v_mov_b32_e32 v4, v3
	scratch_store_b64 off, v[3:4], off offset:264
	s_waitcnt vmcnt(0)
	ds_store_b64 v5, v[1:2]
.LBB116_261:
	s_or_b32 exec_lo, exec_lo, s0
	s_waitcnt lgkmcnt(0)
	s_waitcnt_vscnt null, 0x0
	s_barrier
	buffer_gl0_inv
	s_clause 0x4
	scratch_load_b128 v[113:116], off, off offset:264
	scratch_load_b128 v[117:120], off, off offset:280
	;; [unrolled: 1-line block ×5, first 2 shown]
	v_mov_b32_e32 v1, 0
	ds_load_b128 v[133:136], v1 offset:704
	ds_load_b128 v[137:140], v1 offset:720
	scratch_load_b128 v[141:144], off, off offset:344
	s_mov_b32 s0, exec_lo
	s_waitcnt vmcnt(5) lgkmcnt(1)
	v_fma_f64 v[2:3], v[115:116], v[133:134], 0
	s_waitcnt vmcnt(4)
	s_delay_alu instid0(VALU_DEP_1) | instskip(SKIP_4) | instid1(VALU_DEP_1)
	v_fma_f64 v[2:3], v[117:118], v[135:136], v[2:3]
	scratch_load_b128 v[115:118], off, off offset:360
	s_waitcnt lgkmcnt(0)
	v_fma_f64 v[2:3], v[119:120], v[137:138], v[2:3]
	s_waitcnt vmcnt(4)
	v_fma_f64 v[2:3], v[121:122], v[139:140], v[2:3]
	ds_load_b128 v[119:122], v1 offset:736
	ds_load_b128 v[133:136], v1 offset:752
	scratch_load_b128 v[137:140], off, off offset:376
	s_waitcnt lgkmcnt(1)
	v_fma_f64 v[2:3], v[123:124], v[119:120], v[2:3]
	s_waitcnt vmcnt(4)
	s_delay_alu instid0(VALU_DEP_1) | instskip(SKIP_4) | instid1(VALU_DEP_1)
	v_fma_f64 v[2:3], v[125:126], v[121:122], v[2:3]
	scratch_load_b128 v[119:122], off, off offset:392
	s_waitcnt lgkmcnt(0)
	v_fma_f64 v[2:3], v[127:128], v[133:134], v[2:3]
	s_waitcnt vmcnt(4)
	v_fma_f64 v[2:3], v[129:130], v[135:136], v[2:3]
	ds_load_b128 v[123:126], v1 offset:768
	ds_load_b128 v[127:130], v1 offset:784
	s_waitcnt lgkmcnt(1)
	v_fma_f64 v[2:3], v[131:132], v[123:124], v[2:3]
	scratch_load_b128 v[131:134], off, off offset:408
	s_waitcnt vmcnt(4)
	v_fma_f64 v[2:3], v[141:142], v[125:126], v[2:3]
	s_waitcnt lgkmcnt(0)
	s_delay_alu instid0(VALU_DEP_1) | instskip(SKIP_1) | instid1(VALU_DEP_1)
	v_fma_f64 v[2:3], v[143:144], v[127:128], v[2:3]
	s_waitcnt vmcnt(3)
	v_fma_f64 v[2:3], v[115:116], v[129:130], v[2:3]
	ds_load_b128 v[123:126], v1 offset:800
	ds_load_b128 v[127:130], v1 offset:816
	s_waitcnt lgkmcnt(1)
	v_fma_f64 v[2:3], v[117:118], v[123:124], v[2:3]
	s_waitcnt vmcnt(2)
	s_delay_alu instid0(VALU_DEP_1) | instskip(SKIP_1) | instid1(VALU_DEP_1)
	v_fma_f64 v[2:3], v[137:138], v[125:126], v[2:3]
	s_waitcnt lgkmcnt(0)
	v_fma_f64 v[2:3], v[139:140], v[127:128], v[2:3]
	s_waitcnt vmcnt(1)
	s_delay_alu instid0(VALU_DEP_1)
	v_fma_f64 v[2:3], v[119:120], v[129:130], v[2:3]
	ds_load_b128 v[115:118], v1 offset:832
	ds_load_b64 v[119:120], v1 offset:848
	s_waitcnt lgkmcnt(1)
	v_fma_f64 v[2:3], v[121:122], v[115:116], v[2:3]
	s_waitcnt vmcnt(0)
	s_delay_alu instid0(VALU_DEP_1) | instskip(SKIP_1) | instid1(VALU_DEP_1)
	v_fma_f64 v[2:3], v[131:132], v[117:118], v[2:3]
	s_waitcnt lgkmcnt(0)
	v_fma_f64 v[2:3], v[133:134], v[119:120], v[2:3]
	s_delay_alu instid0(VALU_DEP_1)
	v_add_f64 v[2:3], v[113:114], -v[2:3]
	scratch_store_b64 off, v[2:3], off offset:264
	v_cmpx_lt_u32_e32 32, v0
	s_cbranch_execz .LBB116_263
; %bb.262:
	scratch_load_b64 v[3:4], off, off offset:256
	v_mov_b32_e32 v2, v1
	scratch_store_b64 off, v[1:2], off offset:256
	s_waitcnt vmcnt(0)
	ds_store_b64 v5, v[3:4]
.LBB116_263:
	s_or_b32 exec_lo, exec_lo, s0
	s_waitcnt lgkmcnt(0)
	s_waitcnt_vscnt null, 0x0
	s_barrier
	buffer_gl0_inv
	s_clause 0x4
	scratch_load_b128 v[113:116], off, off offset:256
	scratch_load_b128 v[117:120], off, off offset:272
	;; [unrolled: 1-line block ×5, first 2 shown]
	ds_load_2addr_b64 v[133:136], v1 offset0:87 offset1:88
	ds_load_2addr_b64 v[137:140], v1 offset0:89 offset1:90
	scratch_load_b128 v[141:144], off, off offset:336
	s_mov_b32 s0, exec_lo
	s_waitcnt vmcnt(5) lgkmcnt(1)
	v_fma_f64 v[2:3], v[115:116], v[133:134], 0
	s_waitcnt vmcnt(4)
	s_delay_alu instid0(VALU_DEP_1) | instskip(SKIP_4) | instid1(VALU_DEP_1)
	v_fma_f64 v[2:3], v[117:118], v[135:136], v[2:3]
	scratch_load_b128 v[115:118], off, off offset:352
	s_waitcnt lgkmcnt(0)
	v_fma_f64 v[2:3], v[119:120], v[137:138], v[2:3]
	s_waitcnt vmcnt(4)
	v_fma_f64 v[2:3], v[121:122], v[139:140], v[2:3]
	ds_load_2addr_b64 v[119:122], v1 offset0:91 offset1:92
	ds_load_2addr_b64 v[133:136], v1 offset0:93 offset1:94
	scratch_load_b128 v[137:140], off, off offset:368
	s_waitcnt lgkmcnt(1)
	v_fma_f64 v[2:3], v[123:124], v[119:120], v[2:3]
	s_waitcnt vmcnt(4)
	s_delay_alu instid0(VALU_DEP_1) | instskip(SKIP_4) | instid1(VALU_DEP_1)
	v_fma_f64 v[2:3], v[125:126], v[121:122], v[2:3]
	scratch_load_b128 v[119:122], off, off offset:384
	s_waitcnt lgkmcnt(0)
	v_fma_f64 v[2:3], v[127:128], v[133:134], v[2:3]
	s_waitcnt vmcnt(4)
	v_fma_f64 v[2:3], v[129:130], v[135:136], v[2:3]
	ds_load_2addr_b64 v[123:126], v1 offset0:95 offset1:96
	ds_load_2addr_b64 v[127:130], v1 offset0:97 offset1:98
	scratch_load_b64 v[135:136], off, off offset:416
	s_waitcnt lgkmcnt(1)
	v_fma_f64 v[2:3], v[131:132], v[123:124], v[2:3]
	scratch_load_b128 v[131:134], off, off offset:400
	s_waitcnt vmcnt(5)
	v_fma_f64 v[2:3], v[141:142], v[125:126], v[2:3]
	s_waitcnt lgkmcnt(0)
	s_delay_alu instid0(VALU_DEP_1) | instskip(SKIP_1) | instid1(VALU_DEP_1)
	v_fma_f64 v[2:3], v[143:144], v[127:128], v[2:3]
	s_waitcnt vmcnt(4)
	v_fma_f64 v[2:3], v[115:116], v[129:130], v[2:3]
	ds_load_2addr_b64 v[123:126], v1 offset0:99 offset1:100
	ds_load_2addr_b64 v[127:130], v1 offset0:101 offset1:102
	s_waitcnt lgkmcnt(1)
	v_fma_f64 v[2:3], v[117:118], v[123:124], v[2:3]
	s_waitcnt vmcnt(3)
	s_delay_alu instid0(VALU_DEP_1) | instskip(SKIP_1) | instid1(VALU_DEP_1)
	v_fma_f64 v[2:3], v[137:138], v[125:126], v[2:3]
	s_waitcnt lgkmcnt(0)
	v_fma_f64 v[2:3], v[139:140], v[127:128], v[2:3]
	s_waitcnt vmcnt(2)
	s_delay_alu instid0(VALU_DEP_1)
	v_fma_f64 v[119:120], v[119:120], v[129:130], v[2:3]
	ds_load_2addr_b64 v[115:118], v1 offset0:103 offset1:104
	ds_load_2addr_b64 v[1:4], v1 offset0:105 offset1:106
	s_waitcnt lgkmcnt(1)
	v_fma_f64 v[115:116], v[121:122], v[115:116], v[119:120]
	s_waitcnt vmcnt(0)
	s_delay_alu instid0(VALU_DEP_1) | instskip(SKIP_1) | instid1(VALU_DEP_1)
	v_fma_f64 v[115:116], v[131:132], v[117:118], v[115:116]
	s_waitcnt lgkmcnt(0)
	v_fma_f64 v[1:2], v[133:134], v[1:2], v[115:116]
	s_delay_alu instid0(VALU_DEP_1) | instskip(NEXT) | instid1(VALU_DEP_1)
	v_fma_f64 v[1:2], v[135:136], v[3:4], v[1:2]
	v_add_f64 v[1:2], v[113:114], -v[1:2]
	scratch_store_b64 off, v[1:2], off offset:256
	v_cmpx_lt_u32_e32 31, v0
	s_cbranch_execz .LBB116_265
; %bb.264:
	scratch_load_b64 v[1:2], off, off offset:248
	v_mov_b32_e32 v3, 0
	s_delay_alu instid0(VALU_DEP_1)
	v_mov_b32_e32 v4, v3
	scratch_store_b64 off, v[3:4], off offset:248
	s_waitcnt vmcnt(0)
	ds_store_b64 v5, v[1:2]
.LBB116_265:
	s_or_b32 exec_lo, exec_lo, s0
	s_waitcnt lgkmcnt(0)
	s_waitcnt_vscnt null, 0x0
	s_barrier
	buffer_gl0_inv
	s_clause 0x4
	scratch_load_b128 v[113:116], off, off offset:248
	scratch_load_b128 v[117:120], off, off offset:264
	;; [unrolled: 1-line block ×5, first 2 shown]
	v_mov_b32_e32 v1, 0
	ds_load_b128 v[133:136], v1 offset:688
	ds_load_b128 v[137:140], v1 offset:704
	scratch_load_b128 v[141:144], off, off offset:328
	s_mov_b32 s0, exec_lo
	s_waitcnt vmcnt(5) lgkmcnt(1)
	v_fma_f64 v[2:3], v[115:116], v[133:134], 0
	s_waitcnt vmcnt(4)
	s_delay_alu instid0(VALU_DEP_1) | instskip(SKIP_4) | instid1(VALU_DEP_1)
	v_fma_f64 v[2:3], v[117:118], v[135:136], v[2:3]
	scratch_load_b128 v[115:118], off, off offset:344
	s_waitcnt lgkmcnt(0)
	v_fma_f64 v[2:3], v[119:120], v[137:138], v[2:3]
	s_waitcnt vmcnt(4)
	v_fma_f64 v[2:3], v[121:122], v[139:140], v[2:3]
	ds_load_b128 v[119:122], v1 offset:720
	ds_load_b128 v[133:136], v1 offset:736
	scratch_load_b128 v[137:140], off, off offset:360
	s_waitcnt lgkmcnt(1)
	v_fma_f64 v[2:3], v[123:124], v[119:120], v[2:3]
	s_waitcnt vmcnt(4)
	s_delay_alu instid0(VALU_DEP_1) | instskip(SKIP_4) | instid1(VALU_DEP_1)
	v_fma_f64 v[2:3], v[125:126], v[121:122], v[2:3]
	scratch_load_b128 v[119:122], off, off offset:376
	s_waitcnt lgkmcnt(0)
	v_fma_f64 v[2:3], v[127:128], v[133:134], v[2:3]
	s_waitcnt vmcnt(4)
	v_fma_f64 v[2:3], v[129:130], v[135:136], v[2:3]
	ds_load_b128 v[123:126], v1 offset:752
	ds_load_b128 v[127:130], v1 offset:768
	s_waitcnt lgkmcnt(1)
	v_fma_f64 v[2:3], v[131:132], v[123:124], v[2:3]
	scratch_load_b128 v[131:134], off, off offset:392
	s_waitcnt vmcnt(4)
	v_fma_f64 v[2:3], v[141:142], v[125:126], v[2:3]
	scratch_load_b128 v[123:126], off, off offset:408
	s_waitcnt lgkmcnt(0)
	v_fma_f64 v[2:3], v[143:144], v[127:128], v[2:3]
	s_waitcnt vmcnt(4)
	s_delay_alu instid0(VALU_DEP_1)
	v_fma_f64 v[2:3], v[115:116], v[129:130], v[2:3]
	ds_load_b128 v[127:130], v1 offset:784
	ds_load_b128 v[141:144], v1 offset:800
	s_waitcnt lgkmcnt(1)
	v_fma_f64 v[2:3], v[117:118], v[127:128], v[2:3]
	s_waitcnt vmcnt(3)
	s_delay_alu instid0(VALU_DEP_1)
	v_fma_f64 v[2:3], v[137:138], v[129:130], v[2:3]
	ds_load_b128 v[115:118], v1 offset:816
	ds_load_b128 v[127:130], v1 offset:832
	s_waitcnt lgkmcnt(2)
	v_fma_f64 v[2:3], v[139:140], v[141:142], v[2:3]
	s_waitcnt vmcnt(2)
	s_delay_alu instid0(VALU_DEP_1) | instskip(SKIP_1) | instid1(VALU_DEP_1)
	v_fma_f64 v[2:3], v[119:120], v[143:144], v[2:3]
	s_waitcnt lgkmcnt(1)
	v_fma_f64 v[2:3], v[121:122], v[115:116], v[2:3]
	ds_load_b64 v[115:116], v1 offset:848
	s_waitcnt vmcnt(1)
	v_fma_f64 v[2:3], v[131:132], v[117:118], v[2:3]
	s_waitcnt lgkmcnt(1)
	s_delay_alu instid0(VALU_DEP_1) | instskip(SKIP_1) | instid1(VALU_DEP_1)
	v_fma_f64 v[2:3], v[133:134], v[127:128], v[2:3]
	s_waitcnt vmcnt(0)
	v_fma_f64 v[2:3], v[123:124], v[129:130], v[2:3]
	s_waitcnt lgkmcnt(0)
	s_delay_alu instid0(VALU_DEP_1) | instskip(NEXT) | instid1(VALU_DEP_1)
	v_fma_f64 v[2:3], v[125:126], v[115:116], v[2:3]
	v_add_f64 v[2:3], v[113:114], -v[2:3]
	scratch_store_b64 off, v[2:3], off offset:248
	v_cmpx_lt_u32_e32 30, v0
	s_cbranch_execz .LBB116_267
; %bb.266:
	scratch_load_b64 v[3:4], off, off offset:240
	v_mov_b32_e32 v2, v1
	scratch_store_b64 off, v[1:2], off offset:240
	s_waitcnt vmcnt(0)
	ds_store_b64 v5, v[3:4]
.LBB116_267:
	s_or_b32 exec_lo, exec_lo, s0
	s_waitcnt lgkmcnt(0)
	s_waitcnt_vscnt null, 0x0
	s_barrier
	buffer_gl0_inv
	s_clause 0x4
	scratch_load_b128 v[113:116], off, off offset:240
	scratch_load_b128 v[117:120], off, off offset:256
	;; [unrolled: 1-line block ×5, first 2 shown]
	ds_load_2addr_b64 v[133:136], v1 offset0:85 offset1:86
	ds_load_2addr_b64 v[137:140], v1 offset0:87 offset1:88
	scratch_load_b128 v[141:144], off, off offset:320
	s_mov_b32 s0, exec_lo
	s_waitcnt vmcnt(5) lgkmcnt(1)
	v_fma_f64 v[2:3], v[115:116], v[133:134], 0
	s_waitcnt vmcnt(4)
	s_delay_alu instid0(VALU_DEP_1) | instskip(SKIP_4) | instid1(VALU_DEP_1)
	v_fma_f64 v[2:3], v[117:118], v[135:136], v[2:3]
	scratch_load_b128 v[115:118], off, off offset:336
	s_waitcnt lgkmcnt(0)
	v_fma_f64 v[2:3], v[119:120], v[137:138], v[2:3]
	s_waitcnt vmcnt(4)
	v_fma_f64 v[2:3], v[121:122], v[139:140], v[2:3]
	ds_load_2addr_b64 v[119:122], v1 offset0:89 offset1:90
	ds_load_2addr_b64 v[133:136], v1 offset0:91 offset1:92
	scratch_load_b128 v[137:140], off, off offset:352
	s_waitcnt lgkmcnt(1)
	v_fma_f64 v[2:3], v[123:124], v[119:120], v[2:3]
	s_waitcnt vmcnt(4)
	s_delay_alu instid0(VALU_DEP_1) | instskip(SKIP_4) | instid1(VALU_DEP_1)
	v_fma_f64 v[2:3], v[125:126], v[121:122], v[2:3]
	scratch_load_b128 v[119:122], off, off offset:368
	s_waitcnt lgkmcnt(0)
	v_fma_f64 v[2:3], v[127:128], v[133:134], v[2:3]
	s_waitcnt vmcnt(4)
	v_fma_f64 v[2:3], v[129:130], v[135:136], v[2:3]
	ds_load_2addr_b64 v[123:126], v1 offset0:93 offset1:94
	ds_load_2addr_b64 v[127:130], v1 offset0:95 offset1:96
	s_waitcnt lgkmcnt(1)
	v_fma_f64 v[2:3], v[131:132], v[123:124], v[2:3]
	scratch_load_b128 v[131:134], off, off offset:384
	s_waitcnt vmcnt(4)
	v_fma_f64 v[2:3], v[141:142], v[125:126], v[2:3]
	scratch_load_b128 v[123:126], off, off offset:400
	s_waitcnt lgkmcnt(0)
	v_fma_f64 v[2:3], v[143:144], v[127:128], v[2:3]
	s_waitcnt vmcnt(4)
	s_delay_alu instid0(VALU_DEP_1)
	v_fma_f64 v[2:3], v[115:116], v[129:130], v[2:3]
	ds_load_2addr_b64 v[127:130], v1 offset0:97 offset1:98
	ds_load_2addr_b64 v[141:144], v1 offset0:99 offset1:100
	scratch_load_b64 v[135:136], off, off offset:416
	s_waitcnt lgkmcnt(1)
	v_fma_f64 v[2:3], v[117:118], v[127:128], v[2:3]
	s_waitcnt vmcnt(4)
	s_delay_alu instid0(VALU_DEP_1)
	v_fma_f64 v[2:3], v[137:138], v[129:130], v[2:3]
	ds_load_2addr_b64 v[115:118], v1 offset0:101 offset1:102
	ds_load_2addr_b64 v[127:130], v1 offset0:103 offset1:104
	s_waitcnt lgkmcnt(2)
	v_fma_f64 v[2:3], v[139:140], v[141:142], v[2:3]
	s_waitcnt vmcnt(3)
	s_delay_alu instid0(VALU_DEP_1) | instskip(SKIP_1) | instid1(VALU_DEP_1)
	v_fma_f64 v[2:3], v[119:120], v[143:144], v[2:3]
	s_waitcnt lgkmcnt(1)
	v_fma_f64 v[2:3], v[121:122], v[115:116], v[2:3]
	s_waitcnt vmcnt(2)
	s_delay_alu instid0(VALU_DEP_1) | instskip(SKIP_1) | instid1(VALU_DEP_1)
	v_fma_f64 v[2:3], v[131:132], v[117:118], v[2:3]
	s_waitcnt lgkmcnt(0)
	v_fma_f64 v[2:3], v[133:134], v[127:128], v[2:3]
	s_waitcnt vmcnt(1)
	s_delay_alu instid0(VALU_DEP_1) | instskip(SKIP_4) | instid1(VALU_DEP_1)
	v_fma_f64 v[115:116], v[123:124], v[129:130], v[2:3]
	ds_load_2addr_b64 v[1:4], v1 offset0:105 offset1:106
	s_waitcnt lgkmcnt(0)
	v_fma_f64 v[1:2], v[125:126], v[1:2], v[115:116]
	s_waitcnt vmcnt(0)
	v_fma_f64 v[1:2], v[135:136], v[3:4], v[1:2]
	s_delay_alu instid0(VALU_DEP_1)
	v_add_f64 v[1:2], v[113:114], -v[1:2]
	scratch_store_b64 off, v[1:2], off offset:240
	v_cmpx_lt_u32_e32 29, v0
	s_cbranch_execz .LBB116_269
; %bb.268:
	scratch_load_b64 v[1:2], off, off offset:232
	v_mov_b32_e32 v3, 0
	s_delay_alu instid0(VALU_DEP_1)
	v_mov_b32_e32 v4, v3
	scratch_store_b64 off, v[3:4], off offset:232
	s_waitcnt vmcnt(0)
	ds_store_b64 v5, v[1:2]
.LBB116_269:
	s_or_b32 exec_lo, exec_lo, s0
	s_waitcnt lgkmcnt(0)
	s_waitcnt_vscnt null, 0x0
	s_barrier
	buffer_gl0_inv
	s_clause 0x4
	scratch_load_b128 v[113:116], off, off offset:232
	scratch_load_b128 v[117:120], off, off offset:248
	;; [unrolled: 1-line block ×5, first 2 shown]
	v_mov_b32_e32 v1, 0
	ds_load_b128 v[133:136], v1 offset:672
	ds_load_b128 v[137:140], v1 offset:688
	scratch_load_b128 v[141:144], off, off offset:312
	s_mov_b32 s0, exec_lo
	s_waitcnt vmcnt(5) lgkmcnt(1)
	v_fma_f64 v[2:3], v[115:116], v[133:134], 0
	s_waitcnt vmcnt(4)
	s_delay_alu instid0(VALU_DEP_1) | instskip(SKIP_4) | instid1(VALU_DEP_1)
	v_fma_f64 v[2:3], v[117:118], v[135:136], v[2:3]
	scratch_load_b128 v[115:118], off, off offset:328
	s_waitcnt lgkmcnt(0)
	v_fma_f64 v[2:3], v[119:120], v[137:138], v[2:3]
	s_waitcnt vmcnt(4)
	v_fma_f64 v[2:3], v[121:122], v[139:140], v[2:3]
	ds_load_b128 v[119:122], v1 offset:704
	ds_load_b128 v[133:136], v1 offset:720
	scratch_load_b128 v[137:140], off, off offset:344
	s_waitcnt lgkmcnt(1)
	v_fma_f64 v[2:3], v[123:124], v[119:120], v[2:3]
	s_waitcnt vmcnt(4)
	s_delay_alu instid0(VALU_DEP_1) | instskip(SKIP_4) | instid1(VALU_DEP_1)
	v_fma_f64 v[2:3], v[125:126], v[121:122], v[2:3]
	scratch_load_b128 v[119:122], off, off offset:360
	s_waitcnt lgkmcnt(0)
	v_fma_f64 v[2:3], v[127:128], v[133:134], v[2:3]
	s_waitcnt vmcnt(4)
	v_fma_f64 v[2:3], v[129:130], v[135:136], v[2:3]
	ds_load_b128 v[123:126], v1 offset:736
	ds_load_b128 v[127:130], v1 offset:752
	s_waitcnt lgkmcnt(1)
	v_fma_f64 v[2:3], v[131:132], v[123:124], v[2:3]
	scratch_load_b128 v[131:134], off, off offset:376
	s_waitcnt vmcnt(4)
	v_fma_f64 v[2:3], v[141:142], v[125:126], v[2:3]
	scratch_load_b128 v[123:126], off, off offset:392
	s_waitcnt lgkmcnt(0)
	v_fma_f64 v[2:3], v[143:144], v[127:128], v[2:3]
	s_waitcnt vmcnt(4)
	s_delay_alu instid0(VALU_DEP_1)
	v_fma_f64 v[2:3], v[115:116], v[129:130], v[2:3]
	ds_load_b128 v[127:130], v1 offset:768
	ds_load_b128 v[141:144], v1 offset:784
	s_waitcnt lgkmcnt(1)
	v_fma_f64 v[2:3], v[117:118], v[127:128], v[2:3]
	scratch_load_b128 v[115:118], off, off offset:408
	s_waitcnt vmcnt(4)
	v_fma_f64 v[2:3], v[137:138], v[129:130], v[2:3]
	ds_load_b128 v[127:130], v1 offset:800
	ds_load_b128 v[135:138], v1 offset:816
	s_waitcnt lgkmcnt(2)
	v_fma_f64 v[2:3], v[139:140], v[141:142], v[2:3]
	s_waitcnt vmcnt(3)
	s_delay_alu instid0(VALU_DEP_1) | instskip(SKIP_1) | instid1(VALU_DEP_1)
	v_fma_f64 v[2:3], v[119:120], v[143:144], v[2:3]
	s_waitcnt lgkmcnt(1)
	v_fma_f64 v[2:3], v[121:122], v[127:128], v[2:3]
	s_waitcnt vmcnt(2)
	s_delay_alu instid0(VALU_DEP_1) | instskip(SKIP_1) | instid1(VALU_DEP_1)
	v_fma_f64 v[2:3], v[131:132], v[129:130], v[2:3]
	s_waitcnt lgkmcnt(0)
	v_fma_f64 v[2:3], v[133:134], v[135:136], v[2:3]
	s_waitcnt vmcnt(1)
	s_delay_alu instid0(VALU_DEP_1)
	v_fma_f64 v[2:3], v[123:124], v[137:138], v[2:3]
	ds_load_b128 v[119:122], v1 offset:832
	ds_load_b64 v[123:124], v1 offset:848
	s_waitcnt lgkmcnt(1)
	v_fma_f64 v[2:3], v[125:126], v[119:120], v[2:3]
	s_waitcnt vmcnt(0)
	s_delay_alu instid0(VALU_DEP_1) | instskip(SKIP_1) | instid1(VALU_DEP_1)
	v_fma_f64 v[2:3], v[115:116], v[121:122], v[2:3]
	s_waitcnt lgkmcnt(0)
	v_fma_f64 v[2:3], v[117:118], v[123:124], v[2:3]
	s_delay_alu instid0(VALU_DEP_1)
	v_add_f64 v[2:3], v[113:114], -v[2:3]
	scratch_store_b64 off, v[2:3], off offset:232
	v_cmpx_lt_u32_e32 28, v0
	s_cbranch_execz .LBB116_271
; %bb.270:
	scratch_load_b64 v[3:4], off, off offset:224
	v_mov_b32_e32 v2, v1
	scratch_store_b64 off, v[1:2], off offset:224
	s_waitcnt vmcnt(0)
	ds_store_b64 v5, v[3:4]
.LBB116_271:
	s_or_b32 exec_lo, exec_lo, s0
	s_waitcnt lgkmcnt(0)
	s_waitcnt_vscnt null, 0x0
	s_barrier
	buffer_gl0_inv
	s_clause 0x4
	scratch_load_b128 v[113:116], off, off offset:224
	scratch_load_b128 v[117:120], off, off offset:240
	;; [unrolled: 1-line block ×5, first 2 shown]
	ds_load_2addr_b64 v[133:136], v1 offset0:83 offset1:84
	ds_load_2addr_b64 v[137:140], v1 offset0:85 offset1:86
	scratch_load_b128 v[141:144], off, off offset:304
	s_mov_b32 s0, exec_lo
	s_waitcnt vmcnt(5) lgkmcnt(1)
	v_fma_f64 v[2:3], v[115:116], v[133:134], 0
	s_waitcnt vmcnt(4)
	s_delay_alu instid0(VALU_DEP_1) | instskip(SKIP_4) | instid1(VALU_DEP_1)
	v_fma_f64 v[2:3], v[117:118], v[135:136], v[2:3]
	scratch_load_b128 v[115:118], off, off offset:320
	s_waitcnt lgkmcnt(0)
	v_fma_f64 v[2:3], v[119:120], v[137:138], v[2:3]
	s_waitcnt vmcnt(4)
	v_fma_f64 v[2:3], v[121:122], v[139:140], v[2:3]
	ds_load_2addr_b64 v[119:122], v1 offset0:87 offset1:88
	ds_load_2addr_b64 v[133:136], v1 offset0:89 offset1:90
	scratch_load_b128 v[137:140], off, off offset:336
	s_waitcnt lgkmcnt(1)
	v_fma_f64 v[2:3], v[123:124], v[119:120], v[2:3]
	s_waitcnt vmcnt(4)
	s_delay_alu instid0(VALU_DEP_1) | instskip(SKIP_4) | instid1(VALU_DEP_1)
	v_fma_f64 v[2:3], v[125:126], v[121:122], v[2:3]
	scratch_load_b128 v[119:122], off, off offset:352
	s_waitcnt lgkmcnt(0)
	v_fma_f64 v[2:3], v[127:128], v[133:134], v[2:3]
	s_waitcnt vmcnt(4)
	v_fma_f64 v[2:3], v[129:130], v[135:136], v[2:3]
	ds_load_2addr_b64 v[123:126], v1 offset0:91 offset1:92
	ds_load_2addr_b64 v[127:130], v1 offset0:93 offset1:94
	s_waitcnt lgkmcnt(1)
	v_fma_f64 v[2:3], v[131:132], v[123:124], v[2:3]
	scratch_load_b128 v[131:134], off, off offset:368
	s_waitcnt vmcnt(4)
	v_fma_f64 v[2:3], v[141:142], v[125:126], v[2:3]
	scratch_load_b128 v[123:126], off, off offset:384
	s_waitcnt lgkmcnt(0)
	v_fma_f64 v[2:3], v[143:144], v[127:128], v[2:3]
	s_waitcnt vmcnt(4)
	s_delay_alu instid0(VALU_DEP_1)
	v_fma_f64 v[2:3], v[115:116], v[129:130], v[2:3]
	ds_load_2addr_b64 v[127:130], v1 offset0:95 offset1:96
	ds_load_2addr_b64 v[141:144], v1 offset0:97 offset1:98
	s_waitcnt lgkmcnt(1)
	v_fma_f64 v[2:3], v[117:118], v[127:128], v[2:3]
	scratch_load_b128 v[115:118], off, off offset:400
	s_waitcnt vmcnt(4)
	v_fma_f64 v[2:3], v[137:138], v[129:130], v[2:3]
	s_waitcnt lgkmcnt(0)
	s_delay_alu instid0(VALU_DEP_1)
	v_fma_f64 v[2:3], v[139:140], v[141:142], v[2:3]
	scratch_load_b64 v[139:140], off, off offset:416
	ds_load_2addr_b64 v[127:130], v1 offset0:99 offset1:100
	ds_load_2addr_b64 v[135:138], v1 offset0:101 offset1:102
	s_waitcnt vmcnt(4)
	v_fma_f64 v[2:3], v[119:120], v[143:144], v[2:3]
	s_waitcnt lgkmcnt(1)
	s_delay_alu instid0(VALU_DEP_1) | instskip(SKIP_1) | instid1(VALU_DEP_1)
	v_fma_f64 v[2:3], v[121:122], v[127:128], v[2:3]
	s_waitcnt vmcnt(3)
	v_fma_f64 v[2:3], v[131:132], v[129:130], v[2:3]
	s_waitcnt lgkmcnt(0)
	s_delay_alu instid0(VALU_DEP_1) | instskip(SKIP_1) | instid1(VALU_DEP_1)
	v_fma_f64 v[2:3], v[133:134], v[135:136], v[2:3]
	s_waitcnt vmcnt(2)
	v_fma_f64 v[123:124], v[123:124], v[137:138], v[2:3]
	ds_load_2addr_b64 v[119:122], v1 offset0:103 offset1:104
	ds_load_2addr_b64 v[1:4], v1 offset0:105 offset1:106
	s_waitcnt lgkmcnt(1)
	v_fma_f64 v[119:120], v[125:126], v[119:120], v[123:124]
	s_waitcnt vmcnt(1)
	s_delay_alu instid0(VALU_DEP_1) | instskip(SKIP_1) | instid1(VALU_DEP_1)
	v_fma_f64 v[115:116], v[115:116], v[121:122], v[119:120]
	s_waitcnt lgkmcnt(0)
	v_fma_f64 v[1:2], v[117:118], v[1:2], v[115:116]
	s_waitcnt vmcnt(0)
	s_delay_alu instid0(VALU_DEP_1) | instskip(NEXT) | instid1(VALU_DEP_1)
	v_fma_f64 v[1:2], v[139:140], v[3:4], v[1:2]
	v_add_f64 v[1:2], v[113:114], -v[1:2]
	scratch_store_b64 off, v[1:2], off offset:224
	v_cmpx_lt_u32_e32 27, v0
	s_cbranch_execz .LBB116_273
; %bb.272:
	scratch_load_b64 v[1:2], off, off offset:216
	v_mov_b32_e32 v3, 0
	s_delay_alu instid0(VALU_DEP_1)
	v_mov_b32_e32 v4, v3
	scratch_store_b64 off, v[3:4], off offset:216
	s_waitcnt vmcnt(0)
	ds_store_b64 v5, v[1:2]
.LBB116_273:
	s_or_b32 exec_lo, exec_lo, s0
	s_waitcnt lgkmcnt(0)
	s_waitcnt_vscnt null, 0x0
	s_barrier
	buffer_gl0_inv
	s_clause 0x4
	scratch_load_b128 v[113:116], off, off offset:216
	scratch_load_b128 v[117:120], off, off offset:232
	;; [unrolled: 1-line block ×5, first 2 shown]
	v_mov_b32_e32 v1, 0
	ds_load_b128 v[133:136], v1 offset:656
	ds_load_b128 v[137:140], v1 offset:672
	scratch_load_b128 v[141:144], off, off offset:296
	s_mov_b32 s0, exec_lo
	s_waitcnt vmcnt(5) lgkmcnt(1)
	v_fma_f64 v[2:3], v[115:116], v[133:134], 0
	s_waitcnt vmcnt(4)
	s_delay_alu instid0(VALU_DEP_1) | instskip(SKIP_4) | instid1(VALU_DEP_1)
	v_fma_f64 v[2:3], v[117:118], v[135:136], v[2:3]
	scratch_load_b128 v[115:118], off, off offset:312
	s_waitcnt lgkmcnt(0)
	v_fma_f64 v[2:3], v[119:120], v[137:138], v[2:3]
	s_waitcnt vmcnt(4)
	v_fma_f64 v[2:3], v[121:122], v[139:140], v[2:3]
	ds_load_b128 v[119:122], v1 offset:688
	ds_load_b128 v[133:136], v1 offset:704
	scratch_load_b128 v[137:140], off, off offset:328
	s_waitcnt lgkmcnt(1)
	v_fma_f64 v[2:3], v[123:124], v[119:120], v[2:3]
	s_waitcnt vmcnt(4)
	s_delay_alu instid0(VALU_DEP_1) | instskip(SKIP_4) | instid1(VALU_DEP_1)
	v_fma_f64 v[2:3], v[125:126], v[121:122], v[2:3]
	scratch_load_b128 v[119:122], off, off offset:344
	s_waitcnt lgkmcnt(0)
	v_fma_f64 v[2:3], v[127:128], v[133:134], v[2:3]
	s_waitcnt vmcnt(4)
	v_fma_f64 v[2:3], v[129:130], v[135:136], v[2:3]
	ds_load_b128 v[123:126], v1 offset:720
	ds_load_b128 v[127:130], v1 offset:736
	s_waitcnt lgkmcnt(1)
	v_fma_f64 v[2:3], v[131:132], v[123:124], v[2:3]
	scratch_load_b128 v[131:134], off, off offset:360
	s_waitcnt vmcnt(4)
	v_fma_f64 v[2:3], v[141:142], v[125:126], v[2:3]
	scratch_load_b128 v[123:126], off, off offset:376
	s_waitcnt lgkmcnt(0)
	v_fma_f64 v[2:3], v[143:144], v[127:128], v[2:3]
	s_waitcnt vmcnt(4)
	s_delay_alu instid0(VALU_DEP_1)
	v_fma_f64 v[2:3], v[115:116], v[129:130], v[2:3]
	ds_load_b128 v[127:130], v1 offset:752
	ds_load_b128 v[141:144], v1 offset:768
	s_waitcnt lgkmcnt(1)
	v_fma_f64 v[2:3], v[117:118], v[127:128], v[2:3]
	scratch_load_b128 v[115:118], off, off offset:392
	s_waitcnt vmcnt(4)
	v_fma_f64 v[2:3], v[137:138], v[129:130], v[2:3]
	scratch_load_b128 v[127:130], off, off offset:408
	s_waitcnt lgkmcnt(0)
	v_fma_f64 v[2:3], v[139:140], v[141:142], v[2:3]
	ds_load_b128 v[135:138], v1 offset:784
	ds_load_b128 v[139:142], v1 offset:800
	s_waitcnt vmcnt(4)
	v_fma_f64 v[2:3], v[119:120], v[143:144], v[2:3]
	s_waitcnt lgkmcnt(1)
	s_delay_alu instid0(VALU_DEP_1) | instskip(SKIP_1) | instid1(VALU_DEP_1)
	v_fma_f64 v[2:3], v[121:122], v[135:136], v[2:3]
	s_waitcnt vmcnt(3)
	v_fma_f64 v[2:3], v[131:132], v[137:138], v[2:3]
	s_waitcnt lgkmcnt(0)
	s_delay_alu instid0(VALU_DEP_1)
	v_fma_f64 v[2:3], v[133:134], v[139:140], v[2:3]
	ds_load_b128 v[119:122], v1 offset:816
	ds_load_b128 v[131:134], v1 offset:832
	s_waitcnt vmcnt(2)
	v_fma_f64 v[2:3], v[123:124], v[141:142], v[2:3]
	s_waitcnt lgkmcnt(1)
	s_delay_alu instid0(VALU_DEP_1) | instskip(SKIP_1) | instid1(VALU_DEP_1)
	v_fma_f64 v[2:3], v[125:126], v[119:120], v[2:3]
	s_waitcnt vmcnt(1)
	v_fma_f64 v[2:3], v[115:116], v[121:122], v[2:3]
	ds_load_b64 v[115:116], v1 offset:848
	s_waitcnt lgkmcnt(1)
	v_fma_f64 v[2:3], v[117:118], v[131:132], v[2:3]
	s_waitcnt vmcnt(0)
	s_delay_alu instid0(VALU_DEP_1) | instskip(SKIP_1) | instid1(VALU_DEP_1)
	v_fma_f64 v[2:3], v[127:128], v[133:134], v[2:3]
	s_waitcnt lgkmcnt(0)
	v_fma_f64 v[2:3], v[129:130], v[115:116], v[2:3]
	s_delay_alu instid0(VALU_DEP_1)
	v_add_f64 v[2:3], v[113:114], -v[2:3]
	scratch_store_b64 off, v[2:3], off offset:216
	v_cmpx_lt_u32_e32 26, v0
	s_cbranch_execz .LBB116_275
; %bb.274:
	scratch_load_b64 v[3:4], off, off offset:208
	v_mov_b32_e32 v2, v1
	scratch_store_b64 off, v[1:2], off offset:208
	s_waitcnt vmcnt(0)
	ds_store_b64 v5, v[3:4]
.LBB116_275:
	s_or_b32 exec_lo, exec_lo, s0
	s_waitcnt lgkmcnt(0)
	s_waitcnt_vscnt null, 0x0
	s_barrier
	buffer_gl0_inv
	s_clause 0x4
	scratch_load_b128 v[113:116], off, off offset:208
	scratch_load_b128 v[117:120], off, off offset:224
	;; [unrolled: 1-line block ×5, first 2 shown]
	ds_load_2addr_b64 v[133:136], v1 offset0:81 offset1:82
	ds_load_2addr_b64 v[137:140], v1 offset0:83 offset1:84
	scratch_load_b128 v[141:144], off, off offset:288
	s_mov_b32 s0, exec_lo
	s_waitcnt vmcnt(5) lgkmcnt(1)
	v_fma_f64 v[2:3], v[115:116], v[133:134], 0
	s_waitcnt vmcnt(4)
	s_delay_alu instid0(VALU_DEP_1) | instskip(SKIP_4) | instid1(VALU_DEP_1)
	v_fma_f64 v[2:3], v[117:118], v[135:136], v[2:3]
	scratch_load_b128 v[115:118], off, off offset:304
	s_waitcnt lgkmcnt(0)
	v_fma_f64 v[2:3], v[119:120], v[137:138], v[2:3]
	s_waitcnt vmcnt(4)
	v_fma_f64 v[2:3], v[121:122], v[139:140], v[2:3]
	ds_load_2addr_b64 v[119:122], v1 offset0:85 offset1:86
	ds_load_2addr_b64 v[133:136], v1 offset0:87 offset1:88
	scratch_load_b128 v[137:140], off, off offset:320
	s_waitcnt lgkmcnt(1)
	v_fma_f64 v[2:3], v[123:124], v[119:120], v[2:3]
	s_waitcnt vmcnt(4)
	s_delay_alu instid0(VALU_DEP_1) | instskip(SKIP_4) | instid1(VALU_DEP_1)
	v_fma_f64 v[2:3], v[125:126], v[121:122], v[2:3]
	scratch_load_b128 v[119:122], off, off offset:336
	s_waitcnt lgkmcnt(0)
	v_fma_f64 v[2:3], v[127:128], v[133:134], v[2:3]
	s_waitcnt vmcnt(4)
	v_fma_f64 v[2:3], v[129:130], v[135:136], v[2:3]
	ds_load_2addr_b64 v[123:126], v1 offset0:89 offset1:90
	ds_load_2addr_b64 v[127:130], v1 offset0:91 offset1:92
	s_waitcnt lgkmcnt(1)
	v_fma_f64 v[2:3], v[131:132], v[123:124], v[2:3]
	scratch_load_b128 v[131:134], off, off offset:352
	s_waitcnt vmcnt(4)
	v_fma_f64 v[2:3], v[141:142], v[125:126], v[2:3]
	scratch_load_b128 v[123:126], off, off offset:368
	s_waitcnt lgkmcnt(0)
	v_fma_f64 v[2:3], v[143:144], v[127:128], v[2:3]
	s_waitcnt vmcnt(4)
	s_delay_alu instid0(VALU_DEP_1)
	v_fma_f64 v[2:3], v[115:116], v[129:130], v[2:3]
	ds_load_2addr_b64 v[127:130], v1 offset0:93 offset1:94
	ds_load_2addr_b64 v[141:144], v1 offset0:95 offset1:96
	s_waitcnt lgkmcnt(1)
	v_fma_f64 v[2:3], v[117:118], v[127:128], v[2:3]
	scratch_load_b128 v[115:118], off, off offset:384
	s_waitcnt vmcnt(4)
	v_fma_f64 v[2:3], v[137:138], v[129:130], v[2:3]
	scratch_load_b128 v[127:130], off, off offset:400
	s_waitcnt lgkmcnt(0)
	v_fma_f64 v[2:3], v[139:140], v[141:142], v[2:3]
	ds_load_2addr_b64 v[135:138], v1 offset0:97 offset1:98
	ds_load_2addr_b64 v[139:142], v1 offset0:99 offset1:100
	s_waitcnt vmcnt(4)
	v_fma_f64 v[2:3], v[119:120], v[143:144], v[2:3]
	s_waitcnt lgkmcnt(1)
	s_delay_alu instid0(VALU_DEP_1) | instskip(SKIP_4) | instid1(VALU_DEP_1)
	v_fma_f64 v[2:3], v[121:122], v[135:136], v[2:3]
	scratch_load_b64 v[135:136], off, off offset:416
	s_waitcnt vmcnt(4)
	v_fma_f64 v[2:3], v[131:132], v[137:138], v[2:3]
	s_waitcnt lgkmcnt(0)
	v_fma_f64 v[2:3], v[133:134], v[139:140], v[2:3]
	ds_load_2addr_b64 v[119:122], v1 offset0:101 offset1:102
	ds_load_2addr_b64 v[131:134], v1 offset0:103 offset1:104
	s_waitcnt vmcnt(3)
	v_fma_f64 v[2:3], v[123:124], v[141:142], v[2:3]
	s_waitcnt lgkmcnt(1)
	s_delay_alu instid0(VALU_DEP_1) | instskip(SKIP_1) | instid1(VALU_DEP_1)
	v_fma_f64 v[2:3], v[125:126], v[119:120], v[2:3]
	s_waitcnt vmcnt(2)
	v_fma_f64 v[2:3], v[115:116], v[121:122], v[2:3]
	s_waitcnt lgkmcnt(0)
	s_delay_alu instid0(VALU_DEP_1) | instskip(SKIP_1) | instid1(VALU_DEP_1)
	v_fma_f64 v[2:3], v[117:118], v[131:132], v[2:3]
	s_waitcnt vmcnt(1)
	v_fma_f64 v[115:116], v[127:128], v[133:134], v[2:3]
	ds_load_2addr_b64 v[1:4], v1 offset0:105 offset1:106
	s_waitcnt lgkmcnt(0)
	v_fma_f64 v[1:2], v[129:130], v[1:2], v[115:116]
	s_waitcnt vmcnt(0)
	s_delay_alu instid0(VALU_DEP_1) | instskip(NEXT) | instid1(VALU_DEP_1)
	v_fma_f64 v[1:2], v[135:136], v[3:4], v[1:2]
	v_add_f64 v[1:2], v[113:114], -v[1:2]
	scratch_store_b64 off, v[1:2], off offset:208
	v_cmpx_lt_u32_e32 25, v0
	s_cbranch_execz .LBB116_277
; %bb.276:
	scratch_load_b64 v[1:2], off, off offset:200
	v_mov_b32_e32 v3, 0
	s_delay_alu instid0(VALU_DEP_1)
	v_mov_b32_e32 v4, v3
	scratch_store_b64 off, v[3:4], off offset:200
	s_waitcnt vmcnt(0)
	ds_store_b64 v5, v[1:2]
.LBB116_277:
	s_or_b32 exec_lo, exec_lo, s0
	s_waitcnt lgkmcnt(0)
	s_waitcnt_vscnt null, 0x0
	s_barrier
	buffer_gl0_inv
	s_clause 0x4
	scratch_load_b128 v[113:116], off, off offset:200
	scratch_load_b128 v[117:120], off, off offset:216
	;; [unrolled: 1-line block ×5, first 2 shown]
	v_mov_b32_e32 v1, 0
	ds_load_b128 v[133:136], v1 offset:640
	ds_load_b128 v[137:140], v1 offset:656
	scratch_load_b128 v[141:144], off, off offset:280
	s_mov_b32 s0, exec_lo
	s_waitcnt vmcnt(5) lgkmcnt(1)
	v_fma_f64 v[2:3], v[115:116], v[133:134], 0
	s_waitcnt vmcnt(4)
	s_delay_alu instid0(VALU_DEP_1) | instskip(SKIP_4) | instid1(VALU_DEP_1)
	v_fma_f64 v[2:3], v[117:118], v[135:136], v[2:3]
	scratch_load_b128 v[115:118], off, off offset:296
	s_waitcnt lgkmcnt(0)
	v_fma_f64 v[2:3], v[119:120], v[137:138], v[2:3]
	s_waitcnt vmcnt(4)
	v_fma_f64 v[2:3], v[121:122], v[139:140], v[2:3]
	ds_load_b128 v[119:122], v1 offset:672
	ds_load_b128 v[133:136], v1 offset:688
	scratch_load_b128 v[137:140], off, off offset:312
	s_waitcnt lgkmcnt(1)
	v_fma_f64 v[2:3], v[123:124], v[119:120], v[2:3]
	s_waitcnt vmcnt(4)
	s_delay_alu instid0(VALU_DEP_1) | instskip(SKIP_4) | instid1(VALU_DEP_1)
	v_fma_f64 v[2:3], v[125:126], v[121:122], v[2:3]
	scratch_load_b128 v[119:122], off, off offset:328
	s_waitcnt lgkmcnt(0)
	v_fma_f64 v[2:3], v[127:128], v[133:134], v[2:3]
	s_waitcnt vmcnt(4)
	v_fma_f64 v[2:3], v[129:130], v[135:136], v[2:3]
	ds_load_b128 v[123:126], v1 offset:704
	ds_load_b128 v[127:130], v1 offset:720
	s_waitcnt lgkmcnt(1)
	v_fma_f64 v[2:3], v[131:132], v[123:124], v[2:3]
	scratch_load_b128 v[131:134], off, off offset:344
	s_waitcnt vmcnt(4)
	v_fma_f64 v[2:3], v[141:142], v[125:126], v[2:3]
	scratch_load_b128 v[123:126], off, off offset:360
	s_waitcnt lgkmcnt(0)
	v_fma_f64 v[2:3], v[143:144], v[127:128], v[2:3]
	s_waitcnt vmcnt(4)
	s_delay_alu instid0(VALU_DEP_1)
	v_fma_f64 v[2:3], v[115:116], v[129:130], v[2:3]
	ds_load_b128 v[127:130], v1 offset:736
	ds_load_b128 v[141:144], v1 offset:752
	s_waitcnt lgkmcnt(1)
	v_fma_f64 v[2:3], v[117:118], v[127:128], v[2:3]
	scratch_load_b128 v[115:118], off, off offset:376
	s_waitcnt vmcnt(4)
	v_fma_f64 v[2:3], v[137:138], v[129:130], v[2:3]
	scratch_load_b128 v[127:130], off, off offset:392
	s_waitcnt lgkmcnt(0)
	v_fma_f64 v[2:3], v[139:140], v[141:142], v[2:3]
	ds_load_b128 v[135:138], v1 offset:768
	ds_load_b128 v[139:142], v1 offset:784
	s_waitcnt vmcnt(4)
	v_fma_f64 v[2:3], v[119:120], v[143:144], v[2:3]
	s_waitcnt lgkmcnt(1)
	s_delay_alu instid0(VALU_DEP_1) | instskip(SKIP_4) | instid1(VALU_DEP_1)
	v_fma_f64 v[2:3], v[121:122], v[135:136], v[2:3]
	scratch_load_b128 v[119:122], off, off offset:408
	s_waitcnt vmcnt(4)
	v_fma_f64 v[2:3], v[131:132], v[137:138], v[2:3]
	s_waitcnt lgkmcnt(0)
	v_fma_f64 v[2:3], v[133:134], v[139:140], v[2:3]
	ds_load_b128 v[131:134], v1 offset:800
	ds_load_b128 v[135:138], v1 offset:816
	s_waitcnt vmcnt(3)
	v_fma_f64 v[2:3], v[123:124], v[141:142], v[2:3]
	s_waitcnt lgkmcnt(1)
	s_delay_alu instid0(VALU_DEP_1) | instskip(SKIP_1) | instid1(VALU_DEP_1)
	v_fma_f64 v[2:3], v[125:126], v[131:132], v[2:3]
	s_waitcnt vmcnt(2)
	v_fma_f64 v[2:3], v[115:116], v[133:134], v[2:3]
	s_waitcnt lgkmcnt(0)
	s_delay_alu instid0(VALU_DEP_1)
	v_fma_f64 v[2:3], v[117:118], v[135:136], v[2:3]
	ds_load_b128 v[115:118], v1 offset:832
	ds_load_b64 v[123:124], v1 offset:848
	s_waitcnt vmcnt(1)
	v_fma_f64 v[2:3], v[127:128], v[137:138], v[2:3]
	s_waitcnt lgkmcnt(1)
	s_delay_alu instid0(VALU_DEP_1) | instskip(SKIP_1) | instid1(VALU_DEP_1)
	v_fma_f64 v[2:3], v[129:130], v[115:116], v[2:3]
	s_waitcnt vmcnt(0)
	v_fma_f64 v[2:3], v[119:120], v[117:118], v[2:3]
	s_waitcnt lgkmcnt(0)
	s_delay_alu instid0(VALU_DEP_1) | instskip(NEXT) | instid1(VALU_DEP_1)
	v_fma_f64 v[2:3], v[121:122], v[123:124], v[2:3]
	v_add_f64 v[2:3], v[113:114], -v[2:3]
	scratch_store_b64 off, v[2:3], off offset:200
	v_cmpx_lt_u32_e32 24, v0
	s_cbranch_execz .LBB116_279
; %bb.278:
	scratch_load_b64 v[3:4], off, off offset:192
	v_mov_b32_e32 v2, v1
	scratch_store_b64 off, v[1:2], off offset:192
	s_waitcnt vmcnt(0)
	ds_store_b64 v5, v[3:4]
.LBB116_279:
	s_or_b32 exec_lo, exec_lo, s0
	s_waitcnt lgkmcnt(0)
	s_waitcnt_vscnt null, 0x0
	s_barrier
	buffer_gl0_inv
	s_clause 0x4
	scratch_load_b128 v[113:116], off, off offset:192
	scratch_load_b128 v[117:120], off, off offset:208
	;; [unrolled: 1-line block ×5, first 2 shown]
	ds_load_2addr_b64 v[133:136], v1 offset0:79 offset1:80
	ds_load_2addr_b64 v[137:140], v1 offset0:81 offset1:82
	scratch_load_b128 v[141:144], off, off offset:272
	s_mov_b32 s0, exec_lo
	s_waitcnt vmcnt(5) lgkmcnt(1)
	v_fma_f64 v[2:3], v[115:116], v[133:134], 0
	s_waitcnt vmcnt(4)
	s_delay_alu instid0(VALU_DEP_1) | instskip(SKIP_4) | instid1(VALU_DEP_1)
	v_fma_f64 v[2:3], v[117:118], v[135:136], v[2:3]
	scratch_load_b128 v[115:118], off, off offset:288
	s_waitcnt lgkmcnt(0)
	v_fma_f64 v[2:3], v[119:120], v[137:138], v[2:3]
	s_waitcnt vmcnt(4)
	v_fma_f64 v[2:3], v[121:122], v[139:140], v[2:3]
	ds_load_2addr_b64 v[119:122], v1 offset0:83 offset1:84
	ds_load_2addr_b64 v[133:136], v1 offset0:85 offset1:86
	scratch_load_b128 v[137:140], off, off offset:304
	s_waitcnt lgkmcnt(1)
	v_fma_f64 v[2:3], v[123:124], v[119:120], v[2:3]
	s_waitcnt vmcnt(4)
	s_delay_alu instid0(VALU_DEP_1) | instskip(SKIP_4) | instid1(VALU_DEP_1)
	v_fma_f64 v[2:3], v[125:126], v[121:122], v[2:3]
	scratch_load_b128 v[119:122], off, off offset:320
	s_waitcnt lgkmcnt(0)
	v_fma_f64 v[2:3], v[127:128], v[133:134], v[2:3]
	s_waitcnt vmcnt(4)
	v_fma_f64 v[2:3], v[129:130], v[135:136], v[2:3]
	ds_load_2addr_b64 v[123:126], v1 offset0:87 offset1:88
	ds_load_2addr_b64 v[127:130], v1 offset0:89 offset1:90
	s_waitcnt lgkmcnt(1)
	v_fma_f64 v[2:3], v[131:132], v[123:124], v[2:3]
	scratch_load_b128 v[131:134], off, off offset:336
	s_waitcnt vmcnt(4)
	v_fma_f64 v[2:3], v[141:142], v[125:126], v[2:3]
	scratch_load_b128 v[123:126], off, off offset:352
	s_waitcnt lgkmcnt(0)
	v_fma_f64 v[2:3], v[143:144], v[127:128], v[2:3]
	s_waitcnt vmcnt(4)
	s_delay_alu instid0(VALU_DEP_1)
	v_fma_f64 v[2:3], v[115:116], v[129:130], v[2:3]
	ds_load_2addr_b64 v[127:130], v1 offset0:91 offset1:92
	ds_load_2addr_b64 v[141:144], v1 offset0:93 offset1:94
	s_waitcnt lgkmcnt(1)
	v_fma_f64 v[2:3], v[117:118], v[127:128], v[2:3]
	scratch_load_b128 v[115:118], off, off offset:368
	s_waitcnt vmcnt(4)
	v_fma_f64 v[2:3], v[137:138], v[129:130], v[2:3]
	scratch_load_b128 v[127:130], off, off offset:384
	s_waitcnt lgkmcnt(0)
	v_fma_f64 v[2:3], v[139:140], v[141:142], v[2:3]
	ds_load_2addr_b64 v[135:138], v1 offset0:95 offset1:96
	ds_load_2addr_b64 v[139:142], v1 offset0:97 offset1:98
	s_waitcnt vmcnt(4)
	v_fma_f64 v[2:3], v[119:120], v[143:144], v[2:3]
	s_waitcnt lgkmcnt(1)
	s_delay_alu instid0(VALU_DEP_1) | instskip(SKIP_4) | instid1(VALU_DEP_1)
	v_fma_f64 v[2:3], v[121:122], v[135:136], v[2:3]
	scratch_load_b128 v[119:122], off, off offset:400
	s_waitcnt vmcnt(4)
	v_fma_f64 v[2:3], v[131:132], v[137:138], v[2:3]
	s_waitcnt lgkmcnt(0)
	v_fma_f64 v[2:3], v[133:134], v[139:140], v[2:3]
	scratch_load_b64 v[139:140], off, off offset:416
	ds_load_2addr_b64 v[131:134], v1 offset0:99 offset1:100
	ds_load_2addr_b64 v[135:138], v1 offset0:101 offset1:102
	s_waitcnt vmcnt(4)
	v_fma_f64 v[2:3], v[123:124], v[141:142], v[2:3]
	s_waitcnt lgkmcnt(1)
	s_delay_alu instid0(VALU_DEP_1) | instskip(SKIP_1) | instid1(VALU_DEP_1)
	v_fma_f64 v[2:3], v[125:126], v[131:132], v[2:3]
	s_waitcnt vmcnt(3)
	v_fma_f64 v[2:3], v[115:116], v[133:134], v[2:3]
	s_waitcnt lgkmcnt(0)
	s_delay_alu instid0(VALU_DEP_1) | instskip(SKIP_1) | instid1(VALU_DEP_1)
	v_fma_f64 v[2:3], v[117:118], v[135:136], v[2:3]
	s_waitcnt vmcnt(2)
	v_fma_f64 v[123:124], v[127:128], v[137:138], v[2:3]
	ds_load_2addr_b64 v[115:118], v1 offset0:103 offset1:104
	ds_load_2addr_b64 v[1:4], v1 offset0:105 offset1:106
	s_waitcnt lgkmcnt(1)
	v_fma_f64 v[115:116], v[129:130], v[115:116], v[123:124]
	s_waitcnt vmcnt(1)
	s_delay_alu instid0(VALU_DEP_1) | instskip(SKIP_1) | instid1(VALU_DEP_1)
	v_fma_f64 v[115:116], v[119:120], v[117:118], v[115:116]
	s_waitcnt lgkmcnt(0)
	v_fma_f64 v[1:2], v[121:122], v[1:2], v[115:116]
	s_waitcnt vmcnt(0)
	s_delay_alu instid0(VALU_DEP_1) | instskip(NEXT) | instid1(VALU_DEP_1)
	v_fma_f64 v[1:2], v[139:140], v[3:4], v[1:2]
	v_add_f64 v[1:2], v[113:114], -v[1:2]
	scratch_store_b64 off, v[1:2], off offset:192
	v_cmpx_lt_u32_e32 23, v0
	s_cbranch_execz .LBB116_281
; %bb.280:
	scratch_load_b64 v[1:2], off, off offset:184
	v_mov_b32_e32 v3, 0
	s_delay_alu instid0(VALU_DEP_1)
	v_mov_b32_e32 v4, v3
	scratch_store_b64 off, v[3:4], off offset:184
	s_waitcnt vmcnt(0)
	ds_store_b64 v5, v[1:2]
.LBB116_281:
	s_or_b32 exec_lo, exec_lo, s0
	s_waitcnt lgkmcnt(0)
	s_waitcnt_vscnt null, 0x0
	s_barrier
	buffer_gl0_inv
	s_clause 0x4
	scratch_load_b128 v[113:116], off, off offset:184
	scratch_load_b128 v[117:120], off, off offset:200
	;; [unrolled: 1-line block ×5, first 2 shown]
	v_mov_b32_e32 v1, 0
	ds_load_b128 v[133:136], v1 offset:624
	ds_load_b128 v[137:140], v1 offset:640
	scratch_load_b128 v[141:144], off, off offset:264
	s_mov_b32 s0, exec_lo
	s_waitcnt vmcnt(5) lgkmcnt(1)
	v_fma_f64 v[2:3], v[115:116], v[133:134], 0
	s_waitcnt vmcnt(4)
	s_delay_alu instid0(VALU_DEP_1) | instskip(SKIP_4) | instid1(VALU_DEP_1)
	v_fma_f64 v[2:3], v[117:118], v[135:136], v[2:3]
	scratch_load_b128 v[115:118], off, off offset:280
	s_waitcnt lgkmcnt(0)
	v_fma_f64 v[2:3], v[119:120], v[137:138], v[2:3]
	s_waitcnt vmcnt(4)
	v_fma_f64 v[2:3], v[121:122], v[139:140], v[2:3]
	ds_load_b128 v[119:122], v1 offset:656
	ds_load_b128 v[133:136], v1 offset:672
	scratch_load_b128 v[137:140], off, off offset:296
	s_waitcnt lgkmcnt(1)
	v_fma_f64 v[2:3], v[123:124], v[119:120], v[2:3]
	s_waitcnt vmcnt(4)
	s_delay_alu instid0(VALU_DEP_1) | instskip(SKIP_4) | instid1(VALU_DEP_1)
	v_fma_f64 v[2:3], v[125:126], v[121:122], v[2:3]
	scratch_load_b128 v[119:122], off, off offset:312
	s_waitcnt lgkmcnt(0)
	v_fma_f64 v[2:3], v[127:128], v[133:134], v[2:3]
	s_waitcnt vmcnt(4)
	v_fma_f64 v[2:3], v[129:130], v[135:136], v[2:3]
	ds_load_b128 v[123:126], v1 offset:688
	ds_load_b128 v[127:130], v1 offset:704
	s_waitcnt lgkmcnt(1)
	v_fma_f64 v[2:3], v[131:132], v[123:124], v[2:3]
	scratch_load_b128 v[131:134], off, off offset:328
	s_waitcnt vmcnt(4)
	v_fma_f64 v[2:3], v[141:142], v[125:126], v[2:3]
	scratch_load_b128 v[123:126], off, off offset:344
	s_waitcnt lgkmcnt(0)
	v_fma_f64 v[2:3], v[143:144], v[127:128], v[2:3]
	s_waitcnt vmcnt(4)
	s_delay_alu instid0(VALU_DEP_1)
	v_fma_f64 v[2:3], v[115:116], v[129:130], v[2:3]
	ds_load_b128 v[127:130], v1 offset:720
	ds_load_b128 v[141:144], v1 offset:736
	s_waitcnt lgkmcnt(1)
	v_fma_f64 v[2:3], v[117:118], v[127:128], v[2:3]
	scratch_load_b128 v[115:118], off, off offset:360
	s_waitcnt vmcnt(4)
	v_fma_f64 v[2:3], v[137:138], v[129:130], v[2:3]
	scratch_load_b128 v[127:130], off, off offset:376
	s_waitcnt lgkmcnt(0)
	v_fma_f64 v[2:3], v[139:140], v[141:142], v[2:3]
	ds_load_b128 v[135:138], v1 offset:752
	ds_load_b128 v[139:142], v1 offset:768
	s_waitcnt vmcnt(4)
	v_fma_f64 v[2:3], v[119:120], v[143:144], v[2:3]
	s_waitcnt lgkmcnt(1)
	s_delay_alu instid0(VALU_DEP_1) | instskip(SKIP_4) | instid1(VALU_DEP_1)
	v_fma_f64 v[2:3], v[121:122], v[135:136], v[2:3]
	scratch_load_b128 v[119:122], off, off offset:392
	s_waitcnt vmcnt(4)
	v_fma_f64 v[2:3], v[131:132], v[137:138], v[2:3]
	s_waitcnt lgkmcnt(0)
	v_fma_f64 v[2:3], v[133:134], v[139:140], v[2:3]
	scratch_load_b128 v[131:134], off, off offset:408
	s_waitcnt vmcnt(4)
	v_fma_f64 v[2:3], v[123:124], v[141:142], v[2:3]
	ds_load_b128 v[135:138], v1 offset:784
	ds_load_b128 v[139:142], v1 offset:800
	s_waitcnt lgkmcnt(1)
	v_fma_f64 v[2:3], v[125:126], v[135:136], v[2:3]
	s_waitcnt vmcnt(3)
	s_delay_alu instid0(VALU_DEP_1) | instskip(SKIP_1) | instid1(VALU_DEP_1)
	v_fma_f64 v[2:3], v[115:116], v[137:138], v[2:3]
	s_waitcnt lgkmcnt(0)
	v_fma_f64 v[2:3], v[117:118], v[139:140], v[2:3]
	ds_load_b128 v[115:118], v1 offset:816
	ds_load_b128 v[123:126], v1 offset:832
	s_waitcnt vmcnt(2)
	v_fma_f64 v[2:3], v[127:128], v[141:142], v[2:3]
	s_waitcnt lgkmcnt(1)
	s_delay_alu instid0(VALU_DEP_1) | instskip(SKIP_4) | instid1(VALU_DEP_1)
	v_fma_f64 v[2:3], v[129:130], v[115:116], v[2:3]
	ds_load_b64 v[115:116], v1 offset:848
	s_waitcnt vmcnt(1)
	v_fma_f64 v[2:3], v[119:120], v[117:118], v[2:3]
	s_waitcnt lgkmcnt(1)
	v_fma_f64 v[2:3], v[121:122], v[123:124], v[2:3]
	s_waitcnt vmcnt(0)
	s_delay_alu instid0(VALU_DEP_1) | instskip(SKIP_1) | instid1(VALU_DEP_1)
	v_fma_f64 v[2:3], v[131:132], v[125:126], v[2:3]
	s_waitcnt lgkmcnt(0)
	v_fma_f64 v[2:3], v[133:134], v[115:116], v[2:3]
	s_delay_alu instid0(VALU_DEP_1)
	v_add_f64 v[2:3], v[113:114], -v[2:3]
	scratch_store_b64 off, v[2:3], off offset:184
	v_cmpx_lt_u32_e32 22, v0
	s_cbranch_execz .LBB116_283
; %bb.282:
	scratch_load_b64 v[3:4], off, off offset:176
	v_mov_b32_e32 v2, v1
	scratch_store_b64 off, v[1:2], off offset:176
	s_waitcnt vmcnt(0)
	ds_store_b64 v5, v[3:4]
.LBB116_283:
	s_or_b32 exec_lo, exec_lo, s0
	s_waitcnt lgkmcnt(0)
	s_waitcnt_vscnt null, 0x0
	s_barrier
	buffer_gl0_inv
	s_clause 0x4
	scratch_load_b128 v[113:116], off, off offset:176
	scratch_load_b128 v[117:120], off, off offset:192
	;; [unrolled: 1-line block ×5, first 2 shown]
	ds_load_2addr_b64 v[133:136], v1 offset0:77 offset1:78
	ds_load_2addr_b64 v[137:140], v1 offset0:79 offset1:80
	scratch_load_b128 v[141:144], off, off offset:256
	s_mov_b32 s0, exec_lo
	s_waitcnt vmcnt(5) lgkmcnt(1)
	v_fma_f64 v[2:3], v[115:116], v[133:134], 0
	s_waitcnt vmcnt(4)
	s_delay_alu instid0(VALU_DEP_1) | instskip(SKIP_4) | instid1(VALU_DEP_1)
	v_fma_f64 v[2:3], v[117:118], v[135:136], v[2:3]
	scratch_load_b128 v[115:118], off, off offset:272
	s_waitcnt lgkmcnt(0)
	v_fma_f64 v[2:3], v[119:120], v[137:138], v[2:3]
	s_waitcnt vmcnt(4)
	v_fma_f64 v[2:3], v[121:122], v[139:140], v[2:3]
	ds_load_2addr_b64 v[119:122], v1 offset0:81 offset1:82
	ds_load_2addr_b64 v[133:136], v1 offset0:83 offset1:84
	scratch_load_b128 v[137:140], off, off offset:288
	s_waitcnt lgkmcnt(1)
	v_fma_f64 v[2:3], v[123:124], v[119:120], v[2:3]
	s_waitcnt vmcnt(4)
	s_delay_alu instid0(VALU_DEP_1) | instskip(SKIP_4) | instid1(VALU_DEP_1)
	v_fma_f64 v[2:3], v[125:126], v[121:122], v[2:3]
	scratch_load_b128 v[119:122], off, off offset:304
	s_waitcnt lgkmcnt(0)
	v_fma_f64 v[2:3], v[127:128], v[133:134], v[2:3]
	s_waitcnt vmcnt(4)
	v_fma_f64 v[2:3], v[129:130], v[135:136], v[2:3]
	ds_load_2addr_b64 v[123:126], v1 offset0:85 offset1:86
	ds_load_2addr_b64 v[127:130], v1 offset0:87 offset1:88
	s_waitcnt lgkmcnt(1)
	v_fma_f64 v[2:3], v[131:132], v[123:124], v[2:3]
	scratch_load_b128 v[131:134], off, off offset:320
	s_waitcnt vmcnt(4)
	v_fma_f64 v[2:3], v[141:142], v[125:126], v[2:3]
	scratch_load_b128 v[123:126], off, off offset:336
	s_waitcnt lgkmcnt(0)
	v_fma_f64 v[2:3], v[143:144], v[127:128], v[2:3]
	s_waitcnt vmcnt(4)
	s_delay_alu instid0(VALU_DEP_1)
	v_fma_f64 v[2:3], v[115:116], v[129:130], v[2:3]
	ds_load_2addr_b64 v[127:130], v1 offset0:89 offset1:90
	ds_load_2addr_b64 v[141:144], v1 offset0:91 offset1:92
	s_waitcnt lgkmcnt(1)
	v_fma_f64 v[2:3], v[117:118], v[127:128], v[2:3]
	scratch_load_b128 v[115:118], off, off offset:352
	s_waitcnt vmcnt(4)
	v_fma_f64 v[2:3], v[137:138], v[129:130], v[2:3]
	scratch_load_b128 v[127:130], off, off offset:368
	s_waitcnt lgkmcnt(0)
	v_fma_f64 v[2:3], v[139:140], v[141:142], v[2:3]
	ds_load_2addr_b64 v[135:138], v1 offset0:93 offset1:94
	ds_load_2addr_b64 v[139:142], v1 offset0:95 offset1:96
	s_waitcnt vmcnt(4)
	v_fma_f64 v[2:3], v[119:120], v[143:144], v[2:3]
	s_waitcnt lgkmcnt(1)
	s_delay_alu instid0(VALU_DEP_1) | instskip(SKIP_4) | instid1(VALU_DEP_1)
	v_fma_f64 v[2:3], v[121:122], v[135:136], v[2:3]
	scratch_load_b128 v[119:122], off, off offset:384
	s_waitcnt vmcnt(4)
	v_fma_f64 v[2:3], v[131:132], v[137:138], v[2:3]
	s_waitcnt lgkmcnt(0)
	v_fma_f64 v[2:3], v[133:134], v[139:140], v[2:3]
	scratch_load_b128 v[131:134], off, off offset:400
	s_waitcnt vmcnt(4)
	v_fma_f64 v[2:3], v[123:124], v[141:142], v[2:3]
	ds_load_2addr_b64 v[135:138], v1 offset0:97 offset1:98
	ds_load_2addr_b64 v[139:142], v1 offset0:99 offset1:100
	s_waitcnt lgkmcnt(1)
	v_fma_f64 v[2:3], v[125:126], v[135:136], v[2:3]
	scratch_load_b64 v[135:136], off, off offset:416
	s_waitcnt vmcnt(4)
	v_fma_f64 v[2:3], v[115:116], v[137:138], v[2:3]
	s_waitcnt lgkmcnt(0)
	s_delay_alu instid0(VALU_DEP_1)
	v_fma_f64 v[2:3], v[117:118], v[139:140], v[2:3]
	ds_load_2addr_b64 v[115:118], v1 offset0:101 offset1:102
	ds_load_2addr_b64 v[123:126], v1 offset0:103 offset1:104
	s_waitcnt vmcnt(3)
	v_fma_f64 v[2:3], v[127:128], v[141:142], v[2:3]
	s_waitcnt lgkmcnt(1)
	s_delay_alu instid0(VALU_DEP_1) | instskip(SKIP_1) | instid1(VALU_DEP_1)
	v_fma_f64 v[2:3], v[129:130], v[115:116], v[2:3]
	s_waitcnt vmcnt(2)
	v_fma_f64 v[2:3], v[119:120], v[117:118], v[2:3]
	s_waitcnt lgkmcnt(0)
	s_delay_alu instid0(VALU_DEP_1) | instskip(SKIP_1) | instid1(VALU_DEP_1)
	v_fma_f64 v[2:3], v[121:122], v[123:124], v[2:3]
	s_waitcnt vmcnt(1)
	v_fma_f64 v[115:116], v[131:132], v[125:126], v[2:3]
	ds_load_2addr_b64 v[1:4], v1 offset0:105 offset1:106
	s_waitcnt lgkmcnt(0)
	v_fma_f64 v[1:2], v[133:134], v[1:2], v[115:116]
	s_waitcnt vmcnt(0)
	s_delay_alu instid0(VALU_DEP_1) | instskip(NEXT) | instid1(VALU_DEP_1)
	v_fma_f64 v[1:2], v[135:136], v[3:4], v[1:2]
	v_add_f64 v[1:2], v[113:114], -v[1:2]
	scratch_store_b64 off, v[1:2], off offset:176
	v_cmpx_lt_u32_e32 21, v0
	s_cbranch_execz .LBB116_285
; %bb.284:
	scratch_load_b64 v[1:2], off, off offset:168
	v_mov_b32_e32 v3, 0
	s_delay_alu instid0(VALU_DEP_1)
	v_mov_b32_e32 v4, v3
	scratch_store_b64 off, v[3:4], off offset:168
	s_waitcnt vmcnt(0)
	ds_store_b64 v5, v[1:2]
.LBB116_285:
	s_or_b32 exec_lo, exec_lo, s0
	s_waitcnt lgkmcnt(0)
	s_waitcnt_vscnt null, 0x0
	s_barrier
	buffer_gl0_inv
	s_clause 0x4
	scratch_load_b128 v[113:116], off, off offset:168
	scratch_load_b128 v[117:120], off, off offset:184
	;; [unrolled: 1-line block ×5, first 2 shown]
	v_mov_b32_e32 v1, 0
	ds_load_b128 v[133:136], v1 offset:608
	ds_load_b128 v[137:140], v1 offset:624
	scratch_load_b128 v[141:144], off, off offset:248
	s_mov_b32 s0, exec_lo
	s_waitcnt vmcnt(5) lgkmcnt(1)
	v_fma_f64 v[2:3], v[115:116], v[133:134], 0
	s_waitcnt vmcnt(4)
	s_delay_alu instid0(VALU_DEP_1) | instskip(SKIP_4) | instid1(VALU_DEP_1)
	v_fma_f64 v[2:3], v[117:118], v[135:136], v[2:3]
	scratch_load_b128 v[115:118], off, off offset:264
	s_waitcnt lgkmcnt(0)
	v_fma_f64 v[2:3], v[119:120], v[137:138], v[2:3]
	s_waitcnt vmcnt(4)
	v_fma_f64 v[2:3], v[121:122], v[139:140], v[2:3]
	ds_load_b128 v[119:122], v1 offset:640
	ds_load_b128 v[133:136], v1 offset:656
	scratch_load_b128 v[137:140], off, off offset:280
	s_waitcnt lgkmcnt(1)
	v_fma_f64 v[2:3], v[123:124], v[119:120], v[2:3]
	s_waitcnt vmcnt(4)
	s_delay_alu instid0(VALU_DEP_1) | instskip(SKIP_4) | instid1(VALU_DEP_1)
	v_fma_f64 v[2:3], v[125:126], v[121:122], v[2:3]
	scratch_load_b128 v[119:122], off, off offset:296
	s_waitcnt lgkmcnt(0)
	v_fma_f64 v[2:3], v[127:128], v[133:134], v[2:3]
	s_waitcnt vmcnt(4)
	v_fma_f64 v[2:3], v[129:130], v[135:136], v[2:3]
	ds_load_b128 v[123:126], v1 offset:672
	ds_load_b128 v[127:130], v1 offset:688
	s_waitcnt lgkmcnt(1)
	v_fma_f64 v[2:3], v[131:132], v[123:124], v[2:3]
	scratch_load_b128 v[131:134], off, off offset:312
	s_waitcnt vmcnt(4)
	v_fma_f64 v[2:3], v[141:142], v[125:126], v[2:3]
	scratch_load_b128 v[123:126], off, off offset:328
	s_waitcnt lgkmcnt(0)
	v_fma_f64 v[2:3], v[143:144], v[127:128], v[2:3]
	s_waitcnt vmcnt(4)
	s_delay_alu instid0(VALU_DEP_1)
	v_fma_f64 v[2:3], v[115:116], v[129:130], v[2:3]
	ds_load_b128 v[127:130], v1 offset:704
	ds_load_b128 v[141:144], v1 offset:720
	s_waitcnt lgkmcnt(1)
	v_fma_f64 v[2:3], v[117:118], v[127:128], v[2:3]
	scratch_load_b128 v[115:118], off, off offset:344
	s_waitcnt vmcnt(4)
	v_fma_f64 v[2:3], v[137:138], v[129:130], v[2:3]
	scratch_load_b128 v[127:130], off, off offset:360
	s_waitcnt lgkmcnt(0)
	v_fma_f64 v[2:3], v[139:140], v[141:142], v[2:3]
	ds_load_b128 v[135:138], v1 offset:736
	ds_load_b128 v[139:142], v1 offset:752
	s_waitcnt vmcnt(4)
	v_fma_f64 v[2:3], v[119:120], v[143:144], v[2:3]
	s_waitcnt lgkmcnt(1)
	s_delay_alu instid0(VALU_DEP_1) | instskip(SKIP_4) | instid1(VALU_DEP_1)
	v_fma_f64 v[2:3], v[121:122], v[135:136], v[2:3]
	scratch_load_b128 v[119:122], off, off offset:376
	s_waitcnt vmcnt(4)
	v_fma_f64 v[2:3], v[131:132], v[137:138], v[2:3]
	s_waitcnt lgkmcnt(0)
	v_fma_f64 v[2:3], v[133:134], v[139:140], v[2:3]
	scratch_load_b128 v[131:134], off, off offset:392
	s_waitcnt vmcnt(4)
	v_fma_f64 v[2:3], v[123:124], v[141:142], v[2:3]
	ds_load_b128 v[135:138], v1 offset:768
	ds_load_b128 v[139:142], v1 offset:784
	s_waitcnt lgkmcnt(1)
	v_fma_f64 v[2:3], v[125:126], v[135:136], v[2:3]
	scratch_load_b128 v[123:126], off, off offset:408
	s_waitcnt vmcnt(4)
	v_fma_f64 v[2:3], v[115:116], v[137:138], v[2:3]
	s_waitcnt lgkmcnt(0)
	s_delay_alu instid0(VALU_DEP_1)
	v_fma_f64 v[2:3], v[117:118], v[139:140], v[2:3]
	ds_load_b128 v[115:118], v1 offset:800
	ds_load_b128 v[135:138], v1 offset:816
	s_waitcnt vmcnt(3)
	v_fma_f64 v[2:3], v[127:128], v[141:142], v[2:3]
	s_waitcnt lgkmcnt(1)
	s_delay_alu instid0(VALU_DEP_1) | instskip(SKIP_1) | instid1(VALU_DEP_1)
	v_fma_f64 v[2:3], v[129:130], v[115:116], v[2:3]
	s_waitcnt vmcnt(2)
	v_fma_f64 v[2:3], v[119:120], v[117:118], v[2:3]
	ds_load_b128 v[115:118], v1 offset:832
	ds_load_b64 v[119:120], v1 offset:848
	s_waitcnt lgkmcnt(2)
	v_fma_f64 v[2:3], v[121:122], v[135:136], v[2:3]
	s_waitcnt vmcnt(1)
	s_delay_alu instid0(VALU_DEP_1) | instskip(SKIP_1) | instid1(VALU_DEP_1)
	v_fma_f64 v[2:3], v[131:132], v[137:138], v[2:3]
	s_waitcnt lgkmcnt(1)
	v_fma_f64 v[2:3], v[133:134], v[115:116], v[2:3]
	s_waitcnt vmcnt(0)
	s_delay_alu instid0(VALU_DEP_1) | instskip(SKIP_1) | instid1(VALU_DEP_1)
	v_fma_f64 v[2:3], v[123:124], v[117:118], v[2:3]
	s_waitcnt lgkmcnt(0)
	v_fma_f64 v[2:3], v[125:126], v[119:120], v[2:3]
	s_delay_alu instid0(VALU_DEP_1)
	v_add_f64 v[2:3], v[113:114], -v[2:3]
	scratch_store_b64 off, v[2:3], off offset:168
	v_cmpx_lt_u32_e32 20, v0
	s_cbranch_execz .LBB116_287
; %bb.286:
	scratch_load_b64 v[3:4], off, off offset:160
	v_mov_b32_e32 v2, v1
	scratch_store_b64 off, v[1:2], off offset:160
	s_waitcnt vmcnt(0)
	ds_store_b64 v5, v[3:4]
.LBB116_287:
	s_or_b32 exec_lo, exec_lo, s0
	s_waitcnt lgkmcnt(0)
	s_waitcnt_vscnt null, 0x0
	s_barrier
	buffer_gl0_inv
	s_clause 0x4
	scratch_load_b128 v[113:116], off, off offset:160
	scratch_load_b128 v[117:120], off, off offset:176
	;; [unrolled: 1-line block ×5, first 2 shown]
	ds_load_2addr_b64 v[133:136], v1 offset0:75 offset1:76
	ds_load_2addr_b64 v[137:140], v1 offset0:77 offset1:78
	scratch_load_b128 v[141:144], off, off offset:240
	s_mov_b32 s0, exec_lo
	s_waitcnt vmcnt(5) lgkmcnt(1)
	v_fma_f64 v[2:3], v[115:116], v[133:134], 0
	s_waitcnt vmcnt(4)
	s_delay_alu instid0(VALU_DEP_1) | instskip(SKIP_4) | instid1(VALU_DEP_1)
	v_fma_f64 v[2:3], v[117:118], v[135:136], v[2:3]
	scratch_load_b128 v[115:118], off, off offset:256
	s_waitcnt lgkmcnt(0)
	v_fma_f64 v[2:3], v[119:120], v[137:138], v[2:3]
	s_waitcnt vmcnt(4)
	v_fma_f64 v[2:3], v[121:122], v[139:140], v[2:3]
	ds_load_2addr_b64 v[119:122], v1 offset0:79 offset1:80
	ds_load_2addr_b64 v[133:136], v1 offset0:81 offset1:82
	scratch_load_b128 v[137:140], off, off offset:272
	s_waitcnt lgkmcnt(1)
	v_fma_f64 v[2:3], v[123:124], v[119:120], v[2:3]
	s_waitcnt vmcnt(4)
	s_delay_alu instid0(VALU_DEP_1) | instskip(SKIP_4) | instid1(VALU_DEP_1)
	v_fma_f64 v[2:3], v[125:126], v[121:122], v[2:3]
	scratch_load_b128 v[119:122], off, off offset:288
	s_waitcnt lgkmcnt(0)
	v_fma_f64 v[2:3], v[127:128], v[133:134], v[2:3]
	s_waitcnt vmcnt(4)
	v_fma_f64 v[2:3], v[129:130], v[135:136], v[2:3]
	ds_load_2addr_b64 v[123:126], v1 offset0:83 offset1:84
	ds_load_2addr_b64 v[127:130], v1 offset0:85 offset1:86
	s_waitcnt lgkmcnt(1)
	v_fma_f64 v[2:3], v[131:132], v[123:124], v[2:3]
	scratch_load_b128 v[131:134], off, off offset:304
	s_waitcnt vmcnt(4)
	v_fma_f64 v[2:3], v[141:142], v[125:126], v[2:3]
	scratch_load_b128 v[123:126], off, off offset:320
	s_waitcnt lgkmcnt(0)
	v_fma_f64 v[2:3], v[143:144], v[127:128], v[2:3]
	s_waitcnt vmcnt(4)
	s_delay_alu instid0(VALU_DEP_1)
	v_fma_f64 v[2:3], v[115:116], v[129:130], v[2:3]
	ds_load_2addr_b64 v[127:130], v1 offset0:87 offset1:88
	ds_load_2addr_b64 v[141:144], v1 offset0:89 offset1:90
	s_waitcnt lgkmcnt(1)
	v_fma_f64 v[2:3], v[117:118], v[127:128], v[2:3]
	scratch_load_b128 v[115:118], off, off offset:336
	s_waitcnt vmcnt(4)
	v_fma_f64 v[2:3], v[137:138], v[129:130], v[2:3]
	scratch_load_b128 v[127:130], off, off offset:352
	s_waitcnt lgkmcnt(0)
	v_fma_f64 v[2:3], v[139:140], v[141:142], v[2:3]
	ds_load_2addr_b64 v[135:138], v1 offset0:91 offset1:92
	ds_load_2addr_b64 v[139:142], v1 offset0:93 offset1:94
	s_waitcnt vmcnt(4)
	v_fma_f64 v[2:3], v[119:120], v[143:144], v[2:3]
	s_waitcnt lgkmcnt(1)
	s_delay_alu instid0(VALU_DEP_1) | instskip(SKIP_4) | instid1(VALU_DEP_1)
	v_fma_f64 v[2:3], v[121:122], v[135:136], v[2:3]
	scratch_load_b128 v[119:122], off, off offset:368
	s_waitcnt vmcnt(4)
	v_fma_f64 v[2:3], v[131:132], v[137:138], v[2:3]
	s_waitcnt lgkmcnt(0)
	v_fma_f64 v[2:3], v[133:134], v[139:140], v[2:3]
	scratch_load_b128 v[131:134], off, off offset:384
	s_waitcnt vmcnt(4)
	v_fma_f64 v[2:3], v[123:124], v[141:142], v[2:3]
	ds_load_2addr_b64 v[135:138], v1 offset0:95 offset1:96
	ds_load_2addr_b64 v[139:142], v1 offset0:97 offset1:98
	s_waitcnt lgkmcnt(1)
	v_fma_f64 v[2:3], v[125:126], v[135:136], v[2:3]
	scratch_load_b128 v[123:126], off, off offset:400
	s_waitcnt vmcnt(4)
	v_fma_f64 v[2:3], v[115:116], v[137:138], v[2:3]
	s_waitcnt lgkmcnt(0)
	s_delay_alu instid0(VALU_DEP_1)
	v_fma_f64 v[2:3], v[117:118], v[139:140], v[2:3]
	scratch_load_b64 v[139:140], off, off offset:416
	ds_load_2addr_b64 v[115:118], v1 offset0:99 offset1:100
	ds_load_2addr_b64 v[135:138], v1 offset0:101 offset1:102
	s_waitcnt vmcnt(4)
	v_fma_f64 v[2:3], v[127:128], v[141:142], v[2:3]
	s_waitcnt lgkmcnt(1)
	s_delay_alu instid0(VALU_DEP_1) | instskip(SKIP_1) | instid1(VALU_DEP_1)
	v_fma_f64 v[2:3], v[129:130], v[115:116], v[2:3]
	s_waitcnt vmcnt(3)
	v_fma_f64 v[2:3], v[119:120], v[117:118], v[2:3]
	s_waitcnt lgkmcnt(0)
	s_delay_alu instid0(VALU_DEP_1) | instskip(SKIP_1) | instid1(VALU_DEP_1)
	v_fma_f64 v[2:3], v[121:122], v[135:136], v[2:3]
	s_waitcnt vmcnt(2)
	v_fma_f64 v[119:120], v[131:132], v[137:138], v[2:3]
	ds_load_2addr_b64 v[115:118], v1 offset0:103 offset1:104
	ds_load_2addr_b64 v[1:4], v1 offset0:105 offset1:106
	s_waitcnt lgkmcnt(1)
	v_fma_f64 v[115:116], v[133:134], v[115:116], v[119:120]
	s_waitcnt vmcnt(1)
	s_delay_alu instid0(VALU_DEP_1) | instskip(SKIP_1) | instid1(VALU_DEP_1)
	v_fma_f64 v[115:116], v[123:124], v[117:118], v[115:116]
	s_waitcnt lgkmcnt(0)
	v_fma_f64 v[1:2], v[125:126], v[1:2], v[115:116]
	s_waitcnt vmcnt(0)
	s_delay_alu instid0(VALU_DEP_1) | instskip(NEXT) | instid1(VALU_DEP_1)
	v_fma_f64 v[1:2], v[139:140], v[3:4], v[1:2]
	v_add_f64 v[1:2], v[113:114], -v[1:2]
	scratch_store_b64 off, v[1:2], off offset:160
	v_cmpx_lt_u32_e32 19, v0
	s_cbranch_execz .LBB116_289
; %bb.288:
	scratch_load_b64 v[1:2], off, off offset:152
	v_mov_b32_e32 v3, 0
	s_delay_alu instid0(VALU_DEP_1)
	v_mov_b32_e32 v4, v3
	scratch_store_b64 off, v[3:4], off offset:152
	s_waitcnt vmcnt(0)
	ds_store_b64 v5, v[1:2]
.LBB116_289:
	s_or_b32 exec_lo, exec_lo, s0
	s_waitcnt lgkmcnt(0)
	s_waitcnt_vscnt null, 0x0
	s_barrier
	buffer_gl0_inv
	s_clause 0x4
	scratch_load_b128 v[113:116], off, off offset:152
	scratch_load_b128 v[117:120], off, off offset:168
	;; [unrolled: 1-line block ×5, first 2 shown]
	v_mov_b32_e32 v1, 0
	ds_load_b128 v[133:136], v1 offset:592
	ds_load_b128 v[137:140], v1 offset:608
	scratch_load_b128 v[141:144], off, off offset:232
	s_mov_b32 s0, exec_lo
	s_waitcnt vmcnt(5) lgkmcnt(1)
	v_fma_f64 v[2:3], v[115:116], v[133:134], 0
	s_waitcnt vmcnt(4)
	s_delay_alu instid0(VALU_DEP_1) | instskip(SKIP_4) | instid1(VALU_DEP_1)
	v_fma_f64 v[2:3], v[117:118], v[135:136], v[2:3]
	scratch_load_b128 v[115:118], off, off offset:248
	s_waitcnt lgkmcnt(0)
	v_fma_f64 v[2:3], v[119:120], v[137:138], v[2:3]
	s_waitcnt vmcnt(4)
	v_fma_f64 v[2:3], v[121:122], v[139:140], v[2:3]
	ds_load_b128 v[119:122], v1 offset:624
	ds_load_b128 v[133:136], v1 offset:640
	scratch_load_b128 v[137:140], off, off offset:264
	s_waitcnt lgkmcnt(1)
	v_fma_f64 v[2:3], v[123:124], v[119:120], v[2:3]
	s_waitcnt vmcnt(4)
	s_delay_alu instid0(VALU_DEP_1) | instskip(SKIP_4) | instid1(VALU_DEP_1)
	v_fma_f64 v[2:3], v[125:126], v[121:122], v[2:3]
	scratch_load_b128 v[119:122], off, off offset:280
	s_waitcnt lgkmcnt(0)
	v_fma_f64 v[2:3], v[127:128], v[133:134], v[2:3]
	s_waitcnt vmcnt(4)
	v_fma_f64 v[2:3], v[129:130], v[135:136], v[2:3]
	ds_load_b128 v[123:126], v1 offset:656
	ds_load_b128 v[127:130], v1 offset:672
	s_waitcnt lgkmcnt(1)
	v_fma_f64 v[2:3], v[131:132], v[123:124], v[2:3]
	scratch_load_b128 v[131:134], off, off offset:296
	s_waitcnt vmcnt(4)
	v_fma_f64 v[2:3], v[141:142], v[125:126], v[2:3]
	scratch_load_b128 v[123:126], off, off offset:312
	s_waitcnt lgkmcnt(0)
	v_fma_f64 v[2:3], v[143:144], v[127:128], v[2:3]
	s_waitcnt vmcnt(4)
	s_delay_alu instid0(VALU_DEP_1)
	v_fma_f64 v[2:3], v[115:116], v[129:130], v[2:3]
	ds_load_b128 v[127:130], v1 offset:688
	ds_load_b128 v[141:144], v1 offset:704
	s_waitcnt lgkmcnt(1)
	v_fma_f64 v[2:3], v[117:118], v[127:128], v[2:3]
	scratch_load_b128 v[115:118], off, off offset:328
	s_waitcnt vmcnt(4)
	v_fma_f64 v[2:3], v[137:138], v[129:130], v[2:3]
	scratch_load_b128 v[127:130], off, off offset:344
	s_waitcnt lgkmcnt(0)
	v_fma_f64 v[2:3], v[139:140], v[141:142], v[2:3]
	ds_load_b128 v[135:138], v1 offset:720
	ds_load_b128 v[139:142], v1 offset:736
	s_waitcnt vmcnt(4)
	v_fma_f64 v[2:3], v[119:120], v[143:144], v[2:3]
	s_waitcnt lgkmcnt(1)
	s_delay_alu instid0(VALU_DEP_1) | instskip(SKIP_4) | instid1(VALU_DEP_1)
	v_fma_f64 v[2:3], v[121:122], v[135:136], v[2:3]
	scratch_load_b128 v[119:122], off, off offset:360
	s_waitcnt vmcnt(4)
	v_fma_f64 v[2:3], v[131:132], v[137:138], v[2:3]
	s_waitcnt lgkmcnt(0)
	v_fma_f64 v[2:3], v[133:134], v[139:140], v[2:3]
	scratch_load_b128 v[131:134], off, off offset:376
	s_waitcnt vmcnt(4)
	v_fma_f64 v[2:3], v[123:124], v[141:142], v[2:3]
	ds_load_b128 v[135:138], v1 offset:752
	ds_load_b128 v[139:142], v1 offset:768
	s_waitcnt lgkmcnt(1)
	v_fma_f64 v[2:3], v[125:126], v[135:136], v[2:3]
	scratch_load_b128 v[123:126], off, off offset:392
	s_waitcnt vmcnt(4)
	v_fma_f64 v[2:3], v[115:116], v[137:138], v[2:3]
	s_waitcnt lgkmcnt(0)
	s_delay_alu instid0(VALU_DEP_1)
	v_fma_f64 v[2:3], v[117:118], v[139:140], v[2:3]
	scratch_load_b128 v[115:118], off, off offset:408
	s_waitcnt vmcnt(4)
	v_fma_f64 v[2:3], v[127:128], v[141:142], v[2:3]
	ds_load_b128 v[135:138], v1 offset:784
	ds_load_b128 v[139:142], v1 offset:800
	s_waitcnt lgkmcnt(1)
	v_fma_f64 v[2:3], v[129:130], v[135:136], v[2:3]
	s_waitcnt vmcnt(3)
	s_delay_alu instid0(VALU_DEP_1) | instskip(SKIP_1) | instid1(VALU_DEP_1)
	v_fma_f64 v[2:3], v[119:120], v[137:138], v[2:3]
	s_waitcnt lgkmcnt(0)
	v_fma_f64 v[2:3], v[121:122], v[139:140], v[2:3]
	ds_load_b128 v[119:122], v1 offset:816
	ds_load_b128 v[127:130], v1 offset:832
	s_waitcnt vmcnt(2)
	v_fma_f64 v[2:3], v[131:132], v[141:142], v[2:3]
	s_waitcnt lgkmcnt(1)
	s_delay_alu instid0(VALU_DEP_1) | instskip(SKIP_1) | instid1(VALU_DEP_1)
	v_fma_f64 v[2:3], v[133:134], v[119:120], v[2:3]
	s_waitcnt vmcnt(1)
	v_fma_f64 v[2:3], v[123:124], v[121:122], v[2:3]
	s_waitcnt lgkmcnt(0)
	s_delay_alu instid0(VALU_DEP_1) | instskip(SKIP_1) | instid1(VALU_DEP_1)
	v_fma_f64 v[2:3], v[125:126], v[127:128], v[2:3]
	s_waitcnt vmcnt(0)
	v_fma_f64 v[2:3], v[115:116], v[129:130], v[2:3]
	ds_load_b64 v[115:116], v1 offset:848
	s_waitcnt lgkmcnt(0)
	v_fma_f64 v[2:3], v[117:118], v[115:116], v[2:3]
	s_delay_alu instid0(VALU_DEP_1)
	v_add_f64 v[2:3], v[113:114], -v[2:3]
	scratch_store_b64 off, v[2:3], off offset:152
	v_cmpx_lt_u32_e32 18, v0
	s_cbranch_execz .LBB116_291
; %bb.290:
	scratch_load_b64 v[3:4], off, off offset:144
	v_mov_b32_e32 v2, v1
	scratch_store_b64 off, v[1:2], off offset:144
	s_waitcnt vmcnt(0)
	ds_store_b64 v5, v[3:4]
.LBB116_291:
	s_or_b32 exec_lo, exec_lo, s0
	s_waitcnt lgkmcnt(0)
	s_waitcnt_vscnt null, 0x0
	s_barrier
	buffer_gl0_inv
	s_clause 0x4
	scratch_load_b128 v[113:116], off, off offset:144
	scratch_load_b128 v[117:120], off, off offset:160
	;; [unrolled: 1-line block ×5, first 2 shown]
	ds_load_2addr_b64 v[133:136], v1 offset0:73 offset1:74
	ds_load_2addr_b64 v[137:140], v1 offset0:75 offset1:76
	scratch_load_b128 v[141:144], off, off offset:224
	s_mov_b32 s0, exec_lo
	s_waitcnt vmcnt(5) lgkmcnt(1)
	v_fma_f64 v[2:3], v[115:116], v[133:134], 0
	s_waitcnt vmcnt(4)
	s_delay_alu instid0(VALU_DEP_1) | instskip(SKIP_4) | instid1(VALU_DEP_1)
	v_fma_f64 v[2:3], v[117:118], v[135:136], v[2:3]
	scratch_load_b128 v[115:118], off, off offset:240
	s_waitcnt lgkmcnt(0)
	v_fma_f64 v[2:3], v[119:120], v[137:138], v[2:3]
	s_waitcnt vmcnt(4)
	v_fma_f64 v[2:3], v[121:122], v[139:140], v[2:3]
	ds_load_2addr_b64 v[119:122], v1 offset0:77 offset1:78
	ds_load_2addr_b64 v[133:136], v1 offset0:79 offset1:80
	scratch_load_b128 v[137:140], off, off offset:256
	s_waitcnt lgkmcnt(1)
	v_fma_f64 v[2:3], v[123:124], v[119:120], v[2:3]
	s_waitcnt vmcnt(4)
	s_delay_alu instid0(VALU_DEP_1) | instskip(SKIP_4) | instid1(VALU_DEP_1)
	v_fma_f64 v[2:3], v[125:126], v[121:122], v[2:3]
	scratch_load_b128 v[119:122], off, off offset:272
	s_waitcnt lgkmcnt(0)
	v_fma_f64 v[2:3], v[127:128], v[133:134], v[2:3]
	s_waitcnt vmcnt(4)
	v_fma_f64 v[2:3], v[129:130], v[135:136], v[2:3]
	ds_load_2addr_b64 v[123:126], v1 offset0:81 offset1:82
	ds_load_2addr_b64 v[127:130], v1 offset0:83 offset1:84
	s_waitcnt lgkmcnt(1)
	v_fma_f64 v[2:3], v[131:132], v[123:124], v[2:3]
	scratch_load_b128 v[131:134], off, off offset:288
	s_waitcnt vmcnt(4)
	v_fma_f64 v[2:3], v[141:142], v[125:126], v[2:3]
	scratch_load_b128 v[123:126], off, off offset:304
	s_waitcnt lgkmcnt(0)
	v_fma_f64 v[2:3], v[143:144], v[127:128], v[2:3]
	s_waitcnt vmcnt(4)
	s_delay_alu instid0(VALU_DEP_1)
	v_fma_f64 v[2:3], v[115:116], v[129:130], v[2:3]
	ds_load_2addr_b64 v[127:130], v1 offset0:85 offset1:86
	ds_load_2addr_b64 v[141:144], v1 offset0:87 offset1:88
	s_waitcnt lgkmcnt(1)
	v_fma_f64 v[2:3], v[117:118], v[127:128], v[2:3]
	scratch_load_b128 v[115:118], off, off offset:320
	s_waitcnt vmcnt(4)
	v_fma_f64 v[2:3], v[137:138], v[129:130], v[2:3]
	scratch_load_b128 v[127:130], off, off offset:336
	s_waitcnt lgkmcnt(0)
	v_fma_f64 v[2:3], v[139:140], v[141:142], v[2:3]
	ds_load_2addr_b64 v[135:138], v1 offset0:89 offset1:90
	ds_load_2addr_b64 v[139:142], v1 offset0:91 offset1:92
	s_waitcnt vmcnt(4)
	v_fma_f64 v[2:3], v[119:120], v[143:144], v[2:3]
	s_waitcnt lgkmcnt(1)
	s_delay_alu instid0(VALU_DEP_1) | instskip(SKIP_4) | instid1(VALU_DEP_1)
	v_fma_f64 v[2:3], v[121:122], v[135:136], v[2:3]
	scratch_load_b128 v[119:122], off, off offset:352
	s_waitcnt vmcnt(4)
	v_fma_f64 v[2:3], v[131:132], v[137:138], v[2:3]
	s_waitcnt lgkmcnt(0)
	v_fma_f64 v[2:3], v[133:134], v[139:140], v[2:3]
	scratch_load_b128 v[131:134], off, off offset:368
	s_waitcnt vmcnt(4)
	v_fma_f64 v[2:3], v[123:124], v[141:142], v[2:3]
	ds_load_2addr_b64 v[135:138], v1 offset0:93 offset1:94
	ds_load_2addr_b64 v[139:142], v1 offset0:95 offset1:96
	s_waitcnt lgkmcnt(1)
	v_fma_f64 v[2:3], v[125:126], v[135:136], v[2:3]
	scratch_load_b128 v[123:126], off, off offset:384
	s_waitcnt vmcnt(4)
	v_fma_f64 v[2:3], v[115:116], v[137:138], v[2:3]
	s_waitcnt lgkmcnt(0)
	s_delay_alu instid0(VALU_DEP_1)
	v_fma_f64 v[2:3], v[117:118], v[139:140], v[2:3]
	scratch_load_b128 v[115:118], off, off offset:400
	s_waitcnt vmcnt(4)
	v_fma_f64 v[2:3], v[127:128], v[141:142], v[2:3]
	ds_load_2addr_b64 v[135:138], v1 offset0:97 offset1:98
	ds_load_2addr_b64 v[139:142], v1 offset0:99 offset1:100
	s_waitcnt lgkmcnt(1)
	v_fma_f64 v[2:3], v[129:130], v[135:136], v[2:3]
	scratch_load_b64 v[135:136], off, off offset:416
	s_waitcnt vmcnt(4)
	v_fma_f64 v[2:3], v[119:120], v[137:138], v[2:3]
	s_waitcnt lgkmcnt(0)
	s_delay_alu instid0(VALU_DEP_1)
	v_fma_f64 v[2:3], v[121:122], v[139:140], v[2:3]
	ds_load_2addr_b64 v[119:122], v1 offset0:101 offset1:102
	ds_load_2addr_b64 v[127:130], v1 offset0:103 offset1:104
	s_waitcnt vmcnt(3)
	v_fma_f64 v[2:3], v[131:132], v[141:142], v[2:3]
	s_waitcnt lgkmcnt(1)
	s_delay_alu instid0(VALU_DEP_1) | instskip(SKIP_1) | instid1(VALU_DEP_1)
	v_fma_f64 v[2:3], v[133:134], v[119:120], v[2:3]
	s_waitcnt vmcnt(2)
	v_fma_f64 v[2:3], v[123:124], v[121:122], v[2:3]
	s_waitcnt lgkmcnt(0)
	s_delay_alu instid0(VALU_DEP_1) | instskip(SKIP_1) | instid1(VALU_DEP_1)
	v_fma_f64 v[2:3], v[125:126], v[127:128], v[2:3]
	s_waitcnt vmcnt(1)
	v_fma_f64 v[115:116], v[115:116], v[129:130], v[2:3]
	ds_load_2addr_b64 v[1:4], v1 offset0:105 offset1:106
	s_waitcnt lgkmcnt(0)
	v_fma_f64 v[1:2], v[117:118], v[1:2], v[115:116]
	s_waitcnt vmcnt(0)
	s_delay_alu instid0(VALU_DEP_1) | instskip(NEXT) | instid1(VALU_DEP_1)
	v_fma_f64 v[1:2], v[135:136], v[3:4], v[1:2]
	v_add_f64 v[1:2], v[113:114], -v[1:2]
	scratch_store_b64 off, v[1:2], off offset:144
	v_cmpx_lt_u32_e32 17, v0
	s_cbranch_execz .LBB116_293
; %bb.292:
	scratch_load_b64 v[1:2], off, off offset:136
	v_mov_b32_e32 v3, 0
	s_delay_alu instid0(VALU_DEP_1)
	v_mov_b32_e32 v4, v3
	scratch_store_b64 off, v[3:4], off offset:136
	s_waitcnt vmcnt(0)
	ds_store_b64 v5, v[1:2]
.LBB116_293:
	s_or_b32 exec_lo, exec_lo, s0
	s_waitcnt lgkmcnt(0)
	s_waitcnt_vscnt null, 0x0
	s_barrier
	buffer_gl0_inv
	s_clause 0x4
	scratch_load_b128 v[113:116], off, off offset:136
	scratch_load_b128 v[117:120], off, off offset:152
	;; [unrolled: 1-line block ×5, first 2 shown]
	v_mov_b32_e32 v1, 0
	ds_load_b128 v[133:136], v1 offset:576
	ds_load_b128 v[137:140], v1 offset:592
	scratch_load_b128 v[141:144], off, off offset:216
	s_mov_b32 s0, exec_lo
	s_waitcnt vmcnt(5) lgkmcnt(1)
	v_fma_f64 v[2:3], v[115:116], v[133:134], 0
	s_waitcnt vmcnt(4)
	s_delay_alu instid0(VALU_DEP_1) | instskip(SKIP_4) | instid1(VALU_DEP_1)
	v_fma_f64 v[2:3], v[117:118], v[135:136], v[2:3]
	scratch_load_b128 v[115:118], off, off offset:232
	s_waitcnt lgkmcnt(0)
	v_fma_f64 v[2:3], v[119:120], v[137:138], v[2:3]
	s_waitcnt vmcnt(4)
	v_fma_f64 v[2:3], v[121:122], v[139:140], v[2:3]
	ds_load_b128 v[119:122], v1 offset:608
	ds_load_b128 v[133:136], v1 offset:624
	scratch_load_b128 v[137:140], off, off offset:248
	s_waitcnt lgkmcnt(1)
	v_fma_f64 v[2:3], v[123:124], v[119:120], v[2:3]
	s_waitcnt vmcnt(4)
	s_delay_alu instid0(VALU_DEP_1) | instskip(SKIP_4) | instid1(VALU_DEP_1)
	v_fma_f64 v[2:3], v[125:126], v[121:122], v[2:3]
	scratch_load_b128 v[119:122], off, off offset:264
	s_waitcnt lgkmcnt(0)
	v_fma_f64 v[2:3], v[127:128], v[133:134], v[2:3]
	s_waitcnt vmcnt(4)
	v_fma_f64 v[2:3], v[129:130], v[135:136], v[2:3]
	ds_load_b128 v[123:126], v1 offset:640
	ds_load_b128 v[127:130], v1 offset:656
	s_waitcnt lgkmcnt(1)
	v_fma_f64 v[2:3], v[131:132], v[123:124], v[2:3]
	scratch_load_b128 v[131:134], off, off offset:280
	s_waitcnt vmcnt(4)
	v_fma_f64 v[2:3], v[141:142], v[125:126], v[2:3]
	scratch_load_b128 v[123:126], off, off offset:296
	s_waitcnt lgkmcnt(0)
	v_fma_f64 v[2:3], v[143:144], v[127:128], v[2:3]
	s_waitcnt vmcnt(4)
	s_delay_alu instid0(VALU_DEP_1)
	v_fma_f64 v[2:3], v[115:116], v[129:130], v[2:3]
	ds_load_b128 v[127:130], v1 offset:672
	ds_load_b128 v[141:144], v1 offset:688
	s_waitcnt lgkmcnt(1)
	v_fma_f64 v[2:3], v[117:118], v[127:128], v[2:3]
	scratch_load_b128 v[115:118], off, off offset:312
	s_waitcnt vmcnt(4)
	v_fma_f64 v[2:3], v[137:138], v[129:130], v[2:3]
	scratch_load_b128 v[127:130], off, off offset:328
	s_waitcnt lgkmcnt(0)
	v_fma_f64 v[2:3], v[139:140], v[141:142], v[2:3]
	ds_load_b128 v[135:138], v1 offset:704
	ds_load_b128 v[139:142], v1 offset:720
	s_waitcnt vmcnt(4)
	v_fma_f64 v[2:3], v[119:120], v[143:144], v[2:3]
	s_waitcnt lgkmcnt(1)
	s_delay_alu instid0(VALU_DEP_1) | instskip(SKIP_4) | instid1(VALU_DEP_1)
	v_fma_f64 v[2:3], v[121:122], v[135:136], v[2:3]
	scratch_load_b128 v[119:122], off, off offset:344
	s_waitcnt vmcnt(4)
	v_fma_f64 v[2:3], v[131:132], v[137:138], v[2:3]
	s_waitcnt lgkmcnt(0)
	v_fma_f64 v[2:3], v[133:134], v[139:140], v[2:3]
	scratch_load_b128 v[131:134], off, off offset:360
	s_waitcnt vmcnt(4)
	v_fma_f64 v[2:3], v[123:124], v[141:142], v[2:3]
	ds_load_b128 v[135:138], v1 offset:736
	ds_load_b128 v[139:142], v1 offset:752
	s_waitcnt lgkmcnt(1)
	v_fma_f64 v[2:3], v[125:126], v[135:136], v[2:3]
	scratch_load_b128 v[123:126], off, off offset:376
	s_waitcnt vmcnt(4)
	v_fma_f64 v[2:3], v[115:116], v[137:138], v[2:3]
	s_waitcnt lgkmcnt(0)
	s_delay_alu instid0(VALU_DEP_1)
	v_fma_f64 v[2:3], v[117:118], v[139:140], v[2:3]
	scratch_load_b128 v[115:118], off, off offset:392
	s_waitcnt vmcnt(4)
	v_fma_f64 v[2:3], v[127:128], v[141:142], v[2:3]
	ds_load_b128 v[135:138], v1 offset:768
	ds_load_b128 v[139:142], v1 offset:784
	s_waitcnt lgkmcnt(1)
	v_fma_f64 v[2:3], v[129:130], v[135:136], v[2:3]
	scratch_load_b128 v[127:130], off, off offset:408
	s_waitcnt vmcnt(4)
	v_fma_f64 v[2:3], v[119:120], v[137:138], v[2:3]
	s_waitcnt lgkmcnt(0)
	s_delay_alu instid0(VALU_DEP_1)
	v_fma_f64 v[2:3], v[121:122], v[139:140], v[2:3]
	ds_load_b128 v[119:122], v1 offset:800
	ds_load_b128 v[135:138], v1 offset:816
	s_waitcnt vmcnt(3)
	v_fma_f64 v[2:3], v[131:132], v[141:142], v[2:3]
	s_waitcnt lgkmcnt(1)
	s_delay_alu instid0(VALU_DEP_1) | instskip(SKIP_1) | instid1(VALU_DEP_1)
	v_fma_f64 v[2:3], v[133:134], v[119:120], v[2:3]
	s_waitcnt vmcnt(2)
	v_fma_f64 v[2:3], v[123:124], v[121:122], v[2:3]
	s_waitcnt lgkmcnt(0)
	s_delay_alu instid0(VALU_DEP_1) | instskip(SKIP_1) | instid1(VALU_DEP_1)
	v_fma_f64 v[2:3], v[125:126], v[135:136], v[2:3]
	s_waitcnt vmcnt(1)
	v_fma_f64 v[2:3], v[115:116], v[137:138], v[2:3]
	ds_load_b128 v[119:122], v1 offset:832
	ds_load_b64 v[115:116], v1 offset:848
	s_waitcnt lgkmcnt(1)
	v_fma_f64 v[2:3], v[117:118], v[119:120], v[2:3]
	s_waitcnt vmcnt(0)
	s_delay_alu instid0(VALU_DEP_1) | instskip(SKIP_1) | instid1(VALU_DEP_1)
	v_fma_f64 v[2:3], v[127:128], v[121:122], v[2:3]
	s_waitcnt lgkmcnt(0)
	v_fma_f64 v[2:3], v[129:130], v[115:116], v[2:3]
	s_delay_alu instid0(VALU_DEP_1)
	v_add_f64 v[2:3], v[113:114], -v[2:3]
	scratch_store_b64 off, v[2:3], off offset:136
	v_cmpx_lt_u32_e32 16, v0
	s_cbranch_execz .LBB116_295
; %bb.294:
	scratch_load_b64 v[3:4], off, off offset:128
	v_mov_b32_e32 v2, v1
	scratch_store_b64 off, v[1:2], off offset:128
	s_waitcnt vmcnt(0)
	ds_store_b64 v5, v[3:4]
.LBB116_295:
	s_or_b32 exec_lo, exec_lo, s0
	s_waitcnt lgkmcnt(0)
	s_waitcnt_vscnt null, 0x0
	s_barrier
	buffer_gl0_inv
	s_clause 0x4
	scratch_load_b128 v[113:116], off, off offset:128
	scratch_load_b128 v[117:120], off, off offset:144
	;; [unrolled: 1-line block ×5, first 2 shown]
	ds_load_2addr_b64 v[133:136], v1 offset0:71 offset1:72
	ds_load_2addr_b64 v[137:140], v1 offset0:73 offset1:74
	scratch_load_b128 v[141:144], off, off offset:208
	s_mov_b32 s0, exec_lo
	s_waitcnt vmcnt(5) lgkmcnt(1)
	v_fma_f64 v[2:3], v[115:116], v[133:134], 0
	s_waitcnt vmcnt(4)
	s_delay_alu instid0(VALU_DEP_1) | instskip(SKIP_4) | instid1(VALU_DEP_1)
	v_fma_f64 v[2:3], v[117:118], v[135:136], v[2:3]
	scratch_load_b128 v[115:118], off, off offset:224
	s_waitcnt lgkmcnt(0)
	v_fma_f64 v[2:3], v[119:120], v[137:138], v[2:3]
	s_waitcnt vmcnt(4)
	v_fma_f64 v[2:3], v[121:122], v[139:140], v[2:3]
	ds_load_2addr_b64 v[119:122], v1 offset0:75 offset1:76
	ds_load_2addr_b64 v[133:136], v1 offset0:77 offset1:78
	scratch_load_b128 v[137:140], off, off offset:240
	s_waitcnt lgkmcnt(1)
	v_fma_f64 v[2:3], v[123:124], v[119:120], v[2:3]
	s_waitcnt vmcnt(4)
	s_delay_alu instid0(VALU_DEP_1) | instskip(SKIP_4) | instid1(VALU_DEP_1)
	v_fma_f64 v[2:3], v[125:126], v[121:122], v[2:3]
	scratch_load_b128 v[119:122], off, off offset:256
	s_waitcnt lgkmcnt(0)
	v_fma_f64 v[2:3], v[127:128], v[133:134], v[2:3]
	s_waitcnt vmcnt(4)
	v_fma_f64 v[2:3], v[129:130], v[135:136], v[2:3]
	ds_load_2addr_b64 v[123:126], v1 offset0:79 offset1:80
	ds_load_2addr_b64 v[127:130], v1 offset0:81 offset1:82
	s_waitcnt lgkmcnt(1)
	v_fma_f64 v[2:3], v[131:132], v[123:124], v[2:3]
	scratch_load_b128 v[131:134], off, off offset:272
	s_waitcnt vmcnt(4)
	v_fma_f64 v[2:3], v[141:142], v[125:126], v[2:3]
	scratch_load_b128 v[123:126], off, off offset:288
	s_waitcnt lgkmcnt(0)
	v_fma_f64 v[2:3], v[143:144], v[127:128], v[2:3]
	s_waitcnt vmcnt(4)
	s_delay_alu instid0(VALU_DEP_1)
	v_fma_f64 v[2:3], v[115:116], v[129:130], v[2:3]
	ds_load_2addr_b64 v[127:130], v1 offset0:83 offset1:84
	ds_load_2addr_b64 v[141:144], v1 offset0:85 offset1:86
	s_waitcnt lgkmcnt(1)
	v_fma_f64 v[2:3], v[117:118], v[127:128], v[2:3]
	scratch_load_b128 v[115:118], off, off offset:304
	s_waitcnt vmcnt(4)
	v_fma_f64 v[2:3], v[137:138], v[129:130], v[2:3]
	scratch_load_b128 v[127:130], off, off offset:320
	s_waitcnt lgkmcnt(0)
	v_fma_f64 v[2:3], v[139:140], v[141:142], v[2:3]
	ds_load_2addr_b64 v[135:138], v1 offset0:87 offset1:88
	ds_load_2addr_b64 v[139:142], v1 offset0:89 offset1:90
	s_waitcnt vmcnt(4)
	v_fma_f64 v[2:3], v[119:120], v[143:144], v[2:3]
	s_waitcnt lgkmcnt(1)
	s_delay_alu instid0(VALU_DEP_1) | instskip(SKIP_4) | instid1(VALU_DEP_1)
	v_fma_f64 v[2:3], v[121:122], v[135:136], v[2:3]
	scratch_load_b128 v[119:122], off, off offset:336
	s_waitcnt vmcnt(4)
	v_fma_f64 v[2:3], v[131:132], v[137:138], v[2:3]
	s_waitcnt lgkmcnt(0)
	v_fma_f64 v[2:3], v[133:134], v[139:140], v[2:3]
	scratch_load_b128 v[131:134], off, off offset:352
	s_waitcnt vmcnt(4)
	v_fma_f64 v[2:3], v[123:124], v[141:142], v[2:3]
	ds_load_2addr_b64 v[135:138], v1 offset0:91 offset1:92
	ds_load_2addr_b64 v[139:142], v1 offset0:93 offset1:94
	s_waitcnt lgkmcnt(1)
	v_fma_f64 v[2:3], v[125:126], v[135:136], v[2:3]
	scratch_load_b128 v[123:126], off, off offset:368
	s_waitcnt vmcnt(4)
	v_fma_f64 v[2:3], v[115:116], v[137:138], v[2:3]
	s_waitcnt lgkmcnt(0)
	s_delay_alu instid0(VALU_DEP_1)
	v_fma_f64 v[2:3], v[117:118], v[139:140], v[2:3]
	scratch_load_b128 v[115:118], off, off offset:384
	s_waitcnt vmcnt(4)
	v_fma_f64 v[2:3], v[127:128], v[141:142], v[2:3]
	ds_load_2addr_b64 v[135:138], v1 offset0:95 offset1:96
	ds_load_2addr_b64 v[139:142], v1 offset0:97 offset1:98
	s_waitcnt lgkmcnt(1)
	v_fma_f64 v[2:3], v[129:130], v[135:136], v[2:3]
	scratch_load_b128 v[127:130], off, off offset:400
	s_waitcnt vmcnt(4)
	v_fma_f64 v[2:3], v[119:120], v[137:138], v[2:3]
	s_waitcnt lgkmcnt(0)
	s_delay_alu instid0(VALU_DEP_1)
	v_fma_f64 v[2:3], v[121:122], v[139:140], v[2:3]
	scratch_load_b64 v[139:140], off, off offset:416
	ds_load_2addr_b64 v[119:122], v1 offset0:99 offset1:100
	ds_load_2addr_b64 v[135:138], v1 offset0:101 offset1:102
	s_waitcnt vmcnt(4)
	v_fma_f64 v[2:3], v[131:132], v[141:142], v[2:3]
	s_waitcnt lgkmcnt(1)
	s_delay_alu instid0(VALU_DEP_1) | instskip(SKIP_1) | instid1(VALU_DEP_1)
	v_fma_f64 v[2:3], v[133:134], v[119:120], v[2:3]
	s_waitcnt vmcnt(3)
	v_fma_f64 v[2:3], v[123:124], v[121:122], v[2:3]
	s_waitcnt lgkmcnt(0)
	s_delay_alu instid0(VALU_DEP_1) | instskip(SKIP_1) | instid1(VALU_DEP_1)
	v_fma_f64 v[2:3], v[125:126], v[135:136], v[2:3]
	s_waitcnt vmcnt(2)
	v_fma_f64 v[115:116], v[115:116], v[137:138], v[2:3]
	ds_load_2addr_b64 v[119:122], v1 offset0:103 offset1:104
	ds_load_2addr_b64 v[1:4], v1 offset0:105 offset1:106
	s_waitcnt lgkmcnt(1)
	v_fma_f64 v[115:116], v[117:118], v[119:120], v[115:116]
	s_waitcnt vmcnt(1)
	s_delay_alu instid0(VALU_DEP_1) | instskip(SKIP_1) | instid1(VALU_DEP_1)
	v_fma_f64 v[115:116], v[127:128], v[121:122], v[115:116]
	s_waitcnt lgkmcnt(0)
	v_fma_f64 v[1:2], v[129:130], v[1:2], v[115:116]
	s_waitcnt vmcnt(0)
	s_delay_alu instid0(VALU_DEP_1) | instskip(NEXT) | instid1(VALU_DEP_1)
	v_fma_f64 v[1:2], v[139:140], v[3:4], v[1:2]
	v_add_f64 v[1:2], v[113:114], -v[1:2]
	scratch_store_b64 off, v[1:2], off offset:128
	v_cmpx_lt_u32_e32 15, v0
	s_cbranch_execz .LBB116_297
; %bb.296:
	scratch_load_b64 v[1:2], off, off offset:120
	v_mov_b32_e32 v3, 0
	s_delay_alu instid0(VALU_DEP_1)
	v_mov_b32_e32 v4, v3
	scratch_store_b64 off, v[3:4], off offset:120
	s_waitcnt vmcnt(0)
	ds_store_b64 v5, v[1:2]
.LBB116_297:
	s_or_b32 exec_lo, exec_lo, s0
	s_waitcnt lgkmcnt(0)
	s_waitcnt_vscnt null, 0x0
	s_barrier
	buffer_gl0_inv
	s_clause 0x4
	scratch_load_b128 v[113:116], off, off offset:120
	scratch_load_b128 v[117:120], off, off offset:136
	;; [unrolled: 1-line block ×5, first 2 shown]
	v_mov_b32_e32 v1, 0
	ds_load_b128 v[133:136], v1 offset:560
	ds_load_b128 v[137:140], v1 offset:576
	scratch_load_b128 v[141:144], off, off offset:200
	s_mov_b32 s0, exec_lo
	s_waitcnt vmcnt(5) lgkmcnt(1)
	v_fma_f64 v[2:3], v[115:116], v[133:134], 0
	s_waitcnt vmcnt(4)
	s_delay_alu instid0(VALU_DEP_1) | instskip(SKIP_4) | instid1(VALU_DEP_1)
	v_fma_f64 v[2:3], v[117:118], v[135:136], v[2:3]
	scratch_load_b128 v[115:118], off, off offset:216
	s_waitcnt lgkmcnt(0)
	v_fma_f64 v[2:3], v[119:120], v[137:138], v[2:3]
	s_waitcnt vmcnt(4)
	v_fma_f64 v[2:3], v[121:122], v[139:140], v[2:3]
	ds_load_b128 v[119:122], v1 offset:592
	ds_load_b128 v[133:136], v1 offset:608
	scratch_load_b128 v[137:140], off, off offset:232
	s_waitcnt lgkmcnt(1)
	v_fma_f64 v[2:3], v[123:124], v[119:120], v[2:3]
	s_waitcnt vmcnt(4)
	s_delay_alu instid0(VALU_DEP_1) | instskip(SKIP_4) | instid1(VALU_DEP_1)
	v_fma_f64 v[2:3], v[125:126], v[121:122], v[2:3]
	scratch_load_b128 v[119:122], off, off offset:248
	s_waitcnt lgkmcnt(0)
	v_fma_f64 v[2:3], v[127:128], v[133:134], v[2:3]
	s_waitcnt vmcnt(4)
	v_fma_f64 v[2:3], v[129:130], v[135:136], v[2:3]
	ds_load_b128 v[123:126], v1 offset:624
	ds_load_b128 v[127:130], v1 offset:640
	s_waitcnt lgkmcnt(1)
	v_fma_f64 v[2:3], v[131:132], v[123:124], v[2:3]
	scratch_load_b128 v[131:134], off, off offset:264
	s_waitcnt vmcnt(4)
	v_fma_f64 v[2:3], v[141:142], v[125:126], v[2:3]
	scratch_load_b128 v[123:126], off, off offset:280
	s_waitcnt lgkmcnt(0)
	v_fma_f64 v[2:3], v[143:144], v[127:128], v[2:3]
	s_waitcnt vmcnt(4)
	s_delay_alu instid0(VALU_DEP_1)
	v_fma_f64 v[2:3], v[115:116], v[129:130], v[2:3]
	ds_load_b128 v[127:130], v1 offset:656
	ds_load_b128 v[141:144], v1 offset:672
	s_waitcnt lgkmcnt(1)
	v_fma_f64 v[2:3], v[117:118], v[127:128], v[2:3]
	scratch_load_b128 v[115:118], off, off offset:296
	s_waitcnt vmcnt(4)
	v_fma_f64 v[2:3], v[137:138], v[129:130], v[2:3]
	scratch_load_b128 v[127:130], off, off offset:312
	s_waitcnt lgkmcnt(0)
	v_fma_f64 v[2:3], v[139:140], v[141:142], v[2:3]
	ds_load_b128 v[135:138], v1 offset:688
	ds_load_b128 v[139:142], v1 offset:704
	s_waitcnt vmcnt(4)
	v_fma_f64 v[2:3], v[119:120], v[143:144], v[2:3]
	s_waitcnt lgkmcnt(1)
	s_delay_alu instid0(VALU_DEP_1) | instskip(SKIP_4) | instid1(VALU_DEP_1)
	v_fma_f64 v[2:3], v[121:122], v[135:136], v[2:3]
	scratch_load_b128 v[119:122], off, off offset:328
	s_waitcnt vmcnt(4)
	v_fma_f64 v[2:3], v[131:132], v[137:138], v[2:3]
	s_waitcnt lgkmcnt(0)
	v_fma_f64 v[2:3], v[133:134], v[139:140], v[2:3]
	scratch_load_b128 v[131:134], off, off offset:344
	s_waitcnt vmcnt(4)
	v_fma_f64 v[2:3], v[123:124], v[141:142], v[2:3]
	ds_load_b128 v[135:138], v1 offset:720
	ds_load_b128 v[139:142], v1 offset:736
	s_waitcnt lgkmcnt(1)
	v_fma_f64 v[2:3], v[125:126], v[135:136], v[2:3]
	scratch_load_b128 v[123:126], off, off offset:360
	s_waitcnt vmcnt(4)
	v_fma_f64 v[2:3], v[115:116], v[137:138], v[2:3]
	s_waitcnt lgkmcnt(0)
	s_delay_alu instid0(VALU_DEP_1)
	v_fma_f64 v[2:3], v[117:118], v[139:140], v[2:3]
	scratch_load_b128 v[115:118], off, off offset:376
	s_waitcnt vmcnt(4)
	v_fma_f64 v[2:3], v[127:128], v[141:142], v[2:3]
	ds_load_b128 v[135:138], v1 offset:752
	ds_load_b128 v[139:142], v1 offset:768
	s_waitcnt lgkmcnt(1)
	v_fma_f64 v[2:3], v[129:130], v[135:136], v[2:3]
	scratch_load_b128 v[127:130], off, off offset:392
	s_waitcnt vmcnt(4)
	v_fma_f64 v[2:3], v[119:120], v[137:138], v[2:3]
	s_waitcnt lgkmcnt(0)
	s_delay_alu instid0(VALU_DEP_1)
	v_fma_f64 v[2:3], v[121:122], v[139:140], v[2:3]
	scratch_load_b128 v[119:122], off, off offset:408
	s_waitcnt vmcnt(4)
	v_fma_f64 v[2:3], v[131:132], v[141:142], v[2:3]
	ds_load_b128 v[135:138], v1 offset:784
	ds_load_b128 v[139:142], v1 offset:800
	s_waitcnt lgkmcnt(1)
	v_fma_f64 v[2:3], v[133:134], v[135:136], v[2:3]
	s_waitcnt vmcnt(3)
	s_delay_alu instid0(VALU_DEP_1) | instskip(SKIP_1) | instid1(VALU_DEP_1)
	v_fma_f64 v[2:3], v[123:124], v[137:138], v[2:3]
	s_waitcnt lgkmcnt(0)
	v_fma_f64 v[2:3], v[125:126], v[139:140], v[2:3]
	ds_load_b128 v[123:126], v1 offset:816
	ds_load_b128 v[131:134], v1 offset:832
	s_waitcnt vmcnt(2)
	v_fma_f64 v[2:3], v[115:116], v[141:142], v[2:3]
	ds_load_b64 v[115:116], v1 offset:848
	s_waitcnt lgkmcnt(2)
	v_fma_f64 v[2:3], v[117:118], v[123:124], v[2:3]
	s_waitcnt vmcnt(1)
	s_delay_alu instid0(VALU_DEP_1) | instskip(SKIP_1) | instid1(VALU_DEP_1)
	v_fma_f64 v[2:3], v[127:128], v[125:126], v[2:3]
	s_waitcnt lgkmcnt(1)
	v_fma_f64 v[2:3], v[129:130], v[131:132], v[2:3]
	s_waitcnt vmcnt(0)
	s_delay_alu instid0(VALU_DEP_1) | instskip(SKIP_1) | instid1(VALU_DEP_1)
	v_fma_f64 v[2:3], v[119:120], v[133:134], v[2:3]
	s_waitcnt lgkmcnt(0)
	v_fma_f64 v[2:3], v[121:122], v[115:116], v[2:3]
	s_delay_alu instid0(VALU_DEP_1)
	v_add_f64 v[2:3], v[113:114], -v[2:3]
	scratch_store_b64 off, v[2:3], off offset:120
	v_cmpx_lt_u32_e32 14, v0
	s_cbranch_execz .LBB116_299
; %bb.298:
	scratch_load_b64 v[3:4], off, off offset:112
	v_mov_b32_e32 v2, v1
	scratch_store_b64 off, v[1:2], off offset:112
	s_waitcnt vmcnt(0)
	ds_store_b64 v5, v[3:4]
.LBB116_299:
	s_or_b32 exec_lo, exec_lo, s0
	s_waitcnt lgkmcnt(0)
	s_waitcnt_vscnt null, 0x0
	s_barrier
	buffer_gl0_inv
	s_clause 0x4
	scratch_load_b128 v[113:116], off, off offset:112
	scratch_load_b128 v[117:120], off, off offset:128
	;; [unrolled: 1-line block ×5, first 2 shown]
	ds_load_2addr_b64 v[133:136], v1 offset0:69 offset1:70
	ds_load_2addr_b64 v[137:140], v1 offset0:71 offset1:72
	scratch_load_b128 v[141:144], off, off offset:192
	s_mov_b32 s0, exec_lo
	s_waitcnt vmcnt(5) lgkmcnt(1)
	v_fma_f64 v[2:3], v[115:116], v[133:134], 0
	s_waitcnt vmcnt(4)
	s_delay_alu instid0(VALU_DEP_1) | instskip(SKIP_4) | instid1(VALU_DEP_1)
	v_fma_f64 v[2:3], v[117:118], v[135:136], v[2:3]
	scratch_load_b128 v[115:118], off, off offset:208
	s_waitcnt lgkmcnt(0)
	v_fma_f64 v[2:3], v[119:120], v[137:138], v[2:3]
	s_waitcnt vmcnt(4)
	v_fma_f64 v[2:3], v[121:122], v[139:140], v[2:3]
	ds_load_2addr_b64 v[119:122], v1 offset0:73 offset1:74
	ds_load_2addr_b64 v[133:136], v1 offset0:75 offset1:76
	scratch_load_b128 v[137:140], off, off offset:224
	s_waitcnt lgkmcnt(1)
	v_fma_f64 v[2:3], v[123:124], v[119:120], v[2:3]
	s_waitcnt vmcnt(4)
	s_delay_alu instid0(VALU_DEP_1) | instskip(SKIP_4) | instid1(VALU_DEP_1)
	v_fma_f64 v[2:3], v[125:126], v[121:122], v[2:3]
	scratch_load_b128 v[119:122], off, off offset:240
	s_waitcnt lgkmcnt(0)
	v_fma_f64 v[2:3], v[127:128], v[133:134], v[2:3]
	s_waitcnt vmcnt(4)
	v_fma_f64 v[2:3], v[129:130], v[135:136], v[2:3]
	ds_load_2addr_b64 v[123:126], v1 offset0:77 offset1:78
	ds_load_2addr_b64 v[127:130], v1 offset0:79 offset1:80
	s_waitcnt lgkmcnt(1)
	v_fma_f64 v[2:3], v[131:132], v[123:124], v[2:3]
	scratch_load_b128 v[131:134], off, off offset:256
	s_waitcnt vmcnt(4)
	v_fma_f64 v[2:3], v[141:142], v[125:126], v[2:3]
	scratch_load_b128 v[123:126], off, off offset:272
	s_waitcnt lgkmcnt(0)
	v_fma_f64 v[2:3], v[143:144], v[127:128], v[2:3]
	s_waitcnt vmcnt(4)
	s_delay_alu instid0(VALU_DEP_1)
	v_fma_f64 v[2:3], v[115:116], v[129:130], v[2:3]
	ds_load_2addr_b64 v[127:130], v1 offset0:81 offset1:82
	ds_load_2addr_b64 v[141:144], v1 offset0:83 offset1:84
	s_waitcnt lgkmcnt(1)
	v_fma_f64 v[2:3], v[117:118], v[127:128], v[2:3]
	scratch_load_b128 v[115:118], off, off offset:288
	s_waitcnt vmcnt(4)
	v_fma_f64 v[2:3], v[137:138], v[129:130], v[2:3]
	scratch_load_b128 v[127:130], off, off offset:304
	s_waitcnt lgkmcnt(0)
	v_fma_f64 v[2:3], v[139:140], v[141:142], v[2:3]
	ds_load_2addr_b64 v[135:138], v1 offset0:85 offset1:86
	ds_load_2addr_b64 v[139:142], v1 offset0:87 offset1:88
	s_waitcnt vmcnt(4)
	v_fma_f64 v[2:3], v[119:120], v[143:144], v[2:3]
	s_waitcnt lgkmcnt(1)
	s_delay_alu instid0(VALU_DEP_1) | instskip(SKIP_4) | instid1(VALU_DEP_1)
	v_fma_f64 v[2:3], v[121:122], v[135:136], v[2:3]
	scratch_load_b128 v[119:122], off, off offset:320
	s_waitcnt vmcnt(4)
	v_fma_f64 v[2:3], v[131:132], v[137:138], v[2:3]
	s_waitcnt lgkmcnt(0)
	v_fma_f64 v[2:3], v[133:134], v[139:140], v[2:3]
	scratch_load_b128 v[131:134], off, off offset:336
	s_waitcnt vmcnt(4)
	v_fma_f64 v[2:3], v[123:124], v[141:142], v[2:3]
	ds_load_2addr_b64 v[135:138], v1 offset0:89 offset1:90
	ds_load_2addr_b64 v[139:142], v1 offset0:91 offset1:92
	s_waitcnt lgkmcnt(1)
	v_fma_f64 v[2:3], v[125:126], v[135:136], v[2:3]
	scratch_load_b128 v[123:126], off, off offset:352
	s_waitcnt vmcnt(4)
	v_fma_f64 v[2:3], v[115:116], v[137:138], v[2:3]
	s_waitcnt lgkmcnt(0)
	s_delay_alu instid0(VALU_DEP_1)
	v_fma_f64 v[2:3], v[117:118], v[139:140], v[2:3]
	scratch_load_b128 v[115:118], off, off offset:368
	s_waitcnt vmcnt(4)
	v_fma_f64 v[2:3], v[127:128], v[141:142], v[2:3]
	ds_load_2addr_b64 v[135:138], v1 offset0:93 offset1:94
	ds_load_2addr_b64 v[139:142], v1 offset0:95 offset1:96
	s_waitcnt lgkmcnt(1)
	v_fma_f64 v[2:3], v[129:130], v[135:136], v[2:3]
	scratch_load_b128 v[127:130], off, off offset:384
	s_waitcnt vmcnt(4)
	v_fma_f64 v[2:3], v[119:120], v[137:138], v[2:3]
	s_waitcnt lgkmcnt(0)
	s_delay_alu instid0(VALU_DEP_1)
	v_fma_f64 v[2:3], v[121:122], v[139:140], v[2:3]
	scratch_load_b128 v[119:122], off, off offset:400
	s_waitcnt vmcnt(4)
	v_fma_f64 v[2:3], v[131:132], v[141:142], v[2:3]
	ds_load_2addr_b64 v[135:138], v1 offset0:97 offset1:98
	ds_load_2addr_b64 v[139:142], v1 offset0:99 offset1:100
	s_waitcnt lgkmcnt(1)
	v_fma_f64 v[2:3], v[133:134], v[135:136], v[2:3]
	scratch_load_b64 v[135:136], off, off offset:416
	s_waitcnt vmcnt(4)
	v_fma_f64 v[2:3], v[123:124], v[137:138], v[2:3]
	s_waitcnt lgkmcnt(0)
	s_delay_alu instid0(VALU_DEP_1)
	v_fma_f64 v[2:3], v[125:126], v[139:140], v[2:3]
	ds_load_2addr_b64 v[123:126], v1 offset0:101 offset1:102
	ds_load_2addr_b64 v[131:134], v1 offset0:103 offset1:104
	s_waitcnt vmcnt(3)
	v_fma_f64 v[2:3], v[115:116], v[141:142], v[2:3]
	s_waitcnt lgkmcnt(1)
	s_delay_alu instid0(VALU_DEP_1) | instskip(SKIP_1) | instid1(VALU_DEP_1)
	v_fma_f64 v[2:3], v[117:118], v[123:124], v[2:3]
	s_waitcnt vmcnt(2)
	v_fma_f64 v[2:3], v[127:128], v[125:126], v[2:3]
	s_waitcnt lgkmcnt(0)
	s_delay_alu instid0(VALU_DEP_1) | instskip(SKIP_1) | instid1(VALU_DEP_1)
	v_fma_f64 v[2:3], v[129:130], v[131:132], v[2:3]
	s_waitcnt vmcnt(1)
	v_fma_f64 v[115:116], v[119:120], v[133:134], v[2:3]
	ds_load_2addr_b64 v[1:4], v1 offset0:105 offset1:106
	s_waitcnt lgkmcnt(0)
	v_fma_f64 v[1:2], v[121:122], v[1:2], v[115:116]
	s_waitcnt vmcnt(0)
	s_delay_alu instid0(VALU_DEP_1) | instskip(NEXT) | instid1(VALU_DEP_1)
	v_fma_f64 v[1:2], v[135:136], v[3:4], v[1:2]
	v_add_f64 v[1:2], v[113:114], -v[1:2]
	scratch_store_b64 off, v[1:2], off offset:112
	v_cmpx_lt_u32_e32 13, v0
	s_cbranch_execz .LBB116_301
; %bb.300:
	scratch_load_b64 v[1:2], off, off offset:104
	v_mov_b32_e32 v3, 0
	s_delay_alu instid0(VALU_DEP_1)
	v_mov_b32_e32 v4, v3
	scratch_store_b64 off, v[3:4], off offset:104
	s_waitcnt vmcnt(0)
	ds_store_b64 v5, v[1:2]
.LBB116_301:
	s_or_b32 exec_lo, exec_lo, s0
	s_waitcnt lgkmcnt(0)
	s_waitcnt_vscnt null, 0x0
	s_barrier
	buffer_gl0_inv
	s_clause 0x4
	scratch_load_b128 v[113:116], off, off offset:104
	scratch_load_b128 v[117:120], off, off offset:120
	;; [unrolled: 1-line block ×5, first 2 shown]
	v_mov_b32_e32 v1, 0
	ds_load_b128 v[133:136], v1 offset:544
	ds_load_b128 v[137:140], v1 offset:560
	scratch_load_b128 v[141:144], off, off offset:184
	s_mov_b32 s0, exec_lo
	s_waitcnt vmcnt(5) lgkmcnt(1)
	v_fma_f64 v[2:3], v[115:116], v[133:134], 0
	s_waitcnt vmcnt(4)
	s_delay_alu instid0(VALU_DEP_1) | instskip(SKIP_4) | instid1(VALU_DEP_1)
	v_fma_f64 v[2:3], v[117:118], v[135:136], v[2:3]
	scratch_load_b128 v[115:118], off, off offset:200
	s_waitcnt lgkmcnt(0)
	v_fma_f64 v[2:3], v[119:120], v[137:138], v[2:3]
	s_waitcnt vmcnt(4)
	v_fma_f64 v[2:3], v[121:122], v[139:140], v[2:3]
	ds_load_b128 v[119:122], v1 offset:576
	ds_load_b128 v[133:136], v1 offset:592
	scratch_load_b128 v[137:140], off, off offset:216
	s_waitcnt lgkmcnt(1)
	v_fma_f64 v[2:3], v[123:124], v[119:120], v[2:3]
	s_waitcnt vmcnt(4)
	s_delay_alu instid0(VALU_DEP_1) | instskip(SKIP_4) | instid1(VALU_DEP_1)
	v_fma_f64 v[2:3], v[125:126], v[121:122], v[2:3]
	scratch_load_b128 v[119:122], off, off offset:232
	s_waitcnt lgkmcnt(0)
	v_fma_f64 v[2:3], v[127:128], v[133:134], v[2:3]
	s_waitcnt vmcnt(4)
	v_fma_f64 v[2:3], v[129:130], v[135:136], v[2:3]
	ds_load_b128 v[123:126], v1 offset:608
	ds_load_b128 v[127:130], v1 offset:624
	s_waitcnt lgkmcnt(1)
	v_fma_f64 v[2:3], v[131:132], v[123:124], v[2:3]
	scratch_load_b128 v[131:134], off, off offset:248
	s_waitcnt vmcnt(4)
	v_fma_f64 v[2:3], v[141:142], v[125:126], v[2:3]
	scratch_load_b128 v[123:126], off, off offset:264
	s_waitcnt lgkmcnt(0)
	v_fma_f64 v[2:3], v[143:144], v[127:128], v[2:3]
	s_waitcnt vmcnt(4)
	s_delay_alu instid0(VALU_DEP_1)
	v_fma_f64 v[2:3], v[115:116], v[129:130], v[2:3]
	ds_load_b128 v[127:130], v1 offset:640
	ds_load_b128 v[141:144], v1 offset:656
	s_waitcnt lgkmcnt(1)
	v_fma_f64 v[2:3], v[117:118], v[127:128], v[2:3]
	scratch_load_b128 v[115:118], off, off offset:280
	s_waitcnt vmcnt(4)
	v_fma_f64 v[2:3], v[137:138], v[129:130], v[2:3]
	scratch_load_b128 v[127:130], off, off offset:296
	s_waitcnt lgkmcnt(0)
	v_fma_f64 v[2:3], v[139:140], v[141:142], v[2:3]
	ds_load_b128 v[135:138], v1 offset:672
	ds_load_b128 v[139:142], v1 offset:688
	s_waitcnt vmcnt(4)
	v_fma_f64 v[2:3], v[119:120], v[143:144], v[2:3]
	s_waitcnt lgkmcnt(1)
	s_delay_alu instid0(VALU_DEP_1) | instskip(SKIP_4) | instid1(VALU_DEP_1)
	v_fma_f64 v[2:3], v[121:122], v[135:136], v[2:3]
	scratch_load_b128 v[119:122], off, off offset:312
	s_waitcnt vmcnt(4)
	v_fma_f64 v[2:3], v[131:132], v[137:138], v[2:3]
	s_waitcnt lgkmcnt(0)
	v_fma_f64 v[2:3], v[133:134], v[139:140], v[2:3]
	scratch_load_b128 v[131:134], off, off offset:328
	s_waitcnt vmcnt(4)
	v_fma_f64 v[2:3], v[123:124], v[141:142], v[2:3]
	ds_load_b128 v[135:138], v1 offset:704
	ds_load_b128 v[139:142], v1 offset:720
	s_waitcnt lgkmcnt(1)
	v_fma_f64 v[2:3], v[125:126], v[135:136], v[2:3]
	scratch_load_b128 v[123:126], off, off offset:344
	s_waitcnt vmcnt(4)
	v_fma_f64 v[2:3], v[115:116], v[137:138], v[2:3]
	s_waitcnt lgkmcnt(0)
	s_delay_alu instid0(VALU_DEP_1)
	v_fma_f64 v[2:3], v[117:118], v[139:140], v[2:3]
	scratch_load_b128 v[115:118], off, off offset:360
	s_waitcnt vmcnt(4)
	v_fma_f64 v[2:3], v[127:128], v[141:142], v[2:3]
	ds_load_b128 v[135:138], v1 offset:736
	ds_load_b128 v[139:142], v1 offset:752
	s_waitcnt lgkmcnt(1)
	v_fma_f64 v[2:3], v[129:130], v[135:136], v[2:3]
	scratch_load_b128 v[127:130], off, off offset:376
	s_waitcnt vmcnt(4)
	v_fma_f64 v[2:3], v[119:120], v[137:138], v[2:3]
	s_waitcnt lgkmcnt(0)
	s_delay_alu instid0(VALU_DEP_1)
	;; [unrolled: 13-line block ×3, first 2 shown]
	v_fma_f64 v[2:3], v[125:126], v[139:140], v[2:3]
	ds_load_b128 v[123:126], v1 offset:800
	ds_load_b128 v[135:138], v1 offset:816
	s_waitcnt vmcnt(3)
	v_fma_f64 v[2:3], v[115:116], v[141:142], v[2:3]
	s_waitcnt lgkmcnt(1)
	s_delay_alu instid0(VALU_DEP_1) | instskip(SKIP_1) | instid1(VALU_DEP_1)
	v_fma_f64 v[2:3], v[117:118], v[123:124], v[2:3]
	s_waitcnt vmcnt(2)
	v_fma_f64 v[2:3], v[127:128], v[125:126], v[2:3]
	s_waitcnt lgkmcnt(0)
	s_delay_alu instid0(VALU_DEP_1) | instskip(SKIP_1) | instid1(VALU_DEP_1)
	v_fma_f64 v[2:3], v[129:130], v[135:136], v[2:3]
	s_waitcnt vmcnt(1)
	v_fma_f64 v[2:3], v[119:120], v[137:138], v[2:3]
	ds_load_b128 v[115:118], v1 offset:832
	ds_load_b64 v[119:120], v1 offset:848
	s_waitcnt lgkmcnt(1)
	v_fma_f64 v[2:3], v[121:122], v[115:116], v[2:3]
	s_waitcnt vmcnt(0)
	s_delay_alu instid0(VALU_DEP_1) | instskip(SKIP_1) | instid1(VALU_DEP_1)
	v_fma_f64 v[2:3], v[131:132], v[117:118], v[2:3]
	s_waitcnt lgkmcnt(0)
	v_fma_f64 v[2:3], v[133:134], v[119:120], v[2:3]
	s_delay_alu instid0(VALU_DEP_1)
	v_add_f64 v[2:3], v[113:114], -v[2:3]
	scratch_store_b64 off, v[2:3], off offset:104
	v_cmpx_lt_u32_e32 12, v0
	s_cbranch_execz .LBB116_303
; %bb.302:
	scratch_load_b64 v[3:4], off, off offset:96
	v_mov_b32_e32 v2, v1
	scratch_store_b64 off, v[1:2], off offset:96
	s_waitcnt vmcnt(0)
	ds_store_b64 v5, v[3:4]
.LBB116_303:
	s_or_b32 exec_lo, exec_lo, s0
	s_waitcnt lgkmcnt(0)
	s_waitcnt_vscnt null, 0x0
	s_barrier
	buffer_gl0_inv
	s_clause 0x4
	scratch_load_b128 v[113:116], off, off offset:96
	scratch_load_b128 v[117:120], off, off offset:112
	;; [unrolled: 1-line block ×5, first 2 shown]
	ds_load_2addr_b64 v[133:136], v1 offset0:67 offset1:68
	ds_load_2addr_b64 v[137:140], v1 offset0:69 offset1:70
	scratch_load_b128 v[141:144], off, off offset:176
	s_mov_b32 s0, exec_lo
	s_waitcnt vmcnt(5) lgkmcnt(1)
	v_fma_f64 v[2:3], v[115:116], v[133:134], 0
	s_waitcnt vmcnt(4)
	s_delay_alu instid0(VALU_DEP_1) | instskip(SKIP_4) | instid1(VALU_DEP_1)
	v_fma_f64 v[2:3], v[117:118], v[135:136], v[2:3]
	scratch_load_b128 v[115:118], off, off offset:192
	s_waitcnt lgkmcnt(0)
	v_fma_f64 v[2:3], v[119:120], v[137:138], v[2:3]
	s_waitcnt vmcnt(4)
	v_fma_f64 v[2:3], v[121:122], v[139:140], v[2:3]
	ds_load_2addr_b64 v[119:122], v1 offset0:71 offset1:72
	ds_load_2addr_b64 v[133:136], v1 offset0:73 offset1:74
	scratch_load_b128 v[137:140], off, off offset:208
	s_waitcnt lgkmcnt(1)
	v_fma_f64 v[2:3], v[123:124], v[119:120], v[2:3]
	s_waitcnt vmcnt(4)
	s_delay_alu instid0(VALU_DEP_1) | instskip(SKIP_4) | instid1(VALU_DEP_1)
	v_fma_f64 v[2:3], v[125:126], v[121:122], v[2:3]
	scratch_load_b128 v[119:122], off, off offset:224
	s_waitcnt lgkmcnt(0)
	v_fma_f64 v[2:3], v[127:128], v[133:134], v[2:3]
	s_waitcnt vmcnt(4)
	v_fma_f64 v[2:3], v[129:130], v[135:136], v[2:3]
	ds_load_2addr_b64 v[123:126], v1 offset0:75 offset1:76
	ds_load_2addr_b64 v[127:130], v1 offset0:77 offset1:78
	s_waitcnt lgkmcnt(1)
	v_fma_f64 v[2:3], v[131:132], v[123:124], v[2:3]
	scratch_load_b128 v[131:134], off, off offset:240
	s_waitcnt vmcnt(4)
	v_fma_f64 v[2:3], v[141:142], v[125:126], v[2:3]
	scratch_load_b128 v[123:126], off, off offset:256
	s_waitcnt lgkmcnt(0)
	v_fma_f64 v[2:3], v[143:144], v[127:128], v[2:3]
	s_waitcnt vmcnt(4)
	s_delay_alu instid0(VALU_DEP_1)
	v_fma_f64 v[2:3], v[115:116], v[129:130], v[2:3]
	ds_load_2addr_b64 v[127:130], v1 offset0:79 offset1:80
	ds_load_2addr_b64 v[141:144], v1 offset0:81 offset1:82
	s_waitcnt lgkmcnt(1)
	v_fma_f64 v[2:3], v[117:118], v[127:128], v[2:3]
	scratch_load_b128 v[115:118], off, off offset:272
	s_waitcnt vmcnt(4)
	v_fma_f64 v[2:3], v[137:138], v[129:130], v[2:3]
	scratch_load_b128 v[127:130], off, off offset:288
	s_waitcnt lgkmcnt(0)
	v_fma_f64 v[2:3], v[139:140], v[141:142], v[2:3]
	ds_load_2addr_b64 v[135:138], v1 offset0:83 offset1:84
	ds_load_2addr_b64 v[139:142], v1 offset0:85 offset1:86
	s_waitcnt vmcnt(4)
	v_fma_f64 v[2:3], v[119:120], v[143:144], v[2:3]
	s_waitcnt lgkmcnt(1)
	s_delay_alu instid0(VALU_DEP_1) | instskip(SKIP_4) | instid1(VALU_DEP_1)
	v_fma_f64 v[2:3], v[121:122], v[135:136], v[2:3]
	scratch_load_b128 v[119:122], off, off offset:304
	s_waitcnt vmcnt(4)
	v_fma_f64 v[2:3], v[131:132], v[137:138], v[2:3]
	s_waitcnt lgkmcnt(0)
	v_fma_f64 v[2:3], v[133:134], v[139:140], v[2:3]
	scratch_load_b128 v[131:134], off, off offset:320
	s_waitcnt vmcnt(4)
	v_fma_f64 v[2:3], v[123:124], v[141:142], v[2:3]
	ds_load_2addr_b64 v[135:138], v1 offset0:87 offset1:88
	ds_load_2addr_b64 v[139:142], v1 offset0:89 offset1:90
	s_waitcnt lgkmcnt(1)
	v_fma_f64 v[2:3], v[125:126], v[135:136], v[2:3]
	scratch_load_b128 v[123:126], off, off offset:336
	s_waitcnt vmcnt(4)
	v_fma_f64 v[2:3], v[115:116], v[137:138], v[2:3]
	s_waitcnt lgkmcnt(0)
	s_delay_alu instid0(VALU_DEP_1)
	v_fma_f64 v[2:3], v[117:118], v[139:140], v[2:3]
	scratch_load_b128 v[115:118], off, off offset:352
	s_waitcnt vmcnt(4)
	v_fma_f64 v[2:3], v[127:128], v[141:142], v[2:3]
	ds_load_2addr_b64 v[135:138], v1 offset0:91 offset1:92
	ds_load_2addr_b64 v[139:142], v1 offset0:93 offset1:94
	s_waitcnt lgkmcnt(1)
	v_fma_f64 v[2:3], v[129:130], v[135:136], v[2:3]
	scratch_load_b128 v[127:130], off, off offset:368
	s_waitcnt vmcnt(4)
	v_fma_f64 v[2:3], v[119:120], v[137:138], v[2:3]
	s_waitcnt lgkmcnt(0)
	s_delay_alu instid0(VALU_DEP_1)
	;; [unrolled: 13-line block ×3, first 2 shown]
	v_fma_f64 v[2:3], v[125:126], v[139:140], v[2:3]
	scratch_load_b64 v[139:140], off, off offset:416
	ds_load_2addr_b64 v[123:126], v1 offset0:99 offset1:100
	ds_load_2addr_b64 v[135:138], v1 offset0:101 offset1:102
	s_waitcnt vmcnt(4)
	v_fma_f64 v[2:3], v[115:116], v[141:142], v[2:3]
	s_waitcnt lgkmcnt(1)
	s_delay_alu instid0(VALU_DEP_1) | instskip(SKIP_1) | instid1(VALU_DEP_1)
	v_fma_f64 v[2:3], v[117:118], v[123:124], v[2:3]
	s_waitcnt vmcnt(3)
	v_fma_f64 v[2:3], v[127:128], v[125:126], v[2:3]
	s_waitcnt lgkmcnt(0)
	s_delay_alu instid0(VALU_DEP_1) | instskip(SKIP_1) | instid1(VALU_DEP_1)
	v_fma_f64 v[2:3], v[129:130], v[135:136], v[2:3]
	s_waitcnt vmcnt(2)
	v_fma_f64 v[119:120], v[119:120], v[137:138], v[2:3]
	ds_load_2addr_b64 v[115:118], v1 offset0:103 offset1:104
	ds_load_2addr_b64 v[1:4], v1 offset0:105 offset1:106
	s_waitcnt lgkmcnt(1)
	v_fma_f64 v[115:116], v[121:122], v[115:116], v[119:120]
	s_waitcnt vmcnt(1)
	s_delay_alu instid0(VALU_DEP_1) | instskip(SKIP_1) | instid1(VALU_DEP_1)
	v_fma_f64 v[115:116], v[131:132], v[117:118], v[115:116]
	s_waitcnt lgkmcnt(0)
	v_fma_f64 v[1:2], v[133:134], v[1:2], v[115:116]
	s_waitcnt vmcnt(0)
	s_delay_alu instid0(VALU_DEP_1) | instskip(NEXT) | instid1(VALU_DEP_1)
	v_fma_f64 v[1:2], v[139:140], v[3:4], v[1:2]
	v_add_f64 v[1:2], v[113:114], -v[1:2]
	scratch_store_b64 off, v[1:2], off offset:96
	v_cmpx_lt_u32_e32 11, v0
	s_cbranch_execz .LBB116_305
; %bb.304:
	scratch_load_b64 v[1:2], off, off offset:88
	v_mov_b32_e32 v3, 0
	s_delay_alu instid0(VALU_DEP_1)
	v_mov_b32_e32 v4, v3
	scratch_store_b64 off, v[3:4], off offset:88
	s_waitcnt vmcnt(0)
	ds_store_b64 v5, v[1:2]
.LBB116_305:
	s_or_b32 exec_lo, exec_lo, s0
	s_waitcnt lgkmcnt(0)
	s_waitcnt_vscnt null, 0x0
	s_barrier
	buffer_gl0_inv
	s_clause 0x4
	scratch_load_b128 v[113:116], off, off offset:88
	scratch_load_b128 v[117:120], off, off offset:104
	;; [unrolled: 1-line block ×5, first 2 shown]
	v_mov_b32_e32 v1, 0
	ds_load_b128 v[133:136], v1 offset:528
	ds_load_b128 v[137:140], v1 offset:544
	scratch_load_b128 v[141:144], off, off offset:168
	s_mov_b32 s0, exec_lo
	s_waitcnt vmcnt(5) lgkmcnt(1)
	v_fma_f64 v[2:3], v[115:116], v[133:134], 0
	s_waitcnt vmcnt(4)
	s_delay_alu instid0(VALU_DEP_1) | instskip(SKIP_4) | instid1(VALU_DEP_1)
	v_fma_f64 v[2:3], v[117:118], v[135:136], v[2:3]
	scratch_load_b128 v[115:118], off, off offset:184
	s_waitcnt lgkmcnt(0)
	v_fma_f64 v[2:3], v[119:120], v[137:138], v[2:3]
	s_waitcnt vmcnt(4)
	v_fma_f64 v[2:3], v[121:122], v[139:140], v[2:3]
	ds_load_b128 v[119:122], v1 offset:560
	ds_load_b128 v[133:136], v1 offset:576
	scratch_load_b128 v[137:140], off, off offset:200
	s_waitcnt lgkmcnt(1)
	v_fma_f64 v[2:3], v[123:124], v[119:120], v[2:3]
	s_waitcnt vmcnt(4)
	s_delay_alu instid0(VALU_DEP_1) | instskip(SKIP_4) | instid1(VALU_DEP_1)
	v_fma_f64 v[2:3], v[125:126], v[121:122], v[2:3]
	scratch_load_b128 v[119:122], off, off offset:216
	s_waitcnt lgkmcnt(0)
	v_fma_f64 v[2:3], v[127:128], v[133:134], v[2:3]
	s_waitcnt vmcnt(4)
	v_fma_f64 v[2:3], v[129:130], v[135:136], v[2:3]
	ds_load_b128 v[123:126], v1 offset:592
	ds_load_b128 v[127:130], v1 offset:608
	s_waitcnt lgkmcnt(1)
	v_fma_f64 v[2:3], v[131:132], v[123:124], v[2:3]
	scratch_load_b128 v[131:134], off, off offset:232
	s_waitcnt vmcnt(4)
	v_fma_f64 v[2:3], v[141:142], v[125:126], v[2:3]
	scratch_load_b128 v[123:126], off, off offset:248
	s_waitcnt lgkmcnt(0)
	v_fma_f64 v[2:3], v[143:144], v[127:128], v[2:3]
	s_waitcnt vmcnt(4)
	s_delay_alu instid0(VALU_DEP_1)
	v_fma_f64 v[2:3], v[115:116], v[129:130], v[2:3]
	ds_load_b128 v[127:130], v1 offset:624
	ds_load_b128 v[141:144], v1 offset:640
	s_waitcnt lgkmcnt(1)
	v_fma_f64 v[2:3], v[117:118], v[127:128], v[2:3]
	scratch_load_b128 v[115:118], off, off offset:264
	s_waitcnt vmcnt(4)
	v_fma_f64 v[2:3], v[137:138], v[129:130], v[2:3]
	scratch_load_b128 v[127:130], off, off offset:280
	s_waitcnt lgkmcnt(0)
	v_fma_f64 v[2:3], v[139:140], v[141:142], v[2:3]
	ds_load_b128 v[135:138], v1 offset:656
	ds_load_b128 v[139:142], v1 offset:672
	s_waitcnt vmcnt(4)
	v_fma_f64 v[2:3], v[119:120], v[143:144], v[2:3]
	s_waitcnt lgkmcnt(1)
	s_delay_alu instid0(VALU_DEP_1) | instskip(SKIP_4) | instid1(VALU_DEP_1)
	v_fma_f64 v[2:3], v[121:122], v[135:136], v[2:3]
	scratch_load_b128 v[119:122], off, off offset:296
	s_waitcnt vmcnt(4)
	v_fma_f64 v[2:3], v[131:132], v[137:138], v[2:3]
	s_waitcnt lgkmcnt(0)
	v_fma_f64 v[2:3], v[133:134], v[139:140], v[2:3]
	scratch_load_b128 v[131:134], off, off offset:312
	s_waitcnt vmcnt(4)
	v_fma_f64 v[2:3], v[123:124], v[141:142], v[2:3]
	ds_load_b128 v[135:138], v1 offset:688
	ds_load_b128 v[139:142], v1 offset:704
	s_waitcnt lgkmcnt(1)
	v_fma_f64 v[2:3], v[125:126], v[135:136], v[2:3]
	scratch_load_b128 v[123:126], off, off offset:328
	s_waitcnt vmcnt(4)
	v_fma_f64 v[2:3], v[115:116], v[137:138], v[2:3]
	s_waitcnt lgkmcnt(0)
	s_delay_alu instid0(VALU_DEP_1)
	v_fma_f64 v[2:3], v[117:118], v[139:140], v[2:3]
	scratch_load_b128 v[115:118], off, off offset:344
	s_waitcnt vmcnt(4)
	v_fma_f64 v[2:3], v[127:128], v[141:142], v[2:3]
	ds_load_b128 v[135:138], v1 offset:720
	ds_load_b128 v[139:142], v1 offset:736
	s_waitcnt lgkmcnt(1)
	v_fma_f64 v[2:3], v[129:130], v[135:136], v[2:3]
	scratch_load_b128 v[127:130], off, off offset:360
	s_waitcnt vmcnt(4)
	v_fma_f64 v[2:3], v[119:120], v[137:138], v[2:3]
	s_waitcnt lgkmcnt(0)
	s_delay_alu instid0(VALU_DEP_1)
	;; [unrolled: 13-line block ×3, first 2 shown]
	v_fma_f64 v[2:3], v[125:126], v[139:140], v[2:3]
	scratch_load_b128 v[123:126], off, off offset:408
	s_waitcnt vmcnt(4)
	v_fma_f64 v[2:3], v[115:116], v[141:142], v[2:3]
	ds_load_b128 v[135:138], v1 offset:784
	ds_load_b128 v[139:142], v1 offset:800
	s_waitcnt lgkmcnt(1)
	v_fma_f64 v[2:3], v[117:118], v[135:136], v[2:3]
	s_waitcnt vmcnt(3)
	s_delay_alu instid0(VALU_DEP_1) | instskip(SKIP_1) | instid1(VALU_DEP_1)
	v_fma_f64 v[2:3], v[127:128], v[137:138], v[2:3]
	s_waitcnt lgkmcnt(0)
	v_fma_f64 v[2:3], v[129:130], v[139:140], v[2:3]
	ds_load_b128 v[115:118], v1 offset:816
	ds_load_b128 v[127:130], v1 offset:832
	s_waitcnt vmcnt(2)
	v_fma_f64 v[2:3], v[119:120], v[141:142], v[2:3]
	s_waitcnt lgkmcnt(1)
	s_delay_alu instid0(VALU_DEP_1) | instskip(SKIP_4) | instid1(VALU_DEP_1)
	v_fma_f64 v[2:3], v[121:122], v[115:116], v[2:3]
	ds_load_b64 v[115:116], v1 offset:848
	s_waitcnt vmcnt(1)
	v_fma_f64 v[2:3], v[131:132], v[117:118], v[2:3]
	s_waitcnt lgkmcnt(1)
	v_fma_f64 v[2:3], v[133:134], v[127:128], v[2:3]
	s_waitcnt vmcnt(0)
	s_delay_alu instid0(VALU_DEP_1) | instskip(SKIP_1) | instid1(VALU_DEP_1)
	v_fma_f64 v[2:3], v[123:124], v[129:130], v[2:3]
	s_waitcnt lgkmcnt(0)
	v_fma_f64 v[2:3], v[125:126], v[115:116], v[2:3]
	s_delay_alu instid0(VALU_DEP_1)
	v_add_f64 v[2:3], v[113:114], -v[2:3]
	scratch_store_b64 off, v[2:3], off offset:88
	v_cmpx_lt_u32_e32 10, v0
	s_cbranch_execz .LBB116_307
; %bb.306:
	scratch_load_b64 v[3:4], off, off offset:80
	v_mov_b32_e32 v2, v1
	scratch_store_b64 off, v[1:2], off offset:80
	s_waitcnt vmcnt(0)
	ds_store_b64 v5, v[3:4]
.LBB116_307:
	s_or_b32 exec_lo, exec_lo, s0
	s_waitcnt lgkmcnt(0)
	s_waitcnt_vscnt null, 0x0
	s_barrier
	buffer_gl0_inv
	s_clause 0x4
	scratch_load_b128 v[113:116], off, off offset:80
	scratch_load_b128 v[117:120], off, off offset:96
	;; [unrolled: 1-line block ×5, first 2 shown]
	ds_load_2addr_b64 v[133:136], v1 offset0:65 offset1:66
	ds_load_2addr_b64 v[137:140], v1 offset0:67 offset1:68
	scratch_load_b128 v[141:144], off, off offset:160
	s_mov_b32 s0, exec_lo
	s_waitcnt vmcnt(5) lgkmcnt(1)
	v_fma_f64 v[2:3], v[115:116], v[133:134], 0
	s_waitcnt vmcnt(4)
	s_delay_alu instid0(VALU_DEP_1) | instskip(SKIP_4) | instid1(VALU_DEP_1)
	v_fma_f64 v[2:3], v[117:118], v[135:136], v[2:3]
	scratch_load_b128 v[115:118], off, off offset:176
	s_waitcnt lgkmcnt(0)
	v_fma_f64 v[2:3], v[119:120], v[137:138], v[2:3]
	s_waitcnt vmcnt(4)
	v_fma_f64 v[2:3], v[121:122], v[139:140], v[2:3]
	ds_load_2addr_b64 v[119:122], v1 offset0:69 offset1:70
	ds_load_2addr_b64 v[133:136], v1 offset0:71 offset1:72
	scratch_load_b128 v[137:140], off, off offset:192
	s_waitcnt lgkmcnt(1)
	v_fma_f64 v[2:3], v[123:124], v[119:120], v[2:3]
	s_waitcnt vmcnt(4)
	s_delay_alu instid0(VALU_DEP_1) | instskip(SKIP_4) | instid1(VALU_DEP_1)
	v_fma_f64 v[2:3], v[125:126], v[121:122], v[2:3]
	scratch_load_b128 v[119:122], off, off offset:208
	s_waitcnt lgkmcnt(0)
	v_fma_f64 v[2:3], v[127:128], v[133:134], v[2:3]
	s_waitcnt vmcnt(4)
	v_fma_f64 v[2:3], v[129:130], v[135:136], v[2:3]
	ds_load_2addr_b64 v[123:126], v1 offset0:73 offset1:74
	ds_load_2addr_b64 v[127:130], v1 offset0:75 offset1:76
	s_waitcnt lgkmcnt(1)
	v_fma_f64 v[2:3], v[131:132], v[123:124], v[2:3]
	scratch_load_b128 v[131:134], off, off offset:224
	s_waitcnt vmcnt(4)
	v_fma_f64 v[2:3], v[141:142], v[125:126], v[2:3]
	scratch_load_b128 v[123:126], off, off offset:240
	s_waitcnt lgkmcnt(0)
	v_fma_f64 v[2:3], v[143:144], v[127:128], v[2:3]
	s_waitcnt vmcnt(4)
	s_delay_alu instid0(VALU_DEP_1)
	v_fma_f64 v[2:3], v[115:116], v[129:130], v[2:3]
	ds_load_2addr_b64 v[127:130], v1 offset0:77 offset1:78
	ds_load_2addr_b64 v[141:144], v1 offset0:79 offset1:80
	s_waitcnt lgkmcnt(1)
	v_fma_f64 v[2:3], v[117:118], v[127:128], v[2:3]
	scratch_load_b128 v[115:118], off, off offset:256
	s_waitcnt vmcnt(4)
	v_fma_f64 v[2:3], v[137:138], v[129:130], v[2:3]
	scratch_load_b128 v[127:130], off, off offset:272
	s_waitcnt lgkmcnt(0)
	v_fma_f64 v[2:3], v[139:140], v[141:142], v[2:3]
	ds_load_2addr_b64 v[135:138], v1 offset0:81 offset1:82
	ds_load_2addr_b64 v[139:142], v1 offset0:83 offset1:84
	s_waitcnt vmcnt(4)
	v_fma_f64 v[2:3], v[119:120], v[143:144], v[2:3]
	s_waitcnt lgkmcnt(1)
	s_delay_alu instid0(VALU_DEP_1) | instskip(SKIP_4) | instid1(VALU_DEP_1)
	v_fma_f64 v[2:3], v[121:122], v[135:136], v[2:3]
	scratch_load_b128 v[119:122], off, off offset:288
	s_waitcnt vmcnt(4)
	v_fma_f64 v[2:3], v[131:132], v[137:138], v[2:3]
	s_waitcnt lgkmcnt(0)
	v_fma_f64 v[2:3], v[133:134], v[139:140], v[2:3]
	scratch_load_b128 v[131:134], off, off offset:304
	s_waitcnt vmcnt(4)
	v_fma_f64 v[2:3], v[123:124], v[141:142], v[2:3]
	ds_load_2addr_b64 v[135:138], v1 offset0:85 offset1:86
	ds_load_2addr_b64 v[139:142], v1 offset0:87 offset1:88
	s_waitcnt lgkmcnt(1)
	v_fma_f64 v[2:3], v[125:126], v[135:136], v[2:3]
	scratch_load_b128 v[123:126], off, off offset:320
	s_waitcnt vmcnt(4)
	v_fma_f64 v[2:3], v[115:116], v[137:138], v[2:3]
	s_waitcnt lgkmcnt(0)
	s_delay_alu instid0(VALU_DEP_1)
	v_fma_f64 v[2:3], v[117:118], v[139:140], v[2:3]
	scratch_load_b128 v[115:118], off, off offset:336
	s_waitcnt vmcnt(4)
	v_fma_f64 v[2:3], v[127:128], v[141:142], v[2:3]
	ds_load_2addr_b64 v[135:138], v1 offset0:89 offset1:90
	ds_load_2addr_b64 v[139:142], v1 offset0:91 offset1:92
	s_waitcnt lgkmcnt(1)
	v_fma_f64 v[2:3], v[129:130], v[135:136], v[2:3]
	scratch_load_b128 v[127:130], off, off offset:352
	s_waitcnt vmcnt(4)
	v_fma_f64 v[2:3], v[119:120], v[137:138], v[2:3]
	s_waitcnt lgkmcnt(0)
	s_delay_alu instid0(VALU_DEP_1)
	v_fma_f64 v[2:3], v[121:122], v[139:140], v[2:3]
	scratch_load_b128 v[119:122], off, off offset:368
	s_waitcnt vmcnt(4)
	v_fma_f64 v[2:3], v[131:132], v[141:142], v[2:3]
	ds_load_2addr_b64 v[135:138], v1 offset0:93 offset1:94
	ds_load_2addr_b64 v[139:142], v1 offset0:95 offset1:96
	s_waitcnt lgkmcnt(1)
	v_fma_f64 v[2:3], v[133:134], v[135:136], v[2:3]
	scratch_load_b128 v[131:134], off, off offset:384
	s_waitcnt vmcnt(4)
	v_fma_f64 v[2:3], v[123:124], v[137:138], v[2:3]
	s_waitcnt lgkmcnt(0)
	s_delay_alu instid0(VALU_DEP_1)
	v_fma_f64 v[2:3], v[125:126], v[139:140], v[2:3]
	scratch_load_b128 v[123:126], off, off offset:400
	s_waitcnt vmcnt(4)
	v_fma_f64 v[2:3], v[115:116], v[141:142], v[2:3]
	ds_load_2addr_b64 v[135:138], v1 offset0:97 offset1:98
	ds_load_2addr_b64 v[139:142], v1 offset0:99 offset1:100
	s_waitcnt lgkmcnt(1)
	v_fma_f64 v[2:3], v[117:118], v[135:136], v[2:3]
	scratch_load_b64 v[135:136], off, off offset:416
	s_waitcnt vmcnt(4)
	v_fma_f64 v[2:3], v[127:128], v[137:138], v[2:3]
	s_waitcnt lgkmcnt(0)
	s_delay_alu instid0(VALU_DEP_1)
	v_fma_f64 v[2:3], v[129:130], v[139:140], v[2:3]
	ds_load_2addr_b64 v[115:118], v1 offset0:101 offset1:102
	ds_load_2addr_b64 v[127:130], v1 offset0:103 offset1:104
	s_waitcnt vmcnt(3)
	v_fma_f64 v[2:3], v[119:120], v[141:142], v[2:3]
	s_waitcnt lgkmcnt(1)
	s_delay_alu instid0(VALU_DEP_1) | instskip(SKIP_1) | instid1(VALU_DEP_1)
	v_fma_f64 v[2:3], v[121:122], v[115:116], v[2:3]
	s_waitcnt vmcnt(2)
	v_fma_f64 v[2:3], v[131:132], v[117:118], v[2:3]
	s_waitcnt lgkmcnt(0)
	s_delay_alu instid0(VALU_DEP_1) | instskip(SKIP_1) | instid1(VALU_DEP_1)
	v_fma_f64 v[2:3], v[133:134], v[127:128], v[2:3]
	s_waitcnt vmcnt(1)
	v_fma_f64 v[115:116], v[123:124], v[129:130], v[2:3]
	ds_load_2addr_b64 v[1:4], v1 offset0:105 offset1:106
	s_waitcnt lgkmcnt(0)
	v_fma_f64 v[1:2], v[125:126], v[1:2], v[115:116]
	s_waitcnt vmcnt(0)
	s_delay_alu instid0(VALU_DEP_1) | instskip(NEXT) | instid1(VALU_DEP_1)
	v_fma_f64 v[1:2], v[135:136], v[3:4], v[1:2]
	v_add_f64 v[1:2], v[113:114], -v[1:2]
	scratch_store_b64 off, v[1:2], off offset:80
	v_cmpx_lt_u32_e32 9, v0
	s_cbranch_execz .LBB116_309
; %bb.308:
	scratch_load_b64 v[1:2], off, off offset:72
	v_mov_b32_e32 v3, 0
	s_delay_alu instid0(VALU_DEP_1)
	v_mov_b32_e32 v4, v3
	scratch_store_b64 off, v[3:4], off offset:72
	s_waitcnt vmcnt(0)
	ds_store_b64 v5, v[1:2]
.LBB116_309:
	s_or_b32 exec_lo, exec_lo, s0
	s_waitcnt lgkmcnt(0)
	s_waitcnt_vscnt null, 0x0
	s_barrier
	buffer_gl0_inv
	s_clause 0x4
	scratch_load_b128 v[113:116], off, off offset:72
	scratch_load_b128 v[117:120], off, off offset:88
	;; [unrolled: 1-line block ×5, first 2 shown]
	v_mov_b32_e32 v1, 0
	ds_load_b128 v[133:136], v1 offset:512
	ds_load_b128 v[137:140], v1 offset:528
	scratch_load_b128 v[141:144], off, off offset:152
	s_mov_b32 s0, exec_lo
	s_waitcnt vmcnt(5) lgkmcnt(1)
	v_fma_f64 v[2:3], v[115:116], v[133:134], 0
	s_waitcnt vmcnt(4)
	s_delay_alu instid0(VALU_DEP_1) | instskip(SKIP_4) | instid1(VALU_DEP_1)
	v_fma_f64 v[2:3], v[117:118], v[135:136], v[2:3]
	scratch_load_b128 v[115:118], off, off offset:168
	s_waitcnt lgkmcnt(0)
	v_fma_f64 v[2:3], v[119:120], v[137:138], v[2:3]
	s_waitcnt vmcnt(4)
	v_fma_f64 v[2:3], v[121:122], v[139:140], v[2:3]
	ds_load_b128 v[119:122], v1 offset:544
	ds_load_b128 v[133:136], v1 offset:560
	scratch_load_b128 v[137:140], off, off offset:184
	s_waitcnt lgkmcnt(1)
	v_fma_f64 v[2:3], v[123:124], v[119:120], v[2:3]
	s_waitcnt vmcnt(4)
	s_delay_alu instid0(VALU_DEP_1) | instskip(SKIP_4) | instid1(VALU_DEP_1)
	v_fma_f64 v[2:3], v[125:126], v[121:122], v[2:3]
	scratch_load_b128 v[119:122], off, off offset:200
	s_waitcnt lgkmcnt(0)
	v_fma_f64 v[2:3], v[127:128], v[133:134], v[2:3]
	s_waitcnt vmcnt(4)
	v_fma_f64 v[2:3], v[129:130], v[135:136], v[2:3]
	ds_load_b128 v[123:126], v1 offset:576
	ds_load_b128 v[127:130], v1 offset:592
	s_waitcnt lgkmcnt(1)
	v_fma_f64 v[2:3], v[131:132], v[123:124], v[2:3]
	scratch_load_b128 v[131:134], off, off offset:216
	s_waitcnt vmcnt(4)
	v_fma_f64 v[2:3], v[141:142], v[125:126], v[2:3]
	scratch_load_b128 v[123:126], off, off offset:232
	s_waitcnt lgkmcnt(0)
	v_fma_f64 v[2:3], v[143:144], v[127:128], v[2:3]
	s_waitcnt vmcnt(4)
	s_delay_alu instid0(VALU_DEP_1)
	v_fma_f64 v[2:3], v[115:116], v[129:130], v[2:3]
	ds_load_b128 v[127:130], v1 offset:608
	ds_load_b128 v[141:144], v1 offset:624
	s_waitcnt lgkmcnt(1)
	v_fma_f64 v[2:3], v[117:118], v[127:128], v[2:3]
	scratch_load_b128 v[115:118], off, off offset:248
	s_waitcnt vmcnt(4)
	v_fma_f64 v[2:3], v[137:138], v[129:130], v[2:3]
	scratch_load_b128 v[127:130], off, off offset:264
	s_waitcnt lgkmcnt(0)
	v_fma_f64 v[2:3], v[139:140], v[141:142], v[2:3]
	ds_load_b128 v[135:138], v1 offset:640
	ds_load_b128 v[139:142], v1 offset:656
	s_waitcnt vmcnt(4)
	v_fma_f64 v[2:3], v[119:120], v[143:144], v[2:3]
	s_waitcnt lgkmcnt(1)
	s_delay_alu instid0(VALU_DEP_1) | instskip(SKIP_4) | instid1(VALU_DEP_1)
	v_fma_f64 v[2:3], v[121:122], v[135:136], v[2:3]
	scratch_load_b128 v[119:122], off, off offset:280
	s_waitcnt vmcnt(4)
	v_fma_f64 v[2:3], v[131:132], v[137:138], v[2:3]
	s_waitcnt lgkmcnt(0)
	v_fma_f64 v[2:3], v[133:134], v[139:140], v[2:3]
	scratch_load_b128 v[131:134], off, off offset:296
	s_waitcnt vmcnt(4)
	v_fma_f64 v[2:3], v[123:124], v[141:142], v[2:3]
	ds_load_b128 v[135:138], v1 offset:672
	ds_load_b128 v[139:142], v1 offset:688
	s_waitcnt lgkmcnt(1)
	v_fma_f64 v[2:3], v[125:126], v[135:136], v[2:3]
	scratch_load_b128 v[123:126], off, off offset:312
	s_waitcnt vmcnt(4)
	v_fma_f64 v[2:3], v[115:116], v[137:138], v[2:3]
	s_waitcnt lgkmcnt(0)
	s_delay_alu instid0(VALU_DEP_1)
	v_fma_f64 v[2:3], v[117:118], v[139:140], v[2:3]
	scratch_load_b128 v[115:118], off, off offset:328
	s_waitcnt vmcnt(4)
	v_fma_f64 v[2:3], v[127:128], v[141:142], v[2:3]
	ds_load_b128 v[135:138], v1 offset:704
	ds_load_b128 v[139:142], v1 offset:720
	s_waitcnt lgkmcnt(1)
	v_fma_f64 v[2:3], v[129:130], v[135:136], v[2:3]
	scratch_load_b128 v[127:130], off, off offset:344
	s_waitcnt vmcnt(4)
	v_fma_f64 v[2:3], v[119:120], v[137:138], v[2:3]
	s_waitcnt lgkmcnt(0)
	s_delay_alu instid0(VALU_DEP_1)
	v_fma_f64 v[2:3], v[121:122], v[139:140], v[2:3]
	scratch_load_b128 v[119:122], off, off offset:360
	s_waitcnt vmcnt(4)
	v_fma_f64 v[2:3], v[131:132], v[141:142], v[2:3]
	ds_load_b128 v[135:138], v1 offset:736
	ds_load_b128 v[139:142], v1 offset:752
	s_waitcnt lgkmcnt(1)
	v_fma_f64 v[2:3], v[133:134], v[135:136], v[2:3]
	scratch_load_b128 v[131:134], off, off offset:376
	s_waitcnt vmcnt(4)
	v_fma_f64 v[2:3], v[123:124], v[137:138], v[2:3]
	s_waitcnt lgkmcnt(0)
	s_delay_alu instid0(VALU_DEP_1)
	v_fma_f64 v[2:3], v[125:126], v[139:140], v[2:3]
	scratch_load_b128 v[123:126], off, off offset:392
	s_waitcnt vmcnt(4)
	v_fma_f64 v[2:3], v[115:116], v[141:142], v[2:3]
	ds_load_b128 v[135:138], v1 offset:768
	ds_load_b128 v[139:142], v1 offset:784
	s_waitcnt lgkmcnt(1)
	v_fma_f64 v[2:3], v[117:118], v[135:136], v[2:3]
	scratch_load_b128 v[115:118], off, off offset:408
	s_waitcnt vmcnt(4)
	v_fma_f64 v[2:3], v[127:128], v[137:138], v[2:3]
	s_waitcnt lgkmcnt(0)
	s_delay_alu instid0(VALU_DEP_1)
	v_fma_f64 v[2:3], v[129:130], v[139:140], v[2:3]
	ds_load_b128 v[127:130], v1 offset:800
	ds_load_b128 v[135:138], v1 offset:816
	s_waitcnt vmcnt(3)
	v_fma_f64 v[2:3], v[119:120], v[141:142], v[2:3]
	s_waitcnt lgkmcnt(1)
	s_delay_alu instid0(VALU_DEP_1) | instskip(SKIP_1) | instid1(VALU_DEP_1)
	v_fma_f64 v[2:3], v[121:122], v[127:128], v[2:3]
	s_waitcnt vmcnt(2)
	v_fma_f64 v[2:3], v[131:132], v[129:130], v[2:3]
	s_waitcnt lgkmcnt(0)
	s_delay_alu instid0(VALU_DEP_1) | instskip(SKIP_1) | instid1(VALU_DEP_1)
	v_fma_f64 v[2:3], v[133:134], v[135:136], v[2:3]
	s_waitcnt vmcnt(1)
	v_fma_f64 v[2:3], v[123:124], v[137:138], v[2:3]
	ds_load_b128 v[119:122], v1 offset:832
	ds_load_b64 v[123:124], v1 offset:848
	s_waitcnt lgkmcnt(1)
	v_fma_f64 v[2:3], v[125:126], v[119:120], v[2:3]
	s_waitcnt vmcnt(0)
	s_delay_alu instid0(VALU_DEP_1) | instskip(SKIP_1) | instid1(VALU_DEP_1)
	v_fma_f64 v[2:3], v[115:116], v[121:122], v[2:3]
	s_waitcnt lgkmcnt(0)
	v_fma_f64 v[2:3], v[117:118], v[123:124], v[2:3]
	s_delay_alu instid0(VALU_DEP_1)
	v_add_f64 v[2:3], v[113:114], -v[2:3]
	scratch_store_b64 off, v[2:3], off offset:72
	v_cmpx_lt_u32_e32 8, v0
	s_cbranch_execz .LBB116_311
; %bb.310:
	scratch_load_b64 v[3:4], off, off offset:64
	v_mov_b32_e32 v2, v1
	scratch_store_b64 off, v[1:2], off offset:64
	s_waitcnt vmcnt(0)
	ds_store_b64 v5, v[3:4]
.LBB116_311:
	s_or_b32 exec_lo, exec_lo, s0
	s_waitcnt lgkmcnt(0)
	s_waitcnt_vscnt null, 0x0
	s_barrier
	buffer_gl0_inv
	s_clause 0x4
	scratch_load_b128 v[113:116], off, off offset:64
	scratch_load_b128 v[117:120], off, off offset:80
	scratch_load_b128 v[121:124], off, off offset:96
	scratch_load_b128 v[125:128], off, off offset:112
	scratch_load_b128 v[129:132], off, off offset:128
	ds_load_2addr_b64 v[133:136], v1 offset0:63 offset1:64
	ds_load_2addr_b64 v[137:140], v1 offset0:65 offset1:66
	scratch_load_b128 v[141:144], off, off offset:144
	s_mov_b32 s0, exec_lo
	s_waitcnt vmcnt(5) lgkmcnt(1)
	v_fma_f64 v[2:3], v[115:116], v[133:134], 0
	s_waitcnt vmcnt(4)
	s_delay_alu instid0(VALU_DEP_1) | instskip(SKIP_4) | instid1(VALU_DEP_1)
	v_fma_f64 v[2:3], v[117:118], v[135:136], v[2:3]
	scratch_load_b128 v[115:118], off, off offset:160
	s_waitcnt lgkmcnt(0)
	v_fma_f64 v[2:3], v[119:120], v[137:138], v[2:3]
	s_waitcnt vmcnt(4)
	v_fma_f64 v[2:3], v[121:122], v[139:140], v[2:3]
	ds_load_2addr_b64 v[119:122], v1 offset0:67 offset1:68
	ds_load_2addr_b64 v[133:136], v1 offset0:69 offset1:70
	scratch_load_b128 v[137:140], off, off offset:176
	s_waitcnt lgkmcnt(1)
	v_fma_f64 v[2:3], v[123:124], v[119:120], v[2:3]
	s_waitcnt vmcnt(4)
	s_delay_alu instid0(VALU_DEP_1) | instskip(SKIP_4) | instid1(VALU_DEP_1)
	v_fma_f64 v[2:3], v[125:126], v[121:122], v[2:3]
	scratch_load_b128 v[119:122], off, off offset:192
	s_waitcnt lgkmcnt(0)
	v_fma_f64 v[2:3], v[127:128], v[133:134], v[2:3]
	s_waitcnt vmcnt(4)
	v_fma_f64 v[2:3], v[129:130], v[135:136], v[2:3]
	ds_load_2addr_b64 v[123:126], v1 offset0:71 offset1:72
	ds_load_2addr_b64 v[127:130], v1 offset0:73 offset1:74
	s_waitcnt lgkmcnt(1)
	v_fma_f64 v[2:3], v[131:132], v[123:124], v[2:3]
	scratch_load_b128 v[131:134], off, off offset:208
	s_waitcnt vmcnt(4)
	v_fma_f64 v[2:3], v[141:142], v[125:126], v[2:3]
	scratch_load_b128 v[123:126], off, off offset:224
	s_waitcnt lgkmcnt(0)
	v_fma_f64 v[2:3], v[143:144], v[127:128], v[2:3]
	s_waitcnt vmcnt(4)
	s_delay_alu instid0(VALU_DEP_1)
	v_fma_f64 v[2:3], v[115:116], v[129:130], v[2:3]
	ds_load_2addr_b64 v[127:130], v1 offset0:75 offset1:76
	ds_load_2addr_b64 v[141:144], v1 offset0:77 offset1:78
	s_waitcnt lgkmcnt(1)
	v_fma_f64 v[2:3], v[117:118], v[127:128], v[2:3]
	scratch_load_b128 v[115:118], off, off offset:240
	s_waitcnt vmcnt(4)
	v_fma_f64 v[2:3], v[137:138], v[129:130], v[2:3]
	scratch_load_b128 v[127:130], off, off offset:256
	s_waitcnt lgkmcnt(0)
	v_fma_f64 v[2:3], v[139:140], v[141:142], v[2:3]
	ds_load_2addr_b64 v[135:138], v1 offset0:79 offset1:80
	ds_load_2addr_b64 v[139:142], v1 offset0:81 offset1:82
	s_waitcnt vmcnt(4)
	v_fma_f64 v[2:3], v[119:120], v[143:144], v[2:3]
	s_waitcnt lgkmcnt(1)
	s_delay_alu instid0(VALU_DEP_1) | instskip(SKIP_4) | instid1(VALU_DEP_1)
	v_fma_f64 v[2:3], v[121:122], v[135:136], v[2:3]
	scratch_load_b128 v[119:122], off, off offset:272
	s_waitcnt vmcnt(4)
	v_fma_f64 v[2:3], v[131:132], v[137:138], v[2:3]
	s_waitcnt lgkmcnt(0)
	v_fma_f64 v[2:3], v[133:134], v[139:140], v[2:3]
	scratch_load_b128 v[131:134], off, off offset:288
	s_waitcnt vmcnt(4)
	v_fma_f64 v[2:3], v[123:124], v[141:142], v[2:3]
	ds_load_2addr_b64 v[135:138], v1 offset0:83 offset1:84
	ds_load_2addr_b64 v[139:142], v1 offset0:85 offset1:86
	s_waitcnt lgkmcnt(1)
	v_fma_f64 v[2:3], v[125:126], v[135:136], v[2:3]
	scratch_load_b128 v[123:126], off, off offset:304
	s_waitcnt vmcnt(4)
	v_fma_f64 v[2:3], v[115:116], v[137:138], v[2:3]
	s_waitcnt lgkmcnt(0)
	s_delay_alu instid0(VALU_DEP_1)
	v_fma_f64 v[2:3], v[117:118], v[139:140], v[2:3]
	scratch_load_b128 v[115:118], off, off offset:320
	s_waitcnt vmcnt(4)
	v_fma_f64 v[2:3], v[127:128], v[141:142], v[2:3]
	ds_load_2addr_b64 v[135:138], v1 offset0:87 offset1:88
	ds_load_2addr_b64 v[139:142], v1 offset0:89 offset1:90
	s_waitcnt lgkmcnt(1)
	v_fma_f64 v[2:3], v[129:130], v[135:136], v[2:3]
	scratch_load_b128 v[127:130], off, off offset:336
	s_waitcnt vmcnt(4)
	v_fma_f64 v[2:3], v[119:120], v[137:138], v[2:3]
	s_waitcnt lgkmcnt(0)
	s_delay_alu instid0(VALU_DEP_1)
	;; [unrolled: 13-line block ×4, first 2 shown]
	v_fma_f64 v[2:3], v[129:130], v[139:140], v[2:3]
	scratch_load_b64 v[139:140], off, off offset:416
	ds_load_2addr_b64 v[127:130], v1 offset0:99 offset1:100
	ds_load_2addr_b64 v[135:138], v1 offset0:101 offset1:102
	s_waitcnt vmcnt(4)
	v_fma_f64 v[2:3], v[119:120], v[141:142], v[2:3]
	s_waitcnt lgkmcnt(1)
	s_delay_alu instid0(VALU_DEP_1) | instskip(SKIP_1) | instid1(VALU_DEP_1)
	v_fma_f64 v[2:3], v[121:122], v[127:128], v[2:3]
	s_waitcnt vmcnt(3)
	v_fma_f64 v[2:3], v[131:132], v[129:130], v[2:3]
	s_waitcnt lgkmcnt(0)
	s_delay_alu instid0(VALU_DEP_1) | instskip(SKIP_1) | instid1(VALU_DEP_1)
	v_fma_f64 v[2:3], v[133:134], v[135:136], v[2:3]
	s_waitcnt vmcnt(2)
	v_fma_f64 v[123:124], v[123:124], v[137:138], v[2:3]
	ds_load_2addr_b64 v[119:122], v1 offset0:103 offset1:104
	ds_load_2addr_b64 v[1:4], v1 offset0:105 offset1:106
	s_waitcnt lgkmcnt(1)
	v_fma_f64 v[119:120], v[125:126], v[119:120], v[123:124]
	s_waitcnt vmcnt(1)
	s_delay_alu instid0(VALU_DEP_1) | instskip(SKIP_1) | instid1(VALU_DEP_1)
	v_fma_f64 v[115:116], v[115:116], v[121:122], v[119:120]
	s_waitcnt lgkmcnt(0)
	v_fma_f64 v[1:2], v[117:118], v[1:2], v[115:116]
	s_waitcnt vmcnt(0)
	s_delay_alu instid0(VALU_DEP_1) | instskip(NEXT) | instid1(VALU_DEP_1)
	v_fma_f64 v[1:2], v[139:140], v[3:4], v[1:2]
	v_add_f64 v[1:2], v[113:114], -v[1:2]
	scratch_store_b64 off, v[1:2], off offset:64
	v_cmpx_lt_u32_e32 7, v0
	s_cbranch_execz .LBB116_313
; %bb.312:
	scratch_load_b64 v[1:2], off, off offset:56
	v_mov_b32_e32 v3, 0
	s_delay_alu instid0(VALU_DEP_1)
	v_mov_b32_e32 v4, v3
	scratch_store_b64 off, v[3:4], off offset:56
	s_waitcnt vmcnt(0)
	ds_store_b64 v5, v[1:2]
.LBB116_313:
	s_or_b32 exec_lo, exec_lo, s0
	s_waitcnt lgkmcnt(0)
	s_waitcnt_vscnt null, 0x0
	s_barrier
	buffer_gl0_inv
	s_clause 0x4
	scratch_load_b128 v[1:4], off, off offset:56
	scratch_load_b128 v[114:117], off, off offset:72
	;; [unrolled: 1-line block ×5, first 2 shown]
	v_mov_b32_e32 v113, 0
	ds_load_b128 v[130:133], v113 offset:496
	ds_load_b128 v[134:137], v113 offset:512
	scratch_load_b128 v[138:141], off, off offset:136
	s_mov_b32 s0, exec_lo
	s_waitcnt vmcnt(5) lgkmcnt(1)
	v_fma_f64 v[3:4], v[3:4], v[130:131], 0
	s_waitcnt vmcnt(4)
	s_delay_alu instid0(VALU_DEP_1) | instskip(SKIP_1) | instid1(VALU_DEP_1)
	v_fma_f64 v[3:4], v[114:115], v[132:133], v[3:4]
	s_waitcnt lgkmcnt(0)
	v_fma_f64 v[3:4], v[116:117], v[134:135], v[3:4]
	scratch_load_b128 v[114:117], off, off offset:152
	s_waitcnt vmcnt(4)
	v_fma_f64 v[3:4], v[118:119], v[136:137], v[3:4]
	ds_load_b128 v[130:133], v113 offset:528
	ds_load_b128 v[134:137], v113 offset:544
	s_waitcnt lgkmcnt(1)
	v_fma_f64 v[3:4], v[120:121], v[130:131], v[3:4]
	scratch_load_b128 v[118:121], off, off offset:168
	s_waitcnt vmcnt(4)
	v_fma_f64 v[3:4], v[122:123], v[132:133], v[3:4]
	s_waitcnt lgkmcnt(0)
	s_delay_alu instid0(VALU_DEP_1)
	v_fma_f64 v[3:4], v[124:125], v[134:135], v[3:4]
	scratch_load_b128 v[122:125], off, off offset:184
	s_waitcnt vmcnt(4)
	v_fma_f64 v[3:4], v[126:127], v[136:137], v[3:4]
	ds_load_b128 v[130:133], v113 offset:560
	ds_load_b128 v[134:137], v113 offset:576
	s_waitcnt lgkmcnt(1)
	v_fma_f64 v[3:4], v[128:129], v[130:131], v[3:4]
	scratch_load_b128 v[126:129], off, off offset:200
	s_waitcnt vmcnt(4)
	v_fma_f64 v[3:4], v[138:139], v[132:133], v[3:4]
	scratch_load_b128 v[130:133], off, off offset:216
	s_waitcnt lgkmcnt(0)
	v_fma_f64 v[3:4], v[140:141], v[134:135], v[3:4]
	s_waitcnt vmcnt(4)
	s_delay_alu instid0(VALU_DEP_1)
	v_fma_f64 v[3:4], v[114:115], v[136:137], v[3:4]
	ds_load_b128 v[134:137], v113 offset:592
	ds_load_b128 v[138:141], v113 offset:608
	s_waitcnt lgkmcnt(1)
	v_fma_f64 v[3:4], v[116:117], v[134:135], v[3:4]
	scratch_load_b128 v[114:117], off, off offset:232
	s_waitcnt vmcnt(4)
	v_fma_f64 v[3:4], v[118:119], v[136:137], v[3:4]
	s_waitcnt lgkmcnt(0)
	s_delay_alu instid0(VALU_DEP_1)
	v_fma_f64 v[3:4], v[120:121], v[138:139], v[3:4]
	scratch_load_b128 v[118:121], off, off offset:248
	s_waitcnt vmcnt(4)
	v_fma_f64 v[3:4], v[122:123], v[140:141], v[3:4]
	ds_load_b128 v[134:137], v113 offset:624
	ds_load_b128 v[138:141], v113 offset:640
	s_waitcnt lgkmcnt(1)
	v_fma_f64 v[3:4], v[124:125], v[134:135], v[3:4]
	scratch_load_b128 v[122:125], off, off offset:264
	s_waitcnt vmcnt(4)
	v_fma_f64 v[3:4], v[126:127], v[136:137], v[3:4]
	s_waitcnt lgkmcnt(0)
	s_delay_alu instid0(VALU_DEP_1)
	v_fma_f64 v[3:4], v[128:129], v[138:139], v[3:4]
	scratch_load_b128 v[126:129], off, off offset:280
	s_waitcnt vmcnt(4)
	;; [unrolled: 13-line block ×6, first 2 shown]
	v_fma_f64 v[3:4], v[122:123], v[140:141], v[3:4]
	ds_load_b128 v[134:137], v113 offset:784
	ds_load_b128 v[138:141], v113 offset:800
	s_waitcnt lgkmcnt(1)
	v_fma_f64 v[3:4], v[124:125], v[134:135], v[3:4]
	s_waitcnt vmcnt(3)
	s_delay_alu instid0(VALU_DEP_1) | instskip(SKIP_1) | instid1(VALU_DEP_1)
	v_fma_f64 v[3:4], v[126:127], v[136:137], v[3:4]
	s_waitcnt lgkmcnt(0)
	v_fma_f64 v[3:4], v[128:129], v[138:139], v[3:4]
	ds_load_b128 v[122:125], v113 offset:816
	ds_load_b128 v[126:129], v113 offset:832
	s_waitcnt vmcnt(2)
	v_fma_f64 v[3:4], v[130:131], v[140:141], v[3:4]
	s_waitcnt lgkmcnt(1)
	s_delay_alu instid0(VALU_DEP_1) | instskip(SKIP_1) | instid1(VALU_DEP_1)
	v_fma_f64 v[3:4], v[132:133], v[122:123], v[3:4]
	s_waitcnt vmcnt(1)
	v_fma_f64 v[3:4], v[114:115], v[124:125], v[3:4]
	ds_load_b64 v[114:115], v113 offset:848
	s_waitcnt lgkmcnt(1)
	v_fma_f64 v[3:4], v[116:117], v[126:127], v[3:4]
	s_waitcnt vmcnt(0)
	s_delay_alu instid0(VALU_DEP_1) | instskip(SKIP_1) | instid1(VALU_DEP_1)
	v_fma_f64 v[3:4], v[118:119], v[128:129], v[3:4]
	s_waitcnt lgkmcnt(0)
	v_fma_f64 v[3:4], v[120:121], v[114:115], v[3:4]
	s_delay_alu instid0(VALU_DEP_1)
	v_add_f64 v[1:2], v[1:2], -v[3:4]
	scratch_store_b64 off, v[1:2], off offset:56
	v_cmpx_lt_u32_e32 6, v0
	s_cbranch_execz .LBB116_315
; %bb.314:
	scratch_load_b64 v[1:2], off, off offset:48
	v_mov_b32_e32 v114, v113
	scratch_store_b64 off, v[113:114], off offset:48
	s_waitcnt vmcnt(0)
	ds_store_b64 v5, v[1:2]
.LBB116_315:
	s_or_b32 exec_lo, exec_lo, s0
	s_waitcnt lgkmcnt(0)
	s_waitcnt_vscnt null, 0x0
	s_barrier
	buffer_gl0_inv
	s_clause 0x4
	scratch_load_b128 v[1:4], off, off offset:48
	scratch_load_b128 v[114:117], off, off offset:64
	;; [unrolled: 1-line block ×5, first 2 shown]
	ds_load_2addr_b64 v[130:133], v113 offset0:61 offset1:62
	ds_load_2addr_b64 v[134:137], v113 offset0:63 offset1:64
	scratch_load_b128 v[138:141], off, off offset:128
	s_mov_b32 s0, exec_lo
	s_waitcnt vmcnt(5) lgkmcnt(1)
	v_fma_f64 v[3:4], v[3:4], v[130:131], 0
	s_waitcnt vmcnt(4)
	s_delay_alu instid0(VALU_DEP_1) | instskip(SKIP_1) | instid1(VALU_DEP_1)
	v_fma_f64 v[3:4], v[114:115], v[132:133], v[3:4]
	s_waitcnt lgkmcnt(0)
	v_fma_f64 v[3:4], v[116:117], v[134:135], v[3:4]
	scratch_load_b128 v[114:117], off, off offset:144
	s_waitcnt vmcnt(4)
	v_fma_f64 v[3:4], v[118:119], v[136:137], v[3:4]
	ds_load_2addr_b64 v[130:133], v113 offset0:65 offset1:66
	ds_load_2addr_b64 v[134:137], v113 offset0:67 offset1:68
	s_waitcnt lgkmcnt(1)
	v_fma_f64 v[3:4], v[120:121], v[130:131], v[3:4]
	scratch_load_b128 v[118:121], off, off offset:160
	s_waitcnt vmcnt(4)
	v_fma_f64 v[3:4], v[122:123], v[132:133], v[3:4]
	s_waitcnt lgkmcnt(0)
	s_delay_alu instid0(VALU_DEP_1)
	v_fma_f64 v[3:4], v[124:125], v[134:135], v[3:4]
	scratch_load_b128 v[122:125], off, off offset:176
	s_waitcnt vmcnt(4)
	v_fma_f64 v[3:4], v[126:127], v[136:137], v[3:4]
	ds_load_2addr_b64 v[130:133], v113 offset0:69 offset1:70
	ds_load_2addr_b64 v[134:137], v113 offset0:71 offset1:72
	s_waitcnt lgkmcnt(1)
	v_fma_f64 v[3:4], v[128:129], v[130:131], v[3:4]
	scratch_load_b128 v[126:129], off, off offset:192
	s_waitcnt vmcnt(4)
	v_fma_f64 v[3:4], v[138:139], v[132:133], v[3:4]
	scratch_load_b128 v[130:133], off, off offset:208
	s_waitcnt lgkmcnt(0)
	v_fma_f64 v[3:4], v[140:141], v[134:135], v[3:4]
	s_waitcnt vmcnt(4)
	s_delay_alu instid0(VALU_DEP_1)
	v_fma_f64 v[3:4], v[114:115], v[136:137], v[3:4]
	ds_load_2addr_b64 v[134:137], v113 offset0:73 offset1:74
	ds_load_2addr_b64 v[138:141], v113 offset0:75 offset1:76
	s_waitcnt lgkmcnt(1)
	v_fma_f64 v[3:4], v[116:117], v[134:135], v[3:4]
	scratch_load_b128 v[114:117], off, off offset:224
	s_waitcnt vmcnt(4)
	v_fma_f64 v[3:4], v[118:119], v[136:137], v[3:4]
	s_waitcnt lgkmcnt(0)
	s_delay_alu instid0(VALU_DEP_1)
	v_fma_f64 v[3:4], v[120:121], v[138:139], v[3:4]
	scratch_load_b128 v[118:121], off, off offset:240
	s_waitcnt vmcnt(4)
	v_fma_f64 v[3:4], v[122:123], v[140:141], v[3:4]
	ds_load_2addr_b64 v[134:137], v113 offset0:77 offset1:78
	ds_load_2addr_b64 v[138:141], v113 offset0:79 offset1:80
	s_waitcnt lgkmcnt(1)
	v_fma_f64 v[3:4], v[124:125], v[134:135], v[3:4]
	scratch_load_b128 v[122:125], off, off offset:256
	s_waitcnt vmcnt(4)
	v_fma_f64 v[3:4], v[126:127], v[136:137], v[3:4]
	s_waitcnt lgkmcnt(0)
	s_delay_alu instid0(VALU_DEP_1)
	v_fma_f64 v[3:4], v[128:129], v[138:139], v[3:4]
	scratch_load_b128 v[126:129], off, off offset:272
	s_waitcnt vmcnt(4)
	v_fma_f64 v[3:4], v[130:131], v[140:141], v[3:4]
	ds_load_2addr_b64 v[134:137], v113 offset0:81 offset1:82
	ds_load_2addr_b64 v[138:141], v113 offset0:83 offset1:84
	s_waitcnt lgkmcnt(1)
	v_fma_f64 v[3:4], v[132:133], v[134:135], v[3:4]
	scratch_load_b128 v[130:133], off, off offset:288
	s_waitcnt vmcnt(4)
	v_fma_f64 v[3:4], v[114:115], v[136:137], v[3:4]
	s_waitcnt lgkmcnt(0)
	s_delay_alu instid0(VALU_DEP_1)
	v_fma_f64 v[3:4], v[116:117], v[138:139], v[3:4]
	scratch_load_b128 v[114:117], off, off offset:304
	s_waitcnt vmcnt(4)
	v_fma_f64 v[3:4], v[118:119], v[140:141], v[3:4]
	ds_load_2addr_b64 v[134:137], v113 offset0:85 offset1:86
	ds_load_2addr_b64 v[138:141], v113 offset0:87 offset1:88
	s_waitcnt lgkmcnt(1)
	v_fma_f64 v[3:4], v[120:121], v[134:135], v[3:4]
	scratch_load_b128 v[118:121], off, off offset:320
	s_waitcnt vmcnt(4)
	v_fma_f64 v[3:4], v[122:123], v[136:137], v[3:4]
	s_waitcnt lgkmcnt(0)
	s_delay_alu instid0(VALU_DEP_1)
	v_fma_f64 v[3:4], v[124:125], v[138:139], v[3:4]
	scratch_load_b128 v[122:125], off, off offset:336
	s_waitcnt vmcnt(4)
	v_fma_f64 v[3:4], v[126:127], v[140:141], v[3:4]
	ds_load_2addr_b64 v[134:137], v113 offset0:89 offset1:90
	ds_load_2addr_b64 v[138:141], v113 offset0:91 offset1:92
	s_waitcnt lgkmcnt(1)
	v_fma_f64 v[3:4], v[128:129], v[134:135], v[3:4]
	scratch_load_b128 v[126:129], off, off offset:352
	s_waitcnt vmcnt(4)
	v_fma_f64 v[3:4], v[130:131], v[136:137], v[3:4]
	s_waitcnt lgkmcnt(0)
	s_delay_alu instid0(VALU_DEP_1)
	v_fma_f64 v[3:4], v[132:133], v[138:139], v[3:4]
	scratch_load_b128 v[130:133], off, off offset:368
	s_waitcnt vmcnt(4)
	v_fma_f64 v[3:4], v[114:115], v[140:141], v[3:4]
	ds_load_2addr_b64 v[134:137], v113 offset0:93 offset1:94
	ds_load_2addr_b64 v[138:141], v113 offset0:95 offset1:96
	s_waitcnt lgkmcnt(1)
	v_fma_f64 v[3:4], v[116:117], v[134:135], v[3:4]
	scratch_load_b128 v[114:117], off, off offset:384
	s_waitcnt vmcnt(4)
	v_fma_f64 v[3:4], v[118:119], v[136:137], v[3:4]
	s_waitcnt lgkmcnt(0)
	s_delay_alu instid0(VALU_DEP_1)
	v_fma_f64 v[3:4], v[120:121], v[138:139], v[3:4]
	scratch_load_b128 v[118:121], off, off offset:400
	s_waitcnt vmcnt(4)
	v_fma_f64 v[3:4], v[122:123], v[140:141], v[3:4]
	ds_load_2addr_b64 v[134:137], v113 offset0:97 offset1:98
	ds_load_2addr_b64 v[138:141], v113 offset0:99 offset1:100
	s_waitcnt lgkmcnt(1)
	v_fma_f64 v[3:4], v[124:125], v[134:135], v[3:4]
	scratch_load_b64 v[134:135], off, off offset:416
	s_waitcnt vmcnt(4)
	v_fma_f64 v[3:4], v[126:127], v[136:137], v[3:4]
	s_waitcnt lgkmcnt(0)
	s_delay_alu instid0(VALU_DEP_1)
	v_fma_f64 v[3:4], v[128:129], v[138:139], v[3:4]
	ds_load_2addr_b64 v[122:125], v113 offset0:101 offset1:102
	ds_load_2addr_b64 v[126:129], v113 offset0:103 offset1:104
	s_waitcnt vmcnt(3)
	v_fma_f64 v[3:4], v[130:131], v[140:141], v[3:4]
	s_waitcnt lgkmcnt(1)
	s_delay_alu instid0(VALU_DEP_1) | instskip(SKIP_1) | instid1(VALU_DEP_1)
	v_fma_f64 v[3:4], v[132:133], v[122:123], v[3:4]
	s_waitcnt vmcnt(2)
	v_fma_f64 v[3:4], v[114:115], v[124:125], v[3:4]
	s_waitcnt lgkmcnt(0)
	s_delay_alu instid0(VALU_DEP_1) | instskip(SKIP_4) | instid1(VALU_DEP_1)
	v_fma_f64 v[3:4], v[116:117], v[126:127], v[3:4]
	ds_load_2addr_b64 v[113:116], v113 offset0:105 offset1:106
	s_waitcnt vmcnt(1)
	v_fma_f64 v[3:4], v[118:119], v[128:129], v[3:4]
	s_waitcnt lgkmcnt(0)
	v_fma_f64 v[3:4], v[120:121], v[113:114], v[3:4]
	s_waitcnt vmcnt(0)
	s_delay_alu instid0(VALU_DEP_1) | instskip(NEXT) | instid1(VALU_DEP_1)
	v_fma_f64 v[3:4], v[134:135], v[115:116], v[3:4]
	v_add_f64 v[1:2], v[1:2], -v[3:4]
	scratch_store_b64 off, v[1:2], off offset:48
	v_cmpx_lt_u32_e32 5, v0
	s_cbranch_execz .LBB116_317
; %bb.316:
	scratch_load_b64 v[1:2], off, off offset:40
	v_mov_b32_e32 v3, 0
	s_delay_alu instid0(VALU_DEP_1)
	v_mov_b32_e32 v4, v3
	scratch_store_b64 off, v[3:4], off offset:40
	s_waitcnt vmcnt(0)
	ds_store_b64 v5, v[1:2]
.LBB116_317:
	s_or_b32 exec_lo, exec_lo, s0
	s_waitcnt lgkmcnt(0)
	s_waitcnt_vscnt null, 0x0
	s_barrier
	buffer_gl0_inv
	s_clause 0x4
	scratch_load_b128 v[1:4], off, off offset:40
	scratch_load_b128 v[114:117], off, off offset:56
	;; [unrolled: 1-line block ×5, first 2 shown]
	v_mov_b32_e32 v113, 0
	ds_load_b128 v[130:133], v113 offset:480
	ds_load_b128 v[134:137], v113 offset:496
	scratch_load_b128 v[138:141], off, off offset:120
	s_mov_b32 s0, exec_lo
	s_waitcnt vmcnt(5) lgkmcnt(1)
	v_fma_f64 v[3:4], v[3:4], v[130:131], 0
	s_waitcnt vmcnt(4)
	s_delay_alu instid0(VALU_DEP_1) | instskip(SKIP_1) | instid1(VALU_DEP_1)
	v_fma_f64 v[3:4], v[114:115], v[132:133], v[3:4]
	s_waitcnt lgkmcnt(0)
	v_fma_f64 v[3:4], v[116:117], v[134:135], v[3:4]
	scratch_load_b128 v[114:117], off, off offset:136
	s_waitcnt vmcnt(4)
	v_fma_f64 v[3:4], v[118:119], v[136:137], v[3:4]
	ds_load_b128 v[130:133], v113 offset:512
	ds_load_b128 v[134:137], v113 offset:528
	s_waitcnt lgkmcnt(1)
	v_fma_f64 v[3:4], v[120:121], v[130:131], v[3:4]
	scratch_load_b128 v[118:121], off, off offset:152
	s_waitcnt vmcnt(4)
	v_fma_f64 v[3:4], v[122:123], v[132:133], v[3:4]
	s_waitcnt lgkmcnt(0)
	s_delay_alu instid0(VALU_DEP_1)
	v_fma_f64 v[3:4], v[124:125], v[134:135], v[3:4]
	scratch_load_b128 v[122:125], off, off offset:168
	s_waitcnt vmcnt(4)
	v_fma_f64 v[3:4], v[126:127], v[136:137], v[3:4]
	ds_load_b128 v[130:133], v113 offset:544
	ds_load_b128 v[134:137], v113 offset:560
	s_waitcnt lgkmcnt(1)
	v_fma_f64 v[3:4], v[128:129], v[130:131], v[3:4]
	scratch_load_b128 v[126:129], off, off offset:184
	s_waitcnt vmcnt(4)
	v_fma_f64 v[3:4], v[138:139], v[132:133], v[3:4]
	scratch_load_b128 v[130:133], off, off offset:200
	s_waitcnt lgkmcnt(0)
	v_fma_f64 v[3:4], v[140:141], v[134:135], v[3:4]
	s_waitcnt vmcnt(4)
	s_delay_alu instid0(VALU_DEP_1)
	v_fma_f64 v[3:4], v[114:115], v[136:137], v[3:4]
	ds_load_b128 v[134:137], v113 offset:576
	ds_load_b128 v[138:141], v113 offset:592
	s_waitcnt lgkmcnt(1)
	v_fma_f64 v[3:4], v[116:117], v[134:135], v[3:4]
	scratch_load_b128 v[114:117], off, off offset:216
	s_waitcnt vmcnt(4)
	v_fma_f64 v[3:4], v[118:119], v[136:137], v[3:4]
	s_waitcnt lgkmcnt(0)
	s_delay_alu instid0(VALU_DEP_1)
	v_fma_f64 v[3:4], v[120:121], v[138:139], v[3:4]
	scratch_load_b128 v[118:121], off, off offset:232
	s_waitcnt vmcnt(4)
	v_fma_f64 v[3:4], v[122:123], v[140:141], v[3:4]
	ds_load_b128 v[134:137], v113 offset:608
	ds_load_b128 v[138:141], v113 offset:624
	s_waitcnt lgkmcnt(1)
	v_fma_f64 v[3:4], v[124:125], v[134:135], v[3:4]
	scratch_load_b128 v[122:125], off, off offset:248
	s_waitcnt vmcnt(4)
	v_fma_f64 v[3:4], v[126:127], v[136:137], v[3:4]
	s_waitcnt lgkmcnt(0)
	s_delay_alu instid0(VALU_DEP_1)
	v_fma_f64 v[3:4], v[128:129], v[138:139], v[3:4]
	scratch_load_b128 v[126:129], off, off offset:264
	s_waitcnt vmcnt(4)
	;; [unrolled: 13-line block ×6, first 2 shown]
	v_fma_f64 v[3:4], v[122:123], v[140:141], v[3:4]
	ds_load_b128 v[134:137], v113 offset:768
	ds_load_b128 v[138:141], v113 offset:784
	s_waitcnt lgkmcnt(1)
	v_fma_f64 v[3:4], v[124:125], v[134:135], v[3:4]
	scratch_load_b128 v[122:125], off, off offset:408
	s_waitcnt vmcnt(4)
	v_fma_f64 v[3:4], v[126:127], v[136:137], v[3:4]
	s_waitcnt lgkmcnt(0)
	s_delay_alu instid0(VALU_DEP_1)
	v_fma_f64 v[3:4], v[128:129], v[138:139], v[3:4]
	ds_load_b128 v[126:129], v113 offset:800
	ds_load_b128 v[134:137], v113 offset:816
	s_waitcnt vmcnt(3)
	v_fma_f64 v[3:4], v[130:131], v[140:141], v[3:4]
	s_waitcnt lgkmcnt(1)
	s_delay_alu instid0(VALU_DEP_1) | instskip(SKIP_1) | instid1(VALU_DEP_1)
	v_fma_f64 v[3:4], v[132:133], v[126:127], v[3:4]
	s_waitcnt vmcnt(2)
	v_fma_f64 v[3:4], v[114:115], v[128:129], v[3:4]
	s_waitcnt lgkmcnt(0)
	s_delay_alu instid0(VALU_DEP_1) | instskip(SKIP_1) | instid1(VALU_DEP_1)
	v_fma_f64 v[3:4], v[116:117], v[134:135], v[3:4]
	s_waitcnt vmcnt(1)
	v_fma_f64 v[3:4], v[118:119], v[136:137], v[3:4]
	ds_load_b128 v[114:117], v113 offset:832
	ds_load_b64 v[118:119], v113 offset:848
	s_waitcnt lgkmcnt(1)
	v_fma_f64 v[3:4], v[120:121], v[114:115], v[3:4]
	s_waitcnt vmcnt(0)
	s_delay_alu instid0(VALU_DEP_1) | instskip(SKIP_1) | instid1(VALU_DEP_1)
	v_fma_f64 v[3:4], v[122:123], v[116:117], v[3:4]
	s_waitcnt lgkmcnt(0)
	v_fma_f64 v[3:4], v[124:125], v[118:119], v[3:4]
	s_delay_alu instid0(VALU_DEP_1)
	v_add_f64 v[1:2], v[1:2], -v[3:4]
	scratch_store_b64 off, v[1:2], off offset:40
	v_cmpx_lt_u32_e32 4, v0
	s_cbranch_execz .LBB116_319
; %bb.318:
	scratch_load_b64 v[1:2], off, off offset:32
	v_mov_b32_e32 v114, v113
	scratch_store_b64 off, v[113:114], off offset:32
	s_waitcnt vmcnt(0)
	ds_store_b64 v5, v[1:2]
.LBB116_319:
	s_or_b32 exec_lo, exec_lo, s0
	s_waitcnt lgkmcnt(0)
	s_waitcnt_vscnt null, 0x0
	s_barrier
	buffer_gl0_inv
	s_clause 0x4
	scratch_load_b128 v[1:4], off, off offset:32
	scratch_load_b128 v[114:117], off, off offset:48
	;; [unrolled: 1-line block ×5, first 2 shown]
	ds_load_2addr_b64 v[130:133], v113 offset0:59 offset1:60
	ds_load_2addr_b64 v[134:137], v113 offset0:61 offset1:62
	scratch_load_b128 v[138:141], off, off offset:112
	s_mov_b32 s0, exec_lo
	s_waitcnt vmcnt(5) lgkmcnt(1)
	v_fma_f64 v[3:4], v[3:4], v[130:131], 0
	s_waitcnt vmcnt(4)
	s_delay_alu instid0(VALU_DEP_1) | instskip(SKIP_1) | instid1(VALU_DEP_1)
	v_fma_f64 v[3:4], v[114:115], v[132:133], v[3:4]
	s_waitcnt lgkmcnt(0)
	v_fma_f64 v[3:4], v[116:117], v[134:135], v[3:4]
	scratch_load_b128 v[114:117], off, off offset:128
	s_waitcnt vmcnt(4)
	v_fma_f64 v[3:4], v[118:119], v[136:137], v[3:4]
	ds_load_2addr_b64 v[130:133], v113 offset0:63 offset1:64
	ds_load_2addr_b64 v[134:137], v113 offset0:65 offset1:66
	s_waitcnt lgkmcnt(1)
	v_fma_f64 v[3:4], v[120:121], v[130:131], v[3:4]
	scratch_load_b128 v[118:121], off, off offset:144
	s_waitcnt vmcnt(4)
	v_fma_f64 v[3:4], v[122:123], v[132:133], v[3:4]
	s_waitcnt lgkmcnt(0)
	s_delay_alu instid0(VALU_DEP_1)
	v_fma_f64 v[3:4], v[124:125], v[134:135], v[3:4]
	scratch_load_b128 v[122:125], off, off offset:160
	s_waitcnt vmcnt(4)
	v_fma_f64 v[3:4], v[126:127], v[136:137], v[3:4]
	ds_load_2addr_b64 v[130:133], v113 offset0:67 offset1:68
	ds_load_2addr_b64 v[134:137], v113 offset0:69 offset1:70
	s_waitcnt lgkmcnt(1)
	v_fma_f64 v[3:4], v[128:129], v[130:131], v[3:4]
	scratch_load_b128 v[126:129], off, off offset:176
	s_waitcnt vmcnt(4)
	v_fma_f64 v[3:4], v[138:139], v[132:133], v[3:4]
	scratch_load_b128 v[130:133], off, off offset:192
	s_waitcnt lgkmcnt(0)
	v_fma_f64 v[3:4], v[140:141], v[134:135], v[3:4]
	s_waitcnt vmcnt(4)
	s_delay_alu instid0(VALU_DEP_1)
	v_fma_f64 v[3:4], v[114:115], v[136:137], v[3:4]
	ds_load_2addr_b64 v[134:137], v113 offset0:71 offset1:72
	ds_load_2addr_b64 v[138:141], v113 offset0:73 offset1:74
	s_waitcnt lgkmcnt(1)
	v_fma_f64 v[3:4], v[116:117], v[134:135], v[3:4]
	scratch_load_b128 v[114:117], off, off offset:208
	s_waitcnt vmcnt(4)
	v_fma_f64 v[3:4], v[118:119], v[136:137], v[3:4]
	s_waitcnt lgkmcnt(0)
	s_delay_alu instid0(VALU_DEP_1)
	v_fma_f64 v[3:4], v[120:121], v[138:139], v[3:4]
	scratch_load_b128 v[118:121], off, off offset:224
	s_waitcnt vmcnt(4)
	v_fma_f64 v[3:4], v[122:123], v[140:141], v[3:4]
	ds_load_2addr_b64 v[134:137], v113 offset0:75 offset1:76
	ds_load_2addr_b64 v[138:141], v113 offset0:77 offset1:78
	s_waitcnt lgkmcnt(1)
	v_fma_f64 v[3:4], v[124:125], v[134:135], v[3:4]
	scratch_load_b128 v[122:125], off, off offset:240
	s_waitcnt vmcnt(4)
	v_fma_f64 v[3:4], v[126:127], v[136:137], v[3:4]
	s_waitcnt lgkmcnt(0)
	s_delay_alu instid0(VALU_DEP_1)
	v_fma_f64 v[3:4], v[128:129], v[138:139], v[3:4]
	scratch_load_b128 v[126:129], off, off offset:256
	s_waitcnt vmcnt(4)
	;; [unrolled: 13-line block ×6, first 2 shown]
	v_fma_f64 v[3:4], v[122:123], v[140:141], v[3:4]
	ds_load_2addr_b64 v[134:137], v113 offset0:95 offset1:96
	ds_load_2addr_b64 v[138:141], v113 offset0:97 offset1:98
	s_waitcnt lgkmcnt(1)
	v_fma_f64 v[3:4], v[124:125], v[134:135], v[3:4]
	scratch_load_b128 v[122:125], off, off offset:400
	s_waitcnt vmcnt(4)
	v_fma_f64 v[3:4], v[126:127], v[136:137], v[3:4]
	s_waitcnt lgkmcnt(0)
	s_delay_alu instid0(VALU_DEP_1)
	v_fma_f64 v[3:4], v[128:129], v[138:139], v[3:4]
	scratch_load_b64 v[138:139], off, off offset:416
	ds_load_2addr_b64 v[126:129], v113 offset0:99 offset1:100
	ds_load_2addr_b64 v[134:137], v113 offset0:101 offset1:102
	s_waitcnt vmcnt(4)
	v_fma_f64 v[3:4], v[130:131], v[140:141], v[3:4]
	s_waitcnt lgkmcnt(1)
	s_delay_alu instid0(VALU_DEP_1) | instskip(SKIP_1) | instid1(VALU_DEP_1)
	v_fma_f64 v[3:4], v[132:133], v[126:127], v[3:4]
	s_waitcnt vmcnt(3)
	v_fma_f64 v[3:4], v[114:115], v[128:129], v[3:4]
	s_waitcnt lgkmcnt(0)
	s_delay_alu instid0(VALU_DEP_1)
	v_fma_f64 v[3:4], v[116:117], v[134:135], v[3:4]
	ds_load_2addr_b64 v[114:117], v113 offset0:103 offset1:104
	ds_load_2addr_b64 v[126:129], v113 offset0:105 offset1:106
	s_waitcnt vmcnt(2)
	v_fma_f64 v[3:4], v[118:119], v[136:137], v[3:4]
	s_waitcnt lgkmcnt(1)
	s_delay_alu instid0(VALU_DEP_1) | instskip(SKIP_1) | instid1(VALU_DEP_1)
	v_fma_f64 v[3:4], v[120:121], v[114:115], v[3:4]
	s_waitcnt vmcnt(1)
	v_fma_f64 v[3:4], v[122:123], v[116:117], v[3:4]
	s_waitcnt lgkmcnt(0)
	s_delay_alu instid0(VALU_DEP_1) | instskip(SKIP_1) | instid1(VALU_DEP_1)
	v_fma_f64 v[3:4], v[124:125], v[126:127], v[3:4]
	s_waitcnt vmcnt(0)
	v_fma_f64 v[3:4], v[138:139], v[128:129], v[3:4]
	s_delay_alu instid0(VALU_DEP_1)
	v_add_f64 v[1:2], v[1:2], -v[3:4]
	scratch_store_b64 off, v[1:2], off offset:32
	v_cmpx_lt_u32_e32 3, v0
	s_cbranch_execz .LBB116_321
; %bb.320:
	scratch_load_b64 v[1:2], off, off offset:24
	v_mov_b32_e32 v3, 0
	s_delay_alu instid0(VALU_DEP_1)
	v_mov_b32_e32 v4, v3
	scratch_store_b64 off, v[3:4], off offset:24
	s_waitcnt vmcnt(0)
	ds_store_b64 v5, v[1:2]
.LBB116_321:
	s_or_b32 exec_lo, exec_lo, s0
	s_waitcnt lgkmcnt(0)
	s_waitcnt_vscnt null, 0x0
	s_barrier
	buffer_gl0_inv
	s_clause 0x4
	scratch_load_b128 v[1:4], off, off offset:24
	scratch_load_b128 v[114:117], off, off offset:40
	;; [unrolled: 1-line block ×5, first 2 shown]
	v_mov_b32_e32 v113, 0
	ds_load_b128 v[130:133], v113 offset:464
	ds_load_b128 v[134:137], v113 offset:480
	scratch_load_b128 v[138:141], off, off offset:104
	s_mov_b32 s0, exec_lo
	s_waitcnt vmcnt(5) lgkmcnt(1)
	v_fma_f64 v[3:4], v[3:4], v[130:131], 0
	s_waitcnt vmcnt(4)
	s_delay_alu instid0(VALU_DEP_1) | instskip(SKIP_1) | instid1(VALU_DEP_1)
	v_fma_f64 v[3:4], v[114:115], v[132:133], v[3:4]
	s_waitcnt lgkmcnt(0)
	v_fma_f64 v[3:4], v[116:117], v[134:135], v[3:4]
	scratch_load_b128 v[114:117], off, off offset:120
	s_waitcnt vmcnt(4)
	v_fma_f64 v[3:4], v[118:119], v[136:137], v[3:4]
	ds_load_b128 v[130:133], v113 offset:496
	ds_load_b128 v[134:137], v113 offset:512
	s_waitcnt lgkmcnt(1)
	v_fma_f64 v[3:4], v[120:121], v[130:131], v[3:4]
	scratch_load_b128 v[118:121], off, off offset:136
	s_waitcnt vmcnt(4)
	v_fma_f64 v[3:4], v[122:123], v[132:133], v[3:4]
	s_waitcnt lgkmcnt(0)
	s_delay_alu instid0(VALU_DEP_1)
	v_fma_f64 v[3:4], v[124:125], v[134:135], v[3:4]
	scratch_load_b128 v[122:125], off, off offset:152
	s_waitcnt vmcnt(4)
	v_fma_f64 v[3:4], v[126:127], v[136:137], v[3:4]
	ds_load_b128 v[130:133], v113 offset:528
	ds_load_b128 v[134:137], v113 offset:544
	s_waitcnt lgkmcnt(1)
	v_fma_f64 v[3:4], v[128:129], v[130:131], v[3:4]
	scratch_load_b128 v[126:129], off, off offset:168
	s_waitcnt vmcnt(4)
	v_fma_f64 v[3:4], v[138:139], v[132:133], v[3:4]
	scratch_load_b128 v[130:133], off, off offset:184
	s_waitcnt lgkmcnt(0)
	v_fma_f64 v[3:4], v[140:141], v[134:135], v[3:4]
	s_waitcnt vmcnt(4)
	s_delay_alu instid0(VALU_DEP_1)
	v_fma_f64 v[3:4], v[114:115], v[136:137], v[3:4]
	ds_load_b128 v[134:137], v113 offset:560
	ds_load_b128 v[138:141], v113 offset:576
	s_waitcnt lgkmcnt(1)
	v_fma_f64 v[3:4], v[116:117], v[134:135], v[3:4]
	scratch_load_b128 v[114:117], off, off offset:200
	s_waitcnt vmcnt(4)
	v_fma_f64 v[3:4], v[118:119], v[136:137], v[3:4]
	s_waitcnt lgkmcnt(0)
	s_delay_alu instid0(VALU_DEP_1)
	v_fma_f64 v[3:4], v[120:121], v[138:139], v[3:4]
	scratch_load_b128 v[118:121], off, off offset:216
	s_waitcnt vmcnt(4)
	v_fma_f64 v[3:4], v[122:123], v[140:141], v[3:4]
	ds_load_b128 v[134:137], v113 offset:592
	ds_load_b128 v[138:141], v113 offset:608
	s_waitcnt lgkmcnt(1)
	v_fma_f64 v[3:4], v[124:125], v[134:135], v[3:4]
	scratch_load_b128 v[122:125], off, off offset:232
	s_waitcnt vmcnt(4)
	v_fma_f64 v[3:4], v[126:127], v[136:137], v[3:4]
	s_waitcnt lgkmcnt(0)
	s_delay_alu instid0(VALU_DEP_1)
	v_fma_f64 v[3:4], v[128:129], v[138:139], v[3:4]
	scratch_load_b128 v[126:129], off, off offset:248
	s_waitcnt vmcnt(4)
	;; [unrolled: 13-line block ×7, first 2 shown]
	v_fma_f64 v[3:4], v[130:131], v[140:141], v[3:4]
	ds_load_b128 v[134:137], v113 offset:784
	ds_load_b128 v[138:141], v113 offset:800
	s_waitcnt lgkmcnt(1)
	v_fma_f64 v[3:4], v[132:133], v[134:135], v[3:4]
	s_waitcnt vmcnt(3)
	s_delay_alu instid0(VALU_DEP_1) | instskip(SKIP_1) | instid1(VALU_DEP_1)
	v_fma_f64 v[3:4], v[114:115], v[136:137], v[3:4]
	s_waitcnt lgkmcnt(0)
	v_fma_f64 v[3:4], v[116:117], v[138:139], v[3:4]
	ds_load_b128 v[114:117], v113 offset:816
	ds_load_b128 v[130:133], v113 offset:832
	s_waitcnt vmcnt(2)
	v_fma_f64 v[3:4], v[118:119], v[140:141], v[3:4]
	s_waitcnt lgkmcnt(1)
	s_delay_alu instid0(VALU_DEP_1) | instskip(SKIP_4) | instid1(VALU_DEP_1)
	v_fma_f64 v[3:4], v[120:121], v[114:115], v[3:4]
	ds_load_b64 v[114:115], v113 offset:848
	s_waitcnt vmcnt(1)
	v_fma_f64 v[3:4], v[122:123], v[116:117], v[3:4]
	s_waitcnt lgkmcnt(1)
	v_fma_f64 v[3:4], v[124:125], v[130:131], v[3:4]
	s_waitcnt vmcnt(0)
	s_delay_alu instid0(VALU_DEP_1) | instskip(SKIP_1) | instid1(VALU_DEP_1)
	v_fma_f64 v[3:4], v[126:127], v[132:133], v[3:4]
	s_waitcnt lgkmcnt(0)
	v_fma_f64 v[3:4], v[128:129], v[114:115], v[3:4]
	s_delay_alu instid0(VALU_DEP_1)
	v_add_f64 v[1:2], v[1:2], -v[3:4]
	scratch_store_b64 off, v[1:2], off offset:24
	v_cmpx_lt_u32_e32 2, v0
	s_cbranch_execz .LBB116_323
; %bb.322:
	scratch_load_b64 v[1:2], off, off offset:16
	v_mov_b32_e32 v114, v113
	scratch_store_b64 off, v[113:114], off offset:16
	s_waitcnt vmcnt(0)
	ds_store_b64 v5, v[1:2]
.LBB116_323:
	s_or_b32 exec_lo, exec_lo, s0
	s_waitcnt lgkmcnt(0)
	s_waitcnt_vscnt null, 0x0
	s_barrier
	buffer_gl0_inv
	s_clause 0x4
	scratch_load_b128 v[1:4], off, off offset:16
	scratch_load_b128 v[114:117], off, off offset:32
	scratch_load_b128 v[118:121], off, off offset:48
	scratch_load_b128 v[122:125], off, off offset:64
	scratch_load_b128 v[126:129], off, off offset:80
	ds_load_2addr_b64 v[130:133], v113 offset0:57 offset1:58
	ds_load_2addr_b64 v[134:137], v113 offset0:59 offset1:60
	scratch_load_b128 v[138:141], off, off offset:96
	s_mov_b32 s0, exec_lo
	s_waitcnt vmcnt(5) lgkmcnt(1)
	v_fma_f64 v[3:4], v[3:4], v[130:131], 0
	s_waitcnt vmcnt(4)
	s_delay_alu instid0(VALU_DEP_1) | instskip(SKIP_1) | instid1(VALU_DEP_1)
	v_fma_f64 v[3:4], v[114:115], v[132:133], v[3:4]
	s_waitcnt lgkmcnt(0)
	v_fma_f64 v[3:4], v[116:117], v[134:135], v[3:4]
	scratch_load_b128 v[114:117], off, off offset:112
	s_waitcnt vmcnt(4)
	v_fma_f64 v[3:4], v[118:119], v[136:137], v[3:4]
	ds_load_2addr_b64 v[130:133], v113 offset0:61 offset1:62
	ds_load_2addr_b64 v[134:137], v113 offset0:63 offset1:64
	s_waitcnt lgkmcnt(1)
	v_fma_f64 v[3:4], v[120:121], v[130:131], v[3:4]
	scratch_load_b128 v[118:121], off, off offset:128
	s_waitcnt vmcnt(4)
	v_fma_f64 v[3:4], v[122:123], v[132:133], v[3:4]
	s_waitcnt lgkmcnt(0)
	s_delay_alu instid0(VALU_DEP_1)
	v_fma_f64 v[3:4], v[124:125], v[134:135], v[3:4]
	scratch_load_b128 v[122:125], off, off offset:144
	s_waitcnt vmcnt(4)
	v_fma_f64 v[3:4], v[126:127], v[136:137], v[3:4]
	ds_load_2addr_b64 v[130:133], v113 offset0:65 offset1:66
	ds_load_2addr_b64 v[134:137], v113 offset0:67 offset1:68
	s_waitcnt lgkmcnt(1)
	v_fma_f64 v[3:4], v[128:129], v[130:131], v[3:4]
	scratch_load_b128 v[126:129], off, off offset:160
	s_waitcnt vmcnt(4)
	v_fma_f64 v[3:4], v[138:139], v[132:133], v[3:4]
	scratch_load_b128 v[130:133], off, off offset:176
	s_waitcnt lgkmcnt(0)
	v_fma_f64 v[3:4], v[140:141], v[134:135], v[3:4]
	s_waitcnt vmcnt(4)
	s_delay_alu instid0(VALU_DEP_1)
	v_fma_f64 v[3:4], v[114:115], v[136:137], v[3:4]
	ds_load_2addr_b64 v[134:137], v113 offset0:69 offset1:70
	ds_load_2addr_b64 v[138:141], v113 offset0:71 offset1:72
	s_waitcnt lgkmcnt(1)
	v_fma_f64 v[3:4], v[116:117], v[134:135], v[3:4]
	scratch_load_b128 v[114:117], off, off offset:192
	s_waitcnt vmcnt(4)
	v_fma_f64 v[3:4], v[118:119], v[136:137], v[3:4]
	s_waitcnt lgkmcnt(0)
	s_delay_alu instid0(VALU_DEP_1)
	v_fma_f64 v[3:4], v[120:121], v[138:139], v[3:4]
	scratch_load_b128 v[118:121], off, off offset:208
	s_waitcnt vmcnt(4)
	v_fma_f64 v[3:4], v[122:123], v[140:141], v[3:4]
	ds_load_2addr_b64 v[134:137], v113 offset0:73 offset1:74
	ds_load_2addr_b64 v[138:141], v113 offset0:75 offset1:76
	s_waitcnt lgkmcnt(1)
	v_fma_f64 v[3:4], v[124:125], v[134:135], v[3:4]
	scratch_load_b128 v[122:125], off, off offset:224
	s_waitcnt vmcnt(4)
	v_fma_f64 v[3:4], v[126:127], v[136:137], v[3:4]
	s_waitcnt lgkmcnt(0)
	s_delay_alu instid0(VALU_DEP_1)
	v_fma_f64 v[3:4], v[128:129], v[138:139], v[3:4]
	scratch_load_b128 v[126:129], off, off offset:240
	s_waitcnt vmcnt(4)
	;; [unrolled: 13-line block ×7, first 2 shown]
	v_fma_f64 v[3:4], v[130:131], v[140:141], v[3:4]
	ds_load_2addr_b64 v[134:137], v113 offset0:97 offset1:98
	ds_load_2addr_b64 v[138:141], v113 offset0:99 offset1:100
	s_waitcnt lgkmcnt(1)
	v_fma_f64 v[3:4], v[132:133], v[134:135], v[3:4]
	scratch_load_b64 v[134:135], off, off offset:416
	s_waitcnt vmcnt(4)
	v_fma_f64 v[3:4], v[114:115], v[136:137], v[3:4]
	s_waitcnt lgkmcnt(0)
	s_delay_alu instid0(VALU_DEP_1)
	v_fma_f64 v[3:4], v[116:117], v[138:139], v[3:4]
	ds_load_2addr_b64 v[114:117], v113 offset0:101 offset1:102
	ds_load_2addr_b64 v[130:133], v113 offset0:103 offset1:104
	s_waitcnt vmcnt(3)
	v_fma_f64 v[3:4], v[118:119], v[140:141], v[3:4]
	s_waitcnt lgkmcnt(1)
	s_delay_alu instid0(VALU_DEP_1) | instskip(SKIP_1) | instid1(VALU_DEP_1)
	v_fma_f64 v[3:4], v[120:121], v[114:115], v[3:4]
	s_waitcnt vmcnt(2)
	v_fma_f64 v[3:4], v[122:123], v[116:117], v[3:4]
	ds_load_2addr_b64 v[113:116], v113 offset0:105 offset1:106
	s_waitcnt lgkmcnt(1)
	v_fma_f64 v[3:4], v[124:125], v[130:131], v[3:4]
	s_waitcnt vmcnt(1)
	s_delay_alu instid0(VALU_DEP_1) | instskip(SKIP_1) | instid1(VALU_DEP_1)
	v_fma_f64 v[3:4], v[126:127], v[132:133], v[3:4]
	s_waitcnt lgkmcnt(0)
	v_fma_f64 v[3:4], v[128:129], v[113:114], v[3:4]
	s_waitcnt vmcnt(0)
	s_delay_alu instid0(VALU_DEP_1) | instskip(NEXT) | instid1(VALU_DEP_1)
	v_fma_f64 v[3:4], v[134:135], v[115:116], v[3:4]
	v_add_f64 v[1:2], v[1:2], -v[3:4]
	scratch_store_b64 off, v[1:2], off offset:16
	v_cmpx_lt_u32_e32 1, v0
	s_cbranch_execz .LBB116_325
; %bb.324:
	scratch_load_b64 v[1:2], off, off offset:8
	v_mov_b32_e32 v3, 0
	s_delay_alu instid0(VALU_DEP_1)
	v_mov_b32_e32 v4, v3
	scratch_store_b64 off, v[3:4], off offset:8
	s_waitcnt vmcnt(0)
	ds_store_b64 v5, v[1:2]
.LBB116_325:
	s_or_b32 exec_lo, exec_lo, s0
	s_waitcnt lgkmcnt(0)
	s_waitcnt_vscnt null, 0x0
	s_barrier
	buffer_gl0_inv
	s_clause 0x4
	scratch_load_b128 v[1:4], off, off offset:8
	scratch_load_b128 v[114:117], off, off offset:24
	;; [unrolled: 1-line block ×5, first 2 shown]
	v_mov_b32_e32 v113, 0
	ds_load_b128 v[130:133], v113 offset:448
	ds_load_b128 v[134:137], v113 offset:464
	scratch_load_b128 v[138:141], off, off offset:88
	s_mov_b32 s0, exec_lo
	s_waitcnt vmcnt(5) lgkmcnt(1)
	v_fma_f64 v[3:4], v[3:4], v[130:131], 0
	s_waitcnt vmcnt(4)
	s_delay_alu instid0(VALU_DEP_1) | instskip(SKIP_1) | instid1(VALU_DEP_1)
	v_fma_f64 v[3:4], v[114:115], v[132:133], v[3:4]
	s_waitcnt lgkmcnt(0)
	v_fma_f64 v[3:4], v[116:117], v[134:135], v[3:4]
	scratch_load_b128 v[114:117], off, off offset:104
	s_waitcnt vmcnt(4)
	v_fma_f64 v[3:4], v[118:119], v[136:137], v[3:4]
	ds_load_b128 v[130:133], v113 offset:480
	ds_load_b128 v[134:137], v113 offset:496
	s_waitcnt lgkmcnt(1)
	v_fma_f64 v[3:4], v[120:121], v[130:131], v[3:4]
	scratch_load_b128 v[118:121], off, off offset:120
	s_waitcnt vmcnt(4)
	v_fma_f64 v[3:4], v[122:123], v[132:133], v[3:4]
	s_waitcnt lgkmcnt(0)
	s_delay_alu instid0(VALU_DEP_1)
	v_fma_f64 v[3:4], v[124:125], v[134:135], v[3:4]
	scratch_load_b128 v[122:125], off, off offset:136
	s_waitcnt vmcnt(4)
	v_fma_f64 v[3:4], v[126:127], v[136:137], v[3:4]
	ds_load_b128 v[130:133], v113 offset:512
	ds_load_b128 v[134:137], v113 offset:528
	s_waitcnt lgkmcnt(1)
	v_fma_f64 v[3:4], v[128:129], v[130:131], v[3:4]
	scratch_load_b128 v[126:129], off, off offset:152
	s_waitcnt vmcnt(4)
	v_fma_f64 v[3:4], v[138:139], v[132:133], v[3:4]
	scratch_load_b128 v[130:133], off, off offset:168
	s_waitcnt lgkmcnt(0)
	v_fma_f64 v[3:4], v[140:141], v[134:135], v[3:4]
	s_waitcnt vmcnt(4)
	s_delay_alu instid0(VALU_DEP_1)
	v_fma_f64 v[3:4], v[114:115], v[136:137], v[3:4]
	ds_load_b128 v[134:137], v113 offset:544
	ds_load_b128 v[138:141], v113 offset:560
	s_waitcnt lgkmcnt(1)
	v_fma_f64 v[3:4], v[116:117], v[134:135], v[3:4]
	scratch_load_b128 v[114:117], off, off offset:184
	s_waitcnt vmcnt(4)
	v_fma_f64 v[3:4], v[118:119], v[136:137], v[3:4]
	s_waitcnt lgkmcnt(0)
	s_delay_alu instid0(VALU_DEP_1)
	v_fma_f64 v[3:4], v[120:121], v[138:139], v[3:4]
	scratch_load_b128 v[118:121], off, off offset:200
	s_waitcnt vmcnt(4)
	v_fma_f64 v[3:4], v[122:123], v[140:141], v[3:4]
	ds_load_b128 v[134:137], v113 offset:576
	ds_load_b128 v[138:141], v113 offset:592
	s_waitcnt lgkmcnt(1)
	v_fma_f64 v[3:4], v[124:125], v[134:135], v[3:4]
	scratch_load_b128 v[122:125], off, off offset:216
	s_waitcnt vmcnt(4)
	v_fma_f64 v[3:4], v[126:127], v[136:137], v[3:4]
	s_waitcnt lgkmcnt(0)
	s_delay_alu instid0(VALU_DEP_1)
	v_fma_f64 v[3:4], v[128:129], v[138:139], v[3:4]
	scratch_load_b128 v[126:129], off, off offset:232
	s_waitcnt vmcnt(4)
	;; [unrolled: 13-line block ×7, first 2 shown]
	v_fma_f64 v[3:4], v[130:131], v[140:141], v[3:4]
	ds_load_b128 v[134:137], v113 offset:768
	ds_load_b128 v[138:141], v113 offset:784
	s_waitcnt lgkmcnt(1)
	v_fma_f64 v[3:4], v[132:133], v[134:135], v[3:4]
	scratch_load_b128 v[130:133], off, off offset:408
	s_waitcnt vmcnt(4)
	v_fma_f64 v[3:4], v[114:115], v[136:137], v[3:4]
	s_waitcnt lgkmcnt(0)
	s_delay_alu instid0(VALU_DEP_1)
	v_fma_f64 v[3:4], v[116:117], v[138:139], v[3:4]
	ds_load_b128 v[114:117], v113 offset:800
	ds_load_b128 v[134:137], v113 offset:816
	s_waitcnt vmcnt(3)
	v_fma_f64 v[3:4], v[118:119], v[140:141], v[3:4]
	s_waitcnt lgkmcnt(1)
	s_delay_alu instid0(VALU_DEP_1) | instskip(SKIP_1) | instid1(VALU_DEP_1)
	v_fma_f64 v[3:4], v[120:121], v[114:115], v[3:4]
	s_waitcnt vmcnt(2)
	v_fma_f64 v[3:4], v[122:123], v[116:117], v[3:4]
	ds_load_b128 v[114:117], v113 offset:832
	ds_load_b64 v[118:119], v113 offset:848
	s_waitcnt lgkmcnt(2)
	v_fma_f64 v[3:4], v[124:125], v[134:135], v[3:4]
	s_waitcnt vmcnt(1)
	s_delay_alu instid0(VALU_DEP_1) | instskip(SKIP_1) | instid1(VALU_DEP_1)
	v_fma_f64 v[3:4], v[126:127], v[136:137], v[3:4]
	s_waitcnt lgkmcnt(1)
	v_fma_f64 v[3:4], v[128:129], v[114:115], v[3:4]
	s_waitcnt vmcnt(0)
	s_delay_alu instid0(VALU_DEP_1) | instskip(SKIP_1) | instid1(VALU_DEP_1)
	v_fma_f64 v[3:4], v[130:131], v[116:117], v[3:4]
	s_waitcnt lgkmcnt(0)
	v_fma_f64 v[3:4], v[132:133], v[118:119], v[3:4]
	s_delay_alu instid0(VALU_DEP_1)
	v_add_f64 v[1:2], v[1:2], -v[3:4]
	scratch_store_b64 off, v[1:2], off offset:8
	v_cmpx_ne_u32_e32 0, v0
	s_cbranch_execz .LBB116_327
; %bb.326:
	scratch_load_b64 v[0:1], off, off
	v_mov_b32_e32 v114, v113
	scratch_store_b64 off, v[113:114], off
	s_waitcnt vmcnt(0)
	ds_store_b64 v5, v[0:1]
.LBB116_327:
	s_or_b32 exec_lo, exec_lo, s0
	s_waitcnt lgkmcnt(0)
	s_waitcnt_vscnt null, 0x0
	s_barrier
	buffer_gl0_inv
	s_clause 0x4
	scratch_load_b128 v[0:3], off, off
	scratch_load_b128 v[114:117], off, off offset:16
	scratch_load_b128 v[118:121], off, off offset:32
	;; [unrolled: 1-line block ×4, first 2 shown]
	ds_load_2addr_b64 v[130:133], v113 offset0:55 offset1:56
	ds_load_2addr_b64 v[134:137], v113 offset0:57 offset1:58
	s_and_b32 vcc_lo, exec_lo, s12
	s_waitcnt vmcnt(4) lgkmcnt(1)
	v_fma_f64 v[130:131], v[2:3], v[130:131], 0
	scratch_load_b128 v[2:5], off, off offset:80
	s_waitcnt vmcnt(4)
	v_fma_f64 v[114:115], v[114:115], v[132:133], v[130:131]
	s_waitcnt lgkmcnt(0)
	s_delay_alu instid0(VALU_DEP_1)
	v_fma_f64 v[130:131], v[116:117], v[134:135], v[114:115]
	scratch_load_b128 v[114:117], off, off offset:96
	s_waitcnt vmcnt(4)
	v_fma_f64 v[118:119], v[118:119], v[136:137], v[130:131]
	ds_load_2addr_b64 v[130:133], v113 offset0:59 offset1:60
	ds_load_2addr_b64 v[134:137], v113 offset0:61 offset1:62
	s_waitcnt lgkmcnt(1)
	v_fma_f64 v[130:131], v[120:121], v[130:131], v[118:119]
	scratch_load_b128 v[118:121], off, off offset:112
	s_waitcnt vmcnt(4)
	v_fma_f64 v[122:123], v[122:123], v[132:133], v[130:131]
	s_waitcnt lgkmcnt(0)
	s_delay_alu instid0(VALU_DEP_1)
	v_fma_f64 v[130:131], v[124:125], v[134:135], v[122:123]
	scratch_load_b128 v[122:125], off, off offset:128
	s_waitcnt vmcnt(4)
	v_fma_f64 v[126:127], v[126:127], v[136:137], v[130:131]
	ds_load_2addr_b64 v[130:133], v113 offset0:63 offset1:64
	ds_load_2addr_b64 v[134:137], v113 offset0:65 offset1:66
	s_waitcnt lgkmcnt(1)
	;; [unrolled: 13-line block ×10, first 2 shown]
	v_fma_f64 v[130:131], v[4:5], v[130:131], v[2:3]
	scratch_load_b128 v[2:5], off, off offset:400
	s_waitcnt vmcnt(4)
	v_fma_f64 v[114:115], v[114:115], v[132:133], v[130:131]
	s_waitcnt lgkmcnt(0)
	s_delay_alu instid0(VALU_DEP_1)
	v_fma_f64 v[114:115], v[116:117], v[134:135], v[114:115]
	scratch_load_b64 v[134:135], off, off offset:416
	s_waitcnt vmcnt(4)
	v_fma_f64 v[118:119], v[118:119], v[136:137], v[114:115]
	ds_load_2addr_b64 v[114:117], v113 offset0:99 offset1:100
	ds_load_2addr_b64 v[130:133], v113 offset0:101 offset1:102
	s_waitcnt lgkmcnt(1)
	v_fma_f64 v[114:115], v[120:121], v[114:115], v[118:119]
	s_waitcnt vmcnt(3)
	s_delay_alu instid0(VALU_DEP_1) | instskip(SKIP_1) | instid1(VALU_DEP_1)
	v_fma_f64 v[114:115], v[122:123], v[116:117], v[114:115]
	s_waitcnt lgkmcnt(0)
	v_fma_f64 v[114:115], v[124:125], v[130:131], v[114:115]
	s_waitcnt vmcnt(2)
	s_delay_alu instid0(VALU_DEP_1)
	v_fma_f64 v[122:123], v[126:127], v[132:133], v[114:115]
	ds_load_2addr_b64 v[114:117], v113 offset0:103 offset1:104
	ds_load_2addr_b64 v[118:121], v113 offset0:105 offset1:106
	s_waitcnt lgkmcnt(1)
	v_fma_f64 v[113:114], v[128:129], v[114:115], v[122:123]
	s_waitcnt vmcnt(1)
	s_delay_alu instid0(VALU_DEP_1) | instskip(SKIP_1) | instid1(VALU_DEP_1)
	v_fma_f64 v[2:3], v[2:3], v[116:117], v[113:114]
	s_waitcnt lgkmcnt(0)
	v_fma_f64 v[2:3], v[4:5], v[118:119], v[2:3]
	s_waitcnt vmcnt(0)
	s_delay_alu instid0(VALU_DEP_1) | instskip(NEXT) | instid1(VALU_DEP_1)
	v_fma_f64 v[2:3], v[134:135], v[120:121], v[2:3]
	v_add_f64 v[0:1], v[0:1], -v[2:3]
	scratch_store_b64 off, v[0:1], off
	s_cbranch_vccz .LBB116_433
; %bb.328:
	v_dual_mov_b32 v0, s2 :: v_dual_mov_b32 v1, s3
	s_mov_b32 s0, exec_lo
	flat_load_b32 v0, v[0:1] offset:204
	s_waitcnt vmcnt(0) lgkmcnt(0)
	v_cmpx_ne_u32_e32 52, v0
	s_cbranch_execz .LBB116_330
; %bb.329:
	v_lshl_add_u32 v2, v0, 3, 0
	scratch_load_b64 v[0:1], v2, off offset:-8
	s_waitcnt vmcnt(0)
	scratch_store_b64 off, v[0:1], off offset:408
	scratch_store_b64 v2, v[4:5], off offset:-8
.LBB116_330:
	s_or_b32 exec_lo, exec_lo, s0
	v_dual_mov_b32 v0, s2 :: v_dual_mov_b32 v1, s3
	s_mov_b32 s0, exec_lo
	flat_load_b32 v0, v[0:1] offset:200
	s_waitcnt vmcnt(0) lgkmcnt(0)
	v_cmpx_ne_u32_e32 51, v0
	s_cbranch_execz .LBB116_332
; %bb.331:
	v_lshl_add_u32 v4, v0, 3, 0
	scratch_load_b64 v[0:1], v4, off offset:-8
	scratch_load_b64 v[2:3], off, off offset:400
	s_waitcnt vmcnt(1)
	scratch_store_b64 off, v[0:1], off offset:400
	s_waitcnt vmcnt(0)
	scratch_store_b64 v4, v[2:3], off offset:-8
.LBB116_332:
	s_or_b32 exec_lo, exec_lo, s0
	v_dual_mov_b32 v0, s2 :: v_dual_mov_b32 v1, s3
	s_mov_b32 s0, exec_lo
	flat_load_b32 v0, v[0:1] offset:196
	s_waitcnt vmcnt(0) lgkmcnt(0)
	v_cmpx_ne_u32_e32 50, v0
	s_cbranch_execz .LBB116_334
; %bb.333:
	v_lshl_add_u32 v4, v0, 3, 0
	scratch_load_b64 v[0:1], v4, off offset:-8
	scratch_load_b64 v[2:3], off, off offset:392
	s_waitcnt vmcnt(1)
	scratch_store_b64 off, v[0:1], off offset:392
	s_waitcnt vmcnt(0)
	scratch_store_b64 v4, v[2:3], off offset:-8
.LBB116_334:
	;; [unrolled: 16-line block ×50, first 2 shown]
	s_or_b32 exec_lo, exec_lo, s0
	v_dual_mov_b32 v0, s2 :: v_dual_mov_b32 v1, s3
	s_mov_b32 s0, exec_lo
	flat_load_b32 v2, v[0:1]
	scratch_load_b64 v[0:1], off, off
	s_waitcnt vmcnt(1) lgkmcnt(0)
	v_cmpx_ne_u32_e32 1, v2
	s_cbranch_execz .LBB116_432
; %bb.431:
	v_lshl_add_u32 v4, v2, 3, 0
	scratch_load_b64 v[2:3], v4, off offset:-8
	s_waitcnt vmcnt(0)
	scratch_store_b64 off, v[2:3], off
	scratch_store_b64 v4, v[0:1], off offset:-8
	scratch_load_b64 v[0:1], off, off
.LBB116_432:
	s_or_b32 exec_lo, exec_lo, s0
.LBB116_433:
	s_clause 0x8
	scratch_load_b128 v[2:5], off, off offset:8
	scratch_load_b128 v[113:116], off, off offset:24
	;; [unrolled: 1-line block ×9, first 2 shown]
	s_waitcnt vmcnt(9)
	global_store_b64 v[13:14], v[0:1], off
	s_waitcnt vmcnt(8)
	s_clause 0x1
	global_store_b64 v[15:16], v[2:3], off
	global_store_b64 v[17:18], v[4:5], off
	s_clause 0x1
	scratch_load_b128 v[0:3], off, off offset:152
	scratch_load_b128 v[12:15], off, off offset:168
	s_waitcnt vmcnt(9)
	global_store_b64 v[19:20], v[113:114], off
	scratch_load_b128 v[16:19], off, off offset:184
	global_store_b64 v[21:22], v[115:116], off
	s_waitcnt vmcnt(9)
	global_store_b64 v[23:24], v[117:118], off
	s_clause 0x1
	scratch_load_b128 v[20:23], off, off offset:200
	scratch_load_b128 v[113:116], off, off offset:216
	global_store_b64 v[25:26], v[119:120], off
	s_waitcnt vmcnt(10)
	global_store_b64 v[27:28], v[121:122], off
	s_clause 0x1
	scratch_load_b128 v[24:27], off, off offset:232
	;; [unrolled: 6-line block ×3, first 2 shown]
	scratch_load_b128 v[121:124], off, off offset:280
	global_store_b64 v[75:76], v[127:128], off
	scratch_load_b128 v[125:128], off, off offset:296
	s_waitcnt vmcnt(13)
	s_clause 0x1
	global_store_b64 v[69:70], v[129:130], off
	global_store_b64 v[65:66], v[131:132], off
	s_clause 0x1
	scratch_load_b128 v[129:132], off, off offset:312
	scratch_load_b128 v[145:148], off, off offset:328
	s_waitcnt vmcnt(14)
	s_clause 0x1
	global_store_b64 v[59:60], v[133:134], off
	global_store_b64 v[57:58], v[135:136], off
	s_clause 0x1
	scratch_load_b128 v[57:60], off, off offset:344
	;; [unrolled: 7-line block ×3, first 2 shown]
	scratch_load_b128 v[149:152], off, off offset:392
	s_waitcnt vmcnt(16)
	s_clause 0x1
	global_store_b64 v[39:40], v[141:142], off
	global_store_b64 v[37:38], v[143:144], off
	scratch_load_b128 v[37:40], off, off offset:408
	s_waitcnt vmcnt(16)
	s_clause 0x1
	global_store_b64 v[33:34], v[0:1], off
	global_store_b64 v[35:36], v[2:3], off
	s_waitcnt vmcnt(15)
	s_clause 0x1
	global_store_b64 v[41:42], v[12:13], off
	global_store_b64 v[43:44], v[14:15], off
	;; [unrolled: 4-line block ×17, first 2 shown]
	s_endpgm
	.section	.rodata,"a",@progbits
	.p2align	6, 0x0
	.amdhsa_kernel _ZN9rocsolver6v33100L18getri_kernel_smallILi53EdPKPdEEvT1_iilPiilS6_bb
		.amdhsa_group_segment_fixed_size 856
		.amdhsa_private_segment_fixed_size 432
		.amdhsa_kernarg_size 60
		.amdhsa_user_sgpr_count 15
		.amdhsa_user_sgpr_dispatch_ptr 0
		.amdhsa_user_sgpr_queue_ptr 0
		.amdhsa_user_sgpr_kernarg_segment_ptr 1
		.amdhsa_user_sgpr_dispatch_id 0
		.amdhsa_user_sgpr_private_segment_size 0
		.amdhsa_wavefront_size32 1
		.amdhsa_uses_dynamic_stack 0
		.amdhsa_enable_private_segment 1
		.amdhsa_system_sgpr_workgroup_id_x 1
		.amdhsa_system_sgpr_workgroup_id_y 0
		.amdhsa_system_sgpr_workgroup_id_z 0
		.amdhsa_system_sgpr_workgroup_info 0
		.amdhsa_system_vgpr_workitem_id 0
		.amdhsa_next_free_vgpr 153
		.amdhsa_next_free_sgpr 17
		.amdhsa_reserve_vcc 1
		.amdhsa_float_round_mode_32 0
		.amdhsa_float_round_mode_16_64 0
		.amdhsa_float_denorm_mode_32 3
		.amdhsa_float_denorm_mode_16_64 3
		.amdhsa_dx10_clamp 1
		.amdhsa_ieee_mode 1
		.amdhsa_fp16_overflow 0
		.amdhsa_workgroup_processor_mode 1
		.amdhsa_memory_ordered 1
		.amdhsa_forward_progress 0
		.amdhsa_shared_vgpr_count 0
		.amdhsa_exception_fp_ieee_invalid_op 0
		.amdhsa_exception_fp_denorm_src 0
		.amdhsa_exception_fp_ieee_div_zero 0
		.amdhsa_exception_fp_ieee_overflow 0
		.amdhsa_exception_fp_ieee_underflow 0
		.amdhsa_exception_fp_ieee_inexact 0
		.amdhsa_exception_int_div_zero 0
	.end_amdhsa_kernel
	.section	.text._ZN9rocsolver6v33100L18getri_kernel_smallILi53EdPKPdEEvT1_iilPiilS6_bb,"axG",@progbits,_ZN9rocsolver6v33100L18getri_kernel_smallILi53EdPKPdEEvT1_iilPiilS6_bb,comdat
.Lfunc_end116:
	.size	_ZN9rocsolver6v33100L18getri_kernel_smallILi53EdPKPdEEvT1_iilPiilS6_bb, .Lfunc_end116-_ZN9rocsolver6v33100L18getri_kernel_smallILi53EdPKPdEEvT1_iilPiilS6_bb
                                        ; -- End function
	.section	.AMDGPU.csdata,"",@progbits
; Kernel info:
; codeLenInByte = 52760
; NumSgprs: 19
; NumVgprs: 153
; ScratchSize: 432
; MemoryBound: 0
; FloatMode: 240
; IeeeMode: 1
; LDSByteSize: 856 bytes/workgroup (compile time only)
; SGPRBlocks: 2
; VGPRBlocks: 19
; NumSGPRsForWavesPerEU: 19
; NumVGPRsForWavesPerEU: 153
; Occupancy: 9
; WaveLimiterHint : 1
; COMPUTE_PGM_RSRC2:SCRATCH_EN: 1
; COMPUTE_PGM_RSRC2:USER_SGPR: 15
; COMPUTE_PGM_RSRC2:TRAP_HANDLER: 0
; COMPUTE_PGM_RSRC2:TGID_X_EN: 1
; COMPUTE_PGM_RSRC2:TGID_Y_EN: 0
; COMPUTE_PGM_RSRC2:TGID_Z_EN: 0
; COMPUTE_PGM_RSRC2:TIDIG_COMP_CNT: 0
	.section	.text._ZN9rocsolver6v33100L18getri_kernel_smallILi54EdPKPdEEvT1_iilPiilS6_bb,"axG",@progbits,_ZN9rocsolver6v33100L18getri_kernel_smallILi54EdPKPdEEvT1_iilPiilS6_bb,comdat
	.globl	_ZN9rocsolver6v33100L18getri_kernel_smallILi54EdPKPdEEvT1_iilPiilS6_bb ; -- Begin function _ZN9rocsolver6v33100L18getri_kernel_smallILi54EdPKPdEEvT1_iilPiilS6_bb
	.p2align	8
	.type	_ZN9rocsolver6v33100L18getri_kernel_smallILi54EdPKPdEEvT1_iilPiilS6_bb,@function
_ZN9rocsolver6v33100L18getri_kernel_smallILi54EdPKPdEEvT1_iilPiilS6_bb: ; @_ZN9rocsolver6v33100L18getri_kernel_smallILi54EdPKPdEEvT1_iilPiilS6_bb
; %bb.0:
	s_mov_b32 s2, exec_lo
	v_cmpx_gt_u32_e32 54, v0
	s_cbranch_execz .LBB117_226
; %bb.1:
	s_clause 0x1
	s_load_b32 s13, s[0:1], 0x38
	s_load_b64 s[2:3], s[0:1], 0x0
	s_mov_b32 s8, s15
	s_load_b128 s[4:7], s[0:1], 0x28
	s_waitcnt lgkmcnt(0)
	s_bitcmp1_b32 s13, 8
	s_cselect_b32 s12, -1, 0
	s_ashr_i32 s9, s15, 31
	s_delay_alu instid0(SALU_CYCLE_1) | instskip(NEXT) | instid1(SALU_CYCLE_1)
	s_lshl_b64 s[10:11], s[8:9], 3
	s_add_u32 s2, s2, s10
	s_addc_u32 s3, s3, s11
	s_load_b64 s[10:11], s[2:3], 0x0
	s_bfe_u32 s2, s13, 0x10008
	s_delay_alu instid0(SALU_CYCLE_1)
	s_cmp_eq_u32 s2, 0
                                        ; implicit-def: $sgpr2_sgpr3
	s_cbranch_scc1 .LBB117_3
; %bb.2:
	s_clause 0x1
	s_load_b32 s2, s[0:1], 0x20
	s_load_b64 s[14:15], s[0:1], 0x18
	s_mul_i32 s3, s8, s5
	s_mul_hi_u32 s5, s8, s4
	s_mul_i32 s16, s9, s4
	s_add_i32 s3, s5, s3
	s_mul_i32 s4, s8, s4
	s_add_i32 s5, s3, s16
	s_delay_alu instid0(SALU_CYCLE_1)
	s_lshl_b64 s[4:5], s[4:5], 2
	s_waitcnt lgkmcnt(0)
	s_ashr_i32 s3, s2, 31
	s_add_u32 s4, s14, s4
	s_addc_u32 s5, s15, s5
	s_lshl_b64 s[2:3], s[2:3], 2
	s_delay_alu instid0(SALU_CYCLE_1)
	s_add_u32 s2, s4, s2
	s_addc_u32 s3, s5, s3
.LBB117_3:
	s_load_b64 s[0:1], s[0:1], 0x8
	v_lshlrev_b32_e32 v3, 3, v0
	s_waitcnt lgkmcnt(0)
	s_ashr_i32 s5, s0, 31
	s_mov_b32 s4, s0
	v_add3_u32 v1, s1, s1, v0
	s_lshl_b64 s[4:5], s[4:5], 3
	s_mov_b32 s14, s1
	s_add_u32 s4, s10, s4
	s_addc_u32 s5, s11, s5
	v_add_co_u32 v8, s0, s4, v3
	v_add_nc_u32_e32 v4, s1, v1
	s_ashr_i32 s15, s1, 31
	v_add_co_ci_u32_e64 v9, null, s5, 0, s0
	v_ashrrev_i32_e32 v2, 31, v1
	s_lshl_b64 s[10:11], s[14:15], 3
	v_ashrrev_i32_e32 v5, 31, v4
	v_add_co_u32 v6, vcc_lo, v8, s10
	v_add_co_ci_u32_e32 v7, vcc_lo, s11, v9, vcc_lo
	v_lshlrev_b64 v[1:2], 3, v[1:2]
	s_delay_alu instid0(VALU_DEP_4)
	v_lshlrev_b64 v[10:11], 3, v[4:5]
	s_clause 0x1
	global_load_b64 v[26:27], v3, s[4:5]
	global_load_b64 v[28:29], v[6:7], off
	s_bitcmp0_b32 s13, 0
	v_add_co_u32 v14, vcc_lo, s4, v1
	v_add_co_ci_u32_e32 v15, vcc_lo, s5, v2, vcc_lo
	v_add_co_u32 v12, vcc_lo, s4, v10
	v_add_co_ci_u32_e32 v13, vcc_lo, s5, v11, vcc_lo
	s_clause 0x1
	global_load_b64 v[30:31], v[14:15], off
	global_load_b64 v[32:33], v[12:13], off
	v_add_nc_u32_e32 v1, s1, v4
	s_delay_alu instid0(VALU_DEP_1) | instskip(SKIP_1) | instid1(VALU_DEP_2)
	v_add_nc_u32_e32 v4, s1, v1
	v_ashrrev_i32_e32 v2, 31, v1
	v_add_nc_u32_e32 v10, s1, v4
	v_ashrrev_i32_e32 v5, 31, v4
	s_delay_alu instid0(VALU_DEP_3) | instskip(NEXT) | instid1(VALU_DEP_3)
	v_lshlrev_b64 v[1:2], 3, v[1:2]
	v_add_nc_u32_e32 v16, s1, v10
	s_delay_alu instid0(VALU_DEP_3) | instskip(SKIP_1) | instid1(VALU_DEP_4)
	v_lshlrev_b64 v[4:5], 3, v[4:5]
	v_ashrrev_i32_e32 v11, 31, v10
	v_add_co_u32 v24, vcc_lo, s4, v1
	s_delay_alu instid0(VALU_DEP_4) | instskip(SKIP_3) | instid1(VALU_DEP_4)
	v_add_nc_u32_e32 v22, s1, v16
	v_ashrrev_i32_e32 v17, 31, v16
	v_add_co_ci_u32_e32 v25, vcc_lo, s5, v2, vcc_lo
	v_lshlrev_b64 v[1:2], 3, v[10:11]
	v_add_nc_u32_e32 v38, s1, v22
	v_add_co_u32 v20, vcc_lo, s4, v4
	v_add_co_ci_u32_e32 v21, vcc_lo, s5, v5, vcc_lo
	s_delay_alu instid0(VALU_DEP_3) | instskip(SKIP_3) | instid1(VALU_DEP_4)
	v_add_nc_u32_e32 v40, s1, v38
	v_lshlrev_b64 v[4:5], 3, v[16:17]
	v_ashrrev_i32_e32 v23, 31, v22
	v_add_co_u32 v18, vcc_lo, s4, v1
	v_add_nc_u32_e32 v42, s1, v40
	v_ashrrev_i32_e32 v39, 31, v38
	v_add_co_ci_u32_e32 v19, vcc_lo, s5, v2, vcc_lo
	v_lshlrev_b64 v[1:2], 3, v[22:23]
	s_delay_alu instid0(VALU_DEP_4) | instskip(SKIP_2) | instid1(VALU_DEP_3)
	v_add_nc_u32_e32 v48, s1, v42
	v_add_co_u32 v16, vcc_lo, s4, v4
	v_add_co_ci_u32_e32 v17, vcc_lo, s5, v5, vcc_lo
	v_add_nc_u32_e32 v50, s1, v48
	v_lshlrev_b64 v[4:5], 3, v[38:39]
	v_add_co_u32 v66, vcc_lo, s4, v1
	s_clause 0x1
	global_load_b64 v[34:35], v[24:25], off
	global_load_b64 v[36:37], v[20:21], off
	v_add_nc_u32_e32 v54, s1, v50
	v_ashrrev_i32_e32 v41, 31, v40
	v_add_co_ci_u32_e32 v67, vcc_lo, s5, v2, vcc_lo
	v_add_co_u32 v62, vcc_lo, s4, v4
	s_delay_alu instid0(VALU_DEP_4)
	v_add_nc_u32_e32 v56, s1, v54
	v_ashrrev_i32_e32 v43, 31, v42
	v_lshlrev_b64 v[1:2], 3, v[40:41]
	v_ashrrev_i32_e32 v49, 31, v48
	v_add_co_ci_u32_e32 v63, vcc_lo, s5, v5, vcc_lo
	v_add_nc_u32_e32 v60, s1, v56
	v_lshlrev_b64 v[10:11], 3, v[42:43]
	v_add_co_u32 v74, vcc_lo, s4, v1
	v_add_co_ci_u32_e32 v75, vcc_lo, s5, v2, vcc_lo
	s_delay_alu instid0(VALU_DEP_4) | instskip(SKIP_3) | instid1(VALU_DEP_4)
	v_add_nc_u32_e32 v64, s1, v60
	v_lshlrev_b64 v[1:2], 3, v[48:49]
	v_ashrrev_i32_e32 v51, 31, v50
	v_add_co_u32 v70, vcc_lo, s4, v10
	v_add_nc_u32_e32 v68, s1, v64
	s_clause 0x3
	global_load_b64 v[44:45], v[18:19], off
	global_load_b64 v[46:47], v[16:17], off
	;; [unrolled: 1-line block ×4, first 2 shown]
	v_add_co_ci_u32_e32 v71, vcc_lo, s5, v11, vcc_lo
	v_add_nc_u32_e32 v72, s1, v68
	v_lshlrev_b64 v[38:39], 3, v[50:51]
	v_add_co_u32 v58, vcc_lo, s4, v1
	v_ashrrev_i32_e32 v55, 31, v54
	s_delay_alu instid0(VALU_DEP_4) | instskip(SKIP_2) | instid1(VALU_DEP_4)
	v_add_nc_u32_e32 v96, s1, v72
	v_add_co_ci_u32_e32 v59, vcc_lo, s5, v2, vcc_lo
	v_ashrrev_i32_e32 v57, 31, v56
	v_lshlrev_b64 v[1:2], 3, v[54:55]
	s_delay_alu instid0(VALU_DEP_4)
	v_add_nc_u32_e32 v98, s1, v96
	v_ashrrev_i32_e32 v61, 31, v60
	v_ashrrev_i32_e32 v65, 31, v64
	v_ashrrev_i32_e32 v69, 31, v68
	v_ashrrev_i32_e32 v73, 31, v72
	v_add_nc_u32_e32 v100, s1, v98
	v_ashrrev_i32_e32 v97, 31, v96
	v_ashrrev_i32_e32 v99, 31, v98
	s_delay_alu instid0(VALU_DEP_3) | instskip(SKIP_1) | instid1(VALU_DEP_2)
	v_add_nc_u32_e32 v102, s1, v100
	v_ashrrev_i32_e32 v101, 31, v100
	v_add_nc_u32_e32 v104, s1, v102
	v_ashrrev_i32_e32 v103, 31, v102
	s_delay_alu instid0(VALU_DEP_2) | instskip(SKIP_1) | instid1(VALU_DEP_2)
	v_add_nc_u32_e32 v106, s1, v104
	v_ashrrev_i32_e32 v105, 31, v104
	v_add_nc_u32_e32 v108, s1, v106
	v_ashrrev_i32_e32 v107, 31, v106
	s_delay_alu instid0(VALU_DEP_2) | instskip(SKIP_1) | instid1(VALU_DEP_2)
	;; [unrolled: 5-line block ×14, first 2 shown]
	v_add_nc_u32_e32 v160, s1, v158
	v_ashrrev_i32_e32 v159, 31, v158
	v_add_nc_u32_e32 v4, s1, v160
	v_ashrrev_i32_e32 v161, 31, v160
	s_delay_alu instid0(VALU_DEP_2) | instskip(SKIP_2) | instid1(VALU_DEP_2)
	v_add_nc_u32_e32 v22, s1, v4
	v_ashrrev_i32_e32 v5, 31, v4
	s_mov_b32 s1, -1
	v_ashrrev_i32_e32 v23, 31, v22
	s_delay_alu instid0(VALU_DEP_1) | instskip(SKIP_2) | instid1(VALU_DEP_3)
	v_lshlrev_b64 v[10:11], 3, v[22:23]
	v_lshlrev_b64 v[22:23], 3, v[56:57]
	;; [unrolled: 1-line block ×3, first 2 shown]
	v_add_co_u32 v10, vcc_lo, s4, v10
	s_delay_alu instid0(VALU_DEP_4)
	v_add_co_ci_u32_e32 v11, vcc_lo, s5, v11, vcc_lo
	v_add_co_u32 v52, vcc_lo, s4, v38
	v_add_co_ci_u32_e32 v53, vcc_lo, s5, v39, vcc_lo
	global_load_b64 v[116:117], v[10:11], off
	v_add_co_u32 v54, vcc_lo, s4, v1
	v_add_co_ci_u32_e32 v55, vcc_lo, s5, v2, vcc_lo
	v_add_co_u32 v48, vcc_lo, s4, v22
	v_add_co_ci_u32_e32 v49, vcc_lo, s5, v23, vcc_lo
	v_lshlrev_b64 v[1:2], 3, v[60:61]
	v_lshlrev_b64 v[22:23], 3, v[64:65]
	;; [unrolled: 1-line block ×4, first 2 shown]
	s_delay_alu instid0(VALU_DEP_4)
	v_add_co_u32 v42, vcc_lo, s4, v1
	v_add_co_ci_u32_e32 v43, vcc_lo, s5, v2, vcc_lo
	v_add_co_u32 v40, vcc_lo, s4, v22
	v_lshlrev_b64 v[1:2], 3, v[68:69]
	v_add_co_ci_u32_e32 v41, vcc_lo, s5, v23, vcc_lo
	v_lshlrev_b64 v[22:23], 3, v[72:73]
	v_lshlrev_b64 v[72:73], 3, v[124:125]
	s_waitcnt vmcnt(9)
	scratch_store_b128 off, v[26:29], off
	s_clause 0x3
	global_load_b64 v[80:81], v[74:75], off
	global_load_b64 v[82:83], v[70:71], off
	;; [unrolled: 1-line block ×4, first 2 shown]
	v_lshlrev_b64 v[28:29], 3, v[98:99]
	s_waitcnt vmcnt(11)
	scratch_store_b128 off, v[30:33], off offset:16
	s_clause 0x3
	global_load_b64 v[88:89], v[54:55], off
	global_load_b64 v[90:91], v[48:49], off
	;; [unrolled: 1-line block ×4, first 2 shown]
	v_lshlrev_b64 v[32:33], 3, v[102:103]
	s_waitcnt vmcnt(13)
	scratch_store_b128 off, v[34:37], off offset:32
	v_add_co_u32 v34, vcc_lo, s4, v1
	v_add_co_ci_u32_e32 v35, vcc_lo, s5, v2, vcc_lo
	v_lshlrev_b64 v[1:2], 3, v[96:97]
	v_add_co_u32 v22, vcc_lo, s4, v22
	v_add_co_ci_u32_e32 v23, vcc_lo, s5, v23, vcc_lo
	s_waitcnt vmcnt(11)
	scratch_store_b128 off, v[44:47], off offset:48
	s_waitcnt vmcnt(9)
	scratch_store_b128 off, v[76:79], off offset:64
	v_add_co_u32 v26, vcc_lo, s4, v1
	v_add_co_ci_u32_e32 v27, vcc_lo, s5, v2, vcc_lo
	v_lshlrev_b64 v[1:2], 3, v[100:101]
	v_add_co_u32 v28, vcc_lo, s4, v28
	v_add_co_ci_u32_e32 v29, vcc_lo, s5, v29, vcc_lo
	s_clause 0x3
	global_load_b64 v[76:77], v[34:35], off
	global_load_b64 v[78:79], v[22:23], off
	;; [unrolled: 1-line block ×4, first 2 shown]
	v_add_co_u32 v30, vcc_lo, s4, v1
	v_add_co_ci_u32_e32 v31, vcc_lo, s5, v2, vcc_lo
	v_lshlrev_b64 v[1:2], 3, v[104:105]
	v_add_co_u32 v32, vcc_lo, s4, v32
	v_add_co_ci_u32_e32 v33, vcc_lo, s5, v33, vcc_lo
	v_lshlrev_b64 v[46:47], 3, v[110:111]
	s_delay_alu instid0(VALU_DEP_4)
	v_add_co_u32 v36, vcc_lo, s4, v1
	v_add_co_ci_u32_e32 v37, vcc_lo, s5, v2, vcc_lo
	v_add_co_u32 v38, vcc_lo, s4, v38
	v_lshlrev_b64 v[1:2], 3, v[108:109]
	v_add_co_ci_u32_e32 v39, vcc_lo, s5, v39, vcc_lo
	s_waitcnt vmcnt(10)
	scratch_store_b128 off, v[80:83], off offset:80
	s_waitcnt vmcnt(8)
	scratch_store_b128 off, v[84:87], off offset:96
	s_clause 0x3
	global_load_b64 v[84:85], v[30:31], off
	global_load_b64 v[86:87], v[32:33], off
	;; [unrolled: 1-line block ×4, first 2 shown]
	v_add_co_u32 v44, vcc_lo, s4, v1
	v_add_co_ci_u32_e32 v45, vcc_lo, s5, v2, vcc_lo
	v_add_co_u32 v46, vcc_lo, s4, v46
	v_add_co_ci_u32_e32 v47, vcc_lo, s5, v47, vcc_lo
	v_lshlrev_b64 v[1:2], 3, v[112:113]
	v_lshlrev_b64 v[82:83], 3, v[132:133]
	s_waitcnt vmcnt(10)
	scratch_store_b128 off, v[88:91], off offset:112
	s_clause 0x1
	global_load_b64 v[88:89], v[44:45], off
	global_load_b64 v[90:91], v[46:47], off
	v_add_co_u32 v50, vcc_lo, s4, v1
	v_add_co_ci_u32_e32 v51, vcc_lo, s5, v2, vcc_lo
	v_add_co_u32 v56, vcc_lo, s4, v56
	v_add_co_ci_u32_e32 v57, vcc_lo, s5, v57, vcc_lo
	v_lshlrev_b64 v[1:2], 3, v[118:119]
	s_waitcnt vmcnt(10)
	scratch_store_b128 off, v[92:95], off offset:128
	s_clause 0x1
	global_load_b64 v[92:93], v[50:51], off
	global_load_b64 v[94:95], v[56:57], off
	s_waitcnt vmcnt(10)
	scratch_store_b128 off, v[76:79], off offset:144
	s_waitcnt vmcnt(8)
	scratch_store_b128 off, v[96:99], off offset:160
	v_add_co_u32 v60, vcc_lo, s4, v1
	v_add_co_ci_u32_e32 v61, vcc_lo, s5, v2, vcc_lo
	v_lshlrev_b64 v[1:2], 3, v[122:123]
	v_add_co_u32 v64, vcc_lo, s4, v64
	v_add_co_ci_u32_e32 v65, vcc_lo, s5, v65, vcc_lo
	v_lshlrev_b64 v[78:79], 3, v[128:129]
	s_delay_alu instid0(VALU_DEP_4)
	v_add_co_u32 v68, vcc_lo, s4, v1
	v_add_co_ci_u32_e32 v69, vcc_lo, s5, v2, vcc_lo
	v_lshlrev_b64 v[1:2], 3, v[126:127]
	v_add_co_u32 v72, vcc_lo, s4, v72
	v_add_co_ci_u32_e32 v73, vcc_lo, s5, v73, vcc_lo
	s_clause 0x3
	global_load_b64 v[104:105], v[60:61], off
	global_load_b64 v[106:107], v[64:65], off
	global_load_b64 v[108:109], v[68:69], off
	global_load_b64 v[110:111], v[72:73], off
	v_add_co_u32 v76, vcc_lo, s4, v1
	v_add_co_ci_u32_e32 v77, vcc_lo, s5, v2, vcc_lo
	v_lshlrev_b64 v[1:2], 3, v[130:131]
	v_add_co_u32 v78, vcc_lo, s4, v78
	v_add_co_ci_u32_e32 v79, vcc_lo, s5, v79, vcc_lo
	v_lshlrev_b64 v[98:99], 3, v[148:149]
	s_delay_alu instid0(VALU_DEP_4)
	v_add_co_u32 v80, vcc_lo, s4, v1
	v_add_co_ci_u32_e32 v81, vcc_lo, s5, v2, vcc_lo
	v_lshlrev_b64 v[1:2], 3, v[134:135]
	v_add_co_u32 v82, vcc_lo, s4, v82
	v_add_co_ci_u32_e32 v83, vcc_lo, s5, v83, vcc_lo
	s_waitcnt vmcnt(10)
	scratch_store_b128 off, v[84:87], off offset:176
	s_waitcnt vmcnt(8)
	scratch_store_b128 off, v[100:103], off offset:192
	v_lshlrev_b64 v[86:87], 3, v[136:137]
	v_add_co_u32 v84, vcc_lo, s4, v1
	v_add_co_ci_u32_e32 v85, vcc_lo, s5, v2, vcc_lo
	s_clause 0x3
	global_load_b64 v[112:113], v[76:77], off
	global_load_b64 v[114:115], v[78:79], off
	;; [unrolled: 1-line block ×4, first 2 shown]
	v_add_co_u32 v86, vcc_lo, s4, v86
	v_add_co_ci_u32_e32 v87, vcc_lo, s5, v87, vcc_lo
	v_lshlrev_b64 v[1:2], 3, v[138:139]
	v_lshlrev_b64 v[102:103], 3, v[152:153]
	s_waitcnt vmcnt(10)
	scratch_store_b128 off, v[88:91], off offset:208
	s_clause 0x1
	global_load_b64 v[122:123], v[84:85], off
	global_load_b64 v[124:125], v[86:87], off
	v_lshlrev_b64 v[90:91], 3, v[140:141]
	v_add_co_u32 v88, vcc_lo, s4, v1
	v_add_co_ci_u32_e32 v89, vcc_lo, s5, v2, vcc_lo
	v_lshlrev_b64 v[1:2], 3, v[142:143]
	s_delay_alu instid0(VALU_DEP_4)
	v_add_co_u32 v90, vcc_lo, s4, v90
	v_add_co_ci_u32_e32 v91, vcc_lo, s5, v91, vcc_lo
	s_waitcnt vmcnt(10)
	scratch_store_b128 off, v[92:95], off offset:224
	v_lshlrev_b64 v[94:95], 3, v[144:145]
	v_add_co_u32 v92, vcc_lo, s4, v1
	v_add_co_ci_u32_e32 v93, vcc_lo, s5, v2, vcc_lo
	v_lshlrev_b64 v[1:2], 3, v[146:147]
	s_delay_alu instid0(VALU_DEP_4)
	v_add_co_u32 v94, vcc_lo, s4, v94
	v_add_co_ci_u32_e32 v95, vcc_lo, s5, v95, vcc_lo
	global_load_b64 v[126:127], v[88:89], off
	v_add_co_u32 v96, vcc_lo, s4, v1
	v_add_co_ci_u32_e32 v97, vcc_lo, s5, v2, vcc_lo
	v_lshlrev_b64 v[1:2], 3, v[150:151]
	v_add_co_u32 v98, vcc_lo, s4, v98
	v_add_co_ci_u32_e32 v99, vcc_lo, s5, v99, vcc_lo
	s_waitcnt vmcnt(9)
	scratch_store_b128 off, v[104:107], off offset:240
	s_waitcnt vmcnt(7)
	scratch_store_b128 off, v[108:111], off offset:256
	v_add_co_u32 v100, vcc_lo, s4, v1
	v_add_co_ci_u32_e32 v101, vcc_lo, s5, v2, vcc_lo
	v_lshlrev_b64 v[1:2], 3, v[154:155]
	v_add_co_u32 v102, vcc_lo, s4, v102
	v_add_co_ci_u32_e32 v103, vcc_lo, s5, v103, vcc_lo
	v_lshlrev_b64 v[106:107], 3, v[156:157]
	s_delay_alu instid0(VALU_DEP_4) | instskip(SKIP_2) | instid1(VALU_DEP_4)
	v_add_co_u32 v104, vcc_lo, s4, v1
	v_add_co_ci_u32_e32 v105, vcc_lo, s5, v2, vcc_lo
	v_lshlrev_b64 v[1:2], 3, v[158:159]
	v_add_co_u32 v106, vcc_lo, s4, v106
	v_add_co_ci_u32_e32 v107, vcc_lo, s5, v107, vcc_lo
	v_lshlrev_b64 v[110:111], 3, v[160:161]
	s_delay_alu instid0(VALU_DEP_4) | instskip(SKIP_2) | instid1(VALU_DEP_4)
	v_add_co_u32 v108, vcc_lo, s4, v1
	v_add_co_ci_u32_e32 v109, vcc_lo, s5, v2, vcc_lo
	v_lshlrev_b64 v[1:2], 3, v[4:5]
	v_add_co_u32 v110, vcc_lo, s4, v110
	v_add_co_ci_u32_e32 v111, vcc_lo, s5, v111, vcc_lo
	s_clause 0x3
	global_load_b64 v[128:129], v[90:91], off
	global_load_b64 v[130:131], v[92:93], off
	;; [unrolled: 1-line block ×4, first 2 shown]
	s_waitcnt vmcnt(9)
	scratch_store_b128 off, v[112:115], off offset:272
	s_waitcnt vmcnt(7)
	scratch_store_b128 off, v[118:121], off offset:288
	v_add_co_u32 v112, vcc_lo, s4, v1
	v_add_co_ci_u32_e32 v113, vcc_lo, s5, v2, vcc_lo
	s_clause 0x3
	global_load_b64 v[136:137], v[98:99], off
	global_load_b64 v[118:119], v[100:101], off
	;; [unrolled: 1-line block ×4, first 2 shown]
	s_waitcnt vmcnt(9)
	scratch_store_b128 off, v[122:125], off offset:304
	s_clause 0x3
	global_load_b64 v[140:141], v[106:107], off
	global_load_b64 v[122:123], v[108:109], off
	;; [unrolled: 1-line block ×4, first 2 shown]
	s_waitcnt vmcnt(11)
	scratch_store_b128 off, v[126:129], off offset:320
	s_waitcnt vmcnt(9)
	scratch_store_b128 off, v[130:133], off offset:336
	;; [unrolled: 2-line block ×7, first 2 shown]
	s_cbranch_scc1 .LBB117_224
; %bb.4:
	v_cmp_eq_u32_e64 s0, 0, v0
	s_delay_alu instid0(VALU_DEP_1)
	s_and_saveexec_b32 s1, s0
	s_cbranch_execz .LBB117_6
; %bb.5:
	v_mov_b32_e32 v1, 0
	ds_store_b32 v1, v1 offset:864
.LBB117_6:
	s_or_b32 exec_lo, exec_lo, s1
	s_waitcnt lgkmcnt(0)
	s_waitcnt_vscnt null, 0x0
	s_barrier
	buffer_gl0_inv
	scratch_load_b64 v[1:2], v3, off
	s_mov_b32 s4, exec_lo
	s_waitcnt vmcnt(0)
	v_cmpx_eq_f64_e32 0, v[1:2]
	s_cbranch_execz .LBB117_10
; %bb.7:
	v_mov_b32_e32 v1, 0
	s_mov_b32 s5, 0
	ds_load_b32 v2, v1 offset:864
	s_waitcnt lgkmcnt(0)
	v_readfirstlane_b32 s1, v2
	v_add_nc_u32_e32 v2, 1, v0
	s_delay_alu instid0(VALU_DEP_2) | instskip(NEXT) | instid1(VALU_DEP_1)
	s_cmp_eq_u32 s1, 0
	v_cmp_gt_i32_e32 vcc_lo, s1, v2
	s_cselect_b32 s10, -1, 0
	s_delay_alu instid0(SALU_CYCLE_1) | instskip(NEXT) | instid1(SALU_CYCLE_1)
	s_or_b32 s10, s10, vcc_lo
	s_and_b32 exec_lo, exec_lo, s10
	s_cbranch_execz .LBB117_10
; %bb.8:
	v_mov_b32_e32 v4, s1
.LBB117_9:                              ; =>This Inner Loop Header: Depth=1
	ds_cmpstore_rtn_b32 v4, v1, v2, v4 offset:864
	s_waitcnt lgkmcnt(0)
	v_cmp_ne_u32_e32 vcc_lo, 0, v4
	v_cmp_le_i32_e64 s1, v4, v2
	s_delay_alu instid0(VALU_DEP_1) | instskip(NEXT) | instid1(SALU_CYCLE_1)
	s_and_b32 s1, vcc_lo, s1
	s_and_b32 s1, exec_lo, s1
	s_delay_alu instid0(SALU_CYCLE_1) | instskip(NEXT) | instid1(SALU_CYCLE_1)
	s_or_b32 s5, s1, s5
	s_and_not1_b32 exec_lo, exec_lo, s5
	s_cbranch_execnz .LBB117_9
.LBB117_10:
	s_or_b32 exec_lo, exec_lo, s4
	v_mov_b32_e32 v1, 0
	s_barrier
	buffer_gl0_inv
	ds_load_b32 v2, v1 offset:864
	s_and_saveexec_b32 s1, s0
	s_cbranch_execz .LBB117_12
; %bb.11:
	s_lshl_b64 s[4:5], s[8:9], 2
	s_delay_alu instid0(SALU_CYCLE_1)
	s_add_u32 s4, s6, s4
	s_addc_u32 s5, s7, s5
	s_waitcnt lgkmcnt(0)
	global_store_b32 v1, v2, s[4:5]
.LBB117_12:
	s_or_b32 exec_lo, exec_lo, s1
	s_waitcnt lgkmcnt(0)
	v_cmp_ne_u32_e32 vcc_lo, 0, v2
	s_mov_b32 s1, 0
	s_cbranch_vccnz .LBB117_224
; %bb.13:
	v_add_nc_u32_e32 v4, 0, v3
	v_add_nc_u32_e32 v5, 0x1b0, v3
	scratch_load_b64 v[1:2], v4, off
	s_waitcnt vmcnt(0)
	v_div_scale_f64 v[114:115], null, v[1:2], v[1:2], 1.0
	v_div_scale_f64 v[120:121], vcc_lo, 1.0, v[1:2], 1.0
	s_delay_alu instid0(VALU_DEP_2) | instskip(SKIP_2) | instid1(VALU_DEP_1)
	v_rcp_f64_e32 v[116:117], v[114:115]
	s_waitcnt_depctr 0xfff
	v_fma_f64 v[118:119], -v[114:115], v[116:117], 1.0
	v_fma_f64 v[116:117], v[116:117], v[118:119], v[116:117]
	s_delay_alu instid0(VALU_DEP_1) | instskip(NEXT) | instid1(VALU_DEP_1)
	v_fma_f64 v[118:119], -v[114:115], v[116:117], 1.0
	v_fma_f64 v[116:117], v[116:117], v[118:119], v[116:117]
	s_delay_alu instid0(VALU_DEP_1) | instskip(NEXT) | instid1(VALU_DEP_1)
	v_mul_f64 v[118:119], v[120:121], v[116:117]
	v_fma_f64 v[114:115], -v[114:115], v[118:119], v[120:121]
	s_delay_alu instid0(VALU_DEP_1) | instskip(NEXT) | instid1(VALU_DEP_1)
	v_div_fmas_f64 v[114:115], v[114:115], v[116:117], v[118:119]
	v_div_fixup_f64 v[1:2], v[114:115], v[1:2], 1.0
	scratch_store_b64 v4, v[1:2], off
	scratch_load_b64 v[114:115], off, off offset:8
	v_xor_b32_e32 v2, 0x80000000, v2
	s_waitcnt vmcnt(0)
	ds_store_2addr_b64 v3, v[1:2], v[114:115] offset1:54
	s_waitcnt lgkmcnt(0)
	s_waitcnt_vscnt null, 0x0
	s_barrier
	buffer_gl0_inv
	s_and_saveexec_b32 s1, s0
	s_cbranch_execz .LBB117_15
; %bb.14:
	scratch_load_b64 v[1:2], v4, off
	ds_load_b64 v[114:115], v5
	s_waitcnt vmcnt(0) lgkmcnt(0)
	v_fma_f64 v[1:2], v[1:2], v[114:115], 0
	v_mov_b32_e32 v114, 0
	ds_load_b64 v[114:115], v114 offset:8
	s_waitcnt lgkmcnt(0)
	v_mul_f64 v[1:2], v[1:2], v[114:115]
	scratch_store_b64 off, v[1:2], off offset:8
.LBB117_15:
	s_or_b32 exec_lo, exec_lo, s1
	s_waitcnt_vscnt null, 0x0
	s_barrier
	buffer_gl0_inv
	scratch_load_b64 v[1:2], off, off offset:16
	s_mov_b32 s1, exec_lo
	s_waitcnt vmcnt(0)
	ds_store_b64 v5, v[1:2]
	s_waitcnt lgkmcnt(0)
	s_barrier
	buffer_gl0_inv
	v_cmpx_gt_u32_e32 2, v0
	s_cbranch_execz .LBB117_19
; %bb.16:
	scratch_load_b64 v[1:2], v4, off
	ds_load_b64 v[114:115], v5
	s_waitcnt vmcnt(0) lgkmcnt(0)
	v_fma_f64 v[1:2], v[1:2], v[114:115], 0
	s_and_saveexec_b32 s4, s0
	s_cbranch_execz .LBB117_18
; %bb.17:
	scratch_load_b64 v[114:115], off, off offset:8
	v_mov_b32_e32 v116, 0
	ds_load_b64 v[116:117], v116 offset:440
	s_waitcnt vmcnt(0) lgkmcnt(0)
	v_fma_f64 v[1:2], v[114:115], v[116:117], v[1:2]
.LBB117_18:
	s_or_b32 exec_lo, exec_lo, s4
	v_mov_b32_e32 v114, 0
	ds_load_b64 v[114:115], v114 offset:16
	s_waitcnt lgkmcnt(0)
	v_mul_f64 v[1:2], v[1:2], v[114:115]
	scratch_store_b64 off, v[1:2], off offset:16
.LBB117_19:
	s_or_b32 exec_lo, exec_lo, s1
	s_waitcnt_vscnt null, 0x0
	s_barrier
	buffer_gl0_inv
	scratch_load_b64 v[1:2], off, off offset:24
	v_add_nc_u32_e32 v114, -1, v0
	s_mov_b32 s0, exec_lo
	s_waitcnt vmcnt(0)
	ds_store_b64 v5, v[1:2]
	s_waitcnt lgkmcnt(0)
	s_barrier
	buffer_gl0_inv
	v_cmpx_gt_u32_e32 3, v0
	s_cbranch_execz .LBB117_23
; %bb.20:
	v_dual_mov_b32 v1, 0 :: v_dual_add_nc_u32 v116, 0x1b0, v3
	v_dual_mov_b32 v2, 0 :: v_dual_add_nc_u32 v115, -1, v0
	v_add_nc_u32_e32 v117, 0, v3
	s_mov_b32 s1, 0
.LBB117_21:                             ; =>This Inner Loop Header: Depth=1
	scratch_load_b64 v[118:119], v117, off
	ds_load_b64 v[120:121], v116
	v_add_nc_u32_e32 v115, 1, v115
	v_add_nc_u32_e32 v116, 8, v116
	v_add_nc_u32_e32 v117, 8, v117
	s_delay_alu instid0(VALU_DEP_3)
	v_cmp_lt_u32_e32 vcc_lo, 1, v115
	s_or_b32 s1, vcc_lo, s1
	s_waitcnt vmcnt(0) lgkmcnt(0)
	v_fma_f64 v[1:2], v[118:119], v[120:121], v[1:2]
	s_and_not1_b32 exec_lo, exec_lo, s1
	s_cbranch_execnz .LBB117_21
; %bb.22:
	s_or_b32 exec_lo, exec_lo, s1
	v_mov_b32_e32 v115, 0
	ds_load_b64 v[115:116], v115 offset:24
	s_waitcnt lgkmcnt(0)
	v_mul_f64 v[1:2], v[1:2], v[115:116]
	scratch_store_b64 off, v[1:2], off offset:24
.LBB117_23:
	s_or_b32 exec_lo, exec_lo, s0
	s_waitcnt_vscnt null, 0x0
	s_barrier
	buffer_gl0_inv
	scratch_load_b64 v[1:2], off, off offset:32
	s_mov_b32 s0, exec_lo
	s_waitcnt vmcnt(0)
	ds_store_b64 v5, v[1:2]
	s_waitcnt lgkmcnt(0)
	s_barrier
	buffer_gl0_inv
	v_cmpx_gt_u32_e32 4, v0
	s_cbranch_execz .LBB117_27
; %bb.24:
	v_dual_mov_b32 v1, 0 :: v_dual_add_nc_u32 v116, 0x1b0, v3
	v_dual_mov_b32 v2, 0 :: v_dual_add_nc_u32 v115, -1, v0
	v_add_nc_u32_e32 v117, 0, v3
	s_mov_b32 s1, 0
.LBB117_25:                             ; =>This Inner Loop Header: Depth=1
	scratch_load_b64 v[118:119], v117, off
	ds_load_b64 v[120:121], v116
	v_add_nc_u32_e32 v115, 1, v115
	v_add_nc_u32_e32 v116, 8, v116
	v_add_nc_u32_e32 v117, 8, v117
	s_delay_alu instid0(VALU_DEP_3)
	v_cmp_lt_u32_e32 vcc_lo, 2, v115
	s_or_b32 s1, vcc_lo, s1
	s_waitcnt vmcnt(0) lgkmcnt(0)
	v_fma_f64 v[1:2], v[118:119], v[120:121], v[1:2]
	s_and_not1_b32 exec_lo, exec_lo, s1
	s_cbranch_execnz .LBB117_25
; %bb.26:
	s_or_b32 exec_lo, exec_lo, s1
	v_mov_b32_e32 v115, 0
	ds_load_b64 v[115:116], v115 offset:32
	s_waitcnt lgkmcnt(0)
	v_mul_f64 v[1:2], v[1:2], v[115:116]
	scratch_store_b64 off, v[1:2], off offset:32
.LBB117_27:
	s_or_b32 exec_lo, exec_lo, s0
	s_waitcnt_vscnt null, 0x0
	s_barrier
	buffer_gl0_inv
	scratch_load_b64 v[1:2], off, off offset:40
	;; [unrolled: 39-line block ×20, first 2 shown]
	s_mov_b32 s0, exec_lo
	s_waitcnt vmcnt(0)
	ds_store_b64 v5, v[1:2]
	s_waitcnt lgkmcnt(0)
	s_barrier
	buffer_gl0_inv
	v_cmpx_gt_u32_e32 23, v0
	s_cbranch_execz .LBB117_103
; %bb.100:
	v_dual_mov_b32 v1, 0 :: v_dual_add_nc_u32 v116, 0x1b0, v3
	v_dual_mov_b32 v2, 0 :: v_dual_add_nc_u32 v115, -1, v0
	v_add_nc_u32_e32 v117, 0, v3
	s_mov_b32 s1, 0
.LBB117_101:                            ; =>This Inner Loop Header: Depth=1
	scratch_load_b64 v[118:119], v117, off
	ds_load_b64 v[120:121], v116
	v_add_nc_u32_e32 v115, 1, v115
	v_add_nc_u32_e32 v116, 8, v116
	v_add_nc_u32_e32 v117, 8, v117
	s_delay_alu instid0(VALU_DEP_3)
	v_cmp_lt_u32_e32 vcc_lo, 21, v115
	s_or_b32 s1, vcc_lo, s1
	s_waitcnt vmcnt(0) lgkmcnt(0)
	v_fma_f64 v[1:2], v[118:119], v[120:121], v[1:2]
	s_and_not1_b32 exec_lo, exec_lo, s1
	s_cbranch_execnz .LBB117_101
; %bb.102:
	s_or_b32 exec_lo, exec_lo, s1
	v_mov_b32_e32 v115, 0
	ds_load_b64 v[115:116], v115 offset:184
	s_waitcnt lgkmcnt(0)
	v_mul_f64 v[1:2], v[1:2], v[115:116]
	scratch_store_b64 off, v[1:2], off offset:184
.LBB117_103:
	s_or_b32 exec_lo, exec_lo, s0
	s_waitcnt_vscnt null, 0x0
	s_barrier
	buffer_gl0_inv
	scratch_load_b64 v[1:2], off, off offset:192
	s_mov_b32 s0, exec_lo
	s_waitcnt vmcnt(0)
	ds_store_b64 v5, v[1:2]
	s_waitcnt lgkmcnt(0)
	s_barrier
	buffer_gl0_inv
	v_cmpx_gt_u32_e32 24, v0
	s_cbranch_execz .LBB117_107
; %bb.104:
	v_dual_mov_b32 v1, 0 :: v_dual_add_nc_u32 v116, 0x1b0, v3
	v_dual_mov_b32 v2, 0 :: v_dual_add_nc_u32 v115, -1, v0
	v_add_nc_u32_e32 v117, 0, v3
	s_mov_b32 s1, 0
.LBB117_105:                            ; =>This Inner Loop Header: Depth=1
	scratch_load_b64 v[118:119], v117, off
	ds_load_b64 v[120:121], v116
	v_add_nc_u32_e32 v115, 1, v115
	v_add_nc_u32_e32 v116, 8, v116
	v_add_nc_u32_e32 v117, 8, v117
	s_delay_alu instid0(VALU_DEP_3)
	v_cmp_lt_u32_e32 vcc_lo, 22, v115
	s_or_b32 s1, vcc_lo, s1
	s_waitcnt vmcnt(0) lgkmcnt(0)
	v_fma_f64 v[1:2], v[118:119], v[120:121], v[1:2]
	s_and_not1_b32 exec_lo, exec_lo, s1
	s_cbranch_execnz .LBB117_105
; %bb.106:
	s_or_b32 exec_lo, exec_lo, s1
	v_mov_b32_e32 v115, 0
	ds_load_b64 v[115:116], v115 offset:192
	s_waitcnt lgkmcnt(0)
	v_mul_f64 v[1:2], v[1:2], v[115:116]
	scratch_store_b64 off, v[1:2], off offset:192
.LBB117_107:
	s_or_b32 exec_lo, exec_lo, s0
	s_waitcnt_vscnt null, 0x0
	s_barrier
	buffer_gl0_inv
	scratch_load_b64 v[1:2], off, off offset:200
	;; [unrolled: 39-line block ×30, first 2 shown]
	s_mov_b32 s0, exec_lo
	s_waitcnt vmcnt(0)
	ds_store_b64 v5, v[1:2]
	s_waitcnt lgkmcnt(0)
	s_barrier
	buffer_gl0_inv
	v_cmpx_ne_u32_e32 53, v0
	s_cbranch_execz .LBB117_223
; %bb.220:
	v_mov_b32_e32 v1, 0
	v_mov_b32_e32 v2, 0
	s_mov_b32 s1, 0
.LBB117_221:                            ; =>This Inner Loop Header: Depth=1
	scratch_load_b64 v[115:116], v4, off
	ds_load_b64 v[117:118], v5
	v_add_nc_u32_e32 v114, 1, v114
	v_add_nc_u32_e32 v5, 8, v5
	;; [unrolled: 1-line block ×3, first 2 shown]
	s_delay_alu instid0(VALU_DEP_3)
	v_cmp_lt_u32_e32 vcc_lo, 51, v114
	s_or_b32 s1, vcc_lo, s1
	s_waitcnt vmcnt(0) lgkmcnt(0)
	v_fma_f64 v[1:2], v[115:116], v[117:118], v[1:2]
	s_and_not1_b32 exec_lo, exec_lo, s1
	s_cbranch_execnz .LBB117_221
; %bb.222:
	s_or_b32 exec_lo, exec_lo, s1
	v_mov_b32_e32 v3, 0
	ds_load_b64 v[3:4], v3 offset:424
	s_waitcnt lgkmcnt(0)
	v_mul_f64 v[1:2], v[1:2], v[3:4]
	scratch_store_b64 off, v[1:2], off offset:424
.LBB117_223:
	s_or_b32 exec_lo, exec_lo, s0
	s_mov_b32 s1, -1
	s_waitcnt_vscnt null, 0x0
	s_barrier
	buffer_gl0_inv
.LBB117_224:
	s_and_b32 vcc_lo, exec_lo, s1
	s_cbranch_vccz .LBB117_226
; %bb.225:
	s_lshl_b64 s[0:1], s[8:9], 2
	v_mov_b32_e32 v1, 0
	s_add_u32 s0, s6, s0
	s_addc_u32 s1, s7, s1
	global_load_b32 v1, v1, s[0:1]
	s_waitcnt vmcnt(0)
	v_cmp_ne_u32_e32 vcc_lo, 0, v1
	s_cbranch_vccz .LBB117_227
.LBB117_226:
	s_endpgm
.LBB117_227:
	v_lshl_add_u32 v5, v0, 3, 0x1b0
	s_mov_b32 s0, exec_lo
	v_cmpx_eq_u32_e32 53, v0
	s_cbranch_execz .LBB117_229
; %bb.228:
	scratch_load_b64 v[1:2], off, off offset:416
	v_mov_b32_e32 v3, 0
	s_delay_alu instid0(VALU_DEP_1)
	v_mov_b32_e32 v4, v3
	scratch_store_b64 off, v[3:4], off offset:416
	s_waitcnt vmcnt(0)
	ds_store_b64 v5, v[1:2]
.LBB117_229:
	s_or_b32 exec_lo, exec_lo, s0
	s_waitcnt lgkmcnt(0)
	s_waitcnt_vscnt null, 0x0
	s_barrier
	buffer_gl0_inv
	scratch_load_b128 v[114:117], off, off offset:416
	v_mov_b32_e32 v1, 0
	s_mov_b32 s0, exec_lo
	ds_load_b64 v[2:3], v1 offset:856
	s_waitcnt vmcnt(0) lgkmcnt(0)
	v_fma_f64 v[2:3], v[116:117], v[2:3], 0
	s_delay_alu instid0(VALU_DEP_1)
	v_add_f64 v[2:3], v[114:115], -v[2:3]
	scratch_store_b64 off, v[2:3], off offset:416
	v_cmpx_lt_u32_e32 51, v0
	s_cbranch_execz .LBB117_231
; %bb.230:
	scratch_load_b64 v[3:4], off, off offset:408
	v_mov_b32_e32 v2, v1
	scratch_store_b64 off, v[1:2], off offset:408
	s_waitcnt vmcnt(0)
	ds_store_b64 v5, v[3:4]
.LBB117_231:
	s_or_b32 exec_lo, exec_lo, s0
	s_waitcnt lgkmcnt(0)
	s_waitcnt_vscnt null, 0x0
	s_barrier
	buffer_gl0_inv
	s_clause 0x1
	scratch_load_b128 v[114:117], off, off offset:408
	scratch_load_b64 v[118:119], off, off offset:424
	ds_load_b128 v[1:4], v1 offset:848
	s_mov_b32 s0, exec_lo
	s_waitcnt vmcnt(1) lgkmcnt(0)
	v_fma_f64 v[1:2], v[116:117], v[1:2], 0
	s_waitcnt vmcnt(0)
	s_delay_alu instid0(VALU_DEP_1) | instskip(NEXT) | instid1(VALU_DEP_1)
	v_fma_f64 v[1:2], v[118:119], v[3:4], v[1:2]
	v_add_f64 v[1:2], v[114:115], -v[1:2]
	scratch_store_b64 off, v[1:2], off offset:408
	v_cmpx_lt_u32_e32 50, v0
	s_cbranch_execz .LBB117_233
; %bb.232:
	scratch_load_b64 v[1:2], off, off offset:400
	v_mov_b32_e32 v3, 0
	s_delay_alu instid0(VALU_DEP_1)
	v_mov_b32_e32 v4, v3
	scratch_store_b64 off, v[3:4], off offset:400
	s_waitcnt vmcnt(0)
	ds_store_b64 v5, v[1:2]
.LBB117_233:
	s_or_b32 exec_lo, exec_lo, s0
	s_waitcnt lgkmcnt(0)
	s_waitcnt_vscnt null, 0x0
	s_barrier
	buffer_gl0_inv
	s_clause 0x1
	scratch_load_b128 v[114:117], off, off offset:400
	scratch_load_b128 v[118:121], off, off offset:416
	v_mov_b32_e32 v1, 0
	ds_load_2addr_b64 v[122:125], v1 offset0:105 offset1:106
	ds_load_b64 v[2:3], v1 offset:856
	s_mov_b32 s0, exec_lo
	s_waitcnt vmcnt(1) lgkmcnt(1)
	v_fma_f64 v[116:117], v[116:117], v[122:123], 0
	s_waitcnt vmcnt(0)
	s_delay_alu instid0(VALU_DEP_1) | instskip(SKIP_1) | instid1(VALU_DEP_1)
	v_fma_f64 v[116:117], v[118:119], v[124:125], v[116:117]
	s_waitcnt lgkmcnt(0)
	v_fma_f64 v[2:3], v[120:121], v[2:3], v[116:117]
	s_delay_alu instid0(VALU_DEP_1)
	v_add_f64 v[2:3], v[114:115], -v[2:3]
	scratch_store_b64 off, v[2:3], off offset:400
	v_cmpx_lt_u32_e32 49, v0
	s_cbranch_execz .LBB117_235
; %bb.234:
	scratch_load_b64 v[3:4], off, off offset:392
	v_mov_b32_e32 v2, v1
	scratch_store_b64 off, v[1:2], off offset:392
	s_waitcnt vmcnt(0)
	ds_store_b64 v5, v[3:4]
.LBB117_235:
	s_or_b32 exec_lo, exec_lo, s0
	s_waitcnt lgkmcnt(0)
	s_waitcnt_vscnt null, 0x0
	s_barrier
	buffer_gl0_inv
	s_clause 0x2
	scratch_load_b128 v[114:117], off, off offset:392
	scratch_load_b128 v[118:121], off, off offset:408
	scratch_load_b64 v[126:127], off, off offset:424
	ds_load_b128 v[122:125], v1 offset:832
	ds_load_b128 v[1:4], v1 offset:848
	s_mov_b32 s0, exec_lo
	s_waitcnt vmcnt(2) lgkmcnt(1)
	v_fma_f64 v[116:117], v[116:117], v[122:123], 0
	s_waitcnt vmcnt(1)
	s_delay_alu instid0(VALU_DEP_1) | instskip(SKIP_1) | instid1(VALU_DEP_1)
	v_fma_f64 v[116:117], v[118:119], v[124:125], v[116:117]
	s_waitcnt lgkmcnt(0)
	v_fma_f64 v[1:2], v[120:121], v[1:2], v[116:117]
	s_waitcnt vmcnt(0)
	s_delay_alu instid0(VALU_DEP_1) | instskip(NEXT) | instid1(VALU_DEP_1)
	v_fma_f64 v[1:2], v[126:127], v[3:4], v[1:2]
	v_add_f64 v[1:2], v[114:115], -v[1:2]
	scratch_store_b64 off, v[1:2], off offset:392
	v_cmpx_lt_u32_e32 48, v0
	s_cbranch_execz .LBB117_237
; %bb.236:
	scratch_load_b64 v[1:2], off, off offset:384
	v_mov_b32_e32 v3, 0
	s_delay_alu instid0(VALU_DEP_1)
	v_mov_b32_e32 v4, v3
	scratch_store_b64 off, v[3:4], off offset:384
	s_waitcnt vmcnt(0)
	ds_store_b64 v5, v[1:2]
.LBB117_237:
	s_or_b32 exec_lo, exec_lo, s0
	s_waitcnt lgkmcnt(0)
	s_waitcnt_vscnt null, 0x0
	s_barrier
	buffer_gl0_inv
	s_clause 0x2
	scratch_load_b128 v[114:117], off, off offset:384
	scratch_load_b128 v[118:121], off, off offset:400
	;; [unrolled: 1-line block ×3, first 2 shown]
	v_mov_b32_e32 v1, 0
	ds_load_2addr_b64 v[126:129], v1 offset0:103 offset1:104
	ds_load_2addr_b64 v[130:133], v1 offset0:105 offset1:106
	s_mov_b32 s0, exec_lo
	s_waitcnt vmcnt(2) lgkmcnt(1)
	v_fma_f64 v[2:3], v[116:117], v[126:127], 0
	ds_load_b64 v[116:117], v1 offset:856
	s_waitcnt vmcnt(1)
	v_fma_f64 v[2:3], v[118:119], v[128:129], v[2:3]
	s_waitcnt lgkmcnt(1)
	s_delay_alu instid0(VALU_DEP_1) | instskip(SKIP_1) | instid1(VALU_DEP_1)
	v_fma_f64 v[2:3], v[120:121], v[130:131], v[2:3]
	s_waitcnt vmcnt(0)
	v_fma_f64 v[2:3], v[122:123], v[132:133], v[2:3]
	s_waitcnt lgkmcnt(0)
	s_delay_alu instid0(VALU_DEP_1) | instskip(NEXT) | instid1(VALU_DEP_1)
	v_fma_f64 v[2:3], v[124:125], v[116:117], v[2:3]
	v_add_f64 v[2:3], v[114:115], -v[2:3]
	scratch_store_b64 off, v[2:3], off offset:384
	v_cmpx_lt_u32_e32 47, v0
	s_cbranch_execz .LBB117_239
; %bb.238:
	scratch_load_b64 v[3:4], off, off offset:376
	v_mov_b32_e32 v2, v1
	scratch_store_b64 off, v[1:2], off offset:376
	s_waitcnt vmcnt(0)
	ds_store_b64 v5, v[3:4]
.LBB117_239:
	s_or_b32 exec_lo, exec_lo, s0
	s_waitcnt lgkmcnt(0)
	s_waitcnt_vscnt null, 0x0
	s_barrier
	buffer_gl0_inv
	s_clause 0x3
	scratch_load_b128 v[114:117], off, off offset:376
	scratch_load_b128 v[118:121], off, off offset:392
	;; [unrolled: 1-line block ×3, first 2 shown]
	scratch_load_b64 v[134:135], off, off offset:424
	ds_load_b128 v[126:129], v1 offset:816
	ds_load_b128 v[130:133], v1 offset:832
	s_mov_b32 s0, exec_lo
	s_waitcnt vmcnt(3) lgkmcnt(1)
	v_fma_f64 v[2:3], v[116:117], v[126:127], 0
	s_waitcnt vmcnt(2)
	s_delay_alu instid0(VALU_DEP_1) | instskip(SKIP_1) | instid1(VALU_DEP_1)
	v_fma_f64 v[2:3], v[118:119], v[128:129], v[2:3]
	s_waitcnt lgkmcnt(0)
	v_fma_f64 v[2:3], v[120:121], v[130:131], v[2:3]
	s_waitcnt vmcnt(1)
	s_delay_alu instid0(VALU_DEP_1) | instskip(SKIP_4) | instid1(VALU_DEP_1)
	v_fma_f64 v[116:117], v[122:123], v[132:133], v[2:3]
	ds_load_b128 v[1:4], v1 offset:848
	s_waitcnt lgkmcnt(0)
	v_fma_f64 v[1:2], v[124:125], v[1:2], v[116:117]
	s_waitcnt vmcnt(0)
	v_fma_f64 v[1:2], v[134:135], v[3:4], v[1:2]
	s_delay_alu instid0(VALU_DEP_1)
	v_add_f64 v[1:2], v[114:115], -v[1:2]
	scratch_store_b64 off, v[1:2], off offset:376
	v_cmpx_lt_u32_e32 46, v0
	s_cbranch_execz .LBB117_241
; %bb.240:
	scratch_load_b64 v[1:2], off, off offset:368
	v_mov_b32_e32 v3, 0
	s_delay_alu instid0(VALU_DEP_1)
	v_mov_b32_e32 v4, v3
	scratch_store_b64 off, v[3:4], off offset:368
	s_waitcnt vmcnt(0)
	ds_store_b64 v5, v[1:2]
.LBB117_241:
	s_or_b32 exec_lo, exec_lo, s0
	s_waitcnt lgkmcnt(0)
	s_waitcnt_vscnt null, 0x0
	s_barrier
	buffer_gl0_inv
	s_clause 0x3
	scratch_load_b128 v[114:117], off, off offset:368
	scratch_load_b128 v[118:121], off, off offset:384
	;; [unrolled: 1-line block ×4, first 2 shown]
	v_mov_b32_e32 v1, 0
	ds_load_2addr_b64 v[130:133], v1 offset0:101 offset1:102
	ds_load_2addr_b64 v[134:137], v1 offset0:103 offset1:104
	s_mov_b32 s0, exec_lo
	s_waitcnt vmcnt(3) lgkmcnt(1)
	v_fma_f64 v[2:3], v[116:117], v[130:131], 0
	s_waitcnt vmcnt(2)
	s_delay_alu instid0(VALU_DEP_1) | instskip(SKIP_1) | instid1(VALU_DEP_1)
	v_fma_f64 v[2:3], v[118:119], v[132:133], v[2:3]
	s_waitcnt lgkmcnt(0)
	v_fma_f64 v[2:3], v[120:121], v[134:135], v[2:3]
	ds_load_2addr_b64 v[116:119], v1 offset0:105 offset1:106
	ds_load_b64 v[120:121], v1 offset:856
	s_waitcnt vmcnt(1)
	v_fma_f64 v[2:3], v[122:123], v[136:137], v[2:3]
	s_waitcnt lgkmcnt(1)
	s_delay_alu instid0(VALU_DEP_1) | instskip(SKIP_1) | instid1(VALU_DEP_1)
	v_fma_f64 v[2:3], v[124:125], v[116:117], v[2:3]
	s_waitcnt vmcnt(0)
	v_fma_f64 v[2:3], v[126:127], v[118:119], v[2:3]
	s_waitcnt lgkmcnt(0)
	s_delay_alu instid0(VALU_DEP_1) | instskip(NEXT) | instid1(VALU_DEP_1)
	v_fma_f64 v[2:3], v[128:129], v[120:121], v[2:3]
	v_add_f64 v[2:3], v[114:115], -v[2:3]
	scratch_store_b64 off, v[2:3], off offset:368
	v_cmpx_lt_u32_e32 45, v0
	s_cbranch_execz .LBB117_243
; %bb.242:
	scratch_load_b64 v[3:4], off, off offset:360
	v_mov_b32_e32 v2, v1
	scratch_store_b64 off, v[1:2], off offset:360
	s_waitcnt vmcnt(0)
	ds_store_b64 v5, v[3:4]
.LBB117_243:
	s_or_b32 exec_lo, exec_lo, s0
	s_waitcnt lgkmcnt(0)
	s_waitcnt_vscnt null, 0x0
	s_barrier
	buffer_gl0_inv
	s_clause 0x4
	scratch_load_b128 v[114:117], off, off offset:360
	scratch_load_b128 v[118:121], off, off offset:376
	;; [unrolled: 1-line block ×4, first 2 shown]
	scratch_load_b64 v[138:139], off, off offset:424
	ds_load_b128 v[130:133], v1 offset:800
	ds_load_b128 v[134:137], v1 offset:816
	s_mov_b32 s0, exec_lo
	s_waitcnt vmcnt(4) lgkmcnt(1)
	v_fma_f64 v[2:3], v[116:117], v[130:131], 0
	s_waitcnt vmcnt(3)
	s_delay_alu instid0(VALU_DEP_1) | instskip(SKIP_1) | instid1(VALU_DEP_1)
	v_fma_f64 v[2:3], v[118:119], v[132:133], v[2:3]
	s_waitcnt lgkmcnt(0)
	v_fma_f64 v[2:3], v[120:121], v[134:135], v[2:3]
	s_waitcnt vmcnt(2)
	s_delay_alu instid0(VALU_DEP_1)
	v_fma_f64 v[120:121], v[122:123], v[136:137], v[2:3]
	ds_load_b128 v[116:119], v1 offset:832
	ds_load_b128 v[1:4], v1 offset:848
	s_waitcnt lgkmcnt(1)
	v_fma_f64 v[116:117], v[124:125], v[116:117], v[120:121]
	s_waitcnt vmcnt(1)
	s_delay_alu instid0(VALU_DEP_1) | instskip(SKIP_1) | instid1(VALU_DEP_1)
	v_fma_f64 v[116:117], v[126:127], v[118:119], v[116:117]
	s_waitcnt lgkmcnt(0)
	v_fma_f64 v[1:2], v[128:129], v[1:2], v[116:117]
	s_waitcnt vmcnt(0)
	s_delay_alu instid0(VALU_DEP_1) | instskip(NEXT) | instid1(VALU_DEP_1)
	v_fma_f64 v[1:2], v[138:139], v[3:4], v[1:2]
	v_add_f64 v[1:2], v[114:115], -v[1:2]
	scratch_store_b64 off, v[1:2], off offset:360
	v_cmpx_lt_u32_e32 44, v0
	s_cbranch_execz .LBB117_245
; %bb.244:
	scratch_load_b64 v[1:2], off, off offset:352
	v_mov_b32_e32 v3, 0
	s_delay_alu instid0(VALU_DEP_1)
	v_mov_b32_e32 v4, v3
	scratch_store_b64 off, v[3:4], off offset:352
	s_waitcnt vmcnt(0)
	ds_store_b64 v5, v[1:2]
.LBB117_245:
	s_or_b32 exec_lo, exec_lo, s0
	s_waitcnt lgkmcnt(0)
	s_waitcnt_vscnt null, 0x0
	s_barrier
	buffer_gl0_inv
	s_clause 0x4
	scratch_load_b128 v[114:117], off, off offset:352
	scratch_load_b128 v[118:121], off, off offset:368
	;; [unrolled: 1-line block ×5, first 2 shown]
	v_mov_b32_e32 v1, 0
	ds_load_2addr_b64 v[134:137], v1 offset0:99 offset1:100
	ds_load_2addr_b64 v[138:141], v1 offset0:101 offset1:102
	s_mov_b32 s0, exec_lo
	s_waitcnt vmcnt(4) lgkmcnt(1)
	v_fma_f64 v[2:3], v[116:117], v[134:135], 0
	s_waitcnt vmcnt(3)
	s_delay_alu instid0(VALU_DEP_1) | instskip(SKIP_1) | instid1(VALU_DEP_1)
	v_fma_f64 v[2:3], v[118:119], v[136:137], v[2:3]
	s_waitcnt lgkmcnt(0)
	v_fma_f64 v[2:3], v[120:121], v[138:139], v[2:3]
	s_waitcnt vmcnt(2)
	s_delay_alu instid0(VALU_DEP_1)
	v_fma_f64 v[2:3], v[122:123], v[140:141], v[2:3]
	ds_load_2addr_b64 v[116:119], v1 offset0:103 offset1:104
	ds_load_2addr_b64 v[120:123], v1 offset0:105 offset1:106
	s_waitcnt lgkmcnt(1)
	v_fma_f64 v[2:3], v[124:125], v[116:117], v[2:3]
	ds_load_b64 v[116:117], v1 offset:856
	s_waitcnt vmcnt(1)
	v_fma_f64 v[2:3], v[126:127], v[118:119], v[2:3]
	s_waitcnt lgkmcnt(1)
	s_delay_alu instid0(VALU_DEP_1) | instskip(SKIP_1) | instid1(VALU_DEP_1)
	v_fma_f64 v[2:3], v[128:129], v[120:121], v[2:3]
	s_waitcnt vmcnt(0)
	v_fma_f64 v[2:3], v[130:131], v[122:123], v[2:3]
	s_waitcnt lgkmcnt(0)
	s_delay_alu instid0(VALU_DEP_1) | instskip(NEXT) | instid1(VALU_DEP_1)
	v_fma_f64 v[2:3], v[132:133], v[116:117], v[2:3]
	v_add_f64 v[2:3], v[114:115], -v[2:3]
	scratch_store_b64 off, v[2:3], off offset:352
	v_cmpx_lt_u32_e32 43, v0
	s_cbranch_execz .LBB117_247
; %bb.246:
	scratch_load_b64 v[3:4], off, off offset:344
	v_mov_b32_e32 v2, v1
	scratch_store_b64 off, v[1:2], off offset:344
	s_waitcnt vmcnt(0)
	ds_store_b64 v5, v[3:4]
.LBB117_247:
	s_or_b32 exec_lo, exec_lo, s0
	s_waitcnt lgkmcnt(0)
	s_waitcnt_vscnt null, 0x0
	s_barrier
	buffer_gl0_inv
	s_clause 0x4
	scratch_load_b128 v[114:117], off, off offset:344
	scratch_load_b128 v[118:121], off, off offset:360
	;; [unrolled: 1-line block ×5, first 2 shown]
	ds_load_b128 v[134:137], v1 offset:784
	ds_load_b128 v[138:141], v1 offset:800
	s_mov_b32 s0, exec_lo
	s_waitcnt vmcnt(4) lgkmcnt(1)
	v_fma_f64 v[2:3], v[116:117], v[134:135], 0
	scratch_load_b64 v[134:135], off, off offset:424
	s_waitcnt vmcnt(4)
	v_fma_f64 v[2:3], v[118:119], v[136:137], v[2:3]
	s_waitcnt lgkmcnt(0)
	s_delay_alu instid0(VALU_DEP_1) | instskip(SKIP_1) | instid1(VALU_DEP_1)
	v_fma_f64 v[2:3], v[120:121], v[138:139], v[2:3]
	s_waitcnt vmcnt(3)
	v_fma_f64 v[2:3], v[122:123], v[140:141], v[2:3]
	ds_load_b128 v[116:119], v1 offset:816
	ds_load_b128 v[120:123], v1 offset:832
	s_waitcnt lgkmcnt(1)
	v_fma_f64 v[2:3], v[124:125], v[116:117], v[2:3]
	s_waitcnt vmcnt(2)
	s_delay_alu instid0(VALU_DEP_1) | instskip(SKIP_1) | instid1(VALU_DEP_1)
	v_fma_f64 v[2:3], v[126:127], v[118:119], v[2:3]
	s_waitcnt lgkmcnt(0)
	v_fma_f64 v[2:3], v[128:129], v[120:121], v[2:3]
	s_waitcnt vmcnt(1)
	s_delay_alu instid0(VALU_DEP_1) | instskip(SKIP_4) | instid1(VALU_DEP_1)
	v_fma_f64 v[116:117], v[130:131], v[122:123], v[2:3]
	ds_load_b128 v[1:4], v1 offset:848
	s_waitcnt lgkmcnt(0)
	v_fma_f64 v[1:2], v[132:133], v[1:2], v[116:117]
	s_waitcnt vmcnt(0)
	v_fma_f64 v[1:2], v[134:135], v[3:4], v[1:2]
	s_delay_alu instid0(VALU_DEP_1)
	v_add_f64 v[1:2], v[114:115], -v[1:2]
	scratch_store_b64 off, v[1:2], off offset:344
	v_cmpx_lt_u32_e32 42, v0
	s_cbranch_execz .LBB117_249
; %bb.248:
	scratch_load_b64 v[1:2], off, off offset:336
	v_mov_b32_e32 v3, 0
	s_delay_alu instid0(VALU_DEP_1)
	v_mov_b32_e32 v4, v3
	scratch_store_b64 off, v[3:4], off offset:336
	s_waitcnt vmcnt(0)
	ds_store_b64 v5, v[1:2]
.LBB117_249:
	s_or_b32 exec_lo, exec_lo, s0
	s_waitcnt lgkmcnt(0)
	s_waitcnt_vscnt null, 0x0
	s_barrier
	buffer_gl0_inv
	s_clause 0x4
	scratch_load_b128 v[114:117], off, off offset:336
	scratch_load_b128 v[118:121], off, off offset:352
	scratch_load_b128 v[122:125], off, off offset:368
	scratch_load_b128 v[126:129], off, off offset:384
	scratch_load_b128 v[130:133], off, off offset:400
	v_mov_b32_e32 v1, 0
	ds_load_2addr_b64 v[134:137], v1 offset0:97 offset1:98
	ds_load_2addr_b64 v[138:141], v1 offset0:99 offset1:100
	scratch_load_b128 v[142:145], off, off offset:416
	s_mov_b32 s0, exec_lo
	s_waitcnt vmcnt(5) lgkmcnt(1)
	v_fma_f64 v[2:3], v[116:117], v[134:135], 0
	s_waitcnt vmcnt(4)
	s_delay_alu instid0(VALU_DEP_1) | instskip(SKIP_1) | instid1(VALU_DEP_1)
	v_fma_f64 v[2:3], v[118:119], v[136:137], v[2:3]
	s_waitcnt lgkmcnt(0)
	v_fma_f64 v[2:3], v[120:121], v[138:139], v[2:3]
	s_waitcnt vmcnt(3)
	s_delay_alu instid0(VALU_DEP_1)
	v_fma_f64 v[2:3], v[122:123], v[140:141], v[2:3]
	ds_load_2addr_b64 v[116:119], v1 offset0:101 offset1:102
	ds_load_2addr_b64 v[120:123], v1 offset0:103 offset1:104
	s_waitcnt lgkmcnt(1)
	v_fma_f64 v[2:3], v[124:125], v[116:117], v[2:3]
	s_waitcnt vmcnt(2)
	s_delay_alu instid0(VALU_DEP_1) | instskip(SKIP_1) | instid1(VALU_DEP_1)
	v_fma_f64 v[2:3], v[126:127], v[118:119], v[2:3]
	s_waitcnt lgkmcnt(0)
	v_fma_f64 v[2:3], v[128:129], v[120:121], v[2:3]
	ds_load_2addr_b64 v[116:119], v1 offset0:105 offset1:106
	ds_load_b64 v[120:121], v1 offset:856
	s_waitcnt vmcnt(1)
	v_fma_f64 v[2:3], v[130:131], v[122:123], v[2:3]
	s_waitcnt lgkmcnt(1)
	s_delay_alu instid0(VALU_DEP_1) | instskip(SKIP_1) | instid1(VALU_DEP_1)
	v_fma_f64 v[2:3], v[132:133], v[116:117], v[2:3]
	s_waitcnt vmcnt(0)
	v_fma_f64 v[2:3], v[142:143], v[118:119], v[2:3]
	s_waitcnt lgkmcnt(0)
	s_delay_alu instid0(VALU_DEP_1) | instskip(NEXT) | instid1(VALU_DEP_1)
	v_fma_f64 v[2:3], v[144:145], v[120:121], v[2:3]
	v_add_f64 v[2:3], v[114:115], -v[2:3]
	scratch_store_b64 off, v[2:3], off offset:336
	v_cmpx_lt_u32_e32 41, v0
	s_cbranch_execz .LBB117_251
; %bb.250:
	scratch_load_b64 v[3:4], off, off offset:328
	v_mov_b32_e32 v2, v1
	scratch_store_b64 off, v[1:2], off offset:328
	s_waitcnt vmcnt(0)
	ds_store_b64 v5, v[3:4]
.LBB117_251:
	s_or_b32 exec_lo, exec_lo, s0
	s_waitcnt lgkmcnt(0)
	s_waitcnt_vscnt null, 0x0
	s_barrier
	buffer_gl0_inv
	s_clause 0x4
	scratch_load_b128 v[114:117], off, off offset:328
	scratch_load_b128 v[118:121], off, off offset:344
	;; [unrolled: 1-line block ×5, first 2 shown]
	ds_load_b128 v[134:137], v1 offset:768
	ds_load_b128 v[138:141], v1 offset:784
	scratch_load_b128 v[142:145], off, off offset:408
	s_mov_b32 s0, exec_lo
	s_waitcnt vmcnt(5) lgkmcnt(1)
	v_fma_f64 v[2:3], v[116:117], v[134:135], 0
	scratch_load_b64 v[134:135], off, off offset:424
	s_waitcnt vmcnt(5)
	v_fma_f64 v[2:3], v[118:119], v[136:137], v[2:3]
	s_waitcnt lgkmcnt(0)
	s_delay_alu instid0(VALU_DEP_1) | instskip(SKIP_1) | instid1(VALU_DEP_1)
	v_fma_f64 v[2:3], v[120:121], v[138:139], v[2:3]
	s_waitcnt vmcnt(4)
	v_fma_f64 v[2:3], v[122:123], v[140:141], v[2:3]
	ds_load_b128 v[116:119], v1 offset:800
	ds_load_b128 v[120:123], v1 offset:816
	s_waitcnt lgkmcnt(1)
	v_fma_f64 v[2:3], v[124:125], v[116:117], v[2:3]
	s_waitcnt vmcnt(3)
	s_delay_alu instid0(VALU_DEP_1) | instskip(SKIP_1) | instid1(VALU_DEP_1)
	v_fma_f64 v[2:3], v[126:127], v[118:119], v[2:3]
	s_waitcnt lgkmcnt(0)
	v_fma_f64 v[2:3], v[128:129], v[120:121], v[2:3]
	s_waitcnt vmcnt(2)
	s_delay_alu instid0(VALU_DEP_1)
	v_fma_f64 v[120:121], v[130:131], v[122:123], v[2:3]
	ds_load_b128 v[116:119], v1 offset:832
	ds_load_b128 v[1:4], v1 offset:848
	s_waitcnt lgkmcnt(1)
	v_fma_f64 v[116:117], v[132:133], v[116:117], v[120:121]
	s_waitcnt vmcnt(1)
	s_delay_alu instid0(VALU_DEP_1) | instskip(SKIP_1) | instid1(VALU_DEP_1)
	v_fma_f64 v[116:117], v[142:143], v[118:119], v[116:117]
	s_waitcnt lgkmcnt(0)
	v_fma_f64 v[1:2], v[144:145], v[1:2], v[116:117]
	s_waitcnt vmcnt(0)
	s_delay_alu instid0(VALU_DEP_1) | instskip(NEXT) | instid1(VALU_DEP_1)
	v_fma_f64 v[1:2], v[134:135], v[3:4], v[1:2]
	v_add_f64 v[1:2], v[114:115], -v[1:2]
	scratch_store_b64 off, v[1:2], off offset:328
	v_cmpx_lt_u32_e32 40, v0
	s_cbranch_execz .LBB117_253
; %bb.252:
	scratch_load_b64 v[1:2], off, off offset:320
	v_mov_b32_e32 v3, 0
	s_delay_alu instid0(VALU_DEP_1)
	v_mov_b32_e32 v4, v3
	scratch_store_b64 off, v[3:4], off offset:320
	s_waitcnt vmcnt(0)
	ds_store_b64 v5, v[1:2]
.LBB117_253:
	s_or_b32 exec_lo, exec_lo, s0
	s_waitcnt lgkmcnt(0)
	s_waitcnt_vscnt null, 0x0
	s_barrier
	buffer_gl0_inv
	s_clause 0x4
	scratch_load_b128 v[114:117], off, off offset:320
	scratch_load_b128 v[118:121], off, off offset:336
	;; [unrolled: 1-line block ×5, first 2 shown]
	v_mov_b32_e32 v1, 0
	ds_load_2addr_b64 v[134:137], v1 offset0:95 offset1:96
	ds_load_2addr_b64 v[138:141], v1 offset0:97 offset1:98
	scratch_load_b128 v[142:145], off, off offset:400
	s_mov_b32 s0, exec_lo
	s_waitcnt vmcnt(5) lgkmcnt(1)
	v_fma_f64 v[2:3], v[116:117], v[134:135], 0
	s_waitcnt vmcnt(4)
	s_delay_alu instid0(VALU_DEP_1) | instskip(SKIP_4) | instid1(VALU_DEP_1)
	v_fma_f64 v[2:3], v[118:119], v[136:137], v[2:3]
	scratch_load_b128 v[116:119], off, off offset:416
	s_waitcnt lgkmcnt(0)
	v_fma_f64 v[2:3], v[120:121], v[138:139], v[2:3]
	s_waitcnt vmcnt(4)
	v_fma_f64 v[2:3], v[122:123], v[140:141], v[2:3]
	ds_load_2addr_b64 v[120:123], v1 offset0:99 offset1:100
	ds_load_2addr_b64 v[134:137], v1 offset0:101 offset1:102
	s_waitcnt lgkmcnt(1)
	v_fma_f64 v[2:3], v[124:125], v[120:121], v[2:3]
	s_waitcnt vmcnt(3)
	s_delay_alu instid0(VALU_DEP_1)
	v_fma_f64 v[2:3], v[126:127], v[122:123], v[2:3]
	ds_load_2addr_b64 v[120:123], v1 offset0:103 offset1:104
	ds_load_2addr_b64 v[124:127], v1 offset0:105 offset1:106
	s_waitcnt lgkmcnt(2)
	v_fma_f64 v[2:3], v[128:129], v[134:135], v[2:3]
	s_waitcnt vmcnt(2)
	s_delay_alu instid0(VALU_DEP_1) | instskip(SKIP_1) | instid1(VALU_DEP_1)
	v_fma_f64 v[2:3], v[130:131], v[136:137], v[2:3]
	s_waitcnt lgkmcnt(1)
	v_fma_f64 v[2:3], v[132:133], v[120:121], v[2:3]
	s_waitcnt vmcnt(1)
	s_delay_alu instid0(VALU_DEP_1) | instskip(SKIP_1) | instid1(VALU_DEP_1)
	v_fma_f64 v[2:3], v[142:143], v[122:123], v[2:3]
	s_waitcnt lgkmcnt(0)
	v_fma_f64 v[2:3], v[144:145], v[124:125], v[2:3]
	s_waitcnt vmcnt(0)
	s_delay_alu instid0(VALU_DEP_1) | instskip(SKIP_3) | instid1(VALU_DEP_1)
	v_fma_f64 v[2:3], v[116:117], v[126:127], v[2:3]
	ds_load_b64 v[116:117], v1 offset:856
	s_waitcnt lgkmcnt(0)
	v_fma_f64 v[2:3], v[118:119], v[116:117], v[2:3]
	v_add_f64 v[2:3], v[114:115], -v[2:3]
	scratch_store_b64 off, v[2:3], off offset:320
	v_cmpx_lt_u32_e32 39, v0
	s_cbranch_execz .LBB117_255
; %bb.254:
	scratch_load_b64 v[3:4], off, off offset:312
	v_mov_b32_e32 v2, v1
	scratch_store_b64 off, v[1:2], off offset:312
	s_waitcnt vmcnt(0)
	ds_store_b64 v5, v[3:4]
.LBB117_255:
	s_or_b32 exec_lo, exec_lo, s0
	s_waitcnt lgkmcnt(0)
	s_waitcnt_vscnt null, 0x0
	s_barrier
	buffer_gl0_inv
	s_clause 0x4
	scratch_load_b128 v[114:117], off, off offset:312
	scratch_load_b128 v[118:121], off, off offset:328
	;; [unrolled: 1-line block ×5, first 2 shown]
	ds_load_b128 v[134:137], v1 offset:752
	ds_load_b128 v[138:141], v1 offset:768
	scratch_load_b128 v[142:145], off, off offset:392
	s_mov_b32 s0, exec_lo
	s_waitcnt vmcnt(5) lgkmcnt(1)
	v_fma_f64 v[2:3], v[116:117], v[134:135], 0
	s_waitcnt vmcnt(4)
	s_delay_alu instid0(VALU_DEP_1) | instskip(SKIP_4) | instid1(VALU_DEP_1)
	v_fma_f64 v[2:3], v[118:119], v[136:137], v[2:3]
	scratch_load_b128 v[116:119], off, off offset:408
	s_waitcnt lgkmcnt(0)
	v_fma_f64 v[2:3], v[120:121], v[138:139], v[2:3]
	s_waitcnt vmcnt(4)
	v_fma_f64 v[2:3], v[122:123], v[140:141], v[2:3]
	ds_load_b128 v[120:123], v1 offset:784
	ds_load_b128 v[134:137], v1 offset:800
	scratch_load_b64 v[138:139], off, off offset:424
	s_waitcnt lgkmcnt(1)
	v_fma_f64 v[2:3], v[124:125], v[120:121], v[2:3]
	s_waitcnt vmcnt(4)
	s_delay_alu instid0(VALU_DEP_1)
	v_fma_f64 v[2:3], v[126:127], v[122:123], v[2:3]
	ds_load_b128 v[120:123], v1 offset:816
	ds_load_b128 v[124:127], v1 offset:832
	s_waitcnt lgkmcnt(2)
	v_fma_f64 v[2:3], v[128:129], v[134:135], v[2:3]
	s_waitcnt vmcnt(3)
	s_delay_alu instid0(VALU_DEP_1) | instskip(SKIP_1) | instid1(VALU_DEP_1)
	v_fma_f64 v[2:3], v[130:131], v[136:137], v[2:3]
	s_waitcnt lgkmcnt(1)
	v_fma_f64 v[2:3], v[132:133], v[120:121], v[2:3]
	s_waitcnt vmcnt(2)
	s_delay_alu instid0(VALU_DEP_1) | instskip(SKIP_1) | instid1(VALU_DEP_1)
	v_fma_f64 v[2:3], v[142:143], v[122:123], v[2:3]
	s_waitcnt lgkmcnt(0)
	v_fma_f64 v[2:3], v[144:145], v[124:125], v[2:3]
	s_waitcnt vmcnt(1)
	s_delay_alu instid0(VALU_DEP_1) | instskip(SKIP_4) | instid1(VALU_DEP_1)
	v_fma_f64 v[116:117], v[116:117], v[126:127], v[2:3]
	ds_load_b128 v[1:4], v1 offset:848
	s_waitcnt lgkmcnt(0)
	v_fma_f64 v[1:2], v[118:119], v[1:2], v[116:117]
	s_waitcnt vmcnt(0)
	v_fma_f64 v[1:2], v[138:139], v[3:4], v[1:2]
	s_delay_alu instid0(VALU_DEP_1)
	v_add_f64 v[1:2], v[114:115], -v[1:2]
	scratch_store_b64 off, v[1:2], off offset:312
	v_cmpx_lt_u32_e32 38, v0
	s_cbranch_execz .LBB117_257
; %bb.256:
	scratch_load_b64 v[1:2], off, off offset:304
	v_mov_b32_e32 v3, 0
	s_delay_alu instid0(VALU_DEP_1)
	v_mov_b32_e32 v4, v3
	scratch_store_b64 off, v[3:4], off offset:304
	s_waitcnt vmcnt(0)
	ds_store_b64 v5, v[1:2]
.LBB117_257:
	s_or_b32 exec_lo, exec_lo, s0
	s_waitcnt lgkmcnt(0)
	s_waitcnt_vscnt null, 0x0
	s_barrier
	buffer_gl0_inv
	s_clause 0x4
	scratch_load_b128 v[114:117], off, off offset:304
	scratch_load_b128 v[118:121], off, off offset:320
	;; [unrolled: 1-line block ×5, first 2 shown]
	v_mov_b32_e32 v1, 0
	ds_load_2addr_b64 v[134:137], v1 offset0:93 offset1:94
	ds_load_2addr_b64 v[138:141], v1 offset0:95 offset1:96
	scratch_load_b128 v[142:145], off, off offset:384
	s_mov_b32 s0, exec_lo
	s_waitcnt vmcnt(5) lgkmcnt(1)
	v_fma_f64 v[2:3], v[116:117], v[134:135], 0
	s_waitcnt vmcnt(4)
	s_delay_alu instid0(VALU_DEP_1) | instskip(SKIP_4) | instid1(VALU_DEP_1)
	v_fma_f64 v[2:3], v[118:119], v[136:137], v[2:3]
	scratch_load_b128 v[116:119], off, off offset:400
	s_waitcnt lgkmcnt(0)
	v_fma_f64 v[2:3], v[120:121], v[138:139], v[2:3]
	s_waitcnt vmcnt(4)
	v_fma_f64 v[2:3], v[122:123], v[140:141], v[2:3]
	ds_load_2addr_b64 v[120:123], v1 offset0:97 offset1:98
	ds_load_2addr_b64 v[134:137], v1 offset0:99 offset1:100
	scratch_load_b128 v[138:141], off, off offset:416
	s_waitcnt lgkmcnt(1)
	v_fma_f64 v[2:3], v[124:125], v[120:121], v[2:3]
	s_waitcnt vmcnt(4)
	s_delay_alu instid0(VALU_DEP_1)
	v_fma_f64 v[2:3], v[126:127], v[122:123], v[2:3]
	ds_load_2addr_b64 v[120:123], v1 offset0:101 offset1:102
	ds_load_2addr_b64 v[124:127], v1 offset0:103 offset1:104
	s_waitcnt lgkmcnt(2)
	v_fma_f64 v[2:3], v[128:129], v[134:135], v[2:3]
	s_waitcnt vmcnt(3)
	s_delay_alu instid0(VALU_DEP_1) | instskip(SKIP_1) | instid1(VALU_DEP_1)
	v_fma_f64 v[2:3], v[130:131], v[136:137], v[2:3]
	s_waitcnt lgkmcnt(1)
	v_fma_f64 v[2:3], v[132:133], v[120:121], v[2:3]
	s_waitcnt vmcnt(2)
	s_delay_alu instid0(VALU_DEP_1) | instskip(SKIP_1) | instid1(VALU_DEP_1)
	v_fma_f64 v[2:3], v[142:143], v[122:123], v[2:3]
	s_waitcnt lgkmcnt(0)
	v_fma_f64 v[2:3], v[144:145], v[124:125], v[2:3]
	s_waitcnt vmcnt(1)
	s_delay_alu instid0(VALU_DEP_1)
	v_fma_f64 v[2:3], v[116:117], v[126:127], v[2:3]
	ds_load_2addr_b64 v[120:123], v1 offset0:105 offset1:106
	ds_load_b64 v[116:117], v1 offset:856
	s_waitcnt lgkmcnt(1)
	v_fma_f64 v[2:3], v[118:119], v[120:121], v[2:3]
	s_waitcnt vmcnt(0)
	s_delay_alu instid0(VALU_DEP_1) | instskip(SKIP_1) | instid1(VALU_DEP_1)
	v_fma_f64 v[2:3], v[138:139], v[122:123], v[2:3]
	s_waitcnt lgkmcnt(0)
	v_fma_f64 v[2:3], v[140:141], v[116:117], v[2:3]
	s_delay_alu instid0(VALU_DEP_1)
	v_add_f64 v[2:3], v[114:115], -v[2:3]
	scratch_store_b64 off, v[2:3], off offset:304
	v_cmpx_lt_u32_e32 37, v0
	s_cbranch_execz .LBB117_259
; %bb.258:
	scratch_load_b64 v[3:4], off, off offset:296
	v_mov_b32_e32 v2, v1
	scratch_store_b64 off, v[1:2], off offset:296
	s_waitcnt vmcnt(0)
	ds_store_b64 v5, v[3:4]
.LBB117_259:
	s_or_b32 exec_lo, exec_lo, s0
	s_waitcnt lgkmcnt(0)
	s_waitcnt_vscnt null, 0x0
	s_barrier
	buffer_gl0_inv
	s_clause 0x4
	scratch_load_b128 v[114:117], off, off offset:296
	scratch_load_b128 v[118:121], off, off offset:312
	;; [unrolled: 1-line block ×5, first 2 shown]
	ds_load_b128 v[134:137], v1 offset:736
	ds_load_b128 v[138:141], v1 offset:752
	scratch_load_b128 v[142:145], off, off offset:376
	s_mov_b32 s0, exec_lo
	s_waitcnt vmcnt(5) lgkmcnt(1)
	v_fma_f64 v[2:3], v[116:117], v[134:135], 0
	s_waitcnt vmcnt(4)
	s_delay_alu instid0(VALU_DEP_1) | instskip(SKIP_4) | instid1(VALU_DEP_1)
	v_fma_f64 v[2:3], v[118:119], v[136:137], v[2:3]
	scratch_load_b128 v[116:119], off, off offset:392
	s_waitcnt lgkmcnt(0)
	v_fma_f64 v[2:3], v[120:121], v[138:139], v[2:3]
	s_waitcnt vmcnt(4)
	v_fma_f64 v[2:3], v[122:123], v[140:141], v[2:3]
	ds_load_b128 v[120:123], v1 offset:768
	ds_load_b128 v[134:137], v1 offset:784
	scratch_load_b128 v[138:141], off, off offset:408
	s_waitcnt lgkmcnt(1)
	v_fma_f64 v[2:3], v[124:125], v[120:121], v[2:3]
	s_waitcnt vmcnt(4)
	s_delay_alu instid0(VALU_DEP_1) | instskip(SKIP_1) | instid1(VALU_DEP_1)
	v_fma_f64 v[2:3], v[126:127], v[122:123], v[2:3]
	s_waitcnt lgkmcnt(0)
	v_fma_f64 v[2:3], v[128:129], v[134:135], v[2:3]
	scratch_load_b64 v[128:129], off, off offset:424
	ds_load_b128 v[120:123], v1 offset:800
	ds_load_b128 v[124:127], v1 offset:816
	s_waitcnt vmcnt(4)
	v_fma_f64 v[2:3], v[130:131], v[136:137], v[2:3]
	s_waitcnt lgkmcnt(1)
	s_delay_alu instid0(VALU_DEP_1) | instskip(SKIP_1) | instid1(VALU_DEP_1)
	v_fma_f64 v[2:3], v[132:133], v[120:121], v[2:3]
	s_waitcnt vmcnt(3)
	v_fma_f64 v[2:3], v[142:143], v[122:123], v[2:3]
	s_waitcnt lgkmcnt(0)
	s_delay_alu instid0(VALU_DEP_1) | instskip(SKIP_1) | instid1(VALU_DEP_1)
	v_fma_f64 v[2:3], v[144:145], v[124:125], v[2:3]
	s_waitcnt vmcnt(2)
	v_fma_f64 v[116:117], v[116:117], v[126:127], v[2:3]
	ds_load_b128 v[120:123], v1 offset:832
	ds_load_b128 v[1:4], v1 offset:848
	s_waitcnt lgkmcnt(1)
	v_fma_f64 v[116:117], v[118:119], v[120:121], v[116:117]
	s_waitcnt vmcnt(1)
	s_delay_alu instid0(VALU_DEP_1) | instskip(SKIP_1) | instid1(VALU_DEP_1)
	v_fma_f64 v[116:117], v[138:139], v[122:123], v[116:117]
	s_waitcnt lgkmcnt(0)
	v_fma_f64 v[1:2], v[140:141], v[1:2], v[116:117]
	s_waitcnt vmcnt(0)
	s_delay_alu instid0(VALU_DEP_1) | instskip(NEXT) | instid1(VALU_DEP_1)
	v_fma_f64 v[1:2], v[128:129], v[3:4], v[1:2]
	v_add_f64 v[1:2], v[114:115], -v[1:2]
	scratch_store_b64 off, v[1:2], off offset:296
	v_cmpx_lt_u32_e32 36, v0
	s_cbranch_execz .LBB117_261
; %bb.260:
	scratch_load_b64 v[1:2], off, off offset:288
	v_mov_b32_e32 v3, 0
	s_delay_alu instid0(VALU_DEP_1)
	v_mov_b32_e32 v4, v3
	scratch_store_b64 off, v[3:4], off offset:288
	s_waitcnt vmcnt(0)
	ds_store_b64 v5, v[1:2]
.LBB117_261:
	s_or_b32 exec_lo, exec_lo, s0
	s_waitcnt lgkmcnt(0)
	s_waitcnt_vscnt null, 0x0
	s_barrier
	buffer_gl0_inv
	s_clause 0x4
	scratch_load_b128 v[114:117], off, off offset:288
	scratch_load_b128 v[118:121], off, off offset:304
	;; [unrolled: 1-line block ×5, first 2 shown]
	v_mov_b32_e32 v1, 0
	ds_load_2addr_b64 v[134:137], v1 offset0:91 offset1:92
	ds_load_2addr_b64 v[138:141], v1 offset0:93 offset1:94
	scratch_load_b128 v[142:145], off, off offset:368
	s_mov_b32 s0, exec_lo
	s_waitcnt vmcnt(5) lgkmcnt(1)
	v_fma_f64 v[2:3], v[116:117], v[134:135], 0
	s_waitcnt vmcnt(4)
	s_delay_alu instid0(VALU_DEP_1) | instskip(SKIP_4) | instid1(VALU_DEP_1)
	v_fma_f64 v[2:3], v[118:119], v[136:137], v[2:3]
	scratch_load_b128 v[116:119], off, off offset:384
	s_waitcnt lgkmcnt(0)
	v_fma_f64 v[2:3], v[120:121], v[138:139], v[2:3]
	s_waitcnt vmcnt(4)
	v_fma_f64 v[2:3], v[122:123], v[140:141], v[2:3]
	ds_load_2addr_b64 v[120:123], v1 offset0:95 offset1:96
	ds_load_2addr_b64 v[134:137], v1 offset0:97 offset1:98
	scratch_load_b128 v[138:141], off, off offset:400
	s_waitcnt lgkmcnt(1)
	v_fma_f64 v[2:3], v[124:125], v[120:121], v[2:3]
	s_waitcnt vmcnt(4)
	s_delay_alu instid0(VALU_DEP_1) | instskip(SKIP_4) | instid1(VALU_DEP_1)
	v_fma_f64 v[2:3], v[126:127], v[122:123], v[2:3]
	scratch_load_b128 v[120:123], off, off offset:416
	s_waitcnt lgkmcnt(0)
	v_fma_f64 v[2:3], v[128:129], v[134:135], v[2:3]
	s_waitcnt vmcnt(4)
	v_fma_f64 v[2:3], v[130:131], v[136:137], v[2:3]
	ds_load_2addr_b64 v[124:127], v1 offset0:99 offset1:100
	ds_load_2addr_b64 v[128:131], v1 offset0:101 offset1:102
	s_waitcnt lgkmcnt(1)
	v_fma_f64 v[2:3], v[132:133], v[124:125], v[2:3]
	s_waitcnt vmcnt(3)
	s_delay_alu instid0(VALU_DEP_1) | instskip(SKIP_1) | instid1(VALU_DEP_1)
	v_fma_f64 v[2:3], v[142:143], v[126:127], v[2:3]
	s_waitcnt lgkmcnt(0)
	v_fma_f64 v[2:3], v[144:145], v[128:129], v[2:3]
	s_waitcnt vmcnt(2)
	s_delay_alu instid0(VALU_DEP_1)
	v_fma_f64 v[2:3], v[116:117], v[130:131], v[2:3]
	ds_load_2addr_b64 v[124:127], v1 offset0:103 offset1:104
	ds_load_2addr_b64 v[128:131], v1 offset0:105 offset1:106
	ds_load_b64 v[116:117], v1 offset:856
	s_waitcnt lgkmcnt(2)
	v_fma_f64 v[2:3], v[118:119], v[124:125], v[2:3]
	s_waitcnt vmcnt(1)
	s_delay_alu instid0(VALU_DEP_1) | instskip(SKIP_1) | instid1(VALU_DEP_1)
	v_fma_f64 v[2:3], v[138:139], v[126:127], v[2:3]
	s_waitcnt lgkmcnt(1)
	v_fma_f64 v[2:3], v[140:141], v[128:129], v[2:3]
	s_waitcnt vmcnt(0)
	s_delay_alu instid0(VALU_DEP_1) | instskip(SKIP_1) | instid1(VALU_DEP_1)
	v_fma_f64 v[2:3], v[120:121], v[130:131], v[2:3]
	s_waitcnt lgkmcnt(0)
	v_fma_f64 v[2:3], v[122:123], v[116:117], v[2:3]
	s_delay_alu instid0(VALU_DEP_1)
	v_add_f64 v[2:3], v[114:115], -v[2:3]
	scratch_store_b64 off, v[2:3], off offset:288
	v_cmpx_lt_u32_e32 35, v0
	s_cbranch_execz .LBB117_263
; %bb.262:
	scratch_load_b64 v[3:4], off, off offset:280
	v_mov_b32_e32 v2, v1
	scratch_store_b64 off, v[1:2], off offset:280
	s_waitcnt vmcnt(0)
	ds_store_b64 v5, v[3:4]
.LBB117_263:
	s_or_b32 exec_lo, exec_lo, s0
	s_waitcnt lgkmcnt(0)
	s_waitcnt_vscnt null, 0x0
	s_barrier
	buffer_gl0_inv
	s_clause 0x4
	scratch_load_b128 v[114:117], off, off offset:280
	scratch_load_b128 v[118:121], off, off offset:296
	;; [unrolled: 1-line block ×5, first 2 shown]
	ds_load_b128 v[134:137], v1 offset:720
	ds_load_b128 v[138:141], v1 offset:736
	scratch_load_b128 v[142:145], off, off offset:360
	s_mov_b32 s0, exec_lo
	s_waitcnt vmcnt(5) lgkmcnt(1)
	v_fma_f64 v[2:3], v[116:117], v[134:135], 0
	s_waitcnt vmcnt(4)
	s_delay_alu instid0(VALU_DEP_1) | instskip(SKIP_4) | instid1(VALU_DEP_1)
	v_fma_f64 v[2:3], v[118:119], v[136:137], v[2:3]
	scratch_load_b128 v[116:119], off, off offset:376
	s_waitcnt lgkmcnt(0)
	v_fma_f64 v[2:3], v[120:121], v[138:139], v[2:3]
	s_waitcnt vmcnt(4)
	v_fma_f64 v[2:3], v[122:123], v[140:141], v[2:3]
	ds_load_b128 v[120:123], v1 offset:752
	ds_load_b128 v[134:137], v1 offset:768
	scratch_load_b128 v[138:141], off, off offset:392
	s_waitcnt lgkmcnt(1)
	v_fma_f64 v[2:3], v[124:125], v[120:121], v[2:3]
	s_waitcnt vmcnt(4)
	s_delay_alu instid0(VALU_DEP_1) | instskip(SKIP_4) | instid1(VALU_DEP_1)
	v_fma_f64 v[2:3], v[126:127], v[122:123], v[2:3]
	scratch_load_b128 v[120:123], off, off offset:408
	s_waitcnt lgkmcnt(0)
	v_fma_f64 v[2:3], v[128:129], v[134:135], v[2:3]
	s_waitcnt vmcnt(4)
	v_fma_f64 v[2:3], v[130:131], v[136:137], v[2:3]
	ds_load_b128 v[124:127], v1 offset:784
	ds_load_b128 v[128:131], v1 offset:800
	s_waitcnt lgkmcnt(1)
	v_fma_f64 v[2:3], v[132:133], v[124:125], v[2:3]
	scratch_load_b64 v[132:133], off, off offset:424
	s_waitcnt vmcnt(4)
	v_fma_f64 v[2:3], v[142:143], v[126:127], v[2:3]
	s_waitcnt lgkmcnt(0)
	s_delay_alu instid0(VALU_DEP_1) | instskip(SKIP_1) | instid1(VALU_DEP_1)
	v_fma_f64 v[2:3], v[144:145], v[128:129], v[2:3]
	s_waitcnt vmcnt(3)
	v_fma_f64 v[2:3], v[116:117], v[130:131], v[2:3]
	ds_load_b128 v[124:127], v1 offset:816
	ds_load_b128 v[128:131], v1 offset:832
	s_waitcnt lgkmcnt(1)
	v_fma_f64 v[2:3], v[118:119], v[124:125], v[2:3]
	s_waitcnt vmcnt(2)
	s_delay_alu instid0(VALU_DEP_1) | instskip(SKIP_1) | instid1(VALU_DEP_1)
	v_fma_f64 v[2:3], v[138:139], v[126:127], v[2:3]
	s_waitcnt lgkmcnt(0)
	v_fma_f64 v[2:3], v[140:141], v[128:129], v[2:3]
	s_waitcnt vmcnt(1)
	s_delay_alu instid0(VALU_DEP_1) | instskip(SKIP_4) | instid1(VALU_DEP_1)
	v_fma_f64 v[116:117], v[120:121], v[130:131], v[2:3]
	ds_load_b128 v[1:4], v1 offset:848
	s_waitcnt lgkmcnt(0)
	v_fma_f64 v[1:2], v[122:123], v[1:2], v[116:117]
	s_waitcnt vmcnt(0)
	v_fma_f64 v[1:2], v[132:133], v[3:4], v[1:2]
	s_delay_alu instid0(VALU_DEP_1)
	v_add_f64 v[1:2], v[114:115], -v[1:2]
	scratch_store_b64 off, v[1:2], off offset:280
	v_cmpx_lt_u32_e32 34, v0
	s_cbranch_execz .LBB117_265
; %bb.264:
	scratch_load_b64 v[1:2], off, off offset:272
	v_mov_b32_e32 v3, 0
	s_delay_alu instid0(VALU_DEP_1)
	v_mov_b32_e32 v4, v3
	scratch_store_b64 off, v[3:4], off offset:272
	s_waitcnt vmcnt(0)
	ds_store_b64 v5, v[1:2]
.LBB117_265:
	s_or_b32 exec_lo, exec_lo, s0
	s_waitcnt lgkmcnt(0)
	s_waitcnt_vscnt null, 0x0
	s_barrier
	buffer_gl0_inv
	s_clause 0x4
	scratch_load_b128 v[114:117], off, off offset:272
	scratch_load_b128 v[118:121], off, off offset:288
	;; [unrolled: 1-line block ×5, first 2 shown]
	v_mov_b32_e32 v1, 0
	ds_load_2addr_b64 v[134:137], v1 offset0:89 offset1:90
	ds_load_2addr_b64 v[138:141], v1 offset0:91 offset1:92
	scratch_load_b128 v[142:145], off, off offset:352
	s_mov_b32 s0, exec_lo
	s_waitcnt vmcnt(5) lgkmcnt(1)
	v_fma_f64 v[2:3], v[116:117], v[134:135], 0
	s_waitcnt vmcnt(4)
	s_delay_alu instid0(VALU_DEP_1) | instskip(SKIP_4) | instid1(VALU_DEP_1)
	v_fma_f64 v[2:3], v[118:119], v[136:137], v[2:3]
	scratch_load_b128 v[116:119], off, off offset:368
	s_waitcnt lgkmcnt(0)
	v_fma_f64 v[2:3], v[120:121], v[138:139], v[2:3]
	s_waitcnt vmcnt(4)
	v_fma_f64 v[2:3], v[122:123], v[140:141], v[2:3]
	ds_load_2addr_b64 v[120:123], v1 offset0:93 offset1:94
	ds_load_2addr_b64 v[134:137], v1 offset0:95 offset1:96
	scratch_load_b128 v[138:141], off, off offset:384
	s_waitcnt lgkmcnt(1)
	v_fma_f64 v[2:3], v[124:125], v[120:121], v[2:3]
	s_waitcnt vmcnt(4)
	s_delay_alu instid0(VALU_DEP_1) | instskip(SKIP_4) | instid1(VALU_DEP_1)
	v_fma_f64 v[2:3], v[126:127], v[122:123], v[2:3]
	scratch_load_b128 v[120:123], off, off offset:400
	s_waitcnt lgkmcnt(0)
	v_fma_f64 v[2:3], v[128:129], v[134:135], v[2:3]
	s_waitcnt vmcnt(4)
	v_fma_f64 v[2:3], v[130:131], v[136:137], v[2:3]
	ds_load_2addr_b64 v[124:127], v1 offset0:97 offset1:98
	ds_load_2addr_b64 v[128:131], v1 offset0:99 offset1:100
	s_waitcnt lgkmcnt(1)
	v_fma_f64 v[2:3], v[132:133], v[124:125], v[2:3]
	scratch_load_b128 v[132:135], off, off offset:416
	s_waitcnt vmcnt(4)
	v_fma_f64 v[2:3], v[142:143], v[126:127], v[2:3]
	s_waitcnt lgkmcnt(0)
	s_delay_alu instid0(VALU_DEP_1) | instskip(SKIP_1) | instid1(VALU_DEP_1)
	v_fma_f64 v[2:3], v[144:145], v[128:129], v[2:3]
	s_waitcnt vmcnt(3)
	v_fma_f64 v[2:3], v[116:117], v[130:131], v[2:3]
	ds_load_2addr_b64 v[124:127], v1 offset0:101 offset1:102
	ds_load_2addr_b64 v[128:131], v1 offset0:103 offset1:104
	s_waitcnt lgkmcnt(1)
	v_fma_f64 v[2:3], v[118:119], v[124:125], v[2:3]
	s_waitcnt vmcnt(2)
	s_delay_alu instid0(VALU_DEP_1) | instskip(SKIP_1) | instid1(VALU_DEP_1)
	v_fma_f64 v[2:3], v[138:139], v[126:127], v[2:3]
	s_waitcnt lgkmcnt(0)
	v_fma_f64 v[2:3], v[140:141], v[128:129], v[2:3]
	s_waitcnt vmcnt(1)
	s_delay_alu instid0(VALU_DEP_1)
	v_fma_f64 v[2:3], v[120:121], v[130:131], v[2:3]
	ds_load_2addr_b64 v[116:119], v1 offset0:105 offset1:106
	ds_load_b64 v[120:121], v1 offset:856
	s_waitcnt lgkmcnt(1)
	v_fma_f64 v[2:3], v[122:123], v[116:117], v[2:3]
	s_waitcnt vmcnt(0)
	s_delay_alu instid0(VALU_DEP_1) | instskip(SKIP_1) | instid1(VALU_DEP_1)
	v_fma_f64 v[2:3], v[132:133], v[118:119], v[2:3]
	s_waitcnt lgkmcnt(0)
	v_fma_f64 v[2:3], v[134:135], v[120:121], v[2:3]
	s_delay_alu instid0(VALU_DEP_1)
	v_add_f64 v[2:3], v[114:115], -v[2:3]
	scratch_store_b64 off, v[2:3], off offset:272
	v_cmpx_lt_u32_e32 33, v0
	s_cbranch_execz .LBB117_267
; %bb.266:
	scratch_load_b64 v[3:4], off, off offset:264
	v_mov_b32_e32 v2, v1
	scratch_store_b64 off, v[1:2], off offset:264
	s_waitcnt vmcnt(0)
	ds_store_b64 v5, v[3:4]
.LBB117_267:
	s_or_b32 exec_lo, exec_lo, s0
	s_waitcnt lgkmcnt(0)
	s_waitcnt_vscnt null, 0x0
	s_barrier
	buffer_gl0_inv
	s_clause 0x4
	scratch_load_b128 v[114:117], off, off offset:264
	scratch_load_b128 v[118:121], off, off offset:280
	;; [unrolled: 1-line block ×5, first 2 shown]
	ds_load_b128 v[134:137], v1 offset:704
	ds_load_b128 v[138:141], v1 offset:720
	scratch_load_b128 v[142:145], off, off offset:344
	s_mov_b32 s0, exec_lo
	s_waitcnt vmcnt(5) lgkmcnt(1)
	v_fma_f64 v[2:3], v[116:117], v[134:135], 0
	s_waitcnt vmcnt(4)
	s_delay_alu instid0(VALU_DEP_1) | instskip(SKIP_4) | instid1(VALU_DEP_1)
	v_fma_f64 v[2:3], v[118:119], v[136:137], v[2:3]
	scratch_load_b128 v[116:119], off, off offset:360
	s_waitcnt lgkmcnt(0)
	v_fma_f64 v[2:3], v[120:121], v[138:139], v[2:3]
	s_waitcnt vmcnt(4)
	v_fma_f64 v[2:3], v[122:123], v[140:141], v[2:3]
	ds_load_b128 v[120:123], v1 offset:736
	ds_load_b128 v[134:137], v1 offset:752
	scratch_load_b128 v[138:141], off, off offset:376
	s_waitcnt lgkmcnt(1)
	v_fma_f64 v[2:3], v[124:125], v[120:121], v[2:3]
	s_waitcnt vmcnt(4)
	s_delay_alu instid0(VALU_DEP_1) | instskip(SKIP_4) | instid1(VALU_DEP_1)
	v_fma_f64 v[2:3], v[126:127], v[122:123], v[2:3]
	scratch_load_b128 v[120:123], off, off offset:392
	s_waitcnt lgkmcnt(0)
	v_fma_f64 v[2:3], v[128:129], v[134:135], v[2:3]
	s_waitcnt vmcnt(4)
	v_fma_f64 v[2:3], v[130:131], v[136:137], v[2:3]
	ds_load_b128 v[124:127], v1 offset:768
	ds_load_b128 v[128:131], v1 offset:784
	scratch_load_b64 v[136:137], off, off offset:424
	s_waitcnt lgkmcnt(1)
	v_fma_f64 v[2:3], v[132:133], v[124:125], v[2:3]
	scratch_load_b128 v[132:135], off, off offset:408
	s_waitcnt vmcnt(5)
	v_fma_f64 v[2:3], v[142:143], v[126:127], v[2:3]
	s_waitcnt lgkmcnt(0)
	s_delay_alu instid0(VALU_DEP_1) | instskip(SKIP_1) | instid1(VALU_DEP_1)
	v_fma_f64 v[2:3], v[144:145], v[128:129], v[2:3]
	s_waitcnt vmcnt(4)
	v_fma_f64 v[2:3], v[116:117], v[130:131], v[2:3]
	ds_load_b128 v[124:127], v1 offset:800
	ds_load_b128 v[128:131], v1 offset:816
	s_waitcnt lgkmcnt(1)
	v_fma_f64 v[2:3], v[118:119], v[124:125], v[2:3]
	s_waitcnt vmcnt(3)
	s_delay_alu instid0(VALU_DEP_1) | instskip(SKIP_1) | instid1(VALU_DEP_1)
	v_fma_f64 v[2:3], v[138:139], v[126:127], v[2:3]
	s_waitcnt lgkmcnt(0)
	v_fma_f64 v[2:3], v[140:141], v[128:129], v[2:3]
	s_waitcnt vmcnt(2)
	s_delay_alu instid0(VALU_DEP_1)
	v_fma_f64 v[120:121], v[120:121], v[130:131], v[2:3]
	ds_load_b128 v[116:119], v1 offset:832
	ds_load_b128 v[1:4], v1 offset:848
	s_waitcnt lgkmcnt(1)
	v_fma_f64 v[116:117], v[122:123], v[116:117], v[120:121]
	s_waitcnt vmcnt(0)
	s_delay_alu instid0(VALU_DEP_1) | instskip(SKIP_1) | instid1(VALU_DEP_1)
	v_fma_f64 v[116:117], v[132:133], v[118:119], v[116:117]
	s_waitcnt lgkmcnt(0)
	v_fma_f64 v[1:2], v[134:135], v[1:2], v[116:117]
	s_delay_alu instid0(VALU_DEP_1) | instskip(NEXT) | instid1(VALU_DEP_1)
	v_fma_f64 v[1:2], v[136:137], v[3:4], v[1:2]
	v_add_f64 v[1:2], v[114:115], -v[1:2]
	scratch_store_b64 off, v[1:2], off offset:264
	v_cmpx_lt_u32_e32 32, v0
	s_cbranch_execz .LBB117_269
; %bb.268:
	scratch_load_b64 v[1:2], off, off offset:256
	v_mov_b32_e32 v3, 0
	s_delay_alu instid0(VALU_DEP_1)
	v_mov_b32_e32 v4, v3
	scratch_store_b64 off, v[3:4], off offset:256
	s_waitcnt vmcnt(0)
	ds_store_b64 v5, v[1:2]
.LBB117_269:
	s_or_b32 exec_lo, exec_lo, s0
	s_waitcnt lgkmcnt(0)
	s_waitcnt_vscnt null, 0x0
	s_barrier
	buffer_gl0_inv
	s_clause 0x4
	scratch_load_b128 v[114:117], off, off offset:256
	scratch_load_b128 v[118:121], off, off offset:272
	;; [unrolled: 1-line block ×5, first 2 shown]
	v_mov_b32_e32 v1, 0
	ds_load_2addr_b64 v[134:137], v1 offset0:87 offset1:88
	ds_load_2addr_b64 v[138:141], v1 offset0:89 offset1:90
	scratch_load_b128 v[142:145], off, off offset:336
	s_mov_b32 s0, exec_lo
	s_waitcnt vmcnt(5) lgkmcnt(1)
	v_fma_f64 v[2:3], v[116:117], v[134:135], 0
	s_waitcnt vmcnt(4)
	s_delay_alu instid0(VALU_DEP_1) | instskip(SKIP_4) | instid1(VALU_DEP_1)
	v_fma_f64 v[2:3], v[118:119], v[136:137], v[2:3]
	scratch_load_b128 v[116:119], off, off offset:352
	s_waitcnt lgkmcnt(0)
	v_fma_f64 v[2:3], v[120:121], v[138:139], v[2:3]
	s_waitcnt vmcnt(4)
	v_fma_f64 v[2:3], v[122:123], v[140:141], v[2:3]
	ds_load_2addr_b64 v[120:123], v1 offset0:91 offset1:92
	ds_load_2addr_b64 v[134:137], v1 offset0:93 offset1:94
	scratch_load_b128 v[138:141], off, off offset:368
	s_waitcnt lgkmcnt(1)
	v_fma_f64 v[2:3], v[124:125], v[120:121], v[2:3]
	s_waitcnt vmcnt(4)
	s_delay_alu instid0(VALU_DEP_1) | instskip(SKIP_4) | instid1(VALU_DEP_1)
	v_fma_f64 v[2:3], v[126:127], v[122:123], v[2:3]
	scratch_load_b128 v[120:123], off, off offset:384
	s_waitcnt lgkmcnt(0)
	v_fma_f64 v[2:3], v[128:129], v[134:135], v[2:3]
	s_waitcnt vmcnt(4)
	v_fma_f64 v[2:3], v[130:131], v[136:137], v[2:3]
	ds_load_2addr_b64 v[124:127], v1 offset0:95 offset1:96
	ds_load_2addr_b64 v[128:131], v1 offset0:97 offset1:98
	s_waitcnt lgkmcnt(1)
	v_fma_f64 v[2:3], v[132:133], v[124:125], v[2:3]
	scratch_load_b128 v[132:135], off, off offset:400
	s_waitcnt vmcnt(4)
	v_fma_f64 v[2:3], v[142:143], v[126:127], v[2:3]
	scratch_load_b128 v[124:127], off, off offset:416
	s_waitcnt lgkmcnt(0)
	v_fma_f64 v[2:3], v[144:145], v[128:129], v[2:3]
	s_waitcnt vmcnt(4)
	s_delay_alu instid0(VALU_DEP_1)
	v_fma_f64 v[2:3], v[116:117], v[130:131], v[2:3]
	ds_load_2addr_b64 v[128:131], v1 offset0:99 offset1:100
	ds_load_2addr_b64 v[142:145], v1 offset0:101 offset1:102
	s_waitcnt lgkmcnt(1)
	v_fma_f64 v[2:3], v[118:119], v[128:129], v[2:3]
	s_waitcnt vmcnt(3)
	s_delay_alu instid0(VALU_DEP_1)
	v_fma_f64 v[2:3], v[138:139], v[130:131], v[2:3]
	ds_load_2addr_b64 v[116:119], v1 offset0:103 offset1:104
	ds_load_2addr_b64 v[128:131], v1 offset0:105 offset1:106
	s_waitcnt lgkmcnt(2)
	v_fma_f64 v[2:3], v[140:141], v[142:143], v[2:3]
	s_waitcnt vmcnt(2)
	s_delay_alu instid0(VALU_DEP_1) | instskip(SKIP_1) | instid1(VALU_DEP_1)
	v_fma_f64 v[2:3], v[120:121], v[144:145], v[2:3]
	s_waitcnt lgkmcnt(1)
	v_fma_f64 v[2:3], v[122:123], v[116:117], v[2:3]
	ds_load_b64 v[116:117], v1 offset:856
	s_waitcnt vmcnt(1)
	v_fma_f64 v[2:3], v[132:133], v[118:119], v[2:3]
	s_waitcnt lgkmcnt(1)
	s_delay_alu instid0(VALU_DEP_1) | instskip(SKIP_1) | instid1(VALU_DEP_1)
	v_fma_f64 v[2:3], v[134:135], v[128:129], v[2:3]
	s_waitcnt vmcnt(0)
	v_fma_f64 v[2:3], v[124:125], v[130:131], v[2:3]
	s_waitcnt lgkmcnt(0)
	s_delay_alu instid0(VALU_DEP_1) | instskip(NEXT) | instid1(VALU_DEP_1)
	v_fma_f64 v[2:3], v[126:127], v[116:117], v[2:3]
	v_add_f64 v[2:3], v[114:115], -v[2:3]
	scratch_store_b64 off, v[2:3], off offset:256
	v_cmpx_lt_u32_e32 31, v0
	s_cbranch_execz .LBB117_271
; %bb.270:
	scratch_load_b64 v[3:4], off, off offset:248
	v_mov_b32_e32 v2, v1
	scratch_store_b64 off, v[1:2], off offset:248
	s_waitcnt vmcnt(0)
	ds_store_b64 v5, v[3:4]
.LBB117_271:
	s_or_b32 exec_lo, exec_lo, s0
	s_waitcnt lgkmcnt(0)
	s_waitcnt_vscnt null, 0x0
	s_barrier
	buffer_gl0_inv
	s_clause 0x4
	scratch_load_b128 v[114:117], off, off offset:248
	scratch_load_b128 v[118:121], off, off offset:264
	;; [unrolled: 1-line block ×5, first 2 shown]
	ds_load_b128 v[134:137], v1 offset:688
	ds_load_b128 v[138:141], v1 offset:704
	scratch_load_b128 v[142:145], off, off offset:328
	s_mov_b32 s0, exec_lo
	s_waitcnt vmcnt(5) lgkmcnt(1)
	v_fma_f64 v[2:3], v[116:117], v[134:135], 0
	s_waitcnt vmcnt(4)
	s_delay_alu instid0(VALU_DEP_1) | instskip(SKIP_4) | instid1(VALU_DEP_1)
	v_fma_f64 v[2:3], v[118:119], v[136:137], v[2:3]
	scratch_load_b128 v[116:119], off, off offset:344
	s_waitcnt lgkmcnt(0)
	v_fma_f64 v[2:3], v[120:121], v[138:139], v[2:3]
	s_waitcnt vmcnt(4)
	v_fma_f64 v[2:3], v[122:123], v[140:141], v[2:3]
	ds_load_b128 v[120:123], v1 offset:720
	ds_load_b128 v[134:137], v1 offset:736
	scratch_load_b128 v[138:141], off, off offset:360
	s_waitcnt lgkmcnt(1)
	v_fma_f64 v[2:3], v[124:125], v[120:121], v[2:3]
	s_waitcnt vmcnt(4)
	s_delay_alu instid0(VALU_DEP_1) | instskip(SKIP_4) | instid1(VALU_DEP_1)
	v_fma_f64 v[2:3], v[126:127], v[122:123], v[2:3]
	scratch_load_b128 v[120:123], off, off offset:376
	s_waitcnt lgkmcnt(0)
	v_fma_f64 v[2:3], v[128:129], v[134:135], v[2:3]
	s_waitcnt vmcnt(4)
	v_fma_f64 v[2:3], v[130:131], v[136:137], v[2:3]
	ds_load_b128 v[124:127], v1 offset:752
	ds_load_b128 v[128:131], v1 offset:768
	s_waitcnt lgkmcnt(1)
	v_fma_f64 v[2:3], v[132:133], v[124:125], v[2:3]
	scratch_load_b128 v[132:135], off, off offset:392
	s_waitcnt vmcnt(4)
	v_fma_f64 v[2:3], v[142:143], v[126:127], v[2:3]
	scratch_load_b128 v[124:127], off, off offset:408
	s_waitcnt lgkmcnt(0)
	v_fma_f64 v[2:3], v[144:145], v[128:129], v[2:3]
	s_waitcnt vmcnt(4)
	s_delay_alu instid0(VALU_DEP_1)
	v_fma_f64 v[2:3], v[116:117], v[130:131], v[2:3]
	ds_load_b128 v[128:131], v1 offset:784
	ds_load_b128 v[142:145], v1 offset:800
	scratch_load_b64 v[136:137], off, off offset:424
	s_waitcnt lgkmcnt(1)
	v_fma_f64 v[2:3], v[118:119], v[128:129], v[2:3]
	s_waitcnt vmcnt(4)
	s_delay_alu instid0(VALU_DEP_1)
	v_fma_f64 v[2:3], v[138:139], v[130:131], v[2:3]
	ds_load_b128 v[116:119], v1 offset:816
	ds_load_b128 v[128:131], v1 offset:832
	s_waitcnt lgkmcnt(2)
	v_fma_f64 v[2:3], v[140:141], v[142:143], v[2:3]
	s_waitcnt vmcnt(3)
	s_delay_alu instid0(VALU_DEP_1) | instskip(SKIP_1) | instid1(VALU_DEP_1)
	v_fma_f64 v[2:3], v[120:121], v[144:145], v[2:3]
	s_waitcnt lgkmcnt(1)
	v_fma_f64 v[2:3], v[122:123], v[116:117], v[2:3]
	s_waitcnt vmcnt(2)
	s_delay_alu instid0(VALU_DEP_1) | instskip(SKIP_1) | instid1(VALU_DEP_1)
	v_fma_f64 v[2:3], v[132:133], v[118:119], v[2:3]
	s_waitcnt lgkmcnt(0)
	v_fma_f64 v[2:3], v[134:135], v[128:129], v[2:3]
	s_waitcnt vmcnt(1)
	s_delay_alu instid0(VALU_DEP_1) | instskip(SKIP_4) | instid1(VALU_DEP_1)
	v_fma_f64 v[116:117], v[124:125], v[130:131], v[2:3]
	ds_load_b128 v[1:4], v1 offset:848
	s_waitcnt lgkmcnt(0)
	v_fma_f64 v[1:2], v[126:127], v[1:2], v[116:117]
	s_waitcnt vmcnt(0)
	v_fma_f64 v[1:2], v[136:137], v[3:4], v[1:2]
	s_delay_alu instid0(VALU_DEP_1)
	v_add_f64 v[1:2], v[114:115], -v[1:2]
	scratch_store_b64 off, v[1:2], off offset:248
	v_cmpx_lt_u32_e32 30, v0
	s_cbranch_execz .LBB117_273
; %bb.272:
	scratch_load_b64 v[1:2], off, off offset:240
	v_mov_b32_e32 v3, 0
	s_delay_alu instid0(VALU_DEP_1)
	v_mov_b32_e32 v4, v3
	scratch_store_b64 off, v[3:4], off offset:240
	s_waitcnt vmcnt(0)
	ds_store_b64 v5, v[1:2]
.LBB117_273:
	s_or_b32 exec_lo, exec_lo, s0
	s_waitcnt lgkmcnt(0)
	s_waitcnt_vscnt null, 0x0
	s_barrier
	buffer_gl0_inv
	s_clause 0x4
	scratch_load_b128 v[114:117], off, off offset:240
	scratch_load_b128 v[118:121], off, off offset:256
	;; [unrolled: 1-line block ×5, first 2 shown]
	v_mov_b32_e32 v1, 0
	ds_load_2addr_b64 v[134:137], v1 offset0:85 offset1:86
	ds_load_2addr_b64 v[138:141], v1 offset0:87 offset1:88
	scratch_load_b128 v[142:145], off, off offset:320
	s_mov_b32 s0, exec_lo
	s_waitcnt vmcnt(5) lgkmcnt(1)
	v_fma_f64 v[2:3], v[116:117], v[134:135], 0
	s_waitcnt vmcnt(4)
	s_delay_alu instid0(VALU_DEP_1) | instskip(SKIP_4) | instid1(VALU_DEP_1)
	v_fma_f64 v[2:3], v[118:119], v[136:137], v[2:3]
	scratch_load_b128 v[116:119], off, off offset:336
	s_waitcnt lgkmcnt(0)
	v_fma_f64 v[2:3], v[120:121], v[138:139], v[2:3]
	s_waitcnt vmcnt(4)
	v_fma_f64 v[2:3], v[122:123], v[140:141], v[2:3]
	ds_load_2addr_b64 v[120:123], v1 offset0:89 offset1:90
	ds_load_2addr_b64 v[134:137], v1 offset0:91 offset1:92
	scratch_load_b128 v[138:141], off, off offset:352
	s_waitcnt lgkmcnt(1)
	v_fma_f64 v[2:3], v[124:125], v[120:121], v[2:3]
	s_waitcnt vmcnt(4)
	s_delay_alu instid0(VALU_DEP_1) | instskip(SKIP_4) | instid1(VALU_DEP_1)
	v_fma_f64 v[2:3], v[126:127], v[122:123], v[2:3]
	scratch_load_b128 v[120:123], off, off offset:368
	s_waitcnt lgkmcnt(0)
	v_fma_f64 v[2:3], v[128:129], v[134:135], v[2:3]
	s_waitcnt vmcnt(4)
	v_fma_f64 v[2:3], v[130:131], v[136:137], v[2:3]
	ds_load_2addr_b64 v[124:127], v1 offset0:93 offset1:94
	ds_load_2addr_b64 v[128:131], v1 offset0:95 offset1:96
	s_waitcnt lgkmcnt(1)
	v_fma_f64 v[2:3], v[132:133], v[124:125], v[2:3]
	scratch_load_b128 v[132:135], off, off offset:384
	s_waitcnt vmcnt(4)
	v_fma_f64 v[2:3], v[142:143], v[126:127], v[2:3]
	scratch_load_b128 v[124:127], off, off offset:400
	s_waitcnt lgkmcnt(0)
	v_fma_f64 v[2:3], v[144:145], v[128:129], v[2:3]
	s_waitcnt vmcnt(4)
	s_delay_alu instid0(VALU_DEP_1)
	v_fma_f64 v[2:3], v[116:117], v[130:131], v[2:3]
	ds_load_2addr_b64 v[128:131], v1 offset0:97 offset1:98
	ds_load_2addr_b64 v[142:145], v1 offset0:99 offset1:100
	s_waitcnt lgkmcnt(1)
	v_fma_f64 v[2:3], v[118:119], v[128:129], v[2:3]
	scratch_load_b128 v[116:119], off, off offset:416
	s_waitcnt vmcnt(4)
	v_fma_f64 v[2:3], v[138:139], v[130:131], v[2:3]
	ds_load_2addr_b64 v[128:131], v1 offset0:101 offset1:102
	ds_load_2addr_b64 v[136:139], v1 offset0:103 offset1:104
	s_waitcnt lgkmcnt(2)
	v_fma_f64 v[2:3], v[140:141], v[142:143], v[2:3]
	s_waitcnt vmcnt(3)
	s_delay_alu instid0(VALU_DEP_1) | instskip(SKIP_1) | instid1(VALU_DEP_1)
	v_fma_f64 v[2:3], v[120:121], v[144:145], v[2:3]
	s_waitcnt lgkmcnt(1)
	v_fma_f64 v[2:3], v[122:123], v[128:129], v[2:3]
	s_waitcnt vmcnt(2)
	s_delay_alu instid0(VALU_DEP_1) | instskip(SKIP_1) | instid1(VALU_DEP_1)
	v_fma_f64 v[2:3], v[132:133], v[130:131], v[2:3]
	s_waitcnt lgkmcnt(0)
	v_fma_f64 v[2:3], v[134:135], v[136:137], v[2:3]
	s_waitcnt vmcnt(1)
	s_delay_alu instid0(VALU_DEP_1)
	v_fma_f64 v[2:3], v[124:125], v[138:139], v[2:3]
	ds_load_2addr_b64 v[120:123], v1 offset0:105 offset1:106
	ds_load_b64 v[124:125], v1 offset:856
	s_waitcnt lgkmcnt(1)
	v_fma_f64 v[2:3], v[126:127], v[120:121], v[2:3]
	s_waitcnt vmcnt(0)
	s_delay_alu instid0(VALU_DEP_1) | instskip(SKIP_1) | instid1(VALU_DEP_1)
	v_fma_f64 v[2:3], v[116:117], v[122:123], v[2:3]
	s_waitcnt lgkmcnt(0)
	v_fma_f64 v[2:3], v[118:119], v[124:125], v[2:3]
	s_delay_alu instid0(VALU_DEP_1)
	v_add_f64 v[2:3], v[114:115], -v[2:3]
	scratch_store_b64 off, v[2:3], off offset:240
	v_cmpx_lt_u32_e32 29, v0
	s_cbranch_execz .LBB117_275
; %bb.274:
	scratch_load_b64 v[3:4], off, off offset:232
	v_mov_b32_e32 v2, v1
	scratch_store_b64 off, v[1:2], off offset:232
	s_waitcnt vmcnt(0)
	ds_store_b64 v5, v[3:4]
.LBB117_275:
	s_or_b32 exec_lo, exec_lo, s0
	s_waitcnt lgkmcnt(0)
	s_waitcnt_vscnt null, 0x0
	s_barrier
	buffer_gl0_inv
	s_clause 0x4
	scratch_load_b128 v[114:117], off, off offset:232
	scratch_load_b128 v[118:121], off, off offset:248
	;; [unrolled: 1-line block ×5, first 2 shown]
	ds_load_b128 v[134:137], v1 offset:672
	ds_load_b128 v[138:141], v1 offset:688
	scratch_load_b128 v[142:145], off, off offset:312
	s_mov_b32 s0, exec_lo
	s_waitcnt vmcnt(5) lgkmcnt(1)
	v_fma_f64 v[2:3], v[116:117], v[134:135], 0
	s_waitcnt vmcnt(4)
	s_delay_alu instid0(VALU_DEP_1) | instskip(SKIP_4) | instid1(VALU_DEP_1)
	v_fma_f64 v[2:3], v[118:119], v[136:137], v[2:3]
	scratch_load_b128 v[116:119], off, off offset:328
	s_waitcnt lgkmcnt(0)
	v_fma_f64 v[2:3], v[120:121], v[138:139], v[2:3]
	s_waitcnt vmcnt(4)
	v_fma_f64 v[2:3], v[122:123], v[140:141], v[2:3]
	ds_load_b128 v[120:123], v1 offset:704
	ds_load_b128 v[134:137], v1 offset:720
	scratch_load_b128 v[138:141], off, off offset:344
	s_waitcnt lgkmcnt(1)
	v_fma_f64 v[2:3], v[124:125], v[120:121], v[2:3]
	s_waitcnt vmcnt(4)
	s_delay_alu instid0(VALU_DEP_1) | instskip(SKIP_4) | instid1(VALU_DEP_1)
	v_fma_f64 v[2:3], v[126:127], v[122:123], v[2:3]
	scratch_load_b128 v[120:123], off, off offset:360
	s_waitcnt lgkmcnt(0)
	v_fma_f64 v[2:3], v[128:129], v[134:135], v[2:3]
	s_waitcnt vmcnt(4)
	v_fma_f64 v[2:3], v[130:131], v[136:137], v[2:3]
	ds_load_b128 v[124:127], v1 offset:736
	ds_load_b128 v[128:131], v1 offset:752
	s_waitcnt lgkmcnt(1)
	v_fma_f64 v[2:3], v[132:133], v[124:125], v[2:3]
	scratch_load_b128 v[132:135], off, off offset:376
	s_waitcnt vmcnt(4)
	v_fma_f64 v[2:3], v[142:143], v[126:127], v[2:3]
	scratch_load_b128 v[124:127], off, off offset:392
	s_waitcnt lgkmcnt(0)
	v_fma_f64 v[2:3], v[144:145], v[128:129], v[2:3]
	s_waitcnt vmcnt(4)
	s_delay_alu instid0(VALU_DEP_1)
	v_fma_f64 v[2:3], v[116:117], v[130:131], v[2:3]
	ds_load_b128 v[128:131], v1 offset:768
	ds_load_b128 v[142:145], v1 offset:784
	s_waitcnt lgkmcnt(1)
	v_fma_f64 v[2:3], v[118:119], v[128:129], v[2:3]
	scratch_load_b128 v[116:119], off, off offset:408
	s_waitcnt vmcnt(4)
	v_fma_f64 v[2:3], v[138:139], v[130:131], v[2:3]
	s_waitcnt lgkmcnt(0)
	s_delay_alu instid0(VALU_DEP_1)
	v_fma_f64 v[2:3], v[140:141], v[142:143], v[2:3]
	scratch_load_b64 v[140:141], off, off offset:424
	ds_load_b128 v[128:131], v1 offset:800
	ds_load_b128 v[136:139], v1 offset:816
	s_waitcnt vmcnt(4)
	v_fma_f64 v[2:3], v[120:121], v[144:145], v[2:3]
	s_waitcnt lgkmcnt(1)
	s_delay_alu instid0(VALU_DEP_1) | instskip(SKIP_1) | instid1(VALU_DEP_1)
	v_fma_f64 v[2:3], v[122:123], v[128:129], v[2:3]
	s_waitcnt vmcnt(3)
	v_fma_f64 v[2:3], v[132:133], v[130:131], v[2:3]
	s_waitcnt lgkmcnt(0)
	s_delay_alu instid0(VALU_DEP_1) | instskip(SKIP_1) | instid1(VALU_DEP_1)
	v_fma_f64 v[2:3], v[134:135], v[136:137], v[2:3]
	s_waitcnt vmcnt(2)
	v_fma_f64 v[124:125], v[124:125], v[138:139], v[2:3]
	ds_load_b128 v[120:123], v1 offset:832
	ds_load_b128 v[1:4], v1 offset:848
	s_waitcnt lgkmcnt(1)
	v_fma_f64 v[120:121], v[126:127], v[120:121], v[124:125]
	s_waitcnt vmcnt(1)
	s_delay_alu instid0(VALU_DEP_1) | instskip(SKIP_1) | instid1(VALU_DEP_1)
	v_fma_f64 v[116:117], v[116:117], v[122:123], v[120:121]
	s_waitcnt lgkmcnt(0)
	v_fma_f64 v[1:2], v[118:119], v[1:2], v[116:117]
	s_waitcnt vmcnt(0)
	s_delay_alu instid0(VALU_DEP_1) | instskip(NEXT) | instid1(VALU_DEP_1)
	v_fma_f64 v[1:2], v[140:141], v[3:4], v[1:2]
	v_add_f64 v[1:2], v[114:115], -v[1:2]
	scratch_store_b64 off, v[1:2], off offset:232
	v_cmpx_lt_u32_e32 28, v0
	s_cbranch_execz .LBB117_277
; %bb.276:
	scratch_load_b64 v[1:2], off, off offset:224
	v_mov_b32_e32 v3, 0
	s_delay_alu instid0(VALU_DEP_1)
	v_mov_b32_e32 v4, v3
	scratch_store_b64 off, v[3:4], off offset:224
	s_waitcnt vmcnt(0)
	ds_store_b64 v5, v[1:2]
.LBB117_277:
	s_or_b32 exec_lo, exec_lo, s0
	s_waitcnt lgkmcnt(0)
	s_waitcnt_vscnt null, 0x0
	s_barrier
	buffer_gl0_inv
	s_clause 0x4
	scratch_load_b128 v[114:117], off, off offset:224
	scratch_load_b128 v[118:121], off, off offset:240
	scratch_load_b128 v[122:125], off, off offset:256
	scratch_load_b128 v[126:129], off, off offset:272
	scratch_load_b128 v[130:133], off, off offset:288
	v_mov_b32_e32 v1, 0
	ds_load_2addr_b64 v[134:137], v1 offset0:83 offset1:84
	ds_load_2addr_b64 v[138:141], v1 offset0:85 offset1:86
	scratch_load_b128 v[142:145], off, off offset:304
	s_mov_b32 s0, exec_lo
	s_waitcnt vmcnt(5) lgkmcnt(1)
	v_fma_f64 v[2:3], v[116:117], v[134:135], 0
	s_waitcnt vmcnt(4)
	s_delay_alu instid0(VALU_DEP_1) | instskip(SKIP_4) | instid1(VALU_DEP_1)
	v_fma_f64 v[2:3], v[118:119], v[136:137], v[2:3]
	scratch_load_b128 v[116:119], off, off offset:320
	s_waitcnt lgkmcnt(0)
	v_fma_f64 v[2:3], v[120:121], v[138:139], v[2:3]
	s_waitcnt vmcnt(4)
	v_fma_f64 v[2:3], v[122:123], v[140:141], v[2:3]
	ds_load_2addr_b64 v[120:123], v1 offset0:87 offset1:88
	ds_load_2addr_b64 v[134:137], v1 offset0:89 offset1:90
	scratch_load_b128 v[138:141], off, off offset:336
	s_waitcnt lgkmcnt(1)
	v_fma_f64 v[2:3], v[124:125], v[120:121], v[2:3]
	s_waitcnt vmcnt(4)
	s_delay_alu instid0(VALU_DEP_1) | instskip(SKIP_4) | instid1(VALU_DEP_1)
	v_fma_f64 v[2:3], v[126:127], v[122:123], v[2:3]
	scratch_load_b128 v[120:123], off, off offset:352
	s_waitcnt lgkmcnt(0)
	v_fma_f64 v[2:3], v[128:129], v[134:135], v[2:3]
	s_waitcnt vmcnt(4)
	v_fma_f64 v[2:3], v[130:131], v[136:137], v[2:3]
	ds_load_2addr_b64 v[124:127], v1 offset0:91 offset1:92
	ds_load_2addr_b64 v[128:131], v1 offset0:93 offset1:94
	s_waitcnt lgkmcnt(1)
	v_fma_f64 v[2:3], v[132:133], v[124:125], v[2:3]
	scratch_load_b128 v[132:135], off, off offset:368
	s_waitcnt vmcnt(4)
	v_fma_f64 v[2:3], v[142:143], v[126:127], v[2:3]
	scratch_load_b128 v[124:127], off, off offset:384
	s_waitcnt lgkmcnt(0)
	v_fma_f64 v[2:3], v[144:145], v[128:129], v[2:3]
	s_waitcnt vmcnt(4)
	s_delay_alu instid0(VALU_DEP_1)
	v_fma_f64 v[2:3], v[116:117], v[130:131], v[2:3]
	ds_load_2addr_b64 v[128:131], v1 offset0:95 offset1:96
	ds_load_2addr_b64 v[142:145], v1 offset0:97 offset1:98
	s_waitcnt lgkmcnt(1)
	v_fma_f64 v[2:3], v[118:119], v[128:129], v[2:3]
	scratch_load_b128 v[116:119], off, off offset:400
	s_waitcnt vmcnt(4)
	v_fma_f64 v[2:3], v[138:139], v[130:131], v[2:3]
	scratch_load_b128 v[128:131], off, off offset:416
	s_waitcnt lgkmcnt(0)
	v_fma_f64 v[2:3], v[140:141], v[142:143], v[2:3]
	ds_load_2addr_b64 v[136:139], v1 offset0:99 offset1:100
	ds_load_2addr_b64 v[140:143], v1 offset0:101 offset1:102
	s_waitcnt vmcnt(4)
	v_fma_f64 v[2:3], v[120:121], v[144:145], v[2:3]
	s_waitcnt lgkmcnt(1)
	s_delay_alu instid0(VALU_DEP_1) | instskip(SKIP_1) | instid1(VALU_DEP_1)
	v_fma_f64 v[2:3], v[122:123], v[136:137], v[2:3]
	s_waitcnt vmcnt(3)
	v_fma_f64 v[2:3], v[132:133], v[138:139], v[2:3]
	s_waitcnt lgkmcnt(0)
	s_delay_alu instid0(VALU_DEP_1)
	v_fma_f64 v[2:3], v[134:135], v[140:141], v[2:3]
	ds_load_2addr_b64 v[120:123], v1 offset0:103 offset1:104
	ds_load_2addr_b64 v[132:135], v1 offset0:105 offset1:106
	s_waitcnt vmcnt(2)
	v_fma_f64 v[2:3], v[124:125], v[142:143], v[2:3]
	s_waitcnt lgkmcnt(1)
	s_delay_alu instid0(VALU_DEP_1) | instskip(SKIP_1) | instid1(VALU_DEP_1)
	v_fma_f64 v[2:3], v[126:127], v[120:121], v[2:3]
	s_waitcnt vmcnt(1)
	v_fma_f64 v[2:3], v[116:117], v[122:123], v[2:3]
	ds_load_b64 v[116:117], v1 offset:856
	s_waitcnt lgkmcnt(1)
	v_fma_f64 v[2:3], v[118:119], v[132:133], v[2:3]
	s_waitcnt vmcnt(0)
	s_delay_alu instid0(VALU_DEP_1) | instskip(SKIP_1) | instid1(VALU_DEP_1)
	v_fma_f64 v[2:3], v[128:129], v[134:135], v[2:3]
	s_waitcnt lgkmcnt(0)
	v_fma_f64 v[2:3], v[130:131], v[116:117], v[2:3]
	s_delay_alu instid0(VALU_DEP_1)
	v_add_f64 v[2:3], v[114:115], -v[2:3]
	scratch_store_b64 off, v[2:3], off offset:224
	v_cmpx_lt_u32_e32 27, v0
	s_cbranch_execz .LBB117_279
; %bb.278:
	scratch_load_b64 v[3:4], off, off offset:216
	v_mov_b32_e32 v2, v1
	scratch_store_b64 off, v[1:2], off offset:216
	s_waitcnt vmcnt(0)
	ds_store_b64 v5, v[3:4]
.LBB117_279:
	s_or_b32 exec_lo, exec_lo, s0
	s_waitcnt lgkmcnt(0)
	s_waitcnt_vscnt null, 0x0
	s_barrier
	buffer_gl0_inv
	s_clause 0x4
	scratch_load_b128 v[114:117], off, off offset:216
	scratch_load_b128 v[118:121], off, off offset:232
	;; [unrolled: 1-line block ×5, first 2 shown]
	ds_load_b128 v[134:137], v1 offset:656
	ds_load_b128 v[138:141], v1 offset:672
	scratch_load_b128 v[142:145], off, off offset:296
	s_mov_b32 s0, exec_lo
	s_waitcnt vmcnt(5) lgkmcnt(1)
	v_fma_f64 v[2:3], v[116:117], v[134:135], 0
	s_waitcnt vmcnt(4)
	s_delay_alu instid0(VALU_DEP_1) | instskip(SKIP_4) | instid1(VALU_DEP_1)
	v_fma_f64 v[2:3], v[118:119], v[136:137], v[2:3]
	scratch_load_b128 v[116:119], off, off offset:312
	s_waitcnt lgkmcnt(0)
	v_fma_f64 v[2:3], v[120:121], v[138:139], v[2:3]
	s_waitcnt vmcnt(4)
	v_fma_f64 v[2:3], v[122:123], v[140:141], v[2:3]
	ds_load_b128 v[120:123], v1 offset:688
	ds_load_b128 v[134:137], v1 offset:704
	scratch_load_b128 v[138:141], off, off offset:328
	s_waitcnt lgkmcnt(1)
	v_fma_f64 v[2:3], v[124:125], v[120:121], v[2:3]
	s_waitcnt vmcnt(4)
	s_delay_alu instid0(VALU_DEP_1) | instskip(SKIP_4) | instid1(VALU_DEP_1)
	v_fma_f64 v[2:3], v[126:127], v[122:123], v[2:3]
	scratch_load_b128 v[120:123], off, off offset:344
	s_waitcnt lgkmcnt(0)
	v_fma_f64 v[2:3], v[128:129], v[134:135], v[2:3]
	s_waitcnt vmcnt(4)
	v_fma_f64 v[2:3], v[130:131], v[136:137], v[2:3]
	ds_load_b128 v[124:127], v1 offset:720
	ds_load_b128 v[128:131], v1 offset:736
	s_waitcnt lgkmcnt(1)
	v_fma_f64 v[2:3], v[132:133], v[124:125], v[2:3]
	scratch_load_b128 v[132:135], off, off offset:360
	s_waitcnt vmcnt(4)
	v_fma_f64 v[2:3], v[142:143], v[126:127], v[2:3]
	scratch_load_b128 v[124:127], off, off offset:376
	s_waitcnt lgkmcnt(0)
	v_fma_f64 v[2:3], v[144:145], v[128:129], v[2:3]
	s_waitcnt vmcnt(4)
	s_delay_alu instid0(VALU_DEP_1)
	v_fma_f64 v[2:3], v[116:117], v[130:131], v[2:3]
	ds_load_b128 v[128:131], v1 offset:752
	ds_load_b128 v[142:145], v1 offset:768
	s_waitcnt lgkmcnt(1)
	v_fma_f64 v[2:3], v[118:119], v[128:129], v[2:3]
	scratch_load_b128 v[116:119], off, off offset:392
	s_waitcnt vmcnt(4)
	v_fma_f64 v[2:3], v[138:139], v[130:131], v[2:3]
	scratch_load_b128 v[128:131], off, off offset:408
	s_waitcnt lgkmcnt(0)
	v_fma_f64 v[2:3], v[140:141], v[142:143], v[2:3]
	ds_load_b128 v[136:139], v1 offset:784
	ds_load_b128 v[140:143], v1 offset:800
	s_waitcnt vmcnt(4)
	v_fma_f64 v[2:3], v[120:121], v[144:145], v[2:3]
	s_waitcnt lgkmcnt(1)
	s_delay_alu instid0(VALU_DEP_1) | instskip(SKIP_4) | instid1(VALU_DEP_1)
	v_fma_f64 v[2:3], v[122:123], v[136:137], v[2:3]
	scratch_load_b64 v[136:137], off, off offset:424
	s_waitcnt vmcnt(4)
	v_fma_f64 v[2:3], v[132:133], v[138:139], v[2:3]
	s_waitcnt lgkmcnt(0)
	v_fma_f64 v[2:3], v[134:135], v[140:141], v[2:3]
	ds_load_b128 v[120:123], v1 offset:816
	ds_load_b128 v[132:135], v1 offset:832
	s_waitcnt vmcnt(3)
	v_fma_f64 v[2:3], v[124:125], v[142:143], v[2:3]
	s_waitcnt lgkmcnt(1)
	s_delay_alu instid0(VALU_DEP_1) | instskip(SKIP_1) | instid1(VALU_DEP_1)
	v_fma_f64 v[2:3], v[126:127], v[120:121], v[2:3]
	s_waitcnt vmcnt(2)
	v_fma_f64 v[2:3], v[116:117], v[122:123], v[2:3]
	s_waitcnt lgkmcnt(0)
	s_delay_alu instid0(VALU_DEP_1) | instskip(SKIP_1) | instid1(VALU_DEP_1)
	v_fma_f64 v[2:3], v[118:119], v[132:133], v[2:3]
	s_waitcnt vmcnt(1)
	v_fma_f64 v[116:117], v[128:129], v[134:135], v[2:3]
	ds_load_b128 v[1:4], v1 offset:848
	s_waitcnt lgkmcnt(0)
	v_fma_f64 v[1:2], v[130:131], v[1:2], v[116:117]
	s_waitcnt vmcnt(0)
	s_delay_alu instid0(VALU_DEP_1) | instskip(NEXT) | instid1(VALU_DEP_1)
	v_fma_f64 v[1:2], v[136:137], v[3:4], v[1:2]
	v_add_f64 v[1:2], v[114:115], -v[1:2]
	scratch_store_b64 off, v[1:2], off offset:216
	v_cmpx_lt_u32_e32 26, v0
	s_cbranch_execz .LBB117_281
; %bb.280:
	scratch_load_b64 v[1:2], off, off offset:208
	v_mov_b32_e32 v3, 0
	s_delay_alu instid0(VALU_DEP_1)
	v_mov_b32_e32 v4, v3
	scratch_store_b64 off, v[3:4], off offset:208
	s_waitcnt vmcnt(0)
	ds_store_b64 v5, v[1:2]
.LBB117_281:
	s_or_b32 exec_lo, exec_lo, s0
	s_waitcnt lgkmcnt(0)
	s_waitcnt_vscnt null, 0x0
	s_barrier
	buffer_gl0_inv
	s_clause 0x4
	scratch_load_b128 v[114:117], off, off offset:208
	scratch_load_b128 v[118:121], off, off offset:224
	scratch_load_b128 v[122:125], off, off offset:240
	scratch_load_b128 v[126:129], off, off offset:256
	scratch_load_b128 v[130:133], off, off offset:272
	v_mov_b32_e32 v1, 0
	ds_load_2addr_b64 v[134:137], v1 offset0:81 offset1:82
	ds_load_2addr_b64 v[138:141], v1 offset0:83 offset1:84
	scratch_load_b128 v[142:145], off, off offset:288
	s_mov_b32 s0, exec_lo
	s_waitcnt vmcnt(5) lgkmcnt(1)
	v_fma_f64 v[2:3], v[116:117], v[134:135], 0
	s_waitcnt vmcnt(4)
	s_delay_alu instid0(VALU_DEP_1) | instskip(SKIP_4) | instid1(VALU_DEP_1)
	v_fma_f64 v[2:3], v[118:119], v[136:137], v[2:3]
	scratch_load_b128 v[116:119], off, off offset:304
	s_waitcnt lgkmcnt(0)
	v_fma_f64 v[2:3], v[120:121], v[138:139], v[2:3]
	s_waitcnt vmcnt(4)
	v_fma_f64 v[2:3], v[122:123], v[140:141], v[2:3]
	ds_load_2addr_b64 v[120:123], v1 offset0:85 offset1:86
	ds_load_2addr_b64 v[134:137], v1 offset0:87 offset1:88
	scratch_load_b128 v[138:141], off, off offset:320
	s_waitcnt lgkmcnt(1)
	v_fma_f64 v[2:3], v[124:125], v[120:121], v[2:3]
	s_waitcnt vmcnt(4)
	s_delay_alu instid0(VALU_DEP_1) | instskip(SKIP_4) | instid1(VALU_DEP_1)
	v_fma_f64 v[2:3], v[126:127], v[122:123], v[2:3]
	scratch_load_b128 v[120:123], off, off offset:336
	s_waitcnt lgkmcnt(0)
	v_fma_f64 v[2:3], v[128:129], v[134:135], v[2:3]
	s_waitcnt vmcnt(4)
	v_fma_f64 v[2:3], v[130:131], v[136:137], v[2:3]
	ds_load_2addr_b64 v[124:127], v1 offset0:89 offset1:90
	ds_load_2addr_b64 v[128:131], v1 offset0:91 offset1:92
	s_waitcnt lgkmcnt(1)
	v_fma_f64 v[2:3], v[132:133], v[124:125], v[2:3]
	scratch_load_b128 v[132:135], off, off offset:352
	s_waitcnt vmcnt(4)
	v_fma_f64 v[2:3], v[142:143], v[126:127], v[2:3]
	scratch_load_b128 v[124:127], off, off offset:368
	s_waitcnt lgkmcnt(0)
	v_fma_f64 v[2:3], v[144:145], v[128:129], v[2:3]
	s_waitcnt vmcnt(4)
	s_delay_alu instid0(VALU_DEP_1)
	v_fma_f64 v[2:3], v[116:117], v[130:131], v[2:3]
	ds_load_2addr_b64 v[128:131], v1 offset0:93 offset1:94
	ds_load_2addr_b64 v[142:145], v1 offset0:95 offset1:96
	s_waitcnt lgkmcnt(1)
	v_fma_f64 v[2:3], v[118:119], v[128:129], v[2:3]
	scratch_load_b128 v[116:119], off, off offset:384
	s_waitcnt vmcnt(4)
	v_fma_f64 v[2:3], v[138:139], v[130:131], v[2:3]
	scratch_load_b128 v[128:131], off, off offset:400
	s_waitcnt lgkmcnt(0)
	v_fma_f64 v[2:3], v[140:141], v[142:143], v[2:3]
	ds_load_2addr_b64 v[136:139], v1 offset0:97 offset1:98
	ds_load_2addr_b64 v[140:143], v1 offset0:99 offset1:100
	s_waitcnt vmcnt(4)
	v_fma_f64 v[2:3], v[120:121], v[144:145], v[2:3]
	s_waitcnt lgkmcnt(1)
	s_delay_alu instid0(VALU_DEP_1) | instskip(SKIP_4) | instid1(VALU_DEP_1)
	v_fma_f64 v[2:3], v[122:123], v[136:137], v[2:3]
	scratch_load_b128 v[120:123], off, off offset:416
	s_waitcnt vmcnt(4)
	v_fma_f64 v[2:3], v[132:133], v[138:139], v[2:3]
	s_waitcnt lgkmcnt(0)
	v_fma_f64 v[2:3], v[134:135], v[140:141], v[2:3]
	ds_load_2addr_b64 v[132:135], v1 offset0:101 offset1:102
	ds_load_2addr_b64 v[136:139], v1 offset0:103 offset1:104
	s_waitcnt vmcnt(3)
	v_fma_f64 v[2:3], v[124:125], v[142:143], v[2:3]
	s_waitcnt lgkmcnt(1)
	s_delay_alu instid0(VALU_DEP_1) | instskip(SKIP_1) | instid1(VALU_DEP_1)
	v_fma_f64 v[2:3], v[126:127], v[132:133], v[2:3]
	s_waitcnt vmcnt(2)
	v_fma_f64 v[2:3], v[116:117], v[134:135], v[2:3]
	s_waitcnt lgkmcnt(0)
	s_delay_alu instid0(VALU_DEP_1)
	v_fma_f64 v[2:3], v[118:119], v[136:137], v[2:3]
	ds_load_2addr_b64 v[116:119], v1 offset0:105 offset1:106
	ds_load_b64 v[124:125], v1 offset:856
	s_waitcnt vmcnt(1)
	v_fma_f64 v[2:3], v[128:129], v[138:139], v[2:3]
	s_waitcnt lgkmcnt(1)
	s_delay_alu instid0(VALU_DEP_1) | instskip(SKIP_1) | instid1(VALU_DEP_1)
	v_fma_f64 v[2:3], v[130:131], v[116:117], v[2:3]
	s_waitcnt vmcnt(0)
	v_fma_f64 v[2:3], v[120:121], v[118:119], v[2:3]
	s_waitcnt lgkmcnt(0)
	s_delay_alu instid0(VALU_DEP_1) | instskip(NEXT) | instid1(VALU_DEP_1)
	v_fma_f64 v[2:3], v[122:123], v[124:125], v[2:3]
	v_add_f64 v[2:3], v[114:115], -v[2:3]
	scratch_store_b64 off, v[2:3], off offset:208
	v_cmpx_lt_u32_e32 25, v0
	s_cbranch_execz .LBB117_283
; %bb.282:
	scratch_load_b64 v[3:4], off, off offset:200
	v_mov_b32_e32 v2, v1
	scratch_store_b64 off, v[1:2], off offset:200
	s_waitcnt vmcnt(0)
	ds_store_b64 v5, v[3:4]
.LBB117_283:
	s_or_b32 exec_lo, exec_lo, s0
	s_waitcnt lgkmcnt(0)
	s_waitcnt_vscnt null, 0x0
	s_barrier
	buffer_gl0_inv
	s_clause 0x4
	scratch_load_b128 v[114:117], off, off offset:200
	scratch_load_b128 v[118:121], off, off offset:216
	;; [unrolled: 1-line block ×5, first 2 shown]
	ds_load_b128 v[134:137], v1 offset:640
	ds_load_b128 v[138:141], v1 offset:656
	scratch_load_b128 v[142:145], off, off offset:280
	s_mov_b32 s0, exec_lo
	s_waitcnt vmcnt(5) lgkmcnt(1)
	v_fma_f64 v[2:3], v[116:117], v[134:135], 0
	s_waitcnt vmcnt(4)
	s_delay_alu instid0(VALU_DEP_1) | instskip(SKIP_4) | instid1(VALU_DEP_1)
	v_fma_f64 v[2:3], v[118:119], v[136:137], v[2:3]
	scratch_load_b128 v[116:119], off, off offset:296
	s_waitcnt lgkmcnt(0)
	v_fma_f64 v[2:3], v[120:121], v[138:139], v[2:3]
	s_waitcnt vmcnt(4)
	v_fma_f64 v[2:3], v[122:123], v[140:141], v[2:3]
	ds_load_b128 v[120:123], v1 offset:672
	ds_load_b128 v[134:137], v1 offset:688
	scratch_load_b128 v[138:141], off, off offset:312
	s_waitcnt lgkmcnt(1)
	v_fma_f64 v[2:3], v[124:125], v[120:121], v[2:3]
	s_waitcnt vmcnt(4)
	s_delay_alu instid0(VALU_DEP_1) | instskip(SKIP_4) | instid1(VALU_DEP_1)
	v_fma_f64 v[2:3], v[126:127], v[122:123], v[2:3]
	scratch_load_b128 v[120:123], off, off offset:328
	s_waitcnt lgkmcnt(0)
	v_fma_f64 v[2:3], v[128:129], v[134:135], v[2:3]
	s_waitcnt vmcnt(4)
	v_fma_f64 v[2:3], v[130:131], v[136:137], v[2:3]
	ds_load_b128 v[124:127], v1 offset:704
	ds_load_b128 v[128:131], v1 offset:720
	s_waitcnt lgkmcnt(1)
	v_fma_f64 v[2:3], v[132:133], v[124:125], v[2:3]
	scratch_load_b128 v[132:135], off, off offset:344
	s_waitcnt vmcnt(4)
	v_fma_f64 v[2:3], v[142:143], v[126:127], v[2:3]
	scratch_load_b128 v[124:127], off, off offset:360
	s_waitcnt lgkmcnt(0)
	v_fma_f64 v[2:3], v[144:145], v[128:129], v[2:3]
	s_waitcnt vmcnt(4)
	s_delay_alu instid0(VALU_DEP_1)
	v_fma_f64 v[2:3], v[116:117], v[130:131], v[2:3]
	ds_load_b128 v[128:131], v1 offset:736
	ds_load_b128 v[142:145], v1 offset:752
	s_waitcnt lgkmcnt(1)
	v_fma_f64 v[2:3], v[118:119], v[128:129], v[2:3]
	scratch_load_b128 v[116:119], off, off offset:376
	s_waitcnt vmcnt(4)
	v_fma_f64 v[2:3], v[138:139], v[130:131], v[2:3]
	scratch_load_b128 v[128:131], off, off offset:392
	s_waitcnt lgkmcnt(0)
	v_fma_f64 v[2:3], v[140:141], v[142:143], v[2:3]
	ds_load_b128 v[136:139], v1 offset:768
	ds_load_b128 v[140:143], v1 offset:784
	s_waitcnt vmcnt(4)
	v_fma_f64 v[2:3], v[120:121], v[144:145], v[2:3]
	s_waitcnt lgkmcnt(1)
	s_delay_alu instid0(VALU_DEP_1) | instskip(SKIP_4) | instid1(VALU_DEP_1)
	v_fma_f64 v[2:3], v[122:123], v[136:137], v[2:3]
	scratch_load_b128 v[120:123], off, off offset:408
	s_waitcnt vmcnt(4)
	v_fma_f64 v[2:3], v[132:133], v[138:139], v[2:3]
	s_waitcnt lgkmcnt(0)
	v_fma_f64 v[2:3], v[134:135], v[140:141], v[2:3]
	scratch_load_b64 v[140:141], off, off offset:424
	ds_load_b128 v[132:135], v1 offset:800
	ds_load_b128 v[136:139], v1 offset:816
	s_waitcnt vmcnt(4)
	v_fma_f64 v[2:3], v[124:125], v[142:143], v[2:3]
	s_waitcnt lgkmcnt(1)
	s_delay_alu instid0(VALU_DEP_1) | instskip(SKIP_1) | instid1(VALU_DEP_1)
	v_fma_f64 v[2:3], v[126:127], v[132:133], v[2:3]
	s_waitcnt vmcnt(3)
	v_fma_f64 v[2:3], v[116:117], v[134:135], v[2:3]
	s_waitcnt lgkmcnt(0)
	s_delay_alu instid0(VALU_DEP_1) | instskip(SKIP_1) | instid1(VALU_DEP_1)
	v_fma_f64 v[2:3], v[118:119], v[136:137], v[2:3]
	s_waitcnt vmcnt(2)
	v_fma_f64 v[124:125], v[128:129], v[138:139], v[2:3]
	ds_load_b128 v[116:119], v1 offset:832
	ds_load_b128 v[1:4], v1 offset:848
	s_waitcnt lgkmcnt(1)
	v_fma_f64 v[116:117], v[130:131], v[116:117], v[124:125]
	s_waitcnt vmcnt(1)
	s_delay_alu instid0(VALU_DEP_1) | instskip(SKIP_1) | instid1(VALU_DEP_1)
	v_fma_f64 v[116:117], v[120:121], v[118:119], v[116:117]
	s_waitcnt lgkmcnt(0)
	v_fma_f64 v[1:2], v[122:123], v[1:2], v[116:117]
	s_waitcnt vmcnt(0)
	s_delay_alu instid0(VALU_DEP_1) | instskip(NEXT) | instid1(VALU_DEP_1)
	v_fma_f64 v[1:2], v[140:141], v[3:4], v[1:2]
	v_add_f64 v[1:2], v[114:115], -v[1:2]
	scratch_store_b64 off, v[1:2], off offset:200
	v_cmpx_lt_u32_e32 24, v0
	s_cbranch_execz .LBB117_285
; %bb.284:
	scratch_load_b64 v[1:2], off, off offset:192
	v_mov_b32_e32 v3, 0
	s_delay_alu instid0(VALU_DEP_1)
	v_mov_b32_e32 v4, v3
	scratch_store_b64 off, v[3:4], off offset:192
	s_waitcnt vmcnt(0)
	ds_store_b64 v5, v[1:2]
.LBB117_285:
	s_or_b32 exec_lo, exec_lo, s0
	s_waitcnt lgkmcnt(0)
	s_waitcnt_vscnt null, 0x0
	s_barrier
	buffer_gl0_inv
	s_clause 0x4
	scratch_load_b128 v[114:117], off, off offset:192
	scratch_load_b128 v[118:121], off, off offset:208
	;; [unrolled: 1-line block ×5, first 2 shown]
	v_mov_b32_e32 v1, 0
	ds_load_2addr_b64 v[134:137], v1 offset0:79 offset1:80
	ds_load_2addr_b64 v[138:141], v1 offset0:81 offset1:82
	scratch_load_b128 v[142:145], off, off offset:272
	s_mov_b32 s0, exec_lo
	s_waitcnt vmcnt(5) lgkmcnt(1)
	v_fma_f64 v[2:3], v[116:117], v[134:135], 0
	s_waitcnt vmcnt(4)
	s_delay_alu instid0(VALU_DEP_1) | instskip(SKIP_4) | instid1(VALU_DEP_1)
	v_fma_f64 v[2:3], v[118:119], v[136:137], v[2:3]
	scratch_load_b128 v[116:119], off, off offset:288
	s_waitcnt lgkmcnt(0)
	v_fma_f64 v[2:3], v[120:121], v[138:139], v[2:3]
	s_waitcnt vmcnt(4)
	v_fma_f64 v[2:3], v[122:123], v[140:141], v[2:3]
	ds_load_2addr_b64 v[120:123], v1 offset0:83 offset1:84
	ds_load_2addr_b64 v[134:137], v1 offset0:85 offset1:86
	scratch_load_b128 v[138:141], off, off offset:304
	s_waitcnt lgkmcnt(1)
	v_fma_f64 v[2:3], v[124:125], v[120:121], v[2:3]
	s_waitcnt vmcnt(4)
	s_delay_alu instid0(VALU_DEP_1) | instskip(SKIP_4) | instid1(VALU_DEP_1)
	v_fma_f64 v[2:3], v[126:127], v[122:123], v[2:3]
	scratch_load_b128 v[120:123], off, off offset:320
	s_waitcnt lgkmcnt(0)
	v_fma_f64 v[2:3], v[128:129], v[134:135], v[2:3]
	s_waitcnt vmcnt(4)
	v_fma_f64 v[2:3], v[130:131], v[136:137], v[2:3]
	ds_load_2addr_b64 v[124:127], v1 offset0:87 offset1:88
	ds_load_2addr_b64 v[128:131], v1 offset0:89 offset1:90
	s_waitcnt lgkmcnt(1)
	v_fma_f64 v[2:3], v[132:133], v[124:125], v[2:3]
	scratch_load_b128 v[132:135], off, off offset:336
	s_waitcnt vmcnt(4)
	v_fma_f64 v[2:3], v[142:143], v[126:127], v[2:3]
	scratch_load_b128 v[124:127], off, off offset:352
	s_waitcnt lgkmcnt(0)
	v_fma_f64 v[2:3], v[144:145], v[128:129], v[2:3]
	s_waitcnt vmcnt(4)
	s_delay_alu instid0(VALU_DEP_1)
	v_fma_f64 v[2:3], v[116:117], v[130:131], v[2:3]
	ds_load_2addr_b64 v[128:131], v1 offset0:91 offset1:92
	ds_load_2addr_b64 v[142:145], v1 offset0:93 offset1:94
	s_waitcnt lgkmcnt(1)
	v_fma_f64 v[2:3], v[118:119], v[128:129], v[2:3]
	scratch_load_b128 v[116:119], off, off offset:368
	s_waitcnt vmcnt(4)
	v_fma_f64 v[2:3], v[138:139], v[130:131], v[2:3]
	scratch_load_b128 v[128:131], off, off offset:384
	s_waitcnt lgkmcnt(0)
	v_fma_f64 v[2:3], v[140:141], v[142:143], v[2:3]
	ds_load_2addr_b64 v[136:139], v1 offset0:95 offset1:96
	ds_load_2addr_b64 v[140:143], v1 offset0:97 offset1:98
	s_waitcnt vmcnt(4)
	v_fma_f64 v[2:3], v[120:121], v[144:145], v[2:3]
	s_waitcnt lgkmcnt(1)
	s_delay_alu instid0(VALU_DEP_1) | instskip(SKIP_4) | instid1(VALU_DEP_1)
	v_fma_f64 v[2:3], v[122:123], v[136:137], v[2:3]
	scratch_load_b128 v[120:123], off, off offset:400
	s_waitcnt vmcnt(4)
	v_fma_f64 v[2:3], v[132:133], v[138:139], v[2:3]
	s_waitcnt lgkmcnt(0)
	v_fma_f64 v[2:3], v[134:135], v[140:141], v[2:3]
	scratch_load_b128 v[132:135], off, off offset:416
	s_waitcnt vmcnt(4)
	v_fma_f64 v[2:3], v[124:125], v[142:143], v[2:3]
	ds_load_2addr_b64 v[136:139], v1 offset0:99 offset1:100
	ds_load_2addr_b64 v[140:143], v1 offset0:101 offset1:102
	s_waitcnt lgkmcnt(1)
	v_fma_f64 v[2:3], v[126:127], v[136:137], v[2:3]
	s_waitcnt vmcnt(3)
	s_delay_alu instid0(VALU_DEP_1) | instskip(SKIP_1) | instid1(VALU_DEP_1)
	v_fma_f64 v[2:3], v[116:117], v[138:139], v[2:3]
	s_waitcnt lgkmcnt(0)
	v_fma_f64 v[2:3], v[118:119], v[140:141], v[2:3]
	ds_load_2addr_b64 v[116:119], v1 offset0:103 offset1:104
	ds_load_2addr_b64 v[124:127], v1 offset0:105 offset1:106
	s_waitcnt vmcnt(2)
	v_fma_f64 v[2:3], v[128:129], v[142:143], v[2:3]
	s_waitcnt lgkmcnt(1)
	s_delay_alu instid0(VALU_DEP_1) | instskip(SKIP_4) | instid1(VALU_DEP_1)
	v_fma_f64 v[2:3], v[130:131], v[116:117], v[2:3]
	ds_load_b64 v[116:117], v1 offset:856
	s_waitcnt vmcnt(1)
	v_fma_f64 v[2:3], v[120:121], v[118:119], v[2:3]
	s_waitcnt lgkmcnt(1)
	v_fma_f64 v[2:3], v[122:123], v[124:125], v[2:3]
	s_waitcnt vmcnt(0)
	s_delay_alu instid0(VALU_DEP_1) | instskip(SKIP_1) | instid1(VALU_DEP_1)
	v_fma_f64 v[2:3], v[132:133], v[126:127], v[2:3]
	s_waitcnt lgkmcnt(0)
	v_fma_f64 v[2:3], v[134:135], v[116:117], v[2:3]
	s_delay_alu instid0(VALU_DEP_1)
	v_add_f64 v[2:3], v[114:115], -v[2:3]
	scratch_store_b64 off, v[2:3], off offset:192
	v_cmpx_lt_u32_e32 23, v0
	s_cbranch_execz .LBB117_287
; %bb.286:
	scratch_load_b64 v[3:4], off, off offset:184
	v_mov_b32_e32 v2, v1
	scratch_store_b64 off, v[1:2], off offset:184
	s_waitcnt vmcnt(0)
	ds_store_b64 v5, v[3:4]
.LBB117_287:
	s_or_b32 exec_lo, exec_lo, s0
	s_waitcnt lgkmcnt(0)
	s_waitcnt_vscnt null, 0x0
	s_barrier
	buffer_gl0_inv
	s_clause 0x4
	scratch_load_b128 v[114:117], off, off offset:184
	scratch_load_b128 v[118:121], off, off offset:200
	;; [unrolled: 1-line block ×5, first 2 shown]
	ds_load_b128 v[134:137], v1 offset:624
	ds_load_b128 v[138:141], v1 offset:640
	scratch_load_b128 v[142:145], off, off offset:264
	s_mov_b32 s0, exec_lo
	s_waitcnt vmcnt(5) lgkmcnt(1)
	v_fma_f64 v[2:3], v[116:117], v[134:135], 0
	s_waitcnt vmcnt(4)
	s_delay_alu instid0(VALU_DEP_1) | instskip(SKIP_4) | instid1(VALU_DEP_1)
	v_fma_f64 v[2:3], v[118:119], v[136:137], v[2:3]
	scratch_load_b128 v[116:119], off, off offset:280
	s_waitcnt lgkmcnt(0)
	v_fma_f64 v[2:3], v[120:121], v[138:139], v[2:3]
	s_waitcnt vmcnt(4)
	v_fma_f64 v[2:3], v[122:123], v[140:141], v[2:3]
	ds_load_b128 v[120:123], v1 offset:656
	ds_load_b128 v[134:137], v1 offset:672
	scratch_load_b128 v[138:141], off, off offset:296
	s_waitcnt lgkmcnt(1)
	v_fma_f64 v[2:3], v[124:125], v[120:121], v[2:3]
	s_waitcnt vmcnt(4)
	s_delay_alu instid0(VALU_DEP_1) | instskip(SKIP_4) | instid1(VALU_DEP_1)
	v_fma_f64 v[2:3], v[126:127], v[122:123], v[2:3]
	scratch_load_b128 v[120:123], off, off offset:312
	s_waitcnt lgkmcnt(0)
	v_fma_f64 v[2:3], v[128:129], v[134:135], v[2:3]
	s_waitcnt vmcnt(4)
	v_fma_f64 v[2:3], v[130:131], v[136:137], v[2:3]
	ds_load_b128 v[124:127], v1 offset:688
	ds_load_b128 v[128:131], v1 offset:704
	s_waitcnt lgkmcnt(1)
	v_fma_f64 v[2:3], v[132:133], v[124:125], v[2:3]
	scratch_load_b128 v[132:135], off, off offset:328
	s_waitcnt vmcnt(4)
	v_fma_f64 v[2:3], v[142:143], v[126:127], v[2:3]
	scratch_load_b128 v[124:127], off, off offset:344
	s_waitcnt lgkmcnt(0)
	v_fma_f64 v[2:3], v[144:145], v[128:129], v[2:3]
	s_waitcnt vmcnt(4)
	s_delay_alu instid0(VALU_DEP_1)
	v_fma_f64 v[2:3], v[116:117], v[130:131], v[2:3]
	ds_load_b128 v[128:131], v1 offset:720
	ds_load_b128 v[142:145], v1 offset:736
	s_waitcnt lgkmcnt(1)
	v_fma_f64 v[2:3], v[118:119], v[128:129], v[2:3]
	scratch_load_b128 v[116:119], off, off offset:360
	s_waitcnt vmcnt(4)
	v_fma_f64 v[2:3], v[138:139], v[130:131], v[2:3]
	scratch_load_b128 v[128:131], off, off offset:376
	s_waitcnt lgkmcnt(0)
	v_fma_f64 v[2:3], v[140:141], v[142:143], v[2:3]
	ds_load_b128 v[136:139], v1 offset:752
	ds_load_b128 v[140:143], v1 offset:768
	s_waitcnt vmcnt(4)
	v_fma_f64 v[2:3], v[120:121], v[144:145], v[2:3]
	s_waitcnt lgkmcnt(1)
	s_delay_alu instid0(VALU_DEP_1) | instskip(SKIP_4) | instid1(VALU_DEP_1)
	v_fma_f64 v[2:3], v[122:123], v[136:137], v[2:3]
	scratch_load_b128 v[120:123], off, off offset:392
	s_waitcnt vmcnt(4)
	v_fma_f64 v[2:3], v[132:133], v[138:139], v[2:3]
	s_waitcnt lgkmcnt(0)
	v_fma_f64 v[2:3], v[134:135], v[140:141], v[2:3]
	scratch_load_b128 v[132:135], off, off offset:408
	s_waitcnt vmcnt(4)
	v_fma_f64 v[2:3], v[124:125], v[142:143], v[2:3]
	ds_load_b128 v[136:139], v1 offset:784
	ds_load_b128 v[140:143], v1 offset:800
	s_waitcnt lgkmcnt(1)
	v_fma_f64 v[2:3], v[126:127], v[136:137], v[2:3]
	scratch_load_b64 v[136:137], off, off offset:424
	s_waitcnt vmcnt(4)
	v_fma_f64 v[2:3], v[116:117], v[138:139], v[2:3]
	s_waitcnt lgkmcnt(0)
	s_delay_alu instid0(VALU_DEP_1)
	v_fma_f64 v[2:3], v[118:119], v[140:141], v[2:3]
	ds_load_b128 v[116:119], v1 offset:816
	ds_load_b128 v[124:127], v1 offset:832
	s_waitcnt vmcnt(3)
	v_fma_f64 v[2:3], v[128:129], v[142:143], v[2:3]
	s_waitcnt lgkmcnt(1)
	s_delay_alu instid0(VALU_DEP_1) | instskip(SKIP_1) | instid1(VALU_DEP_1)
	v_fma_f64 v[2:3], v[130:131], v[116:117], v[2:3]
	s_waitcnt vmcnt(2)
	v_fma_f64 v[2:3], v[120:121], v[118:119], v[2:3]
	s_waitcnt lgkmcnt(0)
	s_delay_alu instid0(VALU_DEP_1) | instskip(SKIP_1) | instid1(VALU_DEP_1)
	v_fma_f64 v[2:3], v[122:123], v[124:125], v[2:3]
	s_waitcnt vmcnt(1)
	v_fma_f64 v[116:117], v[132:133], v[126:127], v[2:3]
	ds_load_b128 v[1:4], v1 offset:848
	s_waitcnt lgkmcnt(0)
	v_fma_f64 v[1:2], v[134:135], v[1:2], v[116:117]
	s_waitcnt vmcnt(0)
	s_delay_alu instid0(VALU_DEP_1) | instskip(NEXT) | instid1(VALU_DEP_1)
	v_fma_f64 v[1:2], v[136:137], v[3:4], v[1:2]
	v_add_f64 v[1:2], v[114:115], -v[1:2]
	scratch_store_b64 off, v[1:2], off offset:184
	v_cmpx_lt_u32_e32 22, v0
	s_cbranch_execz .LBB117_289
; %bb.288:
	scratch_load_b64 v[1:2], off, off offset:176
	v_mov_b32_e32 v3, 0
	s_delay_alu instid0(VALU_DEP_1)
	v_mov_b32_e32 v4, v3
	scratch_store_b64 off, v[3:4], off offset:176
	s_waitcnt vmcnt(0)
	ds_store_b64 v5, v[1:2]
.LBB117_289:
	s_or_b32 exec_lo, exec_lo, s0
	s_waitcnt lgkmcnt(0)
	s_waitcnt_vscnt null, 0x0
	s_barrier
	buffer_gl0_inv
	s_clause 0x4
	scratch_load_b128 v[114:117], off, off offset:176
	scratch_load_b128 v[118:121], off, off offset:192
	;; [unrolled: 1-line block ×5, first 2 shown]
	v_mov_b32_e32 v1, 0
	ds_load_2addr_b64 v[134:137], v1 offset0:77 offset1:78
	ds_load_2addr_b64 v[138:141], v1 offset0:79 offset1:80
	scratch_load_b128 v[142:145], off, off offset:256
	s_mov_b32 s0, exec_lo
	s_waitcnt vmcnt(5) lgkmcnt(1)
	v_fma_f64 v[2:3], v[116:117], v[134:135], 0
	s_waitcnt vmcnt(4)
	s_delay_alu instid0(VALU_DEP_1) | instskip(SKIP_4) | instid1(VALU_DEP_1)
	v_fma_f64 v[2:3], v[118:119], v[136:137], v[2:3]
	scratch_load_b128 v[116:119], off, off offset:272
	s_waitcnt lgkmcnt(0)
	v_fma_f64 v[2:3], v[120:121], v[138:139], v[2:3]
	s_waitcnt vmcnt(4)
	v_fma_f64 v[2:3], v[122:123], v[140:141], v[2:3]
	ds_load_2addr_b64 v[120:123], v1 offset0:81 offset1:82
	ds_load_2addr_b64 v[134:137], v1 offset0:83 offset1:84
	scratch_load_b128 v[138:141], off, off offset:288
	s_waitcnt lgkmcnt(1)
	v_fma_f64 v[2:3], v[124:125], v[120:121], v[2:3]
	s_waitcnt vmcnt(4)
	s_delay_alu instid0(VALU_DEP_1) | instskip(SKIP_4) | instid1(VALU_DEP_1)
	v_fma_f64 v[2:3], v[126:127], v[122:123], v[2:3]
	scratch_load_b128 v[120:123], off, off offset:304
	s_waitcnt lgkmcnt(0)
	v_fma_f64 v[2:3], v[128:129], v[134:135], v[2:3]
	s_waitcnt vmcnt(4)
	v_fma_f64 v[2:3], v[130:131], v[136:137], v[2:3]
	ds_load_2addr_b64 v[124:127], v1 offset0:85 offset1:86
	ds_load_2addr_b64 v[128:131], v1 offset0:87 offset1:88
	s_waitcnt lgkmcnt(1)
	v_fma_f64 v[2:3], v[132:133], v[124:125], v[2:3]
	scratch_load_b128 v[132:135], off, off offset:320
	s_waitcnt vmcnt(4)
	v_fma_f64 v[2:3], v[142:143], v[126:127], v[2:3]
	scratch_load_b128 v[124:127], off, off offset:336
	s_waitcnt lgkmcnt(0)
	v_fma_f64 v[2:3], v[144:145], v[128:129], v[2:3]
	s_waitcnt vmcnt(4)
	s_delay_alu instid0(VALU_DEP_1)
	v_fma_f64 v[2:3], v[116:117], v[130:131], v[2:3]
	ds_load_2addr_b64 v[128:131], v1 offset0:89 offset1:90
	ds_load_2addr_b64 v[142:145], v1 offset0:91 offset1:92
	s_waitcnt lgkmcnt(1)
	v_fma_f64 v[2:3], v[118:119], v[128:129], v[2:3]
	scratch_load_b128 v[116:119], off, off offset:352
	s_waitcnt vmcnt(4)
	v_fma_f64 v[2:3], v[138:139], v[130:131], v[2:3]
	scratch_load_b128 v[128:131], off, off offset:368
	s_waitcnt lgkmcnt(0)
	v_fma_f64 v[2:3], v[140:141], v[142:143], v[2:3]
	ds_load_2addr_b64 v[136:139], v1 offset0:93 offset1:94
	ds_load_2addr_b64 v[140:143], v1 offset0:95 offset1:96
	s_waitcnt vmcnt(4)
	v_fma_f64 v[2:3], v[120:121], v[144:145], v[2:3]
	s_waitcnt lgkmcnt(1)
	s_delay_alu instid0(VALU_DEP_1) | instskip(SKIP_4) | instid1(VALU_DEP_1)
	v_fma_f64 v[2:3], v[122:123], v[136:137], v[2:3]
	scratch_load_b128 v[120:123], off, off offset:384
	s_waitcnt vmcnt(4)
	v_fma_f64 v[2:3], v[132:133], v[138:139], v[2:3]
	s_waitcnt lgkmcnt(0)
	v_fma_f64 v[2:3], v[134:135], v[140:141], v[2:3]
	scratch_load_b128 v[132:135], off, off offset:400
	s_waitcnt vmcnt(4)
	v_fma_f64 v[2:3], v[124:125], v[142:143], v[2:3]
	ds_load_2addr_b64 v[136:139], v1 offset0:97 offset1:98
	ds_load_2addr_b64 v[140:143], v1 offset0:99 offset1:100
	s_waitcnt lgkmcnt(1)
	v_fma_f64 v[2:3], v[126:127], v[136:137], v[2:3]
	scratch_load_b128 v[124:127], off, off offset:416
	s_waitcnt vmcnt(4)
	v_fma_f64 v[2:3], v[116:117], v[138:139], v[2:3]
	s_waitcnt lgkmcnt(0)
	s_delay_alu instid0(VALU_DEP_1)
	v_fma_f64 v[2:3], v[118:119], v[140:141], v[2:3]
	ds_load_2addr_b64 v[116:119], v1 offset0:101 offset1:102
	ds_load_2addr_b64 v[136:139], v1 offset0:103 offset1:104
	s_waitcnt vmcnt(3)
	v_fma_f64 v[2:3], v[128:129], v[142:143], v[2:3]
	s_waitcnt lgkmcnt(1)
	s_delay_alu instid0(VALU_DEP_1) | instskip(SKIP_1) | instid1(VALU_DEP_1)
	v_fma_f64 v[2:3], v[130:131], v[116:117], v[2:3]
	s_waitcnt vmcnt(2)
	v_fma_f64 v[2:3], v[120:121], v[118:119], v[2:3]
	ds_load_2addr_b64 v[116:119], v1 offset0:105 offset1:106
	ds_load_b64 v[120:121], v1 offset:856
	s_waitcnt lgkmcnt(2)
	v_fma_f64 v[2:3], v[122:123], v[136:137], v[2:3]
	s_waitcnt vmcnt(1)
	s_delay_alu instid0(VALU_DEP_1) | instskip(SKIP_1) | instid1(VALU_DEP_1)
	v_fma_f64 v[2:3], v[132:133], v[138:139], v[2:3]
	s_waitcnt lgkmcnt(1)
	v_fma_f64 v[2:3], v[134:135], v[116:117], v[2:3]
	s_waitcnt vmcnt(0)
	s_delay_alu instid0(VALU_DEP_1) | instskip(SKIP_1) | instid1(VALU_DEP_1)
	v_fma_f64 v[2:3], v[124:125], v[118:119], v[2:3]
	s_waitcnt lgkmcnt(0)
	v_fma_f64 v[2:3], v[126:127], v[120:121], v[2:3]
	s_delay_alu instid0(VALU_DEP_1)
	v_add_f64 v[2:3], v[114:115], -v[2:3]
	scratch_store_b64 off, v[2:3], off offset:176
	v_cmpx_lt_u32_e32 21, v0
	s_cbranch_execz .LBB117_291
; %bb.290:
	scratch_load_b64 v[3:4], off, off offset:168
	v_mov_b32_e32 v2, v1
	scratch_store_b64 off, v[1:2], off offset:168
	s_waitcnt vmcnt(0)
	ds_store_b64 v5, v[3:4]
.LBB117_291:
	s_or_b32 exec_lo, exec_lo, s0
	s_waitcnt lgkmcnt(0)
	s_waitcnt_vscnt null, 0x0
	s_barrier
	buffer_gl0_inv
	s_clause 0x4
	scratch_load_b128 v[114:117], off, off offset:168
	scratch_load_b128 v[118:121], off, off offset:184
	;; [unrolled: 1-line block ×5, first 2 shown]
	ds_load_b128 v[134:137], v1 offset:608
	ds_load_b128 v[138:141], v1 offset:624
	scratch_load_b128 v[142:145], off, off offset:248
	s_mov_b32 s0, exec_lo
	s_waitcnt vmcnt(5) lgkmcnt(1)
	v_fma_f64 v[2:3], v[116:117], v[134:135], 0
	s_waitcnt vmcnt(4)
	s_delay_alu instid0(VALU_DEP_1) | instskip(SKIP_4) | instid1(VALU_DEP_1)
	v_fma_f64 v[2:3], v[118:119], v[136:137], v[2:3]
	scratch_load_b128 v[116:119], off, off offset:264
	s_waitcnt lgkmcnt(0)
	v_fma_f64 v[2:3], v[120:121], v[138:139], v[2:3]
	s_waitcnt vmcnt(4)
	v_fma_f64 v[2:3], v[122:123], v[140:141], v[2:3]
	ds_load_b128 v[120:123], v1 offset:640
	ds_load_b128 v[134:137], v1 offset:656
	scratch_load_b128 v[138:141], off, off offset:280
	s_waitcnt lgkmcnt(1)
	v_fma_f64 v[2:3], v[124:125], v[120:121], v[2:3]
	s_waitcnt vmcnt(4)
	s_delay_alu instid0(VALU_DEP_1) | instskip(SKIP_4) | instid1(VALU_DEP_1)
	v_fma_f64 v[2:3], v[126:127], v[122:123], v[2:3]
	scratch_load_b128 v[120:123], off, off offset:296
	s_waitcnt lgkmcnt(0)
	v_fma_f64 v[2:3], v[128:129], v[134:135], v[2:3]
	s_waitcnt vmcnt(4)
	v_fma_f64 v[2:3], v[130:131], v[136:137], v[2:3]
	ds_load_b128 v[124:127], v1 offset:672
	ds_load_b128 v[128:131], v1 offset:688
	s_waitcnt lgkmcnt(1)
	v_fma_f64 v[2:3], v[132:133], v[124:125], v[2:3]
	scratch_load_b128 v[132:135], off, off offset:312
	s_waitcnt vmcnt(4)
	v_fma_f64 v[2:3], v[142:143], v[126:127], v[2:3]
	scratch_load_b128 v[124:127], off, off offset:328
	s_waitcnt lgkmcnt(0)
	v_fma_f64 v[2:3], v[144:145], v[128:129], v[2:3]
	s_waitcnt vmcnt(4)
	s_delay_alu instid0(VALU_DEP_1)
	v_fma_f64 v[2:3], v[116:117], v[130:131], v[2:3]
	ds_load_b128 v[128:131], v1 offset:704
	ds_load_b128 v[142:145], v1 offset:720
	s_waitcnt lgkmcnt(1)
	v_fma_f64 v[2:3], v[118:119], v[128:129], v[2:3]
	scratch_load_b128 v[116:119], off, off offset:344
	s_waitcnt vmcnt(4)
	v_fma_f64 v[2:3], v[138:139], v[130:131], v[2:3]
	scratch_load_b128 v[128:131], off, off offset:360
	s_waitcnt lgkmcnt(0)
	v_fma_f64 v[2:3], v[140:141], v[142:143], v[2:3]
	ds_load_b128 v[136:139], v1 offset:736
	ds_load_b128 v[140:143], v1 offset:752
	s_waitcnt vmcnt(4)
	v_fma_f64 v[2:3], v[120:121], v[144:145], v[2:3]
	s_waitcnt lgkmcnt(1)
	s_delay_alu instid0(VALU_DEP_1) | instskip(SKIP_4) | instid1(VALU_DEP_1)
	v_fma_f64 v[2:3], v[122:123], v[136:137], v[2:3]
	scratch_load_b128 v[120:123], off, off offset:376
	s_waitcnt vmcnt(4)
	v_fma_f64 v[2:3], v[132:133], v[138:139], v[2:3]
	s_waitcnt lgkmcnt(0)
	v_fma_f64 v[2:3], v[134:135], v[140:141], v[2:3]
	scratch_load_b128 v[132:135], off, off offset:392
	s_waitcnt vmcnt(4)
	v_fma_f64 v[2:3], v[124:125], v[142:143], v[2:3]
	ds_load_b128 v[136:139], v1 offset:768
	ds_load_b128 v[140:143], v1 offset:784
	s_waitcnt lgkmcnt(1)
	v_fma_f64 v[2:3], v[126:127], v[136:137], v[2:3]
	scratch_load_b128 v[124:127], off, off offset:408
	s_waitcnt vmcnt(4)
	v_fma_f64 v[2:3], v[116:117], v[138:139], v[2:3]
	s_waitcnt lgkmcnt(0)
	s_delay_alu instid0(VALU_DEP_1)
	v_fma_f64 v[2:3], v[118:119], v[140:141], v[2:3]
	scratch_load_b64 v[140:141], off, off offset:424
	ds_load_b128 v[116:119], v1 offset:800
	ds_load_b128 v[136:139], v1 offset:816
	s_waitcnt vmcnt(4)
	v_fma_f64 v[2:3], v[128:129], v[142:143], v[2:3]
	s_waitcnt lgkmcnt(1)
	s_delay_alu instid0(VALU_DEP_1) | instskip(SKIP_1) | instid1(VALU_DEP_1)
	v_fma_f64 v[2:3], v[130:131], v[116:117], v[2:3]
	s_waitcnt vmcnt(3)
	v_fma_f64 v[2:3], v[120:121], v[118:119], v[2:3]
	s_waitcnt lgkmcnt(0)
	s_delay_alu instid0(VALU_DEP_1) | instskip(SKIP_1) | instid1(VALU_DEP_1)
	v_fma_f64 v[2:3], v[122:123], v[136:137], v[2:3]
	s_waitcnt vmcnt(2)
	v_fma_f64 v[120:121], v[132:133], v[138:139], v[2:3]
	ds_load_b128 v[116:119], v1 offset:832
	ds_load_b128 v[1:4], v1 offset:848
	s_waitcnt lgkmcnt(1)
	v_fma_f64 v[116:117], v[134:135], v[116:117], v[120:121]
	s_waitcnt vmcnt(1)
	s_delay_alu instid0(VALU_DEP_1) | instskip(SKIP_1) | instid1(VALU_DEP_1)
	v_fma_f64 v[116:117], v[124:125], v[118:119], v[116:117]
	s_waitcnt lgkmcnt(0)
	v_fma_f64 v[1:2], v[126:127], v[1:2], v[116:117]
	s_waitcnt vmcnt(0)
	s_delay_alu instid0(VALU_DEP_1) | instskip(NEXT) | instid1(VALU_DEP_1)
	v_fma_f64 v[1:2], v[140:141], v[3:4], v[1:2]
	v_add_f64 v[1:2], v[114:115], -v[1:2]
	scratch_store_b64 off, v[1:2], off offset:168
	v_cmpx_lt_u32_e32 20, v0
	s_cbranch_execz .LBB117_293
; %bb.292:
	scratch_load_b64 v[1:2], off, off offset:160
	v_mov_b32_e32 v3, 0
	s_delay_alu instid0(VALU_DEP_1)
	v_mov_b32_e32 v4, v3
	scratch_store_b64 off, v[3:4], off offset:160
	s_waitcnt vmcnt(0)
	ds_store_b64 v5, v[1:2]
.LBB117_293:
	s_or_b32 exec_lo, exec_lo, s0
	s_waitcnt lgkmcnt(0)
	s_waitcnt_vscnt null, 0x0
	s_barrier
	buffer_gl0_inv
	s_clause 0x4
	scratch_load_b128 v[114:117], off, off offset:160
	scratch_load_b128 v[118:121], off, off offset:176
	;; [unrolled: 1-line block ×5, first 2 shown]
	v_mov_b32_e32 v1, 0
	ds_load_2addr_b64 v[134:137], v1 offset0:75 offset1:76
	ds_load_2addr_b64 v[138:141], v1 offset0:77 offset1:78
	scratch_load_b128 v[142:145], off, off offset:240
	s_mov_b32 s0, exec_lo
	s_waitcnt vmcnt(5) lgkmcnt(1)
	v_fma_f64 v[2:3], v[116:117], v[134:135], 0
	s_waitcnt vmcnt(4)
	s_delay_alu instid0(VALU_DEP_1) | instskip(SKIP_4) | instid1(VALU_DEP_1)
	v_fma_f64 v[2:3], v[118:119], v[136:137], v[2:3]
	scratch_load_b128 v[116:119], off, off offset:256
	s_waitcnt lgkmcnt(0)
	v_fma_f64 v[2:3], v[120:121], v[138:139], v[2:3]
	s_waitcnt vmcnt(4)
	v_fma_f64 v[2:3], v[122:123], v[140:141], v[2:3]
	ds_load_2addr_b64 v[120:123], v1 offset0:79 offset1:80
	ds_load_2addr_b64 v[134:137], v1 offset0:81 offset1:82
	scratch_load_b128 v[138:141], off, off offset:272
	s_waitcnt lgkmcnt(1)
	v_fma_f64 v[2:3], v[124:125], v[120:121], v[2:3]
	s_waitcnt vmcnt(4)
	s_delay_alu instid0(VALU_DEP_1) | instskip(SKIP_4) | instid1(VALU_DEP_1)
	v_fma_f64 v[2:3], v[126:127], v[122:123], v[2:3]
	scratch_load_b128 v[120:123], off, off offset:288
	s_waitcnt lgkmcnt(0)
	v_fma_f64 v[2:3], v[128:129], v[134:135], v[2:3]
	s_waitcnt vmcnt(4)
	v_fma_f64 v[2:3], v[130:131], v[136:137], v[2:3]
	ds_load_2addr_b64 v[124:127], v1 offset0:83 offset1:84
	ds_load_2addr_b64 v[128:131], v1 offset0:85 offset1:86
	s_waitcnt lgkmcnt(1)
	v_fma_f64 v[2:3], v[132:133], v[124:125], v[2:3]
	scratch_load_b128 v[132:135], off, off offset:304
	s_waitcnt vmcnt(4)
	v_fma_f64 v[2:3], v[142:143], v[126:127], v[2:3]
	scratch_load_b128 v[124:127], off, off offset:320
	s_waitcnt lgkmcnt(0)
	v_fma_f64 v[2:3], v[144:145], v[128:129], v[2:3]
	s_waitcnt vmcnt(4)
	s_delay_alu instid0(VALU_DEP_1)
	v_fma_f64 v[2:3], v[116:117], v[130:131], v[2:3]
	ds_load_2addr_b64 v[128:131], v1 offset0:87 offset1:88
	ds_load_2addr_b64 v[142:145], v1 offset0:89 offset1:90
	s_waitcnt lgkmcnt(1)
	v_fma_f64 v[2:3], v[118:119], v[128:129], v[2:3]
	scratch_load_b128 v[116:119], off, off offset:336
	s_waitcnt vmcnt(4)
	v_fma_f64 v[2:3], v[138:139], v[130:131], v[2:3]
	scratch_load_b128 v[128:131], off, off offset:352
	s_waitcnt lgkmcnt(0)
	v_fma_f64 v[2:3], v[140:141], v[142:143], v[2:3]
	ds_load_2addr_b64 v[136:139], v1 offset0:91 offset1:92
	ds_load_2addr_b64 v[140:143], v1 offset0:93 offset1:94
	s_waitcnt vmcnt(4)
	v_fma_f64 v[2:3], v[120:121], v[144:145], v[2:3]
	s_waitcnt lgkmcnt(1)
	s_delay_alu instid0(VALU_DEP_1) | instskip(SKIP_4) | instid1(VALU_DEP_1)
	v_fma_f64 v[2:3], v[122:123], v[136:137], v[2:3]
	scratch_load_b128 v[120:123], off, off offset:368
	s_waitcnt vmcnt(4)
	v_fma_f64 v[2:3], v[132:133], v[138:139], v[2:3]
	s_waitcnt lgkmcnt(0)
	v_fma_f64 v[2:3], v[134:135], v[140:141], v[2:3]
	scratch_load_b128 v[132:135], off, off offset:384
	s_waitcnt vmcnt(4)
	v_fma_f64 v[2:3], v[124:125], v[142:143], v[2:3]
	ds_load_2addr_b64 v[136:139], v1 offset0:95 offset1:96
	ds_load_2addr_b64 v[140:143], v1 offset0:97 offset1:98
	s_waitcnt lgkmcnt(1)
	v_fma_f64 v[2:3], v[126:127], v[136:137], v[2:3]
	scratch_load_b128 v[124:127], off, off offset:400
	s_waitcnt vmcnt(4)
	v_fma_f64 v[2:3], v[116:117], v[138:139], v[2:3]
	s_waitcnt lgkmcnt(0)
	s_delay_alu instid0(VALU_DEP_1)
	v_fma_f64 v[2:3], v[118:119], v[140:141], v[2:3]
	scratch_load_b128 v[116:119], off, off offset:416
	s_waitcnt vmcnt(4)
	v_fma_f64 v[2:3], v[128:129], v[142:143], v[2:3]
	ds_load_2addr_b64 v[136:139], v1 offset0:99 offset1:100
	ds_load_2addr_b64 v[140:143], v1 offset0:101 offset1:102
	s_waitcnt lgkmcnt(1)
	v_fma_f64 v[2:3], v[130:131], v[136:137], v[2:3]
	s_waitcnt vmcnt(3)
	s_delay_alu instid0(VALU_DEP_1) | instskip(SKIP_1) | instid1(VALU_DEP_1)
	v_fma_f64 v[2:3], v[120:121], v[138:139], v[2:3]
	s_waitcnt lgkmcnt(0)
	v_fma_f64 v[2:3], v[122:123], v[140:141], v[2:3]
	ds_load_2addr_b64 v[120:123], v1 offset0:103 offset1:104
	ds_load_2addr_b64 v[128:131], v1 offset0:105 offset1:106
	s_waitcnt vmcnt(2)
	v_fma_f64 v[2:3], v[132:133], v[142:143], v[2:3]
	s_waitcnt lgkmcnt(1)
	s_delay_alu instid0(VALU_DEP_1) | instskip(SKIP_1) | instid1(VALU_DEP_1)
	v_fma_f64 v[2:3], v[134:135], v[120:121], v[2:3]
	s_waitcnt vmcnt(1)
	v_fma_f64 v[2:3], v[124:125], v[122:123], v[2:3]
	s_waitcnt lgkmcnt(0)
	s_delay_alu instid0(VALU_DEP_1) | instskip(SKIP_1) | instid1(VALU_DEP_1)
	v_fma_f64 v[2:3], v[126:127], v[128:129], v[2:3]
	s_waitcnt vmcnt(0)
	v_fma_f64 v[2:3], v[116:117], v[130:131], v[2:3]
	ds_load_b64 v[116:117], v1 offset:856
	s_waitcnt lgkmcnt(0)
	v_fma_f64 v[2:3], v[118:119], v[116:117], v[2:3]
	s_delay_alu instid0(VALU_DEP_1)
	v_add_f64 v[2:3], v[114:115], -v[2:3]
	scratch_store_b64 off, v[2:3], off offset:160
	v_cmpx_lt_u32_e32 19, v0
	s_cbranch_execz .LBB117_295
; %bb.294:
	scratch_load_b64 v[3:4], off, off offset:152
	v_mov_b32_e32 v2, v1
	scratch_store_b64 off, v[1:2], off offset:152
	s_waitcnt vmcnt(0)
	ds_store_b64 v5, v[3:4]
.LBB117_295:
	s_or_b32 exec_lo, exec_lo, s0
	s_waitcnt lgkmcnt(0)
	s_waitcnt_vscnt null, 0x0
	s_barrier
	buffer_gl0_inv
	s_clause 0x4
	scratch_load_b128 v[114:117], off, off offset:152
	scratch_load_b128 v[118:121], off, off offset:168
	;; [unrolled: 1-line block ×5, first 2 shown]
	ds_load_b128 v[134:137], v1 offset:592
	ds_load_b128 v[138:141], v1 offset:608
	scratch_load_b128 v[142:145], off, off offset:232
	s_mov_b32 s0, exec_lo
	s_waitcnt vmcnt(5) lgkmcnt(1)
	v_fma_f64 v[2:3], v[116:117], v[134:135], 0
	s_waitcnt vmcnt(4)
	s_delay_alu instid0(VALU_DEP_1) | instskip(SKIP_4) | instid1(VALU_DEP_1)
	v_fma_f64 v[2:3], v[118:119], v[136:137], v[2:3]
	scratch_load_b128 v[116:119], off, off offset:248
	s_waitcnt lgkmcnt(0)
	v_fma_f64 v[2:3], v[120:121], v[138:139], v[2:3]
	s_waitcnt vmcnt(4)
	v_fma_f64 v[2:3], v[122:123], v[140:141], v[2:3]
	ds_load_b128 v[120:123], v1 offset:624
	ds_load_b128 v[134:137], v1 offset:640
	scratch_load_b128 v[138:141], off, off offset:264
	s_waitcnt lgkmcnt(1)
	v_fma_f64 v[2:3], v[124:125], v[120:121], v[2:3]
	s_waitcnt vmcnt(4)
	s_delay_alu instid0(VALU_DEP_1) | instskip(SKIP_4) | instid1(VALU_DEP_1)
	v_fma_f64 v[2:3], v[126:127], v[122:123], v[2:3]
	scratch_load_b128 v[120:123], off, off offset:280
	s_waitcnt lgkmcnt(0)
	v_fma_f64 v[2:3], v[128:129], v[134:135], v[2:3]
	s_waitcnt vmcnt(4)
	v_fma_f64 v[2:3], v[130:131], v[136:137], v[2:3]
	ds_load_b128 v[124:127], v1 offset:656
	ds_load_b128 v[128:131], v1 offset:672
	s_waitcnt lgkmcnt(1)
	v_fma_f64 v[2:3], v[132:133], v[124:125], v[2:3]
	scratch_load_b128 v[132:135], off, off offset:296
	s_waitcnt vmcnt(4)
	v_fma_f64 v[2:3], v[142:143], v[126:127], v[2:3]
	scratch_load_b128 v[124:127], off, off offset:312
	s_waitcnt lgkmcnt(0)
	v_fma_f64 v[2:3], v[144:145], v[128:129], v[2:3]
	s_waitcnt vmcnt(4)
	s_delay_alu instid0(VALU_DEP_1)
	v_fma_f64 v[2:3], v[116:117], v[130:131], v[2:3]
	ds_load_b128 v[128:131], v1 offset:688
	ds_load_b128 v[142:145], v1 offset:704
	s_waitcnt lgkmcnt(1)
	v_fma_f64 v[2:3], v[118:119], v[128:129], v[2:3]
	scratch_load_b128 v[116:119], off, off offset:328
	s_waitcnt vmcnt(4)
	v_fma_f64 v[2:3], v[138:139], v[130:131], v[2:3]
	scratch_load_b128 v[128:131], off, off offset:344
	s_waitcnt lgkmcnt(0)
	v_fma_f64 v[2:3], v[140:141], v[142:143], v[2:3]
	ds_load_b128 v[136:139], v1 offset:720
	ds_load_b128 v[140:143], v1 offset:736
	s_waitcnt vmcnt(4)
	v_fma_f64 v[2:3], v[120:121], v[144:145], v[2:3]
	s_waitcnt lgkmcnt(1)
	s_delay_alu instid0(VALU_DEP_1) | instskip(SKIP_4) | instid1(VALU_DEP_1)
	v_fma_f64 v[2:3], v[122:123], v[136:137], v[2:3]
	scratch_load_b128 v[120:123], off, off offset:360
	s_waitcnt vmcnt(4)
	v_fma_f64 v[2:3], v[132:133], v[138:139], v[2:3]
	s_waitcnt lgkmcnt(0)
	v_fma_f64 v[2:3], v[134:135], v[140:141], v[2:3]
	scratch_load_b128 v[132:135], off, off offset:376
	s_waitcnt vmcnt(4)
	v_fma_f64 v[2:3], v[124:125], v[142:143], v[2:3]
	ds_load_b128 v[136:139], v1 offset:752
	ds_load_b128 v[140:143], v1 offset:768
	s_waitcnt lgkmcnt(1)
	v_fma_f64 v[2:3], v[126:127], v[136:137], v[2:3]
	scratch_load_b128 v[124:127], off, off offset:392
	s_waitcnt vmcnt(4)
	v_fma_f64 v[2:3], v[116:117], v[138:139], v[2:3]
	s_waitcnt lgkmcnt(0)
	s_delay_alu instid0(VALU_DEP_1)
	v_fma_f64 v[2:3], v[118:119], v[140:141], v[2:3]
	scratch_load_b128 v[116:119], off, off offset:408
	s_waitcnt vmcnt(4)
	v_fma_f64 v[2:3], v[128:129], v[142:143], v[2:3]
	ds_load_b128 v[136:139], v1 offset:784
	ds_load_b128 v[140:143], v1 offset:800
	s_waitcnt lgkmcnt(1)
	v_fma_f64 v[2:3], v[130:131], v[136:137], v[2:3]
	scratch_load_b64 v[136:137], off, off offset:424
	s_waitcnt vmcnt(4)
	v_fma_f64 v[2:3], v[120:121], v[138:139], v[2:3]
	s_waitcnt lgkmcnt(0)
	s_delay_alu instid0(VALU_DEP_1)
	v_fma_f64 v[2:3], v[122:123], v[140:141], v[2:3]
	ds_load_b128 v[120:123], v1 offset:816
	ds_load_b128 v[128:131], v1 offset:832
	s_waitcnt vmcnt(3)
	v_fma_f64 v[2:3], v[132:133], v[142:143], v[2:3]
	s_waitcnt lgkmcnt(1)
	s_delay_alu instid0(VALU_DEP_1) | instskip(SKIP_1) | instid1(VALU_DEP_1)
	v_fma_f64 v[2:3], v[134:135], v[120:121], v[2:3]
	s_waitcnt vmcnt(2)
	v_fma_f64 v[2:3], v[124:125], v[122:123], v[2:3]
	s_waitcnt lgkmcnt(0)
	s_delay_alu instid0(VALU_DEP_1) | instskip(SKIP_1) | instid1(VALU_DEP_1)
	v_fma_f64 v[2:3], v[126:127], v[128:129], v[2:3]
	s_waitcnt vmcnt(1)
	v_fma_f64 v[116:117], v[116:117], v[130:131], v[2:3]
	ds_load_b128 v[1:4], v1 offset:848
	s_waitcnt lgkmcnt(0)
	v_fma_f64 v[1:2], v[118:119], v[1:2], v[116:117]
	s_waitcnt vmcnt(0)
	s_delay_alu instid0(VALU_DEP_1) | instskip(NEXT) | instid1(VALU_DEP_1)
	v_fma_f64 v[1:2], v[136:137], v[3:4], v[1:2]
	v_add_f64 v[1:2], v[114:115], -v[1:2]
	scratch_store_b64 off, v[1:2], off offset:152
	v_cmpx_lt_u32_e32 18, v0
	s_cbranch_execz .LBB117_297
; %bb.296:
	scratch_load_b64 v[1:2], off, off offset:144
	v_mov_b32_e32 v3, 0
	s_delay_alu instid0(VALU_DEP_1)
	v_mov_b32_e32 v4, v3
	scratch_store_b64 off, v[3:4], off offset:144
	s_waitcnt vmcnt(0)
	ds_store_b64 v5, v[1:2]
.LBB117_297:
	s_or_b32 exec_lo, exec_lo, s0
	s_waitcnt lgkmcnt(0)
	s_waitcnt_vscnt null, 0x0
	s_barrier
	buffer_gl0_inv
	s_clause 0x4
	scratch_load_b128 v[114:117], off, off offset:144
	scratch_load_b128 v[118:121], off, off offset:160
	;; [unrolled: 1-line block ×5, first 2 shown]
	v_mov_b32_e32 v1, 0
	ds_load_2addr_b64 v[134:137], v1 offset0:73 offset1:74
	ds_load_2addr_b64 v[138:141], v1 offset0:75 offset1:76
	scratch_load_b128 v[142:145], off, off offset:224
	s_mov_b32 s0, exec_lo
	s_waitcnt vmcnt(5) lgkmcnt(1)
	v_fma_f64 v[2:3], v[116:117], v[134:135], 0
	s_waitcnt vmcnt(4)
	s_delay_alu instid0(VALU_DEP_1) | instskip(SKIP_4) | instid1(VALU_DEP_1)
	v_fma_f64 v[2:3], v[118:119], v[136:137], v[2:3]
	scratch_load_b128 v[116:119], off, off offset:240
	s_waitcnt lgkmcnt(0)
	v_fma_f64 v[2:3], v[120:121], v[138:139], v[2:3]
	s_waitcnt vmcnt(4)
	v_fma_f64 v[2:3], v[122:123], v[140:141], v[2:3]
	ds_load_2addr_b64 v[120:123], v1 offset0:77 offset1:78
	ds_load_2addr_b64 v[134:137], v1 offset0:79 offset1:80
	scratch_load_b128 v[138:141], off, off offset:256
	s_waitcnt lgkmcnt(1)
	v_fma_f64 v[2:3], v[124:125], v[120:121], v[2:3]
	s_waitcnt vmcnt(4)
	s_delay_alu instid0(VALU_DEP_1) | instskip(SKIP_4) | instid1(VALU_DEP_1)
	v_fma_f64 v[2:3], v[126:127], v[122:123], v[2:3]
	scratch_load_b128 v[120:123], off, off offset:272
	s_waitcnt lgkmcnt(0)
	v_fma_f64 v[2:3], v[128:129], v[134:135], v[2:3]
	s_waitcnt vmcnt(4)
	v_fma_f64 v[2:3], v[130:131], v[136:137], v[2:3]
	ds_load_2addr_b64 v[124:127], v1 offset0:81 offset1:82
	ds_load_2addr_b64 v[128:131], v1 offset0:83 offset1:84
	s_waitcnt lgkmcnt(1)
	v_fma_f64 v[2:3], v[132:133], v[124:125], v[2:3]
	scratch_load_b128 v[132:135], off, off offset:288
	s_waitcnt vmcnt(4)
	v_fma_f64 v[2:3], v[142:143], v[126:127], v[2:3]
	scratch_load_b128 v[124:127], off, off offset:304
	s_waitcnt lgkmcnt(0)
	v_fma_f64 v[2:3], v[144:145], v[128:129], v[2:3]
	s_waitcnt vmcnt(4)
	s_delay_alu instid0(VALU_DEP_1)
	v_fma_f64 v[2:3], v[116:117], v[130:131], v[2:3]
	ds_load_2addr_b64 v[128:131], v1 offset0:85 offset1:86
	ds_load_2addr_b64 v[142:145], v1 offset0:87 offset1:88
	s_waitcnt lgkmcnt(1)
	v_fma_f64 v[2:3], v[118:119], v[128:129], v[2:3]
	scratch_load_b128 v[116:119], off, off offset:320
	s_waitcnt vmcnt(4)
	v_fma_f64 v[2:3], v[138:139], v[130:131], v[2:3]
	scratch_load_b128 v[128:131], off, off offset:336
	s_waitcnt lgkmcnt(0)
	v_fma_f64 v[2:3], v[140:141], v[142:143], v[2:3]
	ds_load_2addr_b64 v[136:139], v1 offset0:89 offset1:90
	ds_load_2addr_b64 v[140:143], v1 offset0:91 offset1:92
	s_waitcnt vmcnt(4)
	v_fma_f64 v[2:3], v[120:121], v[144:145], v[2:3]
	s_waitcnt lgkmcnt(1)
	s_delay_alu instid0(VALU_DEP_1) | instskip(SKIP_4) | instid1(VALU_DEP_1)
	v_fma_f64 v[2:3], v[122:123], v[136:137], v[2:3]
	scratch_load_b128 v[120:123], off, off offset:352
	s_waitcnt vmcnt(4)
	v_fma_f64 v[2:3], v[132:133], v[138:139], v[2:3]
	s_waitcnt lgkmcnt(0)
	v_fma_f64 v[2:3], v[134:135], v[140:141], v[2:3]
	scratch_load_b128 v[132:135], off, off offset:368
	s_waitcnt vmcnt(4)
	v_fma_f64 v[2:3], v[124:125], v[142:143], v[2:3]
	ds_load_2addr_b64 v[136:139], v1 offset0:93 offset1:94
	ds_load_2addr_b64 v[140:143], v1 offset0:95 offset1:96
	s_waitcnt lgkmcnt(1)
	v_fma_f64 v[2:3], v[126:127], v[136:137], v[2:3]
	scratch_load_b128 v[124:127], off, off offset:384
	s_waitcnt vmcnt(4)
	v_fma_f64 v[2:3], v[116:117], v[138:139], v[2:3]
	s_waitcnt lgkmcnt(0)
	s_delay_alu instid0(VALU_DEP_1)
	v_fma_f64 v[2:3], v[118:119], v[140:141], v[2:3]
	scratch_load_b128 v[116:119], off, off offset:400
	s_waitcnt vmcnt(4)
	v_fma_f64 v[2:3], v[128:129], v[142:143], v[2:3]
	ds_load_2addr_b64 v[136:139], v1 offset0:97 offset1:98
	ds_load_2addr_b64 v[140:143], v1 offset0:99 offset1:100
	s_waitcnt lgkmcnt(1)
	v_fma_f64 v[2:3], v[130:131], v[136:137], v[2:3]
	scratch_load_b128 v[128:131], off, off offset:416
	s_waitcnt vmcnt(4)
	v_fma_f64 v[2:3], v[120:121], v[138:139], v[2:3]
	s_waitcnt lgkmcnt(0)
	s_delay_alu instid0(VALU_DEP_1)
	v_fma_f64 v[2:3], v[122:123], v[140:141], v[2:3]
	ds_load_2addr_b64 v[120:123], v1 offset0:101 offset1:102
	ds_load_2addr_b64 v[136:139], v1 offset0:103 offset1:104
	s_waitcnt vmcnt(3)
	v_fma_f64 v[2:3], v[132:133], v[142:143], v[2:3]
	s_waitcnt lgkmcnt(1)
	s_delay_alu instid0(VALU_DEP_1) | instskip(SKIP_1) | instid1(VALU_DEP_1)
	v_fma_f64 v[2:3], v[134:135], v[120:121], v[2:3]
	s_waitcnt vmcnt(2)
	v_fma_f64 v[2:3], v[124:125], v[122:123], v[2:3]
	s_waitcnt lgkmcnt(0)
	s_delay_alu instid0(VALU_DEP_1) | instskip(SKIP_1) | instid1(VALU_DEP_1)
	v_fma_f64 v[2:3], v[126:127], v[136:137], v[2:3]
	s_waitcnt vmcnt(1)
	v_fma_f64 v[2:3], v[116:117], v[138:139], v[2:3]
	ds_load_2addr_b64 v[120:123], v1 offset0:105 offset1:106
	ds_load_b64 v[116:117], v1 offset:856
	s_waitcnt lgkmcnt(1)
	v_fma_f64 v[2:3], v[118:119], v[120:121], v[2:3]
	s_waitcnt vmcnt(0)
	s_delay_alu instid0(VALU_DEP_1) | instskip(SKIP_1) | instid1(VALU_DEP_1)
	v_fma_f64 v[2:3], v[128:129], v[122:123], v[2:3]
	s_waitcnt lgkmcnt(0)
	v_fma_f64 v[2:3], v[130:131], v[116:117], v[2:3]
	s_delay_alu instid0(VALU_DEP_1)
	v_add_f64 v[2:3], v[114:115], -v[2:3]
	scratch_store_b64 off, v[2:3], off offset:144
	v_cmpx_lt_u32_e32 17, v0
	s_cbranch_execz .LBB117_299
; %bb.298:
	scratch_load_b64 v[3:4], off, off offset:136
	v_mov_b32_e32 v2, v1
	scratch_store_b64 off, v[1:2], off offset:136
	s_waitcnt vmcnt(0)
	ds_store_b64 v5, v[3:4]
.LBB117_299:
	s_or_b32 exec_lo, exec_lo, s0
	s_waitcnt lgkmcnt(0)
	s_waitcnt_vscnt null, 0x0
	s_barrier
	buffer_gl0_inv
	s_clause 0x4
	scratch_load_b128 v[114:117], off, off offset:136
	scratch_load_b128 v[118:121], off, off offset:152
	;; [unrolled: 1-line block ×5, first 2 shown]
	ds_load_b128 v[134:137], v1 offset:576
	ds_load_b128 v[138:141], v1 offset:592
	scratch_load_b128 v[142:145], off, off offset:216
	s_mov_b32 s0, exec_lo
	s_waitcnt vmcnt(5) lgkmcnt(1)
	v_fma_f64 v[2:3], v[116:117], v[134:135], 0
	s_waitcnt vmcnt(4)
	s_delay_alu instid0(VALU_DEP_1) | instskip(SKIP_4) | instid1(VALU_DEP_1)
	v_fma_f64 v[2:3], v[118:119], v[136:137], v[2:3]
	scratch_load_b128 v[116:119], off, off offset:232
	s_waitcnt lgkmcnt(0)
	v_fma_f64 v[2:3], v[120:121], v[138:139], v[2:3]
	s_waitcnt vmcnt(4)
	v_fma_f64 v[2:3], v[122:123], v[140:141], v[2:3]
	ds_load_b128 v[120:123], v1 offset:608
	ds_load_b128 v[134:137], v1 offset:624
	scratch_load_b128 v[138:141], off, off offset:248
	s_waitcnt lgkmcnt(1)
	v_fma_f64 v[2:3], v[124:125], v[120:121], v[2:3]
	s_waitcnt vmcnt(4)
	s_delay_alu instid0(VALU_DEP_1) | instskip(SKIP_4) | instid1(VALU_DEP_1)
	v_fma_f64 v[2:3], v[126:127], v[122:123], v[2:3]
	scratch_load_b128 v[120:123], off, off offset:264
	s_waitcnt lgkmcnt(0)
	v_fma_f64 v[2:3], v[128:129], v[134:135], v[2:3]
	s_waitcnt vmcnt(4)
	v_fma_f64 v[2:3], v[130:131], v[136:137], v[2:3]
	ds_load_b128 v[124:127], v1 offset:640
	ds_load_b128 v[128:131], v1 offset:656
	s_waitcnt lgkmcnt(1)
	v_fma_f64 v[2:3], v[132:133], v[124:125], v[2:3]
	scratch_load_b128 v[132:135], off, off offset:280
	s_waitcnt vmcnt(4)
	v_fma_f64 v[2:3], v[142:143], v[126:127], v[2:3]
	scratch_load_b128 v[124:127], off, off offset:296
	s_waitcnt lgkmcnt(0)
	v_fma_f64 v[2:3], v[144:145], v[128:129], v[2:3]
	s_waitcnt vmcnt(4)
	s_delay_alu instid0(VALU_DEP_1)
	v_fma_f64 v[2:3], v[116:117], v[130:131], v[2:3]
	ds_load_b128 v[128:131], v1 offset:672
	ds_load_b128 v[142:145], v1 offset:688
	s_waitcnt lgkmcnt(1)
	v_fma_f64 v[2:3], v[118:119], v[128:129], v[2:3]
	scratch_load_b128 v[116:119], off, off offset:312
	s_waitcnt vmcnt(4)
	v_fma_f64 v[2:3], v[138:139], v[130:131], v[2:3]
	scratch_load_b128 v[128:131], off, off offset:328
	s_waitcnt lgkmcnt(0)
	v_fma_f64 v[2:3], v[140:141], v[142:143], v[2:3]
	ds_load_b128 v[136:139], v1 offset:704
	ds_load_b128 v[140:143], v1 offset:720
	s_waitcnt vmcnt(4)
	v_fma_f64 v[2:3], v[120:121], v[144:145], v[2:3]
	s_waitcnt lgkmcnt(1)
	s_delay_alu instid0(VALU_DEP_1) | instskip(SKIP_4) | instid1(VALU_DEP_1)
	v_fma_f64 v[2:3], v[122:123], v[136:137], v[2:3]
	scratch_load_b128 v[120:123], off, off offset:344
	s_waitcnt vmcnt(4)
	v_fma_f64 v[2:3], v[132:133], v[138:139], v[2:3]
	s_waitcnt lgkmcnt(0)
	v_fma_f64 v[2:3], v[134:135], v[140:141], v[2:3]
	scratch_load_b128 v[132:135], off, off offset:360
	s_waitcnt vmcnt(4)
	v_fma_f64 v[2:3], v[124:125], v[142:143], v[2:3]
	ds_load_b128 v[136:139], v1 offset:736
	ds_load_b128 v[140:143], v1 offset:752
	s_waitcnt lgkmcnt(1)
	v_fma_f64 v[2:3], v[126:127], v[136:137], v[2:3]
	scratch_load_b128 v[124:127], off, off offset:376
	s_waitcnt vmcnt(4)
	v_fma_f64 v[2:3], v[116:117], v[138:139], v[2:3]
	s_waitcnt lgkmcnt(0)
	s_delay_alu instid0(VALU_DEP_1)
	v_fma_f64 v[2:3], v[118:119], v[140:141], v[2:3]
	scratch_load_b128 v[116:119], off, off offset:392
	s_waitcnt vmcnt(4)
	v_fma_f64 v[2:3], v[128:129], v[142:143], v[2:3]
	ds_load_b128 v[136:139], v1 offset:768
	ds_load_b128 v[140:143], v1 offset:784
	s_waitcnt lgkmcnt(1)
	v_fma_f64 v[2:3], v[130:131], v[136:137], v[2:3]
	scratch_load_b128 v[128:131], off, off offset:408
	s_waitcnt vmcnt(4)
	v_fma_f64 v[2:3], v[120:121], v[138:139], v[2:3]
	s_waitcnt lgkmcnt(0)
	s_delay_alu instid0(VALU_DEP_1)
	v_fma_f64 v[2:3], v[122:123], v[140:141], v[2:3]
	scratch_load_b64 v[140:141], off, off offset:424
	ds_load_b128 v[120:123], v1 offset:800
	ds_load_b128 v[136:139], v1 offset:816
	s_waitcnt vmcnt(4)
	v_fma_f64 v[2:3], v[132:133], v[142:143], v[2:3]
	s_waitcnt lgkmcnt(1)
	s_delay_alu instid0(VALU_DEP_1) | instskip(SKIP_1) | instid1(VALU_DEP_1)
	v_fma_f64 v[2:3], v[134:135], v[120:121], v[2:3]
	s_waitcnt vmcnt(3)
	v_fma_f64 v[2:3], v[124:125], v[122:123], v[2:3]
	s_waitcnt lgkmcnt(0)
	s_delay_alu instid0(VALU_DEP_1) | instskip(SKIP_1) | instid1(VALU_DEP_1)
	v_fma_f64 v[2:3], v[126:127], v[136:137], v[2:3]
	s_waitcnt vmcnt(2)
	v_fma_f64 v[116:117], v[116:117], v[138:139], v[2:3]
	ds_load_b128 v[120:123], v1 offset:832
	ds_load_b128 v[1:4], v1 offset:848
	s_waitcnt lgkmcnt(1)
	v_fma_f64 v[116:117], v[118:119], v[120:121], v[116:117]
	s_waitcnt vmcnt(1)
	s_delay_alu instid0(VALU_DEP_1) | instskip(SKIP_1) | instid1(VALU_DEP_1)
	v_fma_f64 v[116:117], v[128:129], v[122:123], v[116:117]
	s_waitcnt lgkmcnt(0)
	v_fma_f64 v[1:2], v[130:131], v[1:2], v[116:117]
	s_waitcnt vmcnt(0)
	s_delay_alu instid0(VALU_DEP_1) | instskip(NEXT) | instid1(VALU_DEP_1)
	v_fma_f64 v[1:2], v[140:141], v[3:4], v[1:2]
	v_add_f64 v[1:2], v[114:115], -v[1:2]
	scratch_store_b64 off, v[1:2], off offset:136
	v_cmpx_lt_u32_e32 16, v0
	s_cbranch_execz .LBB117_301
; %bb.300:
	scratch_load_b64 v[1:2], off, off offset:128
	v_mov_b32_e32 v3, 0
	s_delay_alu instid0(VALU_DEP_1)
	v_mov_b32_e32 v4, v3
	scratch_store_b64 off, v[3:4], off offset:128
	s_waitcnt vmcnt(0)
	ds_store_b64 v5, v[1:2]
.LBB117_301:
	s_or_b32 exec_lo, exec_lo, s0
	s_waitcnt lgkmcnt(0)
	s_waitcnt_vscnt null, 0x0
	s_barrier
	buffer_gl0_inv
	s_clause 0x4
	scratch_load_b128 v[114:117], off, off offset:128
	scratch_load_b128 v[118:121], off, off offset:144
	;; [unrolled: 1-line block ×5, first 2 shown]
	v_mov_b32_e32 v1, 0
	ds_load_2addr_b64 v[134:137], v1 offset0:71 offset1:72
	ds_load_2addr_b64 v[138:141], v1 offset0:73 offset1:74
	scratch_load_b128 v[142:145], off, off offset:208
	s_mov_b32 s0, exec_lo
	s_waitcnt vmcnt(5) lgkmcnt(1)
	v_fma_f64 v[2:3], v[116:117], v[134:135], 0
	s_waitcnt vmcnt(4)
	s_delay_alu instid0(VALU_DEP_1) | instskip(SKIP_4) | instid1(VALU_DEP_1)
	v_fma_f64 v[2:3], v[118:119], v[136:137], v[2:3]
	scratch_load_b128 v[116:119], off, off offset:224
	s_waitcnt lgkmcnt(0)
	v_fma_f64 v[2:3], v[120:121], v[138:139], v[2:3]
	s_waitcnt vmcnt(4)
	v_fma_f64 v[2:3], v[122:123], v[140:141], v[2:3]
	ds_load_2addr_b64 v[120:123], v1 offset0:75 offset1:76
	ds_load_2addr_b64 v[134:137], v1 offset0:77 offset1:78
	scratch_load_b128 v[138:141], off, off offset:240
	s_waitcnt lgkmcnt(1)
	v_fma_f64 v[2:3], v[124:125], v[120:121], v[2:3]
	s_waitcnt vmcnt(4)
	s_delay_alu instid0(VALU_DEP_1) | instskip(SKIP_4) | instid1(VALU_DEP_1)
	v_fma_f64 v[2:3], v[126:127], v[122:123], v[2:3]
	scratch_load_b128 v[120:123], off, off offset:256
	s_waitcnt lgkmcnt(0)
	v_fma_f64 v[2:3], v[128:129], v[134:135], v[2:3]
	s_waitcnt vmcnt(4)
	v_fma_f64 v[2:3], v[130:131], v[136:137], v[2:3]
	ds_load_2addr_b64 v[124:127], v1 offset0:79 offset1:80
	ds_load_2addr_b64 v[128:131], v1 offset0:81 offset1:82
	s_waitcnt lgkmcnt(1)
	v_fma_f64 v[2:3], v[132:133], v[124:125], v[2:3]
	scratch_load_b128 v[132:135], off, off offset:272
	s_waitcnt vmcnt(4)
	v_fma_f64 v[2:3], v[142:143], v[126:127], v[2:3]
	scratch_load_b128 v[124:127], off, off offset:288
	s_waitcnt lgkmcnt(0)
	v_fma_f64 v[2:3], v[144:145], v[128:129], v[2:3]
	s_waitcnt vmcnt(4)
	s_delay_alu instid0(VALU_DEP_1)
	v_fma_f64 v[2:3], v[116:117], v[130:131], v[2:3]
	ds_load_2addr_b64 v[128:131], v1 offset0:83 offset1:84
	ds_load_2addr_b64 v[142:145], v1 offset0:85 offset1:86
	s_waitcnt lgkmcnt(1)
	v_fma_f64 v[2:3], v[118:119], v[128:129], v[2:3]
	scratch_load_b128 v[116:119], off, off offset:304
	s_waitcnt vmcnt(4)
	v_fma_f64 v[2:3], v[138:139], v[130:131], v[2:3]
	scratch_load_b128 v[128:131], off, off offset:320
	s_waitcnt lgkmcnt(0)
	v_fma_f64 v[2:3], v[140:141], v[142:143], v[2:3]
	ds_load_2addr_b64 v[136:139], v1 offset0:87 offset1:88
	ds_load_2addr_b64 v[140:143], v1 offset0:89 offset1:90
	s_waitcnt vmcnt(4)
	v_fma_f64 v[2:3], v[120:121], v[144:145], v[2:3]
	s_waitcnt lgkmcnt(1)
	s_delay_alu instid0(VALU_DEP_1) | instskip(SKIP_4) | instid1(VALU_DEP_1)
	v_fma_f64 v[2:3], v[122:123], v[136:137], v[2:3]
	scratch_load_b128 v[120:123], off, off offset:336
	s_waitcnt vmcnt(4)
	v_fma_f64 v[2:3], v[132:133], v[138:139], v[2:3]
	s_waitcnt lgkmcnt(0)
	v_fma_f64 v[2:3], v[134:135], v[140:141], v[2:3]
	scratch_load_b128 v[132:135], off, off offset:352
	s_waitcnt vmcnt(4)
	v_fma_f64 v[2:3], v[124:125], v[142:143], v[2:3]
	ds_load_2addr_b64 v[136:139], v1 offset0:91 offset1:92
	ds_load_2addr_b64 v[140:143], v1 offset0:93 offset1:94
	s_waitcnt lgkmcnt(1)
	v_fma_f64 v[2:3], v[126:127], v[136:137], v[2:3]
	scratch_load_b128 v[124:127], off, off offset:368
	s_waitcnt vmcnt(4)
	v_fma_f64 v[2:3], v[116:117], v[138:139], v[2:3]
	s_waitcnt lgkmcnt(0)
	s_delay_alu instid0(VALU_DEP_1)
	v_fma_f64 v[2:3], v[118:119], v[140:141], v[2:3]
	scratch_load_b128 v[116:119], off, off offset:384
	s_waitcnt vmcnt(4)
	v_fma_f64 v[2:3], v[128:129], v[142:143], v[2:3]
	ds_load_2addr_b64 v[136:139], v1 offset0:95 offset1:96
	ds_load_2addr_b64 v[140:143], v1 offset0:97 offset1:98
	s_waitcnt lgkmcnt(1)
	v_fma_f64 v[2:3], v[130:131], v[136:137], v[2:3]
	scratch_load_b128 v[128:131], off, off offset:400
	s_waitcnt vmcnt(4)
	v_fma_f64 v[2:3], v[120:121], v[138:139], v[2:3]
	s_waitcnt lgkmcnt(0)
	s_delay_alu instid0(VALU_DEP_1)
	v_fma_f64 v[2:3], v[122:123], v[140:141], v[2:3]
	scratch_load_b128 v[120:123], off, off offset:416
	s_waitcnt vmcnt(4)
	v_fma_f64 v[2:3], v[132:133], v[142:143], v[2:3]
	ds_load_2addr_b64 v[136:139], v1 offset0:99 offset1:100
	ds_load_2addr_b64 v[140:143], v1 offset0:101 offset1:102
	s_waitcnt lgkmcnt(1)
	v_fma_f64 v[2:3], v[134:135], v[136:137], v[2:3]
	s_waitcnt vmcnt(3)
	s_delay_alu instid0(VALU_DEP_1) | instskip(SKIP_1) | instid1(VALU_DEP_1)
	v_fma_f64 v[2:3], v[124:125], v[138:139], v[2:3]
	s_waitcnt lgkmcnt(0)
	v_fma_f64 v[2:3], v[126:127], v[140:141], v[2:3]
	ds_load_2addr_b64 v[124:127], v1 offset0:103 offset1:104
	ds_load_2addr_b64 v[132:135], v1 offset0:105 offset1:106
	s_waitcnt vmcnt(2)
	v_fma_f64 v[2:3], v[116:117], v[142:143], v[2:3]
	ds_load_b64 v[116:117], v1 offset:856
	s_waitcnt lgkmcnt(2)
	v_fma_f64 v[2:3], v[118:119], v[124:125], v[2:3]
	s_waitcnt vmcnt(1)
	s_delay_alu instid0(VALU_DEP_1) | instskip(SKIP_1) | instid1(VALU_DEP_1)
	v_fma_f64 v[2:3], v[128:129], v[126:127], v[2:3]
	s_waitcnt lgkmcnt(1)
	v_fma_f64 v[2:3], v[130:131], v[132:133], v[2:3]
	s_waitcnt vmcnt(0)
	s_delay_alu instid0(VALU_DEP_1) | instskip(SKIP_1) | instid1(VALU_DEP_1)
	v_fma_f64 v[2:3], v[120:121], v[134:135], v[2:3]
	s_waitcnt lgkmcnt(0)
	v_fma_f64 v[2:3], v[122:123], v[116:117], v[2:3]
	s_delay_alu instid0(VALU_DEP_1)
	v_add_f64 v[2:3], v[114:115], -v[2:3]
	scratch_store_b64 off, v[2:3], off offset:128
	v_cmpx_lt_u32_e32 15, v0
	s_cbranch_execz .LBB117_303
; %bb.302:
	scratch_load_b64 v[3:4], off, off offset:120
	v_mov_b32_e32 v2, v1
	scratch_store_b64 off, v[1:2], off offset:120
	s_waitcnt vmcnt(0)
	ds_store_b64 v5, v[3:4]
.LBB117_303:
	s_or_b32 exec_lo, exec_lo, s0
	s_waitcnt lgkmcnt(0)
	s_waitcnt_vscnt null, 0x0
	s_barrier
	buffer_gl0_inv
	s_clause 0x4
	scratch_load_b128 v[114:117], off, off offset:120
	scratch_load_b128 v[118:121], off, off offset:136
	;; [unrolled: 1-line block ×5, first 2 shown]
	ds_load_b128 v[134:137], v1 offset:560
	ds_load_b128 v[138:141], v1 offset:576
	scratch_load_b128 v[142:145], off, off offset:200
	s_mov_b32 s0, exec_lo
	s_waitcnt vmcnt(5) lgkmcnt(1)
	v_fma_f64 v[2:3], v[116:117], v[134:135], 0
	s_waitcnt vmcnt(4)
	s_delay_alu instid0(VALU_DEP_1) | instskip(SKIP_4) | instid1(VALU_DEP_1)
	v_fma_f64 v[2:3], v[118:119], v[136:137], v[2:3]
	scratch_load_b128 v[116:119], off, off offset:216
	s_waitcnt lgkmcnt(0)
	v_fma_f64 v[2:3], v[120:121], v[138:139], v[2:3]
	s_waitcnt vmcnt(4)
	v_fma_f64 v[2:3], v[122:123], v[140:141], v[2:3]
	ds_load_b128 v[120:123], v1 offset:592
	ds_load_b128 v[134:137], v1 offset:608
	scratch_load_b128 v[138:141], off, off offset:232
	s_waitcnt lgkmcnt(1)
	v_fma_f64 v[2:3], v[124:125], v[120:121], v[2:3]
	s_waitcnt vmcnt(4)
	s_delay_alu instid0(VALU_DEP_1) | instskip(SKIP_4) | instid1(VALU_DEP_1)
	v_fma_f64 v[2:3], v[126:127], v[122:123], v[2:3]
	scratch_load_b128 v[120:123], off, off offset:248
	s_waitcnt lgkmcnt(0)
	v_fma_f64 v[2:3], v[128:129], v[134:135], v[2:3]
	s_waitcnt vmcnt(4)
	v_fma_f64 v[2:3], v[130:131], v[136:137], v[2:3]
	ds_load_b128 v[124:127], v1 offset:624
	ds_load_b128 v[128:131], v1 offset:640
	s_waitcnt lgkmcnt(1)
	v_fma_f64 v[2:3], v[132:133], v[124:125], v[2:3]
	scratch_load_b128 v[132:135], off, off offset:264
	s_waitcnt vmcnt(4)
	v_fma_f64 v[2:3], v[142:143], v[126:127], v[2:3]
	scratch_load_b128 v[124:127], off, off offset:280
	s_waitcnt lgkmcnt(0)
	v_fma_f64 v[2:3], v[144:145], v[128:129], v[2:3]
	s_waitcnt vmcnt(4)
	s_delay_alu instid0(VALU_DEP_1)
	v_fma_f64 v[2:3], v[116:117], v[130:131], v[2:3]
	ds_load_b128 v[128:131], v1 offset:656
	ds_load_b128 v[142:145], v1 offset:672
	s_waitcnt lgkmcnt(1)
	v_fma_f64 v[2:3], v[118:119], v[128:129], v[2:3]
	scratch_load_b128 v[116:119], off, off offset:296
	s_waitcnt vmcnt(4)
	v_fma_f64 v[2:3], v[138:139], v[130:131], v[2:3]
	scratch_load_b128 v[128:131], off, off offset:312
	s_waitcnt lgkmcnt(0)
	v_fma_f64 v[2:3], v[140:141], v[142:143], v[2:3]
	ds_load_b128 v[136:139], v1 offset:688
	ds_load_b128 v[140:143], v1 offset:704
	s_waitcnt vmcnt(4)
	v_fma_f64 v[2:3], v[120:121], v[144:145], v[2:3]
	s_waitcnt lgkmcnt(1)
	s_delay_alu instid0(VALU_DEP_1) | instskip(SKIP_4) | instid1(VALU_DEP_1)
	v_fma_f64 v[2:3], v[122:123], v[136:137], v[2:3]
	scratch_load_b128 v[120:123], off, off offset:328
	s_waitcnt vmcnt(4)
	v_fma_f64 v[2:3], v[132:133], v[138:139], v[2:3]
	s_waitcnt lgkmcnt(0)
	v_fma_f64 v[2:3], v[134:135], v[140:141], v[2:3]
	scratch_load_b128 v[132:135], off, off offset:344
	s_waitcnt vmcnt(4)
	v_fma_f64 v[2:3], v[124:125], v[142:143], v[2:3]
	ds_load_b128 v[136:139], v1 offset:720
	ds_load_b128 v[140:143], v1 offset:736
	s_waitcnt lgkmcnt(1)
	v_fma_f64 v[2:3], v[126:127], v[136:137], v[2:3]
	scratch_load_b128 v[124:127], off, off offset:360
	s_waitcnt vmcnt(4)
	v_fma_f64 v[2:3], v[116:117], v[138:139], v[2:3]
	s_waitcnt lgkmcnt(0)
	s_delay_alu instid0(VALU_DEP_1)
	v_fma_f64 v[2:3], v[118:119], v[140:141], v[2:3]
	scratch_load_b128 v[116:119], off, off offset:376
	s_waitcnt vmcnt(4)
	v_fma_f64 v[2:3], v[128:129], v[142:143], v[2:3]
	ds_load_b128 v[136:139], v1 offset:752
	ds_load_b128 v[140:143], v1 offset:768
	s_waitcnt lgkmcnt(1)
	v_fma_f64 v[2:3], v[130:131], v[136:137], v[2:3]
	scratch_load_b128 v[128:131], off, off offset:392
	s_waitcnt vmcnt(4)
	v_fma_f64 v[2:3], v[120:121], v[138:139], v[2:3]
	s_waitcnt lgkmcnt(0)
	s_delay_alu instid0(VALU_DEP_1)
	v_fma_f64 v[2:3], v[122:123], v[140:141], v[2:3]
	scratch_load_b128 v[120:123], off, off offset:408
	s_waitcnt vmcnt(4)
	v_fma_f64 v[2:3], v[132:133], v[142:143], v[2:3]
	ds_load_b128 v[136:139], v1 offset:784
	ds_load_b128 v[140:143], v1 offset:800
	s_waitcnt lgkmcnt(1)
	v_fma_f64 v[2:3], v[134:135], v[136:137], v[2:3]
	scratch_load_b64 v[136:137], off, off offset:424
	s_waitcnt vmcnt(4)
	v_fma_f64 v[2:3], v[124:125], v[138:139], v[2:3]
	s_waitcnt lgkmcnt(0)
	s_delay_alu instid0(VALU_DEP_1)
	v_fma_f64 v[2:3], v[126:127], v[140:141], v[2:3]
	ds_load_b128 v[124:127], v1 offset:816
	ds_load_b128 v[132:135], v1 offset:832
	s_waitcnt vmcnt(3)
	v_fma_f64 v[2:3], v[116:117], v[142:143], v[2:3]
	s_waitcnt lgkmcnt(1)
	s_delay_alu instid0(VALU_DEP_1) | instskip(SKIP_1) | instid1(VALU_DEP_1)
	v_fma_f64 v[2:3], v[118:119], v[124:125], v[2:3]
	s_waitcnt vmcnt(2)
	v_fma_f64 v[2:3], v[128:129], v[126:127], v[2:3]
	s_waitcnt lgkmcnt(0)
	s_delay_alu instid0(VALU_DEP_1) | instskip(SKIP_1) | instid1(VALU_DEP_1)
	v_fma_f64 v[2:3], v[130:131], v[132:133], v[2:3]
	s_waitcnt vmcnt(1)
	v_fma_f64 v[116:117], v[120:121], v[134:135], v[2:3]
	ds_load_b128 v[1:4], v1 offset:848
	s_waitcnt lgkmcnt(0)
	v_fma_f64 v[1:2], v[122:123], v[1:2], v[116:117]
	s_waitcnt vmcnt(0)
	s_delay_alu instid0(VALU_DEP_1) | instskip(NEXT) | instid1(VALU_DEP_1)
	v_fma_f64 v[1:2], v[136:137], v[3:4], v[1:2]
	v_add_f64 v[1:2], v[114:115], -v[1:2]
	scratch_store_b64 off, v[1:2], off offset:120
	v_cmpx_lt_u32_e32 14, v0
	s_cbranch_execz .LBB117_305
; %bb.304:
	scratch_load_b64 v[1:2], off, off offset:112
	v_mov_b32_e32 v3, 0
	s_delay_alu instid0(VALU_DEP_1)
	v_mov_b32_e32 v4, v3
	scratch_store_b64 off, v[3:4], off offset:112
	s_waitcnt vmcnt(0)
	ds_store_b64 v5, v[1:2]
.LBB117_305:
	s_or_b32 exec_lo, exec_lo, s0
	s_waitcnt lgkmcnt(0)
	s_waitcnt_vscnt null, 0x0
	s_barrier
	buffer_gl0_inv
	s_clause 0x4
	scratch_load_b128 v[114:117], off, off offset:112
	scratch_load_b128 v[118:121], off, off offset:128
	;; [unrolled: 1-line block ×5, first 2 shown]
	v_mov_b32_e32 v1, 0
	ds_load_2addr_b64 v[134:137], v1 offset0:69 offset1:70
	ds_load_2addr_b64 v[138:141], v1 offset0:71 offset1:72
	scratch_load_b128 v[142:145], off, off offset:192
	s_mov_b32 s0, exec_lo
	s_waitcnt vmcnt(5) lgkmcnt(1)
	v_fma_f64 v[2:3], v[116:117], v[134:135], 0
	s_waitcnt vmcnt(4)
	s_delay_alu instid0(VALU_DEP_1) | instskip(SKIP_4) | instid1(VALU_DEP_1)
	v_fma_f64 v[2:3], v[118:119], v[136:137], v[2:3]
	scratch_load_b128 v[116:119], off, off offset:208
	s_waitcnt lgkmcnt(0)
	v_fma_f64 v[2:3], v[120:121], v[138:139], v[2:3]
	s_waitcnt vmcnt(4)
	v_fma_f64 v[2:3], v[122:123], v[140:141], v[2:3]
	ds_load_2addr_b64 v[120:123], v1 offset0:73 offset1:74
	ds_load_2addr_b64 v[134:137], v1 offset0:75 offset1:76
	scratch_load_b128 v[138:141], off, off offset:224
	s_waitcnt lgkmcnt(1)
	v_fma_f64 v[2:3], v[124:125], v[120:121], v[2:3]
	s_waitcnt vmcnt(4)
	s_delay_alu instid0(VALU_DEP_1) | instskip(SKIP_4) | instid1(VALU_DEP_1)
	v_fma_f64 v[2:3], v[126:127], v[122:123], v[2:3]
	scratch_load_b128 v[120:123], off, off offset:240
	s_waitcnt lgkmcnt(0)
	v_fma_f64 v[2:3], v[128:129], v[134:135], v[2:3]
	s_waitcnt vmcnt(4)
	v_fma_f64 v[2:3], v[130:131], v[136:137], v[2:3]
	ds_load_2addr_b64 v[124:127], v1 offset0:77 offset1:78
	ds_load_2addr_b64 v[128:131], v1 offset0:79 offset1:80
	s_waitcnt lgkmcnt(1)
	v_fma_f64 v[2:3], v[132:133], v[124:125], v[2:3]
	scratch_load_b128 v[132:135], off, off offset:256
	s_waitcnt vmcnt(4)
	v_fma_f64 v[2:3], v[142:143], v[126:127], v[2:3]
	scratch_load_b128 v[124:127], off, off offset:272
	s_waitcnt lgkmcnt(0)
	v_fma_f64 v[2:3], v[144:145], v[128:129], v[2:3]
	s_waitcnt vmcnt(4)
	s_delay_alu instid0(VALU_DEP_1)
	v_fma_f64 v[2:3], v[116:117], v[130:131], v[2:3]
	ds_load_2addr_b64 v[128:131], v1 offset0:81 offset1:82
	ds_load_2addr_b64 v[142:145], v1 offset0:83 offset1:84
	s_waitcnt lgkmcnt(1)
	v_fma_f64 v[2:3], v[118:119], v[128:129], v[2:3]
	scratch_load_b128 v[116:119], off, off offset:288
	s_waitcnt vmcnt(4)
	v_fma_f64 v[2:3], v[138:139], v[130:131], v[2:3]
	scratch_load_b128 v[128:131], off, off offset:304
	s_waitcnt lgkmcnt(0)
	v_fma_f64 v[2:3], v[140:141], v[142:143], v[2:3]
	ds_load_2addr_b64 v[136:139], v1 offset0:85 offset1:86
	ds_load_2addr_b64 v[140:143], v1 offset0:87 offset1:88
	s_waitcnt vmcnt(4)
	v_fma_f64 v[2:3], v[120:121], v[144:145], v[2:3]
	s_waitcnt lgkmcnt(1)
	s_delay_alu instid0(VALU_DEP_1) | instskip(SKIP_4) | instid1(VALU_DEP_1)
	v_fma_f64 v[2:3], v[122:123], v[136:137], v[2:3]
	scratch_load_b128 v[120:123], off, off offset:320
	s_waitcnt vmcnt(4)
	v_fma_f64 v[2:3], v[132:133], v[138:139], v[2:3]
	s_waitcnt lgkmcnt(0)
	v_fma_f64 v[2:3], v[134:135], v[140:141], v[2:3]
	scratch_load_b128 v[132:135], off, off offset:336
	s_waitcnt vmcnt(4)
	v_fma_f64 v[2:3], v[124:125], v[142:143], v[2:3]
	ds_load_2addr_b64 v[136:139], v1 offset0:89 offset1:90
	ds_load_2addr_b64 v[140:143], v1 offset0:91 offset1:92
	s_waitcnt lgkmcnt(1)
	v_fma_f64 v[2:3], v[126:127], v[136:137], v[2:3]
	scratch_load_b128 v[124:127], off, off offset:352
	s_waitcnt vmcnt(4)
	v_fma_f64 v[2:3], v[116:117], v[138:139], v[2:3]
	s_waitcnt lgkmcnt(0)
	s_delay_alu instid0(VALU_DEP_1)
	v_fma_f64 v[2:3], v[118:119], v[140:141], v[2:3]
	scratch_load_b128 v[116:119], off, off offset:368
	s_waitcnt vmcnt(4)
	v_fma_f64 v[2:3], v[128:129], v[142:143], v[2:3]
	ds_load_2addr_b64 v[136:139], v1 offset0:93 offset1:94
	ds_load_2addr_b64 v[140:143], v1 offset0:95 offset1:96
	s_waitcnt lgkmcnt(1)
	v_fma_f64 v[2:3], v[130:131], v[136:137], v[2:3]
	scratch_load_b128 v[128:131], off, off offset:384
	s_waitcnt vmcnt(4)
	v_fma_f64 v[2:3], v[120:121], v[138:139], v[2:3]
	s_waitcnt lgkmcnt(0)
	s_delay_alu instid0(VALU_DEP_1)
	;; [unrolled: 13-line block ×3, first 2 shown]
	v_fma_f64 v[2:3], v[126:127], v[140:141], v[2:3]
	ds_load_2addr_b64 v[124:127], v1 offset0:101 offset1:102
	ds_load_2addr_b64 v[136:139], v1 offset0:103 offset1:104
	s_waitcnt vmcnt(3)
	v_fma_f64 v[2:3], v[116:117], v[142:143], v[2:3]
	s_waitcnt lgkmcnt(1)
	s_delay_alu instid0(VALU_DEP_1) | instskip(SKIP_1) | instid1(VALU_DEP_1)
	v_fma_f64 v[2:3], v[118:119], v[124:125], v[2:3]
	s_waitcnt vmcnt(2)
	v_fma_f64 v[2:3], v[128:129], v[126:127], v[2:3]
	s_waitcnt lgkmcnt(0)
	s_delay_alu instid0(VALU_DEP_1) | instskip(SKIP_1) | instid1(VALU_DEP_1)
	v_fma_f64 v[2:3], v[130:131], v[136:137], v[2:3]
	s_waitcnt vmcnt(1)
	v_fma_f64 v[2:3], v[120:121], v[138:139], v[2:3]
	ds_load_2addr_b64 v[116:119], v1 offset0:105 offset1:106
	ds_load_b64 v[120:121], v1 offset:856
	s_waitcnt lgkmcnt(1)
	v_fma_f64 v[2:3], v[122:123], v[116:117], v[2:3]
	s_waitcnt vmcnt(0)
	s_delay_alu instid0(VALU_DEP_1) | instskip(SKIP_1) | instid1(VALU_DEP_1)
	v_fma_f64 v[2:3], v[132:133], v[118:119], v[2:3]
	s_waitcnt lgkmcnt(0)
	v_fma_f64 v[2:3], v[134:135], v[120:121], v[2:3]
	s_delay_alu instid0(VALU_DEP_1)
	v_add_f64 v[2:3], v[114:115], -v[2:3]
	scratch_store_b64 off, v[2:3], off offset:112
	v_cmpx_lt_u32_e32 13, v0
	s_cbranch_execz .LBB117_307
; %bb.306:
	scratch_load_b64 v[3:4], off, off offset:104
	v_mov_b32_e32 v2, v1
	scratch_store_b64 off, v[1:2], off offset:104
	s_waitcnt vmcnt(0)
	ds_store_b64 v5, v[3:4]
.LBB117_307:
	s_or_b32 exec_lo, exec_lo, s0
	s_waitcnt lgkmcnt(0)
	s_waitcnt_vscnt null, 0x0
	s_barrier
	buffer_gl0_inv
	s_clause 0x4
	scratch_load_b128 v[114:117], off, off offset:104
	scratch_load_b128 v[118:121], off, off offset:120
	;; [unrolled: 1-line block ×5, first 2 shown]
	ds_load_b128 v[134:137], v1 offset:544
	ds_load_b128 v[138:141], v1 offset:560
	scratch_load_b128 v[142:145], off, off offset:184
	s_mov_b32 s0, exec_lo
	s_waitcnt vmcnt(5) lgkmcnt(1)
	v_fma_f64 v[2:3], v[116:117], v[134:135], 0
	s_waitcnt vmcnt(4)
	s_delay_alu instid0(VALU_DEP_1) | instskip(SKIP_4) | instid1(VALU_DEP_1)
	v_fma_f64 v[2:3], v[118:119], v[136:137], v[2:3]
	scratch_load_b128 v[116:119], off, off offset:200
	s_waitcnt lgkmcnt(0)
	v_fma_f64 v[2:3], v[120:121], v[138:139], v[2:3]
	s_waitcnt vmcnt(4)
	v_fma_f64 v[2:3], v[122:123], v[140:141], v[2:3]
	ds_load_b128 v[120:123], v1 offset:576
	ds_load_b128 v[134:137], v1 offset:592
	scratch_load_b128 v[138:141], off, off offset:216
	s_waitcnt lgkmcnt(1)
	v_fma_f64 v[2:3], v[124:125], v[120:121], v[2:3]
	s_waitcnt vmcnt(4)
	s_delay_alu instid0(VALU_DEP_1) | instskip(SKIP_4) | instid1(VALU_DEP_1)
	v_fma_f64 v[2:3], v[126:127], v[122:123], v[2:3]
	scratch_load_b128 v[120:123], off, off offset:232
	s_waitcnt lgkmcnt(0)
	v_fma_f64 v[2:3], v[128:129], v[134:135], v[2:3]
	s_waitcnt vmcnt(4)
	v_fma_f64 v[2:3], v[130:131], v[136:137], v[2:3]
	ds_load_b128 v[124:127], v1 offset:608
	ds_load_b128 v[128:131], v1 offset:624
	s_waitcnt lgkmcnt(1)
	v_fma_f64 v[2:3], v[132:133], v[124:125], v[2:3]
	scratch_load_b128 v[132:135], off, off offset:248
	s_waitcnt vmcnt(4)
	v_fma_f64 v[2:3], v[142:143], v[126:127], v[2:3]
	scratch_load_b128 v[124:127], off, off offset:264
	s_waitcnt lgkmcnt(0)
	v_fma_f64 v[2:3], v[144:145], v[128:129], v[2:3]
	s_waitcnt vmcnt(4)
	s_delay_alu instid0(VALU_DEP_1)
	v_fma_f64 v[2:3], v[116:117], v[130:131], v[2:3]
	ds_load_b128 v[128:131], v1 offset:640
	ds_load_b128 v[142:145], v1 offset:656
	s_waitcnt lgkmcnt(1)
	v_fma_f64 v[2:3], v[118:119], v[128:129], v[2:3]
	scratch_load_b128 v[116:119], off, off offset:280
	s_waitcnt vmcnt(4)
	v_fma_f64 v[2:3], v[138:139], v[130:131], v[2:3]
	scratch_load_b128 v[128:131], off, off offset:296
	s_waitcnt lgkmcnt(0)
	v_fma_f64 v[2:3], v[140:141], v[142:143], v[2:3]
	ds_load_b128 v[136:139], v1 offset:672
	ds_load_b128 v[140:143], v1 offset:688
	s_waitcnt vmcnt(4)
	v_fma_f64 v[2:3], v[120:121], v[144:145], v[2:3]
	s_waitcnt lgkmcnt(1)
	s_delay_alu instid0(VALU_DEP_1) | instskip(SKIP_4) | instid1(VALU_DEP_1)
	v_fma_f64 v[2:3], v[122:123], v[136:137], v[2:3]
	scratch_load_b128 v[120:123], off, off offset:312
	s_waitcnt vmcnt(4)
	v_fma_f64 v[2:3], v[132:133], v[138:139], v[2:3]
	s_waitcnt lgkmcnt(0)
	v_fma_f64 v[2:3], v[134:135], v[140:141], v[2:3]
	scratch_load_b128 v[132:135], off, off offset:328
	s_waitcnt vmcnt(4)
	v_fma_f64 v[2:3], v[124:125], v[142:143], v[2:3]
	ds_load_b128 v[136:139], v1 offset:704
	ds_load_b128 v[140:143], v1 offset:720
	s_waitcnt lgkmcnt(1)
	v_fma_f64 v[2:3], v[126:127], v[136:137], v[2:3]
	scratch_load_b128 v[124:127], off, off offset:344
	s_waitcnt vmcnt(4)
	v_fma_f64 v[2:3], v[116:117], v[138:139], v[2:3]
	s_waitcnt lgkmcnt(0)
	s_delay_alu instid0(VALU_DEP_1)
	v_fma_f64 v[2:3], v[118:119], v[140:141], v[2:3]
	scratch_load_b128 v[116:119], off, off offset:360
	s_waitcnt vmcnt(4)
	v_fma_f64 v[2:3], v[128:129], v[142:143], v[2:3]
	ds_load_b128 v[136:139], v1 offset:736
	ds_load_b128 v[140:143], v1 offset:752
	s_waitcnt lgkmcnt(1)
	v_fma_f64 v[2:3], v[130:131], v[136:137], v[2:3]
	scratch_load_b128 v[128:131], off, off offset:376
	s_waitcnt vmcnt(4)
	v_fma_f64 v[2:3], v[120:121], v[138:139], v[2:3]
	s_waitcnt lgkmcnt(0)
	s_delay_alu instid0(VALU_DEP_1)
	;; [unrolled: 13-line block ×3, first 2 shown]
	v_fma_f64 v[2:3], v[126:127], v[140:141], v[2:3]
	scratch_load_b64 v[140:141], off, off offset:424
	ds_load_b128 v[124:127], v1 offset:800
	ds_load_b128 v[136:139], v1 offset:816
	s_waitcnt vmcnt(4)
	v_fma_f64 v[2:3], v[116:117], v[142:143], v[2:3]
	s_waitcnt lgkmcnt(1)
	s_delay_alu instid0(VALU_DEP_1) | instskip(SKIP_1) | instid1(VALU_DEP_1)
	v_fma_f64 v[2:3], v[118:119], v[124:125], v[2:3]
	s_waitcnt vmcnt(3)
	v_fma_f64 v[2:3], v[128:129], v[126:127], v[2:3]
	s_waitcnt lgkmcnt(0)
	s_delay_alu instid0(VALU_DEP_1) | instskip(SKIP_1) | instid1(VALU_DEP_1)
	v_fma_f64 v[2:3], v[130:131], v[136:137], v[2:3]
	s_waitcnt vmcnt(2)
	v_fma_f64 v[120:121], v[120:121], v[138:139], v[2:3]
	ds_load_b128 v[116:119], v1 offset:832
	ds_load_b128 v[1:4], v1 offset:848
	s_waitcnt lgkmcnt(1)
	v_fma_f64 v[116:117], v[122:123], v[116:117], v[120:121]
	s_waitcnt vmcnt(1)
	s_delay_alu instid0(VALU_DEP_1) | instskip(SKIP_1) | instid1(VALU_DEP_1)
	v_fma_f64 v[116:117], v[132:133], v[118:119], v[116:117]
	s_waitcnt lgkmcnt(0)
	v_fma_f64 v[1:2], v[134:135], v[1:2], v[116:117]
	s_waitcnt vmcnt(0)
	s_delay_alu instid0(VALU_DEP_1) | instskip(NEXT) | instid1(VALU_DEP_1)
	v_fma_f64 v[1:2], v[140:141], v[3:4], v[1:2]
	v_add_f64 v[1:2], v[114:115], -v[1:2]
	scratch_store_b64 off, v[1:2], off offset:104
	v_cmpx_lt_u32_e32 12, v0
	s_cbranch_execz .LBB117_309
; %bb.308:
	scratch_load_b64 v[1:2], off, off offset:96
	v_mov_b32_e32 v3, 0
	s_delay_alu instid0(VALU_DEP_1)
	v_mov_b32_e32 v4, v3
	scratch_store_b64 off, v[3:4], off offset:96
	s_waitcnt vmcnt(0)
	ds_store_b64 v5, v[1:2]
.LBB117_309:
	s_or_b32 exec_lo, exec_lo, s0
	s_waitcnt lgkmcnt(0)
	s_waitcnt_vscnt null, 0x0
	s_barrier
	buffer_gl0_inv
	s_clause 0x4
	scratch_load_b128 v[114:117], off, off offset:96
	scratch_load_b128 v[118:121], off, off offset:112
	;; [unrolled: 1-line block ×5, first 2 shown]
	v_mov_b32_e32 v1, 0
	ds_load_2addr_b64 v[134:137], v1 offset0:67 offset1:68
	ds_load_2addr_b64 v[138:141], v1 offset0:69 offset1:70
	scratch_load_b128 v[142:145], off, off offset:176
	s_mov_b32 s0, exec_lo
	s_waitcnt vmcnt(5) lgkmcnt(1)
	v_fma_f64 v[2:3], v[116:117], v[134:135], 0
	s_waitcnt vmcnt(4)
	s_delay_alu instid0(VALU_DEP_1) | instskip(SKIP_4) | instid1(VALU_DEP_1)
	v_fma_f64 v[2:3], v[118:119], v[136:137], v[2:3]
	scratch_load_b128 v[116:119], off, off offset:192
	s_waitcnt lgkmcnt(0)
	v_fma_f64 v[2:3], v[120:121], v[138:139], v[2:3]
	s_waitcnt vmcnt(4)
	v_fma_f64 v[2:3], v[122:123], v[140:141], v[2:3]
	ds_load_2addr_b64 v[120:123], v1 offset0:71 offset1:72
	ds_load_2addr_b64 v[134:137], v1 offset0:73 offset1:74
	scratch_load_b128 v[138:141], off, off offset:208
	s_waitcnt lgkmcnt(1)
	v_fma_f64 v[2:3], v[124:125], v[120:121], v[2:3]
	s_waitcnt vmcnt(4)
	s_delay_alu instid0(VALU_DEP_1) | instskip(SKIP_4) | instid1(VALU_DEP_1)
	v_fma_f64 v[2:3], v[126:127], v[122:123], v[2:3]
	scratch_load_b128 v[120:123], off, off offset:224
	s_waitcnt lgkmcnt(0)
	v_fma_f64 v[2:3], v[128:129], v[134:135], v[2:3]
	s_waitcnt vmcnt(4)
	v_fma_f64 v[2:3], v[130:131], v[136:137], v[2:3]
	ds_load_2addr_b64 v[124:127], v1 offset0:75 offset1:76
	ds_load_2addr_b64 v[128:131], v1 offset0:77 offset1:78
	s_waitcnt lgkmcnt(1)
	v_fma_f64 v[2:3], v[132:133], v[124:125], v[2:3]
	scratch_load_b128 v[132:135], off, off offset:240
	s_waitcnt vmcnt(4)
	v_fma_f64 v[2:3], v[142:143], v[126:127], v[2:3]
	scratch_load_b128 v[124:127], off, off offset:256
	s_waitcnt lgkmcnt(0)
	v_fma_f64 v[2:3], v[144:145], v[128:129], v[2:3]
	s_waitcnt vmcnt(4)
	s_delay_alu instid0(VALU_DEP_1)
	v_fma_f64 v[2:3], v[116:117], v[130:131], v[2:3]
	ds_load_2addr_b64 v[128:131], v1 offset0:79 offset1:80
	ds_load_2addr_b64 v[142:145], v1 offset0:81 offset1:82
	s_waitcnt lgkmcnt(1)
	v_fma_f64 v[2:3], v[118:119], v[128:129], v[2:3]
	scratch_load_b128 v[116:119], off, off offset:272
	s_waitcnt vmcnt(4)
	v_fma_f64 v[2:3], v[138:139], v[130:131], v[2:3]
	scratch_load_b128 v[128:131], off, off offset:288
	s_waitcnt lgkmcnt(0)
	v_fma_f64 v[2:3], v[140:141], v[142:143], v[2:3]
	ds_load_2addr_b64 v[136:139], v1 offset0:83 offset1:84
	ds_load_2addr_b64 v[140:143], v1 offset0:85 offset1:86
	s_waitcnt vmcnt(4)
	v_fma_f64 v[2:3], v[120:121], v[144:145], v[2:3]
	s_waitcnt lgkmcnt(1)
	s_delay_alu instid0(VALU_DEP_1) | instskip(SKIP_4) | instid1(VALU_DEP_1)
	v_fma_f64 v[2:3], v[122:123], v[136:137], v[2:3]
	scratch_load_b128 v[120:123], off, off offset:304
	s_waitcnt vmcnt(4)
	v_fma_f64 v[2:3], v[132:133], v[138:139], v[2:3]
	s_waitcnt lgkmcnt(0)
	v_fma_f64 v[2:3], v[134:135], v[140:141], v[2:3]
	scratch_load_b128 v[132:135], off, off offset:320
	s_waitcnt vmcnt(4)
	v_fma_f64 v[2:3], v[124:125], v[142:143], v[2:3]
	ds_load_2addr_b64 v[136:139], v1 offset0:87 offset1:88
	ds_load_2addr_b64 v[140:143], v1 offset0:89 offset1:90
	s_waitcnt lgkmcnt(1)
	v_fma_f64 v[2:3], v[126:127], v[136:137], v[2:3]
	scratch_load_b128 v[124:127], off, off offset:336
	s_waitcnt vmcnt(4)
	v_fma_f64 v[2:3], v[116:117], v[138:139], v[2:3]
	s_waitcnt lgkmcnt(0)
	s_delay_alu instid0(VALU_DEP_1)
	v_fma_f64 v[2:3], v[118:119], v[140:141], v[2:3]
	scratch_load_b128 v[116:119], off, off offset:352
	s_waitcnt vmcnt(4)
	v_fma_f64 v[2:3], v[128:129], v[142:143], v[2:3]
	ds_load_2addr_b64 v[136:139], v1 offset0:91 offset1:92
	ds_load_2addr_b64 v[140:143], v1 offset0:93 offset1:94
	s_waitcnt lgkmcnt(1)
	v_fma_f64 v[2:3], v[130:131], v[136:137], v[2:3]
	scratch_load_b128 v[128:131], off, off offset:368
	s_waitcnt vmcnt(4)
	v_fma_f64 v[2:3], v[120:121], v[138:139], v[2:3]
	s_waitcnt lgkmcnt(0)
	s_delay_alu instid0(VALU_DEP_1)
	;; [unrolled: 13-line block ×3, first 2 shown]
	v_fma_f64 v[2:3], v[126:127], v[140:141], v[2:3]
	scratch_load_b128 v[124:127], off, off offset:416
	s_waitcnt vmcnt(4)
	v_fma_f64 v[2:3], v[116:117], v[142:143], v[2:3]
	ds_load_2addr_b64 v[136:139], v1 offset0:99 offset1:100
	ds_load_2addr_b64 v[140:143], v1 offset0:101 offset1:102
	s_waitcnt lgkmcnt(1)
	v_fma_f64 v[2:3], v[118:119], v[136:137], v[2:3]
	s_waitcnt vmcnt(3)
	s_delay_alu instid0(VALU_DEP_1) | instskip(SKIP_1) | instid1(VALU_DEP_1)
	v_fma_f64 v[2:3], v[128:129], v[138:139], v[2:3]
	s_waitcnt lgkmcnt(0)
	v_fma_f64 v[2:3], v[130:131], v[140:141], v[2:3]
	ds_load_2addr_b64 v[116:119], v1 offset0:103 offset1:104
	ds_load_2addr_b64 v[128:131], v1 offset0:105 offset1:106
	s_waitcnt vmcnt(2)
	v_fma_f64 v[2:3], v[120:121], v[142:143], v[2:3]
	s_waitcnt lgkmcnt(1)
	s_delay_alu instid0(VALU_DEP_1) | instskip(SKIP_4) | instid1(VALU_DEP_1)
	v_fma_f64 v[2:3], v[122:123], v[116:117], v[2:3]
	ds_load_b64 v[116:117], v1 offset:856
	s_waitcnt vmcnt(1)
	v_fma_f64 v[2:3], v[132:133], v[118:119], v[2:3]
	s_waitcnt lgkmcnt(1)
	v_fma_f64 v[2:3], v[134:135], v[128:129], v[2:3]
	s_waitcnt vmcnt(0)
	s_delay_alu instid0(VALU_DEP_1) | instskip(SKIP_1) | instid1(VALU_DEP_1)
	v_fma_f64 v[2:3], v[124:125], v[130:131], v[2:3]
	s_waitcnt lgkmcnt(0)
	v_fma_f64 v[2:3], v[126:127], v[116:117], v[2:3]
	s_delay_alu instid0(VALU_DEP_1)
	v_add_f64 v[2:3], v[114:115], -v[2:3]
	scratch_store_b64 off, v[2:3], off offset:96
	v_cmpx_lt_u32_e32 11, v0
	s_cbranch_execz .LBB117_311
; %bb.310:
	scratch_load_b64 v[3:4], off, off offset:88
	v_mov_b32_e32 v2, v1
	scratch_store_b64 off, v[1:2], off offset:88
	s_waitcnt vmcnt(0)
	ds_store_b64 v5, v[3:4]
.LBB117_311:
	s_or_b32 exec_lo, exec_lo, s0
	s_waitcnt lgkmcnt(0)
	s_waitcnt_vscnt null, 0x0
	s_barrier
	buffer_gl0_inv
	s_clause 0x4
	scratch_load_b128 v[114:117], off, off offset:88
	scratch_load_b128 v[118:121], off, off offset:104
	;; [unrolled: 1-line block ×5, first 2 shown]
	ds_load_b128 v[134:137], v1 offset:528
	ds_load_b128 v[138:141], v1 offset:544
	scratch_load_b128 v[142:145], off, off offset:168
	s_mov_b32 s0, exec_lo
	s_waitcnt vmcnt(5) lgkmcnt(1)
	v_fma_f64 v[2:3], v[116:117], v[134:135], 0
	s_waitcnt vmcnt(4)
	s_delay_alu instid0(VALU_DEP_1) | instskip(SKIP_4) | instid1(VALU_DEP_1)
	v_fma_f64 v[2:3], v[118:119], v[136:137], v[2:3]
	scratch_load_b128 v[116:119], off, off offset:184
	s_waitcnt lgkmcnt(0)
	v_fma_f64 v[2:3], v[120:121], v[138:139], v[2:3]
	s_waitcnt vmcnt(4)
	v_fma_f64 v[2:3], v[122:123], v[140:141], v[2:3]
	ds_load_b128 v[120:123], v1 offset:560
	ds_load_b128 v[134:137], v1 offset:576
	scratch_load_b128 v[138:141], off, off offset:200
	s_waitcnt lgkmcnt(1)
	v_fma_f64 v[2:3], v[124:125], v[120:121], v[2:3]
	s_waitcnt vmcnt(4)
	s_delay_alu instid0(VALU_DEP_1) | instskip(SKIP_4) | instid1(VALU_DEP_1)
	v_fma_f64 v[2:3], v[126:127], v[122:123], v[2:3]
	scratch_load_b128 v[120:123], off, off offset:216
	s_waitcnt lgkmcnt(0)
	v_fma_f64 v[2:3], v[128:129], v[134:135], v[2:3]
	s_waitcnt vmcnt(4)
	v_fma_f64 v[2:3], v[130:131], v[136:137], v[2:3]
	ds_load_b128 v[124:127], v1 offset:592
	ds_load_b128 v[128:131], v1 offset:608
	s_waitcnt lgkmcnt(1)
	v_fma_f64 v[2:3], v[132:133], v[124:125], v[2:3]
	scratch_load_b128 v[132:135], off, off offset:232
	s_waitcnt vmcnt(4)
	v_fma_f64 v[2:3], v[142:143], v[126:127], v[2:3]
	scratch_load_b128 v[124:127], off, off offset:248
	s_waitcnt lgkmcnt(0)
	v_fma_f64 v[2:3], v[144:145], v[128:129], v[2:3]
	s_waitcnt vmcnt(4)
	s_delay_alu instid0(VALU_DEP_1)
	v_fma_f64 v[2:3], v[116:117], v[130:131], v[2:3]
	ds_load_b128 v[128:131], v1 offset:624
	ds_load_b128 v[142:145], v1 offset:640
	s_waitcnt lgkmcnt(1)
	v_fma_f64 v[2:3], v[118:119], v[128:129], v[2:3]
	scratch_load_b128 v[116:119], off, off offset:264
	s_waitcnt vmcnt(4)
	v_fma_f64 v[2:3], v[138:139], v[130:131], v[2:3]
	scratch_load_b128 v[128:131], off, off offset:280
	s_waitcnt lgkmcnt(0)
	v_fma_f64 v[2:3], v[140:141], v[142:143], v[2:3]
	ds_load_b128 v[136:139], v1 offset:656
	ds_load_b128 v[140:143], v1 offset:672
	s_waitcnt vmcnt(4)
	v_fma_f64 v[2:3], v[120:121], v[144:145], v[2:3]
	s_waitcnt lgkmcnt(1)
	s_delay_alu instid0(VALU_DEP_1) | instskip(SKIP_4) | instid1(VALU_DEP_1)
	v_fma_f64 v[2:3], v[122:123], v[136:137], v[2:3]
	scratch_load_b128 v[120:123], off, off offset:296
	s_waitcnt vmcnt(4)
	v_fma_f64 v[2:3], v[132:133], v[138:139], v[2:3]
	s_waitcnt lgkmcnt(0)
	v_fma_f64 v[2:3], v[134:135], v[140:141], v[2:3]
	scratch_load_b128 v[132:135], off, off offset:312
	s_waitcnt vmcnt(4)
	v_fma_f64 v[2:3], v[124:125], v[142:143], v[2:3]
	ds_load_b128 v[136:139], v1 offset:688
	ds_load_b128 v[140:143], v1 offset:704
	s_waitcnt lgkmcnt(1)
	v_fma_f64 v[2:3], v[126:127], v[136:137], v[2:3]
	scratch_load_b128 v[124:127], off, off offset:328
	s_waitcnt vmcnt(4)
	v_fma_f64 v[2:3], v[116:117], v[138:139], v[2:3]
	s_waitcnt lgkmcnt(0)
	s_delay_alu instid0(VALU_DEP_1)
	v_fma_f64 v[2:3], v[118:119], v[140:141], v[2:3]
	scratch_load_b128 v[116:119], off, off offset:344
	s_waitcnt vmcnt(4)
	v_fma_f64 v[2:3], v[128:129], v[142:143], v[2:3]
	ds_load_b128 v[136:139], v1 offset:720
	ds_load_b128 v[140:143], v1 offset:736
	s_waitcnt lgkmcnt(1)
	v_fma_f64 v[2:3], v[130:131], v[136:137], v[2:3]
	scratch_load_b128 v[128:131], off, off offset:360
	s_waitcnt vmcnt(4)
	v_fma_f64 v[2:3], v[120:121], v[138:139], v[2:3]
	s_waitcnt lgkmcnt(0)
	s_delay_alu instid0(VALU_DEP_1)
	v_fma_f64 v[2:3], v[122:123], v[140:141], v[2:3]
	scratch_load_b128 v[120:123], off, off offset:376
	s_waitcnt vmcnt(4)
	v_fma_f64 v[2:3], v[132:133], v[142:143], v[2:3]
	ds_load_b128 v[136:139], v1 offset:752
	ds_load_b128 v[140:143], v1 offset:768
	s_waitcnt lgkmcnt(1)
	v_fma_f64 v[2:3], v[134:135], v[136:137], v[2:3]
	scratch_load_b128 v[132:135], off, off offset:392
	s_waitcnt vmcnt(4)
	v_fma_f64 v[2:3], v[124:125], v[138:139], v[2:3]
	s_waitcnt lgkmcnt(0)
	s_delay_alu instid0(VALU_DEP_1)
	v_fma_f64 v[2:3], v[126:127], v[140:141], v[2:3]
	scratch_load_b128 v[124:127], off, off offset:408
	s_waitcnt vmcnt(4)
	v_fma_f64 v[2:3], v[116:117], v[142:143], v[2:3]
	ds_load_b128 v[136:139], v1 offset:784
	ds_load_b128 v[140:143], v1 offset:800
	s_waitcnt lgkmcnt(1)
	v_fma_f64 v[2:3], v[118:119], v[136:137], v[2:3]
	scratch_load_b64 v[136:137], off, off offset:424
	s_waitcnt vmcnt(4)
	v_fma_f64 v[2:3], v[128:129], v[138:139], v[2:3]
	s_waitcnt lgkmcnt(0)
	s_delay_alu instid0(VALU_DEP_1)
	v_fma_f64 v[2:3], v[130:131], v[140:141], v[2:3]
	ds_load_b128 v[116:119], v1 offset:816
	ds_load_b128 v[128:131], v1 offset:832
	s_waitcnt vmcnt(3)
	v_fma_f64 v[2:3], v[120:121], v[142:143], v[2:3]
	s_waitcnt lgkmcnt(1)
	s_delay_alu instid0(VALU_DEP_1) | instskip(SKIP_1) | instid1(VALU_DEP_1)
	v_fma_f64 v[2:3], v[122:123], v[116:117], v[2:3]
	s_waitcnt vmcnt(2)
	v_fma_f64 v[2:3], v[132:133], v[118:119], v[2:3]
	s_waitcnt lgkmcnt(0)
	s_delay_alu instid0(VALU_DEP_1) | instskip(SKIP_1) | instid1(VALU_DEP_1)
	v_fma_f64 v[2:3], v[134:135], v[128:129], v[2:3]
	s_waitcnt vmcnt(1)
	v_fma_f64 v[116:117], v[124:125], v[130:131], v[2:3]
	ds_load_b128 v[1:4], v1 offset:848
	s_waitcnt lgkmcnt(0)
	v_fma_f64 v[1:2], v[126:127], v[1:2], v[116:117]
	s_waitcnt vmcnt(0)
	s_delay_alu instid0(VALU_DEP_1) | instskip(NEXT) | instid1(VALU_DEP_1)
	v_fma_f64 v[1:2], v[136:137], v[3:4], v[1:2]
	v_add_f64 v[1:2], v[114:115], -v[1:2]
	scratch_store_b64 off, v[1:2], off offset:88
	v_cmpx_lt_u32_e32 10, v0
	s_cbranch_execz .LBB117_313
; %bb.312:
	scratch_load_b64 v[1:2], off, off offset:80
	v_mov_b32_e32 v3, 0
	s_delay_alu instid0(VALU_DEP_1)
	v_mov_b32_e32 v4, v3
	scratch_store_b64 off, v[3:4], off offset:80
	s_waitcnt vmcnt(0)
	ds_store_b64 v5, v[1:2]
.LBB117_313:
	s_or_b32 exec_lo, exec_lo, s0
	s_waitcnt lgkmcnt(0)
	s_waitcnt_vscnt null, 0x0
	s_barrier
	buffer_gl0_inv
	s_clause 0x4
	scratch_load_b128 v[114:117], off, off offset:80
	scratch_load_b128 v[118:121], off, off offset:96
	;; [unrolled: 1-line block ×5, first 2 shown]
	v_mov_b32_e32 v1, 0
	ds_load_2addr_b64 v[134:137], v1 offset0:65 offset1:66
	ds_load_2addr_b64 v[138:141], v1 offset0:67 offset1:68
	scratch_load_b128 v[142:145], off, off offset:160
	s_mov_b32 s0, exec_lo
	s_waitcnt vmcnt(5) lgkmcnt(1)
	v_fma_f64 v[2:3], v[116:117], v[134:135], 0
	s_waitcnt vmcnt(4)
	s_delay_alu instid0(VALU_DEP_1) | instskip(SKIP_4) | instid1(VALU_DEP_1)
	v_fma_f64 v[2:3], v[118:119], v[136:137], v[2:3]
	scratch_load_b128 v[116:119], off, off offset:176
	s_waitcnt lgkmcnt(0)
	v_fma_f64 v[2:3], v[120:121], v[138:139], v[2:3]
	s_waitcnt vmcnt(4)
	v_fma_f64 v[2:3], v[122:123], v[140:141], v[2:3]
	ds_load_2addr_b64 v[120:123], v1 offset0:69 offset1:70
	ds_load_2addr_b64 v[134:137], v1 offset0:71 offset1:72
	scratch_load_b128 v[138:141], off, off offset:192
	s_waitcnt lgkmcnt(1)
	v_fma_f64 v[2:3], v[124:125], v[120:121], v[2:3]
	s_waitcnt vmcnt(4)
	s_delay_alu instid0(VALU_DEP_1) | instskip(SKIP_4) | instid1(VALU_DEP_1)
	v_fma_f64 v[2:3], v[126:127], v[122:123], v[2:3]
	scratch_load_b128 v[120:123], off, off offset:208
	s_waitcnt lgkmcnt(0)
	v_fma_f64 v[2:3], v[128:129], v[134:135], v[2:3]
	s_waitcnt vmcnt(4)
	v_fma_f64 v[2:3], v[130:131], v[136:137], v[2:3]
	ds_load_2addr_b64 v[124:127], v1 offset0:73 offset1:74
	ds_load_2addr_b64 v[128:131], v1 offset0:75 offset1:76
	s_waitcnt lgkmcnt(1)
	v_fma_f64 v[2:3], v[132:133], v[124:125], v[2:3]
	scratch_load_b128 v[132:135], off, off offset:224
	s_waitcnt vmcnt(4)
	v_fma_f64 v[2:3], v[142:143], v[126:127], v[2:3]
	scratch_load_b128 v[124:127], off, off offset:240
	s_waitcnt lgkmcnt(0)
	v_fma_f64 v[2:3], v[144:145], v[128:129], v[2:3]
	s_waitcnt vmcnt(4)
	s_delay_alu instid0(VALU_DEP_1)
	v_fma_f64 v[2:3], v[116:117], v[130:131], v[2:3]
	ds_load_2addr_b64 v[128:131], v1 offset0:77 offset1:78
	ds_load_2addr_b64 v[142:145], v1 offset0:79 offset1:80
	s_waitcnt lgkmcnt(1)
	v_fma_f64 v[2:3], v[118:119], v[128:129], v[2:3]
	scratch_load_b128 v[116:119], off, off offset:256
	s_waitcnt vmcnt(4)
	v_fma_f64 v[2:3], v[138:139], v[130:131], v[2:3]
	scratch_load_b128 v[128:131], off, off offset:272
	s_waitcnt lgkmcnt(0)
	v_fma_f64 v[2:3], v[140:141], v[142:143], v[2:3]
	ds_load_2addr_b64 v[136:139], v1 offset0:81 offset1:82
	ds_load_2addr_b64 v[140:143], v1 offset0:83 offset1:84
	s_waitcnt vmcnt(4)
	v_fma_f64 v[2:3], v[120:121], v[144:145], v[2:3]
	s_waitcnt lgkmcnt(1)
	s_delay_alu instid0(VALU_DEP_1) | instskip(SKIP_4) | instid1(VALU_DEP_1)
	v_fma_f64 v[2:3], v[122:123], v[136:137], v[2:3]
	scratch_load_b128 v[120:123], off, off offset:288
	s_waitcnt vmcnt(4)
	v_fma_f64 v[2:3], v[132:133], v[138:139], v[2:3]
	s_waitcnt lgkmcnt(0)
	v_fma_f64 v[2:3], v[134:135], v[140:141], v[2:3]
	scratch_load_b128 v[132:135], off, off offset:304
	s_waitcnt vmcnt(4)
	v_fma_f64 v[2:3], v[124:125], v[142:143], v[2:3]
	ds_load_2addr_b64 v[136:139], v1 offset0:85 offset1:86
	ds_load_2addr_b64 v[140:143], v1 offset0:87 offset1:88
	s_waitcnt lgkmcnt(1)
	v_fma_f64 v[2:3], v[126:127], v[136:137], v[2:3]
	scratch_load_b128 v[124:127], off, off offset:320
	s_waitcnt vmcnt(4)
	v_fma_f64 v[2:3], v[116:117], v[138:139], v[2:3]
	s_waitcnt lgkmcnt(0)
	s_delay_alu instid0(VALU_DEP_1)
	v_fma_f64 v[2:3], v[118:119], v[140:141], v[2:3]
	scratch_load_b128 v[116:119], off, off offset:336
	s_waitcnt vmcnt(4)
	v_fma_f64 v[2:3], v[128:129], v[142:143], v[2:3]
	ds_load_2addr_b64 v[136:139], v1 offset0:89 offset1:90
	ds_load_2addr_b64 v[140:143], v1 offset0:91 offset1:92
	s_waitcnt lgkmcnt(1)
	v_fma_f64 v[2:3], v[130:131], v[136:137], v[2:3]
	scratch_load_b128 v[128:131], off, off offset:352
	s_waitcnt vmcnt(4)
	v_fma_f64 v[2:3], v[120:121], v[138:139], v[2:3]
	s_waitcnt lgkmcnt(0)
	s_delay_alu instid0(VALU_DEP_1)
	;; [unrolled: 13-line block ×4, first 2 shown]
	v_fma_f64 v[2:3], v[130:131], v[140:141], v[2:3]
	ds_load_2addr_b64 v[128:131], v1 offset0:101 offset1:102
	ds_load_2addr_b64 v[136:139], v1 offset0:103 offset1:104
	s_waitcnt vmcnt(3)
	v_fma_f64 v[2:3], v[120:121], v[142:143], v[2:3]
	s_waitcnt lgkmcnt(1)
	s_delay_alu instid0(VALU_DEP_1) | instskip(SKIP_1) | instid1(VALU_DEP_1)
	v_fma_f64 v[2:3], v[122:123], v[128:129], v[2:3]
	s_waitcnt vmcnt(2)
	v_fma_f64 v[2:3], v[132:133], v[130:131], v[2:3]
	s_waitcnt lgkmcnt(0)
	s_delay_alu instid0(VALU_DEP_1) | instskip(SKIP_1) | instid1(VALU_DEP_1)
	v_fma_f64 v[2:3], v[134:135], v[136:137], v[2:3]
	s_waitcnt vmcnt(1)
	v_fma_f64 v[2:3], v[124:125], v[138:139], v[2:3]
	ds_load_2addr_b64 v[120:123], v1 offset0:105 offset1:106
	ds_load_b64 v[124:125], v1 offset:856
	s_waitcnt lgkmcnt(1)
	v_fma_f64 v[2:3], v[126:127], v[120:121], v[2:3]
	s_waitcnt vmcnt(0)
	s_delay_alu instid0(VALU_DEP_1) | instskip(SKIP_1) | instid1(VALU_DEP_1)
	v_fma_f64 v[2:3], v[116:117], v[122:123], v[2:3]
	s_waitcnt lgkmcnt(0)
	v_fma_f64 v[2:3], v[118:119], v[124:125], v[2:3]
	s_delay_alu instid0(VALU_DEP_1)
	v_add_f64 v[2:3], v[114:115], -v[2:3]
	scratch_store_b64 off, v[2:3], off offset:80
	v_cmpx_lt_u32_e32 9, v0
	s_cbranch_execz .LBB117_315
; %bb.314:
	scratch_load_b64 v[3:4], off, off offset:72
	v_mov_b32_e32 v2, v1
	scratch_store_b64 off, v[1:2], off offset:72
	s_waitcnt vmcnt(0)
	ds_store_b64 v5, v[3:4]
.LBB117_315:
	s_or_b32 exec_lo, exec_lo, s0
	s_waitcnt lgkmcnt(0)
	s_waitcnt_vscnt null, 0x0
	s_barrier
	buffer_gl0_inv
	s_clause 0x4
	scratch_load_b128 v[114:117], off, off offset:72
	scratch_load_b128 v[118:121], off, off offset:88
	scratch_load_b128 v[122:125], off, off offset:104
	scratch_load_b128 v[126:129], off, off offset:120
	scratch_load_b128 v[130:133], off, off offset:136
	ds_load_b128 v[134:137], v1 offset:512
	ds_load_b128 v[138:141], v1 offset:528
	scratch_load_b128 v[142:145], off, off offset:152
	s_mov_b32 s0, exec_lo
	s_waitcnt vmcnt(5) lgkmcnt(1)
	v_fma_f64 v[2:3], v[116:117], v[134:135], 0
	s_waitcnt vmcnt(4)
	s_delay_alu instid0(VALU_DEP_1) | instskip(SKIP_4) | instid1(VALU_DEP_1)
	v_fma_f64 v[2:3], v[118:119], v[136:137], v[2:3]
	scratch_load_b128 v[116:119], off, off offset:168
	s_waitcnt lgkmcnt(0)
	v_fma_f64 v[2:3], v[120:121], v[138:139], v[2:3]
	s_waitcnt vmcnt(4)
	v_fma_f64 v[2:3], v[122:123], v[140:141], v[2:3]
	ds_load_b128 v[120:123], v1 offset:544
	ds_load_b128 v[134:137], v1 offset:560
	scratch_load_b128 v[138:141], off, off offset:184
	s_waitcnt lgkmcnt(1)
	v_fma_f64 v[2:3], v[124:125], v[120:121], v[2:3]
	s_waitcnt vmcnt(4)
	s_delay_alu instid0(VALU_DEP_1) | instskip(SKIP_4) | instid1(VALU_DEP_1)
	v_fma_f64 v[2:3], v[126:127], v[122:123], v[2:3]
	scratch_load_b128 v[120:123], off, off offset:200
	s_waitcnt lgkmcnt(0)
	v_fma_f64 v[2:3], v[128:129], v[134:135], v[2:3]
	s_waitcnt vmcnt(4)
	v_fma_f64 v[2:3], v[130:131], v[136:137], v[2:3]
	ds_load_b128 v[124:127], v1 offset:576
	ds_load_b128 v[128:131], v1 offset:592
	s_waitcnt lgkmcnt(1)
	v_fma_f64 v[2:3], v[132:133], v[124:125], v[2:3]
	scratch_load_b128 v[132:135], off, off offset:216
	s_waitcnt vmcnt(4)
	v_fma_f64 v[2:3], v[142:143], v[126:127], v[2:3]
	scratch_load_b128 v[124:127], off, off offset:232
	s_waitcnt lgkmcnt(0)
	v_fma_f64 v[2:3], v[144:145], v[128:129], v[2:3]
	s_waitcnt vmcnt(4)
	s_delay_alu instid0(VALU_DEP_1)
	v_fma_f64 v[2:3], v[116:117], v[130:131], v[2:3]
	ds_load_b128 v[128:131], v1 offset:608
	ds_load_b128 v[142:145], v1 offset:624
	s_waitcnt lgkmcnt(1)
	v_fma_f64 v[2:3], v[118:119], v[128:129], v[2:3]
	scratch_load_b128 v[116:119], off, off offset:248
	s_waitcnt vmcnt(4)
	v_fma_f64 v[2:3], v[138:139], v[130:131], v[2:3]
	scratch_load_b128 v[128:131], off, off offset:264
	s_waitcnt lgkmcnt(0)
	v_fma_f64 v[2:3], v[140:141], v[142:143], v[2:3]
	ds_load_b128 v[136:139], v1 offset:640
	ds_load_b128 v[140:143], v1 offset:656
	s_waitcnt vmcnt(4)
	v_fma_f64 v[2:3], v[120:121], v[144:145], v[2:3]
	s_waitcnt lgkmcnt(1)
	s_delay_alu instid0(VALU_DEP_1) | instskip(SKIP_4) | instid1(VALU_DEP_1)
	v_fma_f64 v[2:3], v[122:123], v[136:137], v[2:3]
	scratch_load_b128 v[120:123], off, off offset:280
	s_waitcnt vmcnt(4)
	v_fma_f64 v[2:3], v[132:133], v[138:139], v[2:3]
	s_waitcnt lgkmcnt(0)
	v_fma_f64 v[2:3], v[134:135], v[140:141], v[2:3]
	scratch_load_b128 v[132:135], off, off offset:296
	s_waitcnt vmcnt(4)
	v_fma_f64 v[2:3], v[124:125], v[142:143], v[2:3]
	ds_load_b128 v[136:139], v1 offset:672
	ds_load_b128 v[140:143], v1 offset:688
	s_waitcnt lgkmcnt(1)
	v_fma_f64 v[2:3], v[126:127], v[136:137], v[2:3]
	scratch_load_b128 v[124:127], off, off offset:312
	s_waitcnt vmcnt(4)
	v_fma_f64 v[2:3], v[116:117], v[138:139], v[2:3]
	s_waitcnt lgkmcnt(0)
	s_delay_alu instid0(VALU_DEP_1)
	v_fma_f64 v[2:3], v[118:119], v[140:141], v[2:3]
	scratch_load_b128 v[116:119], off, off offset:328
	s_waitcnt vmcnt(4)
	v_fma_f64 v[2:3], v[128:129], v[142:143], v[2:3]
	ds_load_b128 v[136:139], v1 offset:704
	ds_load_b128 v[140:143], v1 offset:720
	s_waitcnt lgkmcnt(1)
	v_fma_f64 v[2:3], v[130:131], v[136:137], v[2:3]
	scratch_load_b128 v[128:131], off, off offset:344
	s_waitcnt vmcnt(4)
	v_fma_f64 v[2:3], v[120:121], v[138:139], v[2:3]
	s_waitcnt lgkmcnt(0)
	s_delay_alu instid0(VALU_DEP_1)
	;; [unrolled: 13-line block ×4, first 2 shown]
	v_fma_f64 v[2:3], v[130:131], v[140:141], v[2:3]
	scratch_load_b64 v[140:141], off, off offset:424
	ds_load_b128 v[128:131], v1 offset:800
	ds_load_b128 v[136:139], v1 offset:816
	s_waitcnt vmcnt(4)
	v_fma_f64 v[2:3], v[120:121], v[142:143], v[2:3]
	s_waitcnt lgkmcnt(1)
	s_delay_alu instid0(VALU_DEP_1) | instskip(SKIP_1) | instid1(VALU_DEP_1)
	v_fma_f64 v[2:3], v[122:123], v[128:129], v[2:3]
	s_waitcnt vmcnt(3)
	v_fma_f64 v[2:3], v[132:133], v[130:131], v[2:3]
	s_waitcnt lgkmcnt(0)
	s_delay_alu instid0(VALU_DEP_1) | instskip(SKIP_1) | instid1(VALU_DEP_1)
	v_fma_f64 v[2:3], v[134:135], v[136:137], v[2:3]
	s_waitcnt vmcnt(2)
	v_fma_f64 v[124:125], v[124:125], v[138:139], v[2:3]
	ds_load_b128 v[120:123], v1 offset:832
	ds_load_b128 v[1:4], v1 offset:848
	s_waitcnt lgkmcnt(1)
	v_fma_f64 v[120:121], v[126:127], v[120:121], v[124:125]
	s_waitcnt vmcnt(1)
	s_delay_alu instid0(VALU_DEP_1) | instskip(SKIP_1) | instid1(VALU_DEP_1)
	v_fma_f64 v[116:117], v[116:117], v[122:123], v[120:121]
	s_waitcnt lgkmcnt(0)
	v_fma_f64 v[1:2], v[118:119], v[1:2], v[116:117]
	s_waitcnt vmcnt(0)
	s_delay_alu instid0(VALU_DEP_1) | instskip(NEXT) | instid1(VALU_DEP_1)
	v_fma_f64 v[1:2], v[140:141], v[3:4], v[1:2]
	v_add_f64 v[1:2], v[114:115], -v[1:2]
	scratch_store_b64 off, v[1:2], off offset:72
	v_cmpx_lt_u32_e32 8, v0
	s_cbranch_execz .LBB117_317
; %bb.316:
	scratch_load_b64 v[1:2], off, off offset:64
	v_mov_b32_e32 v3, 0
	s_delay_alu instid0(VALU_DEP_1)
	v_mov_b32_e32 v4, v3
	scratch_store_b64 off, v[3:4], off offset:64
	s_waitcnt vmcnt(0)
	ds_store_b64 v5, v[1:2]
.LBB117_317:
	s_or_b32 exec_lo, exec_lo, s0
	s_waitcnt lgkmcnt(0)
	s_waitcnt_vscnt null, 0x0
	s_barrier
	buffer_gl0_inv
	s_clause 0x4
	scratch_load_b128 v[1:4], off, off offset:64
	scratch_load_b128 v[115:118], off, off offset:80
	;; [unrolled: 1-line block ×5, first 2 shown]
	v_mov_b32_e32 v114, 0
	ds_load_2addr_b64 v[131:134], v114 offset0:63 offset1:64
	ds_load_2addr_b64 v[135:138], v114 offset0:65 offset1:66
	scratch_load_b128 v[139:142], off, off offset:144
	s_mov_b32 s0, exec_lo
	s_waitcnt vmcnt(5) lgkmcnt(1)
	v_fma_f64 v[3:4], v[3:4], v[131:132], 0
	s_waitcnt vmcnt(4)
	s_delay_alu instid0(VALU_DEP_1) | instskip(SKIP_1) | instid1(VALU_DEP_1)
	v_fma_f64 v[3:4], v[115:116], v[133:134], v[3:4]
	s_waitcnt lgkmcnt(0)
	v_fma_f64 v[3:4], v[117:118], v[135:136], v[3:4]
	scratch_load_b128 v[115:118], off, off offset:160
	s_waitcnt vmcnt(4)
	v_fma_f64 v[3:4], v[119:120], v[137:138], v[3:4]
	ds_load_2addr_b64 v[131:134], v114 offset0:67 offset1:68
	ds_load_2addr_b64 v[135:138], v114 offset0:69 offset1:70
	s_waitcnt lgkmcnt(1)
	v_fma_f64 v[3:4], v[121:122], v[131:132], v[3:4]
	scratch_load_b128 v[119:122], off, off offset:176
	s_waitcnt vmcnt(4)
	v_fma_f64 v[3:4], v[123:124], v[133:134], v[3:4]
	s_waitcnt lgkmcnt(0)
	s_delay_alu instid0(VALU_DEP_1)
	v_fma_f64 v[3:4], v[125:126], v[135:136], v[3:4]
	scratch_load_b128 v[123:126], off, off offset:192
	s_waitcnt vmcnt(4)
	v_fma_f64 v[3:4], v[127:128], v[137:138], v[3:4]
	ds_load_2addr_b64 v[131:134], v114 offset0:71 offset1:72
	ds_load_2addr_b64 v[135:138], v114 offset0:73 offset1:74
	s_waitcnt lgkmcnt(1)
	v_fma_f64 v[3:4], v[129:130], v[131:132], v[3:4]
	scratch_load_b128 v[127:130], off, off offset:208
	s_waitcnt vmcnt(4)
	v_fma_f64 v[3:4], v[139:140], v[133:134], v[3:4]
	scratch_load_b128 v[131:134], off, off offset:224
	s_waitcnt lgkmcnt(0)
	v_fma_f64 v[3:4], v[141:142], v[135:136], v[3:4]
	s_waitcnt vmcnt(4)
	s_delay_alu instid0(VALU_DEP_1)
	v_fma_f64 v[3:4], v[115:116], v[137:138], v[3:4]
	ds_load_2addr_b64 v[135:138], v114 offset0:75 offset1:76
	ds_load_2addr_b64 v[139:142], v114 offset0:77 offset1:78
	s_waitcnt lgkmcnt(1)
	v_fma_f64 v[3:4], v[117:118], v[135:136], v[3:4]
	scratch_load_b128 v[115:118], off, off offset:240
	s_waitcnt vmcnt(4)
	v_fma_f64 v[3:4], v[119:120], v[137:138], v[3:4]
	s_waitcnt lgkmcnt(0)
	s_delay_alu instid0(VALU_DEP_1)
	v_fma_f64 v[3:4], v[121:122], v[139:140], v[3:4]
	scratch_load_b128 v[119:122], off, off offset:256
	s_waitcnt vmcnt(4)
	v_fma_f64 v[3:4], v[123:124], v[141:142], v[3:4]
	ds_load_2addr_b64 v[135:138], v114 offset0:79 offset1:80
	ds_load_2addr_b64 v[139:142], v114 offset0:81 offset1:82
	s_waitcnt lgkmcnt(1)
	v_fma_f64 v[3:4], v[125:126], v[135:136], v[3:4]
	scratch_load_b128 v[123:126], off, off offset:272
	s_waitcnt vmcnt(4)
	v_fma_f64 v[3:4], v[127:128], v[137:138], v[3:4]
	s_waitcnt lgkmcnt(0)
	s_delay_alu instid0(VALU_DEP_1)
	v_fma_f64 v[3:4], v[129:130], v[139:140], v[3:4]
	scratch_load_b128 v[127:130], off, off offset:288
	s_waitcnt vmcnt(4)
	v_fma_f64 v[3:4], v[131:132], v[141:142], v[3:4]
	ds_load_2addr_b64 v[135:138], v114 offset0:83 offset1:84
	ds_load_2addr_b64 v[139:142], v114 offset0:85 offset1:86
	s_waitcnt lgkmcnt(1)
	v_fma_f64 v[3:4], v[133:134], v[135:136], v[3:4]
	scratch_load_b128 v[131:134], off, off offset:304
	s_waitcnt vmcnt(4)
	v_fma_f64 v[3:4], v[115:116], v[137:138], v[3:4]
	s_waitcnt lgkmcnt(0)
	s_delay_alu instid0(VALU_DEP_1)
	v_fma_f64 v[3:4], v[117:118], v[139:140], v[3:4]
	scratch_load_b128 v[115:118], off, off offset:320
	s_waitcnt vmcnt(4)
	v_fma_f64 v[3:4], v[119:120], v[141:142], v[3:4]
	ds_load_2addr_b64 v[135:138], v114 offset0:87 offset1:88
	ds_load_2addr_b64 v[139:142], v114 offset0:89 offset1:90
	s_waitcnt lgkmcnt(1)
	v_fma_f64 v[3:4], v[121:122], v[135:136], v[3:4]
	scratch_load_b128 v[119:122], off, off offset:336
	s_waitcnt vmcnt(4)
	v_fma_f64 v[3:4], v[123:124], v[137:138], v[3:4]
	s_waitcnt lgkmcnt(0)
	s_delay_alu instid0(VALU_DEP_1)
	v_fma_f64 v[3:4], v[125:126], v[139:140], v[3:4]
	scratch_load_b128 v[123:126], off, off offset:352
	s_waitcnt vmcnt(4)
	v_fma_f64 v[3:4], v[127:128], v[141:142], v[3:4]
	ds_load_2addr_b64 v[135:138], v114 offset0:91 offset1:92
	ds_load_2addr_b64 v[139:142], v114 offset0:93 offset1:94
	s_waitcnt lgkmcnt(1)
	v_fma_f64 v[3:4], v[129:130], v[135:136], v[3:4]
	scratch_load_b128 v[127:130], off, off offset:368
	s_waitcnt vmcnt(4)
	v_fma_f64 v[3:4], v[131:132], v[137:138], v[3:4]
	s_waitcnt lgkmcnt(0)
	s_delay_alu instid0(VALU_DEP_1)
	v_fma_f64 v[3:4], v[133:134], v[139:140], v[3:4]
	scratch_load_b128 v[131:134], off, off offset:384
	s_waitcnt vmcnt(4)
	v_fma_f64 v[3:4], v[115:116], v[141:142], v[3:4]
	ds_load_2addr_b64 v[135:138], v114 offset0:95 offset1:96
	ds_load_2addr_b64 v[139:142], v114 offset0:97 offset1:98
	s_waitcnt lgkmcnt(1)
	v_fma_f64 v[3:4], v[117:118], v[135:136], v[3:4]
	scratch_load_b128 v[115:118], off, off offset:400
	s_waitcnt vmcnt(4)
	v_fma_f64 v[3:4], v[119:120], v[137:138], v[3:4]
	s_waitcnt lgkmcnt(0)
	s_delay_alu instid0(VALU_DEP_1)
	v_fma_f64 v[3:4], v[121:122], v[139:140], v[3:4]
	scratch_load_b128 v[119:122], off, off offset:416
	s_waitcnt vmcnt(4)
	v_fma_f64 v[3:4], v[123:124], v[141:142], v[3:4]
	ds_load_2addr_b64 v[135:138], v114 offset0:99 offset1:100
	ds_load_2addr_b64 v[139:142], v114 offset0:101 offset1:102
	s_waitcnt lgkmcnt(1)
	v_fma_f64 v[3:4], v[125:126], v[135:136], v[3:4]
	s_waitcnt vmcnt(3)
	s_delay_alu instid0(VALU_DEP_1) | instskip(SKIP_1) | instid1(VALU_DEP_1)
	v_fma_f64 v[3:4], v[127:128], v[137:138], v[3:4]
	s_waitcnt lgkmcnt(0)
	v_fma_f64 v[3:4], v[129:130], v[139:140], v[3:4]
	ds_load_2addr_b64 v[123:126], v114 offset0:103 offset1:104
	ds_load_2addr_b64 v[127:130], v114 offset0:105 offset1:106
	s_waitcnt vmcnt(2)
	v_fma_f64 v[3:4], v[131:132], v[141:142], v[3:4]
	s_waitcnt lgkmcnt(1)
	s_delay_alu instid0(VALU_DEP_1) | instskip(SKIP_1) | instid1(VALU_DEP_1)
	v_fma_f64 v[3:4], v[133:134], v[123:124], v[3:4]
	s_waitcnt vmcnt(1)
	v_fma_f64 v[3:4], v[115:116], v[125:126], v[3:4]
	ds_load_b64 v[115:116], v114 offset:856
	s_waitcnt lgkmcnt(1)
	v_fma_f64 v[3:4], v[117:118], v[127:128], v[3:4]
	s_waitcnt vmcnt(0)
	s_delay_alu instid0(VALU_DEP_1) | instskip(SKIP_1) | instid1(VALU_DEP_1)
	v_fma_f64 v[3:4], v[119:120], v[129:130], v[3:4]
	s_waitcnt lgkmcnt(0)
	v_fma_f64 v[3:4], v[121:122], v[115:116], v[3:4]
	s_delay_alu instid0(VALU_DEP_1)
	v_add_f64 v[1:2], v[1:2], -v[3:4]
	scratch_store_b64 off, v[1:2], off offset:64
	v_cmpx_lt_u32_e32 7, v0
	s_cbranch_execz .LBB117_319
; %bb.318:
	scratch_load_b64 v[1:2], off, off offset:56
	v_mov_b32_e32 v115, v114
	scratch_store_b64 off, v[114:115], off offset:56
	s_waitcnt vmcnt(0)
	ds_store_b64 v5, v[1:2]
.LBB117_319:
	s_or_b32 exec_lo, exec_lo, s0
	s_waitcnt lgkmcnt(0)
	s_waitcnt_vscnt null, 0x0
	s_barrier
	buffer_gl0_inv
	s_clause 0x4
	scratch_load_b128 v[1:4], off, off offset:56
	scratch_load_b128 v[115:118], off, off offset:72
	;; [unrolled: 1-line block ×5, first 2 shown]
	ds_load_b128 v[131:134], v114 offset:496
	ds_load_b128 v[135:138], v114 offset:512
	scratch_load_b128 v[139:142], off, off offset:136
	s_mov_b32 s0, exec_lo
	s_waitcnt vmcnt(5) lgkmcnt(1)
	v_fma_f64 v[3:4], v[3:4], v[131:132], 0
	s_waitcnt vmcnt(4)
	s_delay_alu instid0(VALU_DEP_1) | instskip(SKIP_1) | instid1(VALU_DEP_1)
	v_fma_f64 v[3:4], v[115:116], v[133:134], v[3:4]
	s_waitcnt lgkmcnt(0)
	v_fma_f64 v[3:4], v[117:118], v[135:136], v[3:4]
	scratch_load_b128 v[115:118], off, off offset:152
	s_waitcnt vmcnt(4)
	v_fma_f64 v[3:4], v[119:120], v[137:138], v[3:4]
	ds_load_b128 v[131:134], v114 offset:528
	ds_load_b128 v[135:138], v114 offset:544
	s_waitcnt lgkmcnt(1)
	v_fma_f64 v[3:4], v[121:122], v[131:132], v[3:4]
	scratch_load_b128 v[119:122], off, off offset:168
	s_waitcnt vmcnt(4)
	v_fma_f64 v[3:4], v[123:124], v[133:134], v[3:4]
	s_waitcnt lgkmcnt(0)
	s_delay_alu instid0(VALU_DEP_1)
	v_fma_f64 v[3:4], v[125:126], v[135:136], v[3:4]
	scratch_load_b128 v[123:126], off, off offset:184
	s_waitcnt vmcnt(4)
	v_fma_f64 v[3:4], v[127:128], v[137:138], v[3:4]
	ds_load_b128 v[131:134], v114 offset:560
	ds_load_b128 v[135:138], v114 offset:576
	s_waitcnt lgkmcnt(1)
	v_fma_f64 v[3:4], v[129:130], v[131:132], v[3:4]
	scratch_load_b128 v[127:130], off, off offset:200
	s_waitcnt vmcnt(4)
	v_fma_f64 v[3:4], v[139:140], v[133:134], v[3:4]
	scratch_load_b128 v[131:134], off, off offset:216
	s_waitcnt lgkmcnt(0)
	v_fma_f64 v[3:4], v[141:142], v[135:136], v[3:4]
	s_waitcnt vmcnt(4)
	s_delay_alu instid0(VALU_DEP_1)
	v_fma_f64 v[3:4], v[115:116], v[137:138], v[3:4]
	ds_load_b128 v[135:138], v114 offset:592
	ds_load_b128 v[139:142], v114 offset:608
	s_waitcnt lgkmcnt(1)
	v_fma_f64 v[3:4], v[117:118], v[135:136], v[3:4]
	scratch_load_b128 v[115:118], off, off offset:232
	s_waitcnt vmcnt(4)
	v_fma_f64 v[3:4], v[119:120], v[137:138], v[3:4]
	s_waitcnt lgkmcnt(0)
	s_delay_alu instid0(VALU_DEP_1)
	v_fma_f64 v[3:4], v[121:122], v[139:140], v[3:4]
	scratch_load_b128 v[119:122], off, off offset:248
	s_waitcnt vmcnt(4)
	v_fma_f64 v[3:4], v[123:124], v[141:142], v[3:4]
	ds_load_b128 v[135:138], v114 offset:624
	ds_load_b128 v[139:142], v114 offset:640
	s_waitcnt lgkmcnt(1)
	v_fma_f64 v[3:4], v[125:126], v[135:136], v[3:4]
	scratch_load_b128 v[123:126], off, off offset:264
	s_waitcnt vmcnt(4)
	v_fma_f64 v[3:4], v[127:128], v[137:138], v[3:4]
	s_waitcnt lgkmcnt(0)
	s_delay_alu instid0(VALU_DEP_1)
	v_fma_f64 v[3:4], v[129:130], v[139:140], v[3:4]
	scratch_load_b128 v[127:130], off, off offset:280
	s_waitcnt vmcnt(4)
	;; [unrolled: 13-line block ×6, first 2 shown]
	v_fma_f64 v[3:4], v[123:124], v[141:142], v[3:4]
	ds_load_b128 v[135:138], v114 offset:784
	ds_load_b128 v[139:142], v114 offset:800
	s_waitcnt lgkmcnt(1)
	v_fma_f64 v[3:4], v[125:126], v[135:136], v[3:4]
	scratch_load_b64 v[135:136], off, off offset:424
	s_waitcnt vmcnt(4)
	v_fma_f64 v[3:4], v[127:128], v[137:138], v[3:4]
	s_waitcnt lgkmcnt(0)
	s_delay_alu instid0(VALU_DEP_1)
	v_fma_f64 v[3:4], v[129:130], v[139:140], v[3:4]
	ds_load_b128 v[123:126], v114 offset:816
	ds_load_b128 v[127:130], v114 offset:832
	s_waitcnt vmcnt(3)
	v_fma_f64 v[3:4], v[131:132], v[141:142], v[3:4]
	s_waitcnt lgkmcnt(1)
	s_delay_alu instid0(VALU_DEP_1) | instskip(SKIP_1) | instid1(VALU_DEP_1)
	v_fma_f64 v[3:4], v[133:134], v[123:124], v[3:4]
	s_waitcnt vmcnt(2)
	v_fma_f64 v[3:4], v[115:116], v[125:126], v[3:4]
	s_waitcnt lgkmcnt(0)
	s_delay_alu instid0(VALU_DEP_1) | instskip(SKIP_4) | instid1(VALU_DEP_1)
	v_fma_f64 v[3:4], v[117:118], v[127:128], v[3:4]
	ds_load_b128 v[114:117], v114 offset:848
	s_waitcnt vmcnt(1)
	v_fma_f64 v[3:4], v[119:120], v[129:130], v[3:4]
	s_waitcnt lgkmcnt(0)
	v_fma_f64 v[3:4], v[121:122], v[114:115], v[3:4]
	s_waitcnt vmcnt(0)
	s_delay_alu instid0(VALU_DEP_1) | instskip(NEXT) | instid1(VALU_DEP_1)
	v_fma_f64 v[3:4], v[135:136], v[116:117], v[3:4]
	v_add_f64 v[1:2], v[1:2], -v[3:4]
	scratch_store_b64 off, v[1:2], off offset:56
	v_cmpx_lt_u32_e32 6, v0
	s_cbranch_execz .LBB117_321
; %bb.320:
	scratch_load_b64 v[1:2], off, off offset:48
	v_mov_b32_e32 v3, 0
	s_delay_alu instid0(VALU_DEP_1)
	v_mov_b32_e32 v4, v3
	scratch_store_b64 off, v[3:4], off offset:48
	s_waitcnt vmcnt(0)
	ds_store_b64 v5, v[1:2]
.LBB117_321:
	s_or_b32 exec_lo, exec_lo, s0
	s_waitcnt lgkmcnt(0)
	s_waitcnt_vscnt null, 0x0
	s_barrier
	buffer_gl0_inv
	s_clause 0x4
	scratch_load_b128 v[1:4], off, off offset:48
	scratch_load_b128 v[115:118], off, off offset:64
	;; [unrolled: 1-line block ×5, first 2 shown]
	v_mov_b32_e32 v114, 0
	ds_load_2addr_b64 v[131:134], v114 offset0:61 offset1:62
	ds_load_2addr_b64 v[135:138], v114 offset0:63 offset1:64
	scratch_load_b128 v[139:142], off, off offset:128
	s_mov_b32 s0, exec_lo
	s_waitcnt vmcnt(5) lgkmcnt(1)
	v_fma_f64 v[3:4], v[3:4], v[131:132], 0
	s_waitcnt vmcnt(4)
	s_delay_alu instid0(VALU_DEP_1) | instskip(SKIP_1) | instid1(VALU_DEP_1)
	v_fma_f64 v[3:4], v[115:116], v[133:134], v[3:4]
	s_waitcnt lgkmcnt(0)
	v_fma_f64 v[3:4], v[117:118], v[135:136], v[3:4]
	scratch_load_b128 v[115:118], off, off offset:144
	s_waitcnt vmcnt(4)
	v_fma_f64 v[3:4], v[119:120], v[137:138], v[3:4]
	ds_load_2addr_b64 v[131:134], v114 offset0:65 offset1:66
	ds_load_2addr_b64 v[135:138], v114 offset0:67 offset1:68
	s_waitcnt lgkmcnt(1)
	v_fma_f64 v[3:4], v[121:122], v[131:132], v[3:4]
	scratch_load_b128 v[119:122], off, off offset:160
	s_waitcnt vmcnt(4)
	v_fma_f64 v[3:4], v[123:124], v[133:134], v[3:4]
	s_waitcnt lgkmcnt(0)
	s_delay_alu instid0(VALU_DEP_1)
	v_fma_f64 v[3:4], v[125:126], v[135:136], v[3:4]
	scratch_load_b128 v[123:126], off, off offset:176
	s_waitcnt vmcnt(4)
	v_fma_f64 v[3:4], v[127:128], v[137:138], v[3:4]
	ds_load_2addr_b64 v[131:134], v114 offset0:69 offset1:70
	ds_load_2addr_b64 v[135:138], v114 offset0:71 offset1:72
	s_waitcnt lgkmcnt(1)
	v_fma_f64 v[3:4], v[129:130], v[131:132], v[3:4]
	scratch_load_b128 v[127:130], off, off offset:192
	s_waitcnt vmcnt(4)
	v_fma_f64 v[3:4], v[139:140], v[133:134], v[3:4]
	scratch_load_b128 v[131:134], off, off offset:208
	s_waitcnt lgkmcnt(0)
	v_fma_f64 v[3:4], v[141:142], v[135:136], v[3:4]
	s_waitcnt vmcnt(4)
	s_delay_alu instid0(VALU_DEP_1)
	v_fma_f64 v[3:4], v[115:116], v[137:138], v[3:4]
	ds_load_2addr_b64 v[135:138], v114 offset0:73 offset1:74
	ds_load_2addr_b64 v[139:142], v114 offset0:75 offset1:76
	s_waitcnt lgkmcnt(1)
	v_fma_f64 v[3:4], v[117:118], v[135:136], v[3:4]
	scratch_load_b128 v[115:118], off, off offset:224
	s_waitcnt vmcnt(4)
	v_fma_f64 v[3:4], v[119:120], v[137:138], v[3:4]
	s_waitcnt lgkmcnt(0)
	s_delay_alu instid0(VALU_DEP_1)
	v_fma_f64 v[3:4], v[121:122], v[139:140], v[3:4]
	scratch_load_b128 v[119:122], off, off offset:240
	s_waitcnt vmcnt(4)
	v_fma_f64 v[3:4], v[123:124], v[141:142], v[3:4]
	ds_load_2addr_b64 v[135:138], v114 offset0:77 offset1:78
	ds_load_2addr_b64 v[139:142], v114 offset0:79 offset1:80
	s_waitcnt lgkmcnt(1)
	v_fma_f64 v[3:4], v[125:126], v[135:136], v[3:4]
	scratch_load_b128 v[123:126], off, off offset:256
	s_waitcnt vmcnt(4)
	v_fma_f64 v[3:4], v[127:128], v[137:138], v[3:4]
	s_waitcnt lgkmcnt(0)
	s_delay_alu instid0(VALU_DEP_1)
	v_fma_f64 v[3:4], v[129:130], v[139:140], v[3:4]
	scratch_load_b128 v[127:130], off, off offset:272
	s_waitcnt vmcnt(4)
	;; [unrolled: 13-line block ×6, first 2 shown]
	v_fma_f64 v[3:4], v[123:124], v[141:142], v[3:4]
	ds_load_2addr_b64 v[135:138], v114 offset0:97 offset1:98
	ds_load_2addr_b64 v[139:142], v114 offset0:99 offset1:100
	s_waitcnt lgkmcnt(1)
	v_fma_f64 v[3:4], v[125:126], v[135:136], v[3:4]
	scratch_load_b128 v[123:126], off, off offset:416
	s_waitcnt vmcnt(4)
	v_fma_f64 v[3:4], v[127:128], v[137:138], v[3:4]
	s_waitcnt lgkmcnt(0)
	s_delay_alu instid0(VALU_DEP_1)
	v_fma_f64 v[3:4], v[129:130], v[139:140], v[3:4]
	ds_load_2addr_b64 v[127:130], v114 offset0:101 offset1:102
	ds_load_2addr_b64 v[135:138], v114 offset0:103 offset1:104
	s_waitcnt vmcnt(3)
	v_fma_f64 v[3:4], v[131:132], v[141:142], v[3:4]
	s_waitcnt lgkmcnt(1)
	s_delay_alu instid0(VALU_DEP_1) | instskip(SKIP_1) | instid1(VALU_DEP_1)
	v_fma_f64 v[3:4], v[133:134], v[127:128], v[3:4]
	s_waitcnt vmcnt(2)
	v_fma_f64 v[3:4], v[115:116], v[129:130], v[3:4]
	s_waitcnt lgkmcnt(0)
	s_delay_alu instid0(VALU_DEP_1) | instskip(SKIP_1) | instid1(VALU_DEP_1)
	v_fma_f64 v[3:4], v[117:118], v[135:136], v[3:4]
	s_waitcnt vmcnt(1)
	v_fma_f64 v[3:4], v[119:120], v[137:138], v[3:4]
	ds_load_2addr_b64 v[115:118], v114 offset0:105 offset1:106
	ds_load_b64 v[119:120], v114 offset:856
	s_waitcnt lgkmcnt(1)
	v_fma_f64 v[3:4], v[121:122], v[115:116], v[3:4]
	s_waitcnt vmcnt(0)
	s_delay_alu instid0(VALU_DEP_1) | instskip(SKIP_1) | instid1(VALU_DEP_1)
	v_fma_f64 v[3:4], v[123:124], v[117:118], v[3:4]
	s_waitcnt lgkmcnt(0)
	v_fma_f64 v[3:4], v[125:126], v[119:120], v[3:4]
	s_delay_alu instid0(VALU_DEP_1)
	v_add_f64 v[1:2], v[1:2], -v[3:4]
	scratch_store_b64 off, v[1:2], off offset:48
	v_cmpx_lt_u32_e32 5, v0
	s_cbranch_execz .LBB117_323
; %bb.322:
	scratch_load_b64 v[1:2], off, off offset:40
	v_mov_b32_e32 v115, v114
	scratch_store_b64 off, v[114:115], off offset:40
	s_waitcnt vmcnt(0)
	ds_store_b64 v5, v[1:2]
.LBB117_323:
	s_or_b32 exec_lo, exec_lo, s0
	s_waitcnt lgkmcnt(0)
	s_waitcnt_vscnt null, 0x0
	s_barrier
	buffer_gl0_inv
	s_clause 0x4
	scratch_load_b128 v[1:4], off, off offset:40
	scratch_load_b128 v[115:118], off, off offset:56
	;; [unrolled: 1-line block ×5, first 2 shown]
	ds_load_b128 v[131:134], v114 offset:480
	ds_load_b128 v[135:138], v114 offset:496
	scratch_load_b128 v[139:142], off, off offset:120
	s_mov_b32 s0, exec_lo
	s_waitcnt vmcnt(5) lgkmcnt(1)
	v_fma_f64 v[3:4], v[3:4], v[131:132], 0
	s_waitcnt vmcnt(4)
	s_delay_alu instid0(VALU_DEP_1) | instskip(SKIP_1) | instid1(VALU_DEP_1)
	v_fma_f64 v[3:4], v[115:116], v[133:134], v[3:4]
	s_waitcnt lgkmcnt(0)
	v_fma_f64 v[3:4], v[117:118], v[135:136], v[3:4]
	scratch_load_b128 v[115:118], off, off offset:136
	s_waitcnt vmcnt(4)
	v_fma_f64 v[3:4], v[119:120], v[137:138], v[3:4]
	ds_load_b128 v[131:134], v114 offset:512
	ds_load_b128 v[135:138], v114 offset:528
	s_waitcnt lgkmcnt(1)
	v_fma_f64 v[3:4], v[121:122], v[131:132], v[3:4]
	scratch_load_b128 v[119:122], off, off offset:152
	s_waitcnt vmcnt(4)
	v_fma_f64 v[3:4], v[123:124], v[133:134], v[3:4]
	s_waitcnt lgkmcnt(0)
	s_delay_alu instid0(VALU_DEP_1)
	v_fma_f64 v[3:4], v[125:126], v[135:136], v[3:4]
	scratch_load_b128 v[123:126], off, off offset:168
	s_waitcnt vmcnt(4)
	v_fma_f64 v[3:4], v[127:128], v[137:138], v[3:4]
	ds_load_b128 v[131:134], v114 offset:544
	ds_load_b128 v[135:138], v114 offset:560
	s_waitcnt lgkmcnt(1)
	v_fma_f64 v[3:4], v[129:130], v[131:132], v[3:4]
	scratch_load_b128 v[127:130], off, off offset:184
	s_waitcnt vmcnt(4)
	v_fma_f64 v[3:4], v[139:140], v[133:134], v[3:4]
	scratch_load_b128 v[131:134], off, off offset:200
	s_waitcnt lgkmcnt(0)
	v_fma_f64 v[3:4], v[141:142], v[135:136], v[3:4]
	s_waitcnt vmcnt(4)
	s_delay_alu instid0(VALU_DEP_1)
	v_fma_f64 v[3:4], v[115:116], v[137:138], v[3:4]
	ds_load_b128 v[135:138], v114 offset:576
	ds_load_b128 v[139:142], v114 offset:592
	s_waitcnt lgkmcnt(1)
	v_fma_f64 v[3:4], v[117:118], v[135:136], v[3:4]
	scratch_load_b128 v[115:118], off, off offset:216
	s_waitcnt vmcnt(4)
	v_fma_f64 v[3:4], v[119:120], v[137:138], v[3:4]
	s_waitcnt lgkmcnt(0)
	s_delay_alu instid0(VALU_DEP_1)
	v_fma_f64 v[3:4], v[121:122], v[139:140], v[3:4]
	scratch_load_b128 v[119:122], off, off offset:232
	s_waitcnt vmcnt(4)
	v_fma_f64 v[3:4], v[123:124], v[141:142], v[3:4]
	ds_load_b128 v[135:138], v114 offset:608
	ds_load_b128 v[139:142], v114 offset:624
	s_waitcnt lgkmcnt(1)
	v_fma_f64 v[3:4], v[125:126], v[135:136], v[3:4]
	scratch_load_b128 v[123:126], off, off offset:248
	s_waitcnt vmcnt(4)
	v_fma_f64 v[3:4], v[127:128], v[137:138], v[3:4]
	s_waitcnt lgkmcnt(0)
	s_delay_alu instid0(VALU_DEP_1)
	v_fma_f64 v[3:4], v[129:130], v[139:140], v[3:4]
	scratch_load_b128 v[127:130], off, off offset:264
	s_waitcnt vmcnt(4)
	;; [unrolled: 13-line block ×6, first 2 shown]
	v_fma_f64 v[3:4], v[123:124], v[141:142], v[3:4]
	ds_load_b128 v[135:138], v114 offset:768
	ds_load_b128 v[139:142], v114 offset:784
	s_waitcnt lgkmcnt(1)
	v_fma_f64 v[3:4], v[125:126], v[135:136], v[3:4]
	scratch_load_b128 v[123:126], off, off offset:408
	s_waitcnt vmcnt(4)
	v_fma_f64 v[3:4], v[127:128], v[137:138], v[3:4]
	s_waitcnt lgkmcnt(0)
	s_delay_alu instid0(VALU_DEP_1)
	v_fma_f64 v[3:4], v[129:130], v[139:140], v[3:4]
	scratch_load_b64 v[139:140], off, off offset:424
	ds_load_b128 v[127:130], v114 offset:800
	ds_load_b128 v[135:138], v114 offset:816
	s_waitcnt vmcnt(4)
	v_fma_f64 v[3:4], v[131:132], v[141:142], v[3:4]
	s_waitcnt lgkmcnt(1)
	s_delay_alu instid0(VALU_DEP_1) | instskip(SKIP_1) | instid1(VALU_DEP_1)
	v_fma_f64 v[3:4], v[133:134], v[127:128], v[3:4]
	s_waitcnt vmcnt(3)
	v_fma_f64 v[3:4], v[115:116], v[129:130], v[3:4]
	s_waitcnt lgkmcnt(0)
	s_delay_alu instid0(VALU_DEP_1)
	v_fma_f64 v[3:4], v[117:118], v[135:136], v[3:4]
	ds_load_b128 v[115:118], v114 offset:832
	ds_load_b128 v[127:130], v114 offset:848
	s_waitcnt vmcnt(2)
	v_fma_f64 v[3:4], v[119:120], v[137:138], v[3:4]
	s_waitcnt lgkmcnt(1)
	s_delay_alu instid0(VALU_DEP_1) | instskip(SKIP_1) | instid1(VALU_DEP_1)
	v_fma_f64 v[3:4], v[121:122], v[115:116], v[3:4]
	s_waitcnt vmcnt(1)
	v_fma_f64 v[3:4], v[123:124], v[117:118], v[3:4]
	s_waitcnt lgkmcnt(0)
	s_delay_alu instid0(VALU_DEP_1) | instskip(SKIP_1) | instid1(VALU_DEP_1)
	v_fma_f64 v[3:4], v[125:126], v[127:128], v[3:4]
	s_waitcnt vmcnt(0)
	v_fma_f64 v[3:4], v[139:140], v[129:130], v[3:4]
	s_delay_alu instid0(VALU_DEP_1)
	v_add_f64 v[1:2], v[1:2], -v[3:4]
	scratch_store_b64 off, v[1:2], off offset:40
	v_cmpx_lt_u32_e32 4, v0
	s_cbranch_execz .LBB117_325
; %bb.324:
	scratch_load_b64 v[1:2], off, off offset:32
	v_mov_b32_e32 v3, 0
	s_delay_alu instid0(VALU_DEP_1)
	v_mov_b32_e32 v4, v3
	scratch_store_b64 off, v[3:4], off offset:32
	s_waitcnt vmcnt(0)
	ds_store_b64 v5, v[1:2]
.LBB117_325:
	s_or_b32 exec_lo, exec_lo, s0
	s_waitcnt lgkmcnt(0)
	s_waitcnt_vscnt null, 0x0
	s_barrier
	buffer_gl0_inv
	s_clause 0x4
	scratch_load_b128 v[1:4], off, off offset:32
	scratch_load_b128 v[115:118], off, off offset:48
	;; [unrolled: 1-line block ×5, first 2 shown]
	v_mov_b32_e32 v114, 0
	ds_load_2addr_b64 v[131:134], v114 offset0:59 offset1:60
	ds_load_2addr_b64 v[135:138], v114 offset0:61 offset1:62
	scratch_load_b128 v[139:142], off, off offset:112
	s_mov_b32 s0, exec_lo
	s_waitcnt vmcnt(5) lgkmcnt(1)
	v_fma_f64 v[3:4], v[3:4], v[131:132], 0
	s_waitcnt vmcnt(4)
	s_delay_alu instid0(VALU_DEP_1) | instskip(SKIP_1) | instid1(VALU_DEP_1)
	v_fma_f64 v[3:4], v[115:116], v[133:134], v[3:4]
	s_waitcnt lgkmcnt(0)
	v_fma_f64 v[3:4], v[117:118], v[135:136], v[3:4]
	scratch_load_b128 v[115:118], off, off offset:128
	s_waitcnt vmcnt(4)
	v_fma_f64 v[3:4], v[119:120], v[137:138], v[3:4]
	ds_load_2addr_b64 v[131:134], v114 offset0:63 offset1:64
	ds_load_2addr_b64 v[135:138], v114 offset0:65 offset1:66
	s_waitcnt lgkmcnt(1)
	v_fma_f64 v[3:4], v[121:122], v[131:132], v[3:4]
	scratch_load_b128 v[119:122], off, off offset:144
	s_waitcnt vmcnt(4)
	v_fma_f64 v[3:4], v[123:124], v[133:134], v[3:4]
	s_waitcnt lgkmcnt(0)
	s_delay_alu instid0(VALU_DEP_1)
	v_fma_f64 v[3:4], v[125:126], v[135:136], v[3:4]
	scratch_load_b128 v[123:126], off, off offset:160
	s_waitcnt vmcnt(4)
	v_fma_f64 v[3:4], v[127:128], v[137:138], v[3:4]
	ds_load_2addr_b64 v[131:134], v114 offset0:67 offset1:68
	ds_load_2addr_b64 v[135:138], v114 offset0:69 offset1:70
	s_waitcnt lgkmcnt(1)
	v_fma_f64 v[3:4], v[129:130], v[131:132], v[3:4]
	scratch_load_b128 v[127:130], off, off offset:176
	s_waitcnt vmcnt(4)
	v_fma_f64 v[3:4], v[139:140], v[133:134], v[3:4]
	scratch_load_b128 v[131:134], off, off offset:192
	s_waitcnt lgkmcnt(0)
	v_fma_f64 v[3:4], v[141:142], v[135:136], v[3:4]
	s_waitcnt vmcnt(4)
	s_delay_alu instid0(VALU_DEP_1)
	v_fma_f64 v[3:4], v[115:116], v[137:138], v[3:4]
	ds_load_2addr_b64 v[135:138], v114 offset0:71 offset1:72
	ds_load_2addr_b64 v[139:142], v114 offset0:73 offset1:74
	s_waitcnt lgkmcnt(1)
	v_fma_f64 v[3:4], v[117:118], v[135:136], v[3:4]
	scratch_load_b128 v[115:118], off, off offset:208
	s_waitcnt vmcnt(4)
	v_fma_f64 v[3:4], v[119:120], v[137:138], v[3:4]
	s_waitcnt lgkmcnt(0)
	s_delay_alu instid0(VALU_DEP_1)
	v_fma_f64 v[3:4], v[121:122], v[139:140], v[3:4]
	scratch_load_b128 v[119:122], off, off offset:224
	s_waitcnt vmcnt(4)
	v_fma_f64 v[3:4], v[123:124], v[141:142], v[3:4]
	ds_load_2addr_b64 v[135:138], v114 offset0:75 offset1:76
	ds_load_2addr_b64 v[139:142], v114 offset0:77 offset1:78
	s_waitcnt lgkmcnt(1)
	v_fma_f64 v[3:4], v[125:126], v[135:136], v[3:4]
	scratch_load_b128 v[123:126], off, off offset:240
	s_waitcnt vmcnt(4)
	v_fma_f64 v[3:4], v[127:128], v[137:138], v[3:4]
	s_waitcnt lgkmcnt(0)
	s_delay_alu instid0(VALU_DEP_1)
	v_fma_f64 v[3:4], v[129:130], v[139:140], v[3:4]
	scratch_load_b128 v[127:130], off, off offset:256
	s_waitcnt vmcnt(4)
	;; [unrolled: 13-line block ×7, first 2 shown]
	v_fma_f64 v[3:4], v[131:132], v[141:142], v[3:4]
	ds_load_2addr_b64 v[135:138], v114 offset0:99 offset1:100
	ds_load_2addr_b64 v[139:142], v114 offset0:101 offset1:102
	s_waitcnt lgkmcnt(1)
	v_fma_f64 v[3:4], v[133:134], v[135:136], v[3:4]
	s_waitcnt vmcnt(3)
	s_delay_alu instid0(VALU_DEP_1) | instskip(SKIP_1) | instid1(VALU_DEP_1)
	v_fma_f64 v[3:4], v[115:116], v[137:138], v[3:4]
	s_waitcnt lgkmcnt(0)
	v_fma_f64 v[3:4], v[117:118], v[139:140], v[3:4]
	ds_load_2addr_b64 v[115:118], v114 offset0:103 offset1:104
	ds_load_2addr_b64 v[131:134], v114 offset0:105 offset1:106
	s_waitcnt vmcnt(2)
	v_fma_f64 v[3:4], v[119:120], v[141:142], v[3:4]
	s_waitcnt lgkmcnt(1)
	s_delay_alu instid0(VALU_DEP_1) | instskip(SKIP_4) | instid1(VALU_DEP_1)
	v_fma_f64 v[3:4], v[121:122], v[115:116], v[3:4]
	ds_load_b64 v[115:116], v114 offset:856
	s_waitcnt vmcnt(1)
	v_fma_f64 v[3:4], v[123:124], v[117:118], v[3:4]
	s_waitcnt lgkmcnt(1)
	v_fma_f64 v[3:4], v[125:126], v[131:132], v[3:4]
	s_waitcnt vmcnt(0)
	s_delay_alu instid0(VALU_DEP_1) | instskip(SKIP_1) | instid1(VALU_DEP_1)
	v_fma_f64 v[3:4], v[127:128], v[133:134], v[3:4]
	s_waitcnt lgkmcnt(0)
	v_fma_f64 v[3:4], v[129:130], v[115:116], v[3:4]
	s_delay_alu instid0(VALU_DEP_1)
	v_add_f64 v[1:2], v[1:2], -v[3:4]
	scratch_store_b64 off, v[1:2], off offset:32
	v_cmpx_lt_u32_e32 3, v0
	s_cbranch_execz .LBB117_327
; %bb.326:
	scratch_load_b64 v[1:2], off, off offset:24
	v_mov_b32_e32 v115, v114
	scratch_store_b64 off, v[114:115], off offset:24
	s_waitcnt vmcnt(0)
	ds_store_b64 v5, v[1:2]
.LBB117_327:
	s_or_b32 exec_lo, exec_lo, s0
	s_waitcnt lgkmcnt(0)
	s_waitcnt_vscnt null, 0x0
	s_barrier
	buffer_gl0_inv
	s_clause 0x4
	scratch_load_b128 v[1:4], off, off offset:24
	scratch_load_b128 v[115:118], off, off offset:40
	;; [unrolled: 1-line block ×5, first 2 shown]
	ds_load_b128 v[131:134], v114 offset:464
	ds_load_b128 v[135:138], v114 offset:480
	scratch_load_b128 v[139:142], off, off offset:104
	s_mov_b32 s0, exec_lo
	s_waitcnt vmcnt(5) lgkmcnt(1)
	v_fma_f64 v[3:4], v[3:4], v[131:132], 0
	s_waitcnt vmcnt(4)
	s_delay_alu instid0(VALU_DEP_1) | instskip(SKIP_1) | instid1(VALU_DEP_1)
	v_fma_f64 v[3:4], v[115:116], v[133:134], v[3:4]
	s_waitcnt lgkmcnt(0)
	v_fma_f64 v[3:4], v[117:118], v[135:136], v[3:4]
	scratch_load_b128 v[115:118], off, off offset:120
	s_waitcnt vmcnt(4)
	v_fma_f64 v[3:4], v[119:120], v[137:138], v[3:4]
	ds_load_b128 v[131:134], v114 offset:496
	ds_load_b128 v[135:138], v114 offset:512
	s_waitcnt lgkmcnt(1)
	v_fma_f64 v[3:4], v[121:122], v[131:132], v[3:4]
	scratch_load_b128 v[119:122], off, off offset:136
	s_waitcnt vmcnt(4)
	v_fma_f64 v[3:4], v[123:124], v[133:134], v[3:4]
	s_waitcnt lgkmcnt(0)
	s_delay_alu instid0(VALU_DEP_1)
	v_fma_f64 v[3:4], v[125:126], v[135:136], v[3:4]
	scratch_load_b128 v[123:126], off, off offset:152
	s_waitcnt vmcnt(4)
	v_fma_f64 v[3:4], v[127:128], v[137:138], v[3:4]
	ds_load_b128 v[131:134], v114 offset:528
	ds_load_b128 v[135:138], v114 offset:544
	s_waitcnt lgkmcnt(1)
	v_fma_f64 v[3:4], v[129:130], v[131:132], v[3:4]
	scratch_load_b128 v[127:130], off, off offset:168
	s_waitcnt vmcnt(4)
	v_fma_f64 v[3:4], v[139:140], v[133:134], v[3:4]
	scratch_load_b128 v[131:134], off, off offset:184
	s_waitcnt lgkmcnt(0)
	v_fma_f64 v[3:4], v[141:142], v[135:136], v[3:4]
	s_waitcnt vmcnt(4)
	s_delay_alu instid0(VALU_DEP_1)
	v_fma_f64 v[3:4], v[115:116], v[137:138], v[3:4]
	ds_load_b128 v[135:138], v114 offset:560
	ds_load_b128 v[139:142], v114 offset:576
	s_waitcnt lgkmcnt(1)
	v_fma_f64 v[3:4], v[117:118], v[135:136], v[3:4]
	scratch_load_b128 v[115:118], off, off offset:200
	s_waitcnt vmcnt(4)
	v_fma_f64 v[3:4], v[119:120], v[137:138], v[3:4]
	s_waitcnt lgkmcnt(0)
	s_delay_alu instid0(VALU_DEP_1)
	v_fma_f64 v[3:4], v[121:122], v[139:140], v[3:4]
	scratch_load_b128 v[119:122], off, off offset:216
	s_waitcnt vmcnt(4)
	v_fma_f64 v[3:4], v[123:124], v[141:142], v[3:4]
	ds_load_b128 v[135:138], v114 offset:592
	ds_load_b128 v[139:142], v114 offset:608
	s_waitcnt lgkmcnt(1)
	v_fma_f64 v[3:4], v[125:126], v[135:136], v[3:4]
	scratch_load_b128 v[123:126], off, off offset:232
	s_waitcnt vmcnt(4)
	v_fma_f64 v[3:4], v[127:128], v[137:138], v[3:4]
	s_waitcnt lgkmcnt(0)
	s_delay_alu instid0(VALU_DEP_1)
	v_fma_f64 v[3:4], v[129:130], v[139:140], v[3:4]
	scratch_load_b128 v[127:130], off, off offset:248
	s_waitcnt vmcnt(4)
	;; [unrolled: 13-line block ×7, first 2 shown]
	v_fma_f64 v[3:4], v[131:132], v[141:142], v[3:4]
	ds_load_b128 v[135:138], v114 offset:784
	ds_load_b128 v[139:142], v114 offset:800
	s_waitcnt lgkmcnt(1)
	v_fma_f64 v[3:4], v[133:134], v[135:136], v[3:4]
	scratch_load_b64 v[135:136], off, off offset:424
	s_waitcnt vmcnt(4)
	v_fma_f64 v[3:4], v[115:116], v[137:138], v[3:4]
	s_waitcnt lgkmcnt(0)
	s_delay_alu instid0(VALU_DEP_1)
	v_fma_f64 v[3:4], v[117:118], v[139:140], v[3:4]
	ds_load_b128 v[115:118], v114 offset:816
	ds_load_b128 v[131:134], v114 offset:832
	s_waitcnt vmcnt(3)
	v_fma_f64 v[3:4], v[119:120], v[141:142], v[3:4]
	s_waitcnt lgkmcnt(1)
	s_delay_alu instid0(VALU_DEP_1) | instskip(SKIP_1) | instid1(VALU_DEP_1)
	v_fma_f64 v[3:4], v[121:122], v[115:116], v[3:4]
	s_waitcnt vmcnt(2)
	v_fma_f64 v[3:4], v[123:124], v[117:118], v[3:4]
	ds_load_b128 v[114:117], v114 offset:848
	s_waitcnt lgkmcnt(1)
	v_fma_f64 v[3:4], v[125:126], v[131:132], v[3:4]
	s_waitcnt vmcnt(1)
	s_delay_alu instid0(VALU_DEP_1) | instskip(SKIP_1) | instid1(VALU_DEP_1)
	v_fma_f64 v[3:4], v[127:128], v[133:134], v[3:4]
	s_waitcnt lgkmcnt(0)
	v_fma_f64 v[3:4], v[129:130], v[114:115], v[3:4]
	s_waitcnt vmcnt(0)
	s_delay_alu instid0(VALU_DEP_1) | instskip(NEXT) | instid1(VALU_DEP_1)
	v_fma_f64 v[3:4], v[135:136], v[116:117], v[3:4]
	v_add_f64 v[1:2], v[1:2], -v[3:4]
	scratch_store_b64 off, v[1:2], off offset:24
	v_cmpx_lt_u32_e32 2, v0
	s_cbranch_execz .LBB117_329
; %bb.328:
	scratch_load_b64 v[1:2], off, off offset:16
	v_mov_b32_e32 v3, 0
	s_delay_alu instid0(VALU_DEP_1)
	v_mov_b32_e32 v4, v3
	scratch_store_b64 off, v[3:4], off offset:16
	s_waitcnt vmcnt(0)
	ds_store_b64 v5, v[1:2]
.LBB117_329:
	s_or_b32 exec_lo, exec_lo, s0
	s_waitcnt lgkmcnt(0)
	s_waitcnt_vscnt null, 0x0
	s_barrier
	buffer_gl0_inv
	s_clause 0x4
	scratch_load_b128 v[1:4], off, off offset:16
	scratch_load_b128 v[115:118], off, off offset:32
	;; [unrolled: 1-line block ×5, first 2 shown]
	v_mov_b32_e32 v114, 0
	ds_load_2addr_b64 v[131:134], v114 offset0:57 offset1:58
	ds_load_2addr_b64 v[135:138], v114 offset0:59 offset1:60
	scratch_load_b128 v[139:142], off, off offset:96
	s_mov_b32 s0, exec_lo
	s_waitcnt vmcnt(5) lgkmcnt(1)
	v_fma_f64 v[3:4], v[3:4], v[131:132], 0
	s_waitcnt vmcnt(4)
	s_delay_alu instid0(VALU_DEP_1) | instskip(SKIP_1) | instid1(VALU_DEP_1)
	v_fma_f64 v[3:4], v[115:116], v[133:134], v[3:4]
	s_waitcnt lgkmcnt(0)
	v_fma_f64 v[3:4], v[117:118], v[135:136], v[3:4]
	scratch_load_b128 v[115:118], off, off offset:112
	s_waitcnt vmcnt(4)
	v_fma_f64 v[3:4], v[119:120], v[137:138], v[3:4]
	ds_load_2addr_b64 v[131:134], v114 offset0:61 offset1:62
	ds_load_2addr_b64 v[135:138], v114 offset0:63 offset1:64
	s_waitcnt lgkmcnt(1)
	v_fma_f64 v[3:4], v[121:122], v[131:132], v[3:4]
	scratch_load_b128 v[119:122], off, off offset:128
	s_waitcnt vmcnt(4)
	v_fma_f64 v[3:4], v[123:124], v[133:134], v[3:4]
	s_waitcnt lgkmcnt(0)
	s_delay_alu instid0(VALU_DEP_1)
	v_fma_f64 v[3:4], v[125:126], v[135:136], v[3:4]
	scratch_load_b128 v[123:126], off, off offset:144
	s_waitcnt vmcnt(4)
	v_fma_f64 v[3:4], v[127:128], v[137:138], v[3:4]
	ds_load_2addr_b64 v[131:134], v114 offset0:65 offset1:66
	ds_load_2addr_b64 v[135:138], v114 offset0:67 offset1:68
	s_waitcnt lgkmcnt(1)
	v_fma_f64 v[3:4], v[129:130], v[131:132], v[3:4]
	scratch_load_b128 v[127:130], off, off offset:160
	s_waitcnt vmcnt(4)
	v_fma_f64 v[3:4], v[139:140], v[133:134], v[3:4]
	scratch_load_b128 v[131:134], off, off offset:176
	s_waitcnt lgkmcnt(0)
	v_fma_f64 v[3:4], v[141:142], v[135:136], v[3:4]
	s_waitcnt vmcnt(4)
	s_delay_alu instid0(VALU_DEP_1)
	v_fma_f64 v[3:4], v[115:116], v[137:138], v[3:4]
	ds_load_2addr_b64 v[135:138], v114 offset0:69 offset1:70
	ds_load_2addr_b64 v[139:142], v114 offset0:71 offset1:72
	s_waitcnt lgkmcnt(1)
	v_fma_f64 v[3:4], v[117:118], v[135:136], v[3:4]
	scratch_load_b128 v[115:118], off, off offset:192
	s_waitcnt vmcnt(4)
	v_fma_f64 v[3:4], v[119:120], v[137:138], v[3:4]
	s_waitcnt lgkmcnt(0)
	s_delay_alu instid0(VALU_DEP_1)
	v_fma_f64 v[3:4], v[121:122], v[139:140], v[3:4]
	scratch_load_b128 v[119:122], off, off offset:208
	s_waitcnt vmcnt(4)
	v_fma_f64 v[3:4], v[123:124], v[141:142], v[3:4]
	ds_load_2addr_b64 v[135:138], v114 offset0:73 offset1:74
	ds_load_2addr_b64 v[139:142], v114 offset0:75 offset1:76
	s_waitcnt lgkmcnt(1)
	v_fma_f64 v[3:4], v[125:126], v[135:136], v[3:4]
	scratch_load_b128 v[123:126], off, off offset:224
	s_waitcnt vmcnt(4)
	v_fma_f64 v[3:4], v[127:128], v[137:138], v[3:4]
	s_waitcnt lgkmcnt(0)
	s_delay_alu instid0(VALU_DEP_1)
	v_fma_f64 v[3:4], v[129:130], v[139:140], v[3:4]
	scratch_load_b128 v[127:130], off, off offset:240
	s_waitcnt vmcnt(4)
	;; [unrolled: 13-line block ×7, first 2 shown]
	v_fma_f64 v[3:4], v[131:132], v[141:142], v[3:4]
	ds_load_2addr_b64 v[135:138], v114 offset0:97 offset1:98
	ds_load_2addr_b64 v[139:142], v114 offset0:99 offset1:100
	s_waitcnt lgkmcnt(1)
	v_fma_f64 v[3:4], v[133:134], v[135:136], v[3:4]
	scratch_load_b128 v[131:134], off, off offset:416
	s_waitcnt vmcnt(4)
	v_fma_f64 v[3:4], v[115:116], v[137:138], v[3:4]
	s_waitcnt lgkmcnt(0)
	s_delay_alu instid0(VALU_DEP_1)
	v_fma_f64 v[3:4], v[117:118], v[139:140], v[3:4]
	ds_load_2addr_b64 v[115:118], v114 offset0:101 offset1:102
	ds_load_2addr_b64 v[135:138], v114 offset0:103 offset1:104
	s_waitcnt vmcnt(3)
	v_fma_f64 v[3:4], v[119:120], v[141:142], v[3:4]
	s_waitcnt lgkmcnt(1)
	s_delay_alu instid0(VALU_DEP_1) | instskip(SKIP_1) | instid1(VALU_DEP_1)
	v_fma_f64 v[3:4], v[121:122], v[115:116], v[3:4]
	s_waitcnt vmcnt(2)
	v_fma_f64 v[3:4], v[123:124], v[117:118], v[3:4]
	ds_load_2addr_b64 v[115:118], v114 offset0:105 offset1:106
	ds_load_b64 v[119:120], v114 offset:856
	s_waitcnt lgkmcnt(2)
	v_fma_f64 v[3:4], v[125:126], v[135:136], v[3:4]
	s_waitcnt vmcnt(1)
	s_delay_alu instid0(VALU_DEP_1) | instskip(SKIP_1) | instid1(VALU_DEP_1)
	v_fma_f64 v[3:4], v[127:128], v[137:138], v[3:4]
	s_waitcnt lgkmcnt(1)
	v_fma_f64 v[3:4], v[129:130], v[115:116], v[3:4]
	s_waitcnt vmcnt(0)
	s_delay_alu instid0(VALU_DEP_1) | instskip(SKIP_1) | instid1(VALU_DEP_1)
	v_fma_f64 v[3:4], v[131:132], v[117:118], v[3:4]
	s_waitcnt lgkmcnt(0)
	v_fma_f64 v[3:4], v[133:134], v[119:120], v[3:4]
	s_delay_alu instid0(VALU_DEP_1)
	v_add_f64 v[1:2], v[1:2], -v[3:4]
	scratch_store_b64 off, v[1:2], off offset:16
	v_cmpx_lt_u32_e32 1, v0
	s_cbranch_execz .LBB117_331
; %bb.330:
	scratch_load_b64 v[1:2], off, off offset:8
	v_mov_b32_e32 v115, v114
	scratch_store_b64 off, v[114:115], off offset:8
	s_waitcnt vmcnt(0)
	ds_store_b64 v5, v[1:2]
.LBB117_331:
	s_or_b32 exec_lo, exec_lo, s0
	s_waitcnt lgkmcnt(0)
	s_waitcnt_vscnt null, 0x0
	s_barrier
	buffer_gl0_inv
	s_clause 0x4
	scratch_load_b128 v[1:4], off, off offset:8
	scratch_load_b128 v[115:118], off, off offset:24
	;; [unrolled: 1-line block ×5, first 2 shown]
	ds_load_b128 v[131:134], v114 offset:448
	ds_load_b128 v[135:138], v114 offset:464
	scratch_load_b128 v[139:142], off, off offset:88
	s_mov_b32 s0, exec_lo
	s_waitcnt vmcnt(5) lgkmcnt(1)
	v_fma_f64 v[3:4], v[3:4], v[131:132], 0
	s_waitcnt vmcnt(4)
	s_delay_alu instid0(VALU_DEP_1) | instskip(SKIP_1) | instid1(VALU_DEP_1)
	v_fma_f64 v[3:4], v[115:116], v[133:134], v[3:4]
	s_waitcnt lgkmcnt(0)
	v_fma_f64 v[3:4], v[117:118], v[135:136], v[3:4]
	scratch_load_b128 v[115:118], off, off offset:104
	s_waitcnt vmcnt(4)
	v_fma_f64 v[3:4], v[119:120], v[137:138], v[3:4]
	ds_load_b128 v[131:134], v114 offset:480
	ds_load_b128 v[135:138], v114 offset:496
	s_waitcnt lgkmcnt(1)
	v_fma_f64 v[3:4], v[121:122], v[131:132], v[3:4]
	scratch_load_b128 v[119:122], off, off offset:120
	s_waitcnt vmcnt(4)
	v_fma_f64 v[3:4], v[123:124], v[133:134], v[3:4]
	s_waitcnt lgkmcnt(0)
	s_delay_alu instid0(VALU_DEP_1)
	v_fma_f64 v[3:4], v[125:126], v[135:136], v[3:4]
	scratch_load_b128 v[123:126], off, off offset:136
	s_waitcnt vmcnt(4)
	v_fma_f64 v[3:4], v[127:128], v[137:138], v[3:4]
	ds_load_b128 v[131:134], v114 offset:512
	ds_load_b128 v[135:138], v114 offset:528
	s_waitcnt lgkmcnt(1)
	v_fma_f64 v[3:4], v[129:130], v[131:132], v[3:4]
	scratch_load_b128 v[127:130], off, off offset:152
	s_waitcnt vmcnt(4)
	v_fma_f64 v[3:4], v[139:140], v[133:134], v[3:4]
	scratch_load_b128 v[131:134], off, off offset:168
	s_waitcnt lgkmcnt(0)
	v_fma_f64 v[3:4], v[141:142], v[135:136], v[3:4]
	s_waitcnt vmcnt(4)
	s_delay_alu instid0(VALU_DEP_1)
	v_fma_f64 v[3:4], v[115:116], v[137:138], v[3:4]
	ds_load_b128 v[135:138], v114 offset:544
	ds_load_b128 v[139:142], v114 offset:560
	s_waitcnt lgkmcnt(1)
	v_fma_f64 v[3:4], v[117:118], v[135:136], v[3:4]
	scratch_load_b128 v[115:118], off, off offset:184
	s_waitcnt vmcnt(4)
	v_fma_f64 v[3:4], v[119:120], v[137:138], v[3:4]
	s_waitcnt lgkmcnt(0)
	s_delay_alu instid0(VALU_DEP_1)
	v_fma_f64 v[3:4], v[121:122], v[139:140], v[3:4]
	scratch_load_b128 v[119:122], off, off offset:200
	s_waitcnt vmcnt(4)
	v_fma_f64 v[3:4], v[123:124], v[141:142], v[3:4]
	ds_load_b128 v[135:138], v114 offset:576
	ds_load_b128 v[139:142], v114 offset:592
	s_waitcnt lgkmcnt(1)
	v_fma_f64 v[3:4], v[125:126], v[135:136], v[3:4]
	scratch_load_b128 v[123:126], off, off offset:216
	s_waitcnt vmcnt(4)
	v_fma_f64 v[3:4], v[127:128], v[137:138], v[3:4]
	s_waitcnt lgkmcnt(0)
	s_delay_alu instid0(VALU_DEP_1)
	v_fma_f64 v[3:4], v[129:130], v[139:140], v[3:4]
	scratch_load_b128 v[127:130], off, off offset:232
	s_waitcnt vmcnt(4)
	;; [unrolled: 13-line block ×7, first 2 shown]
	v_fma_f64 v[3:4], v[131:132], v[141:142], v[3:4]
	ds_load_b128 v[135:138], v114 offset:768
	ds_load_b128 v[139:142], v114 offset:784
	s_waitcnt lgkmcnt(1)
	v_fma_f64 v[3:4], v[133:134], v[135:136], v[3:4]
	scratch_load_b128 v[131:134], off, off offset:408
	s_waitcnt vmcnt(4)
	v_fma_f64 v[3:4], v[115:116], v[137:138], v[3:4]
	s_waitcnt lgkmcnt(0)
	s_delay_alu instid0(VALU_DEP_1)
	v_fma_f64 v[3:4], v[117:118], v[139:140], v[3:4]
	scratch_load_b64 v[139:140], off, off offset:424
	ds_load_b128 v[115:118], v114 offset:800
	ds_load_b128 v[135:138], v114 offset:816
	s_waitcnt vmcnt(4)
	v_fma_f64 v[3:4], v[119:120], v[141:142], v[3:4]
	s_waitcnt lgkmcnt(1)
	s_delay_alu instid0(VALU_DEP_1) | instskip(SKIP_1) | instid1(VALU_DEP_1)
	v_fma_f64 v[3:4], v[121:122], v[115:116], v[3:4]
	s_waitcnt vmcnt(3)
	v_fma_f64 v[3:4], v[123:124], v[117:118], v[3:4]
	ds_load_b128 v[115:118], v114 offset:832
	ds_load_b128 v[119:122], v114 offset:848
	s_waitcnt lgkmcnt(2)
	v_fma_f64 v[3:4], v[125:126], v[135:136], v[3:4]
	s_waitcnt vmcnt(2)
	s_delay_alu instid0(VALU_DEP_1) | instskip(SKIP_1) | instid1(VALU_DEP_1)
	v_fma_f64 v[3:4], v[127:128], v[137:138], v[3:4]
	s_waitcnt lgkmcnt(1)
	v_fma_f64 v[3:4], v[129:130], v[115:116], v[3:4]
	s_waitcnt vmcnt(1)
	s_delay_alu instid0(VALU_DEP_1) | instskip(SKIP_1) | instid1(VALU_DEP_1)
	v_fma_f64 v[3:4], v[131:132], v[117:118], v[3:4]
	s_waitcnt lgkmcnt(0)
	v_fma_f64 v[3:4], v[133:134], v[119:120], v[3:4]
	s_waitcnt vmcnt(0)
	s_delay_alu instid0(VALU_DEP_1) | instskip(NEXT) | instid1(VALU_DEP_1)
	v_fma_f64 v[3:4], v[139:140], v[121:122], v[3:4]
	v_add_f64 v[1:2], v[1:2], -v[3:4]
	scratch_store_b64 off, v[1:2], off offset:8
	v_cmpx_ne_u32_e32 0, v0
	s_cbranch_execz .LBB117_333
; %bb.332:
	scratch_load_b64 v[0:1], off, off
	v_mov_b32_e32 v2, 0
	s_delay_alu instid0(VALU_DEP_1)
	v_mov_b32_e32 v3, v2
	scratch_store_b64 off, v[2:3], off
	s_waitcnt vmcnt(0)
	ds_store_b64 v5, v[0:1]
.LBB117_333:
	s_or_b32 exec_lo, exec_lo, s0
	s_waitcnt lgkmcnt(0)
	s_waitcnt_vscnt null, 0x0
	s_barrier
	buffer_gl0_inv
	s_clause 0x4
	scratch_load_b128 v[0:3], off, off
	scratch_load_b128 v[115:118], off, off offset:16
	scratch_load_b128 v[119:122], off, off offset:32
	;; [unrolled: 1-line block ×4, first 2 shown]
	v_mov_b32_e32 v114, 0
	ds_load_2addr_b64 v[131:134], v114 offset0:55 offset1:56
	ds_load_2addr_b64 v[135:138], v114 offset0:57 offset1:58
	s_and_b32 vcc_lo, exec_lo, s12
	s_waitcnt vmcnt(4) lgkmcnt(1)
	v_fma_f64 v[131:132], v[2:3], v[131:132], 0
	scratch_load_b128 v[2:5], off, off offset:80
	s_waitcnt vmcnt(4)
	v_fma_f64 v[115:116], v[115:116], v[133:134], v[131:132]
	s_waitcnt lgkmcnt(0)
	s_delay_alu instid0(VALU_DEP_1)
	v_fma_f64 v[131:132], v[117:118], v[135:136], v[115:116]
	scratch_load_b128 v[115:118], off, off offset:96
	s_waitcnt vmcnt(4)
	v_fma_f64 v[119:120], v[119:120], v[137:138], v[131:132]
	ds_load_2addr_b64 v[131:134], v114 offset0:59 offset1:60
	ds_load_2addr_b64 v[135:138], v114 offset0:61 offset1:62
	s_waitcnt lgkmcnt(1)
	v_fma_f64 v[131:132], v[121:122], v[131:132], v[119:120]
	scratch_load_b128 v[119:122], off, off offset:112
	s_waitcnt vmcnt(4)
	v_fma_f64 v[123:124], v[123:124], v[133:134], v[131:132]
	s_waitcnt lgkmcnt(0)
	s_delay_alu instid0(VALU_DEP_1)
	v_fma_f64 v[131:132], v[125:126], v[135:136], v[123:124]
	scratch_load_b128 v[123:126], off, off offset:128
	s_waitcnt vmcnt(4)
	v_fma_f64 v[127:128], v[127:128], v[137:138], v[131:132]
	ds_load_2addr_b64 v[131:134], v114 offset0:63 offset1:64
	ds_load_2addr_b64 v[135:138], v114 offset0:65 offset1:66
	s_waitcnt lgkmcnt(1)
	;; [unrolled: 13-line block ×9, first 2 shown]
	v_fma_f64 v[131:132], v[125:126], v[131:132], v[123:124]
	scratch_load_b128 v[123:126], off, off offset:368
	s_waitcnt vmcnt(4)
	v_fma_f64 v[127:128], v[127:128], v[133:134], v[131:132]
	s_waitcnt lgkmcnt(0)
	s_delay_alu instid0(VALU_DEP_1)
	v_fma_f64 v[131:132], v[129:130], v[135:136], v[127:128]
	scratch_load_b128 v[127:130], off, off offset:384
	s_waitcnt vmcnt(4)
	v_fma_f64 v[2:3], v[2:3], v[137:138], v[131:132]
	ds_load_2addr_b64 v[131:134], v114 offset0:95 offset1:96
	ds_load_2addr_b64 v[135:138], v114 offset0:97 offset1:98
	scratch_load_b128 v[139:142], off, off offset:400
	s_waitcnt lgkmcnt(1)
	v_fma_f64 v[2:3], v[4:5], v[131:132], v[2:3]
	s_waitcnt vmcnt(4)
	s_delay_alu instid0(VALU_DEP_1) | instskip(SKIP_1) | instid1(VALU_DEP_1)
	v_fma_f64 v[2:3], v[115:116], v[133:134], v[2:3]
	s_waitcnt lgkmcnt(0)
	v_fma_f64 v[115:116], v[117:118], v[135:136], v[2:3]
	scratch_load_b128 v[2:5], off, off offset:416
	s_waitcnt vmcnt(4)
	v_fma_f64 v[119:120], v[119:120], v[137:138], v[115:116]
	ds_load_2addr_b64 v[115:118], v114 offset0:99 offset1:100
	ds_load_2addr_b64 v[131:134], v114 offset0:101 offset1:102
	s_waitcnt lgkmcnt(1)
	v_fma_f64 v[115:116], v[121:122], v[115:116], v[119:120]
	s_waitcnt vmcnt(3)
	s_delay_alu instid0(VALU_DEP_1) | instskip(SKIP_1) | instid1(VALU_DEP_1)
	v_fma_f64 v[115:116], v[123:124], v[117:118], v[115:116]
	s_waitcnt lgkmcnt(0)
	v_fma_f64 v[115:116], v[125:126], v[131:132], v[115:116]
	s_waitcnt vmcnt(2)
	s_delay_alu instid0(VALU_DEP_1)
	v_fma_f64 v[123:124], v[127:128], v[133:134], v[115:116]
	ds_load_2addr_b64 v[115:118], v114 offset0:103 offset1:104
	ds_load_2addr_b64 v[119:122], v114 offset0:105 offset1:106
	s_waitcnt lgkmcnt(1)
	v_fma_f64 v[115:116], v[129:130], v[115:116], v[123:124]
	s_waitcnt vmcnt(1)
	s_delay_alu instid0(VALU_DEP_1) | instskip(SKIP_4) | instid1(VALU_DEP_1)
	v_fma_f64 v[115:116], v[139:140], v[117:118], v[115:116]
	ds_load_b64 v[117:118], v114 offset:856
	s_waitcnt lgkmcnt(1)
	v_fma_f64 v[115:116], v[141:142], v[119:120], v[115:116]
	s_waitcnt vmcnt(0)
	v_fma_f64 v[115:116], v[2:3], v[121:122], v[115:116]
	s_waitcnt lgkmcnt(0)
	s_delay_alu instid0(VALU_DEP_1) | instskip(NEXT) | instid1(VALU_DEP_1)
	v_fma_f64 v[4:5], v[4:5], v[117:118], v[115:116]
	v_add_f64 v[0:1], v[0:1], -v[4:5]
	scratch_store_b64 off, v[0:1], off
	s_cbranch_vccz .LBB117_441
; %bb.334:
	v_dual_mov_b32 v0, s2 :: v_dual_mov_b32 v1, s3
	s_mov_b32 s0, exec_lo
	flat_load_b32 v0, v[0:1] offset:208
	s_waitcnt vmcnt(0) lgkmcnt(0)
	v_cmpx_ne_u32_e32 53, v0
	s_cbranch_execz .LBB117_336
; %bb.335:
	v_lshl_add_u32 v4, v0, 3, 0
	scratch_load_b64 v[0:1], v4, off offset:-8
	s_waitcnt vmcnt(0)
	scratch_store_b64 off, v[0:1], off offset:416
	scratch_store_b64 v4, v[2:3], off offset:-8
.LBB117_336:
	s_or_b32 exec_lo, exec_lo, s0
	v_dual_mov_b32 v0, s2 :: v_dual_mov_b32 v1, s3
	s_mov_b32 s0, exec_lo
	flat_load_b32 v0, v[0:1] offset:204
	s_waitcnt vmcnt(0) lgkmcnt(0)
	v_cmpx_ne_u32_e32 52, v0
	s_cbranch_execz .LBB117_338
; %bb.337:
	v_lshl_add_u32 v4, v0, 3, 0
	scratch_load_b64 v[0:1], v4, off offset:-8
	scratch_load_b64 v[2:3], off, off offset:408
	s_waitcnt vmcnt(1)
	scratch_store_b64 off, v[0:1], off offset:408
	s_waitcnt vmcnt(0)
	scratch_store_b64 v4, v[2:3], off offset:-8
.LBB117_338:
	s_or_b32 exec_lo, exec_lo, s0
	v_dual_mov_b32 v0, s2 :: v_dual_mov_b32 v1, s3
	s_mov_b32 s0, exec_lo
	flat_load_b32 v0, v[0:1] offset:200
	s_waitcnt vmcnt(0) lgkmcnt(0)
	v_cmpx_ne_u32_e32 51, v0
	s_cbranch_execz .LBB117_340
; %bb.339:
	v_lshl_add_u32 v4, v0, 3, 0
	scratch_load_b64 v[0:1], v4, off offset:-8
	scratch_load_b64 v[2:3], off, off offset:400
	s_waitcnt vmcnt(1)
	scratch_store_b64 off, v[0:1], off offset:400
	s_waitcnt vmcnt(0)
	scratch_store_b64 v4, v[2:3], off offset:-8
.LBB117_340:
	;; [unrolled: 16-line block ×51, first 2 shown]
	s_or_b32 exec_lo, exec_lo, s0
	v_dual_mov_b32 v0, s2 :: v_dual_mov_b32 v1, s3
	s_mov_b32 s0, exec_lo
	flat_load_b32 v2, v[0:1]
	scratch_load_b64 v[0:1], off, off
	s_waitcnt vmcnt(1) lgkmcnt(0)
	v_cmpx_ne_u32_e32 1, v2
	s_cbranch_execz .LBB117_440
; %bb.439:
	v_lshl_add_u32 v4, v2, 3, 0
	scratch_load_b64 v[2:3], v4, off offset:-8
	s_waitcnt vmcnt(0)
	scratch_store_b64 off, v[2:3], off
	scratch_store_b64 v4, v[0:1], off offset:-8
	scratch_load_b64 v[0:1], off, off
.LBB117_440:
	s_or_b32 exec_lo, exec_lo, s0
.LBB117_441:
	s_clause 0x6
	scratch_load_b128 v[2:5], off, off offset:8
	scratch_load_b128 v[114:117], off, off offset:24
	;; [unrolled: 1-line block ×7, first 2 shown]
	s_waitcnt vmcnt(7)
	global_store_b64 v[8:9], v[0:1], off
	s_clause 0x4
	scratch_load_b128 v[138:141], off, off offset:120
	scratch_load_b128 v[142:145], off, off offset:200
	;; [unrolled: 1-line block ×5, first 2 shown]
	s_waitcnt vmcnt(11)
	global_store_b64 v[6:7], v[2:3], off
	scratch_load_b128 v[0:3], off, off offset:136
	global_store_b64 v[14:15], v[4:5], off
	s_waitcnt vmcnt(11)
	s_clause 0x1
	global_store_b64 v[12:13], v[114:115], off
	global_store_b64 v[24:25], v[116:117], off
	s_waitcnt vmcnt(10)
	s_clause 0x1
	global_store_b64 v[20:21], v[118:119], off
	;; [unrolled: 4-line block ×7, first 2 shown]
	global_store_b64 v[42:43], v[140:141], off
	s_clause 0xa
	scratch_load_b128 v[4:7], off, off offset:152
	scratch_load_b128 v[12:15], off, off offset:168
	;; [unrolled: 1-line block ×11, first 2 shown]
	s_waitcnt vmcnt(11)
	global_store_b64 v[40:41], v[0:1], off
	scratch_load_b128 v[40:43], off, off offset:392
	global_store_b64 v[34:35], v[2:3], off
	s_clause 0x1
	scratch_load_b128 v[0:3], off, off offset:408
	scratch_load_b64 v[8:9], off, off offset:424
	s_waitcnt vmcnt(13)
	s_clause 0x1
	global_store_b64 v[22:23], v[4:5], off
	global_store_b64 v[26:27], v[6:7], off
	s_waitcnt vmcnt(12)
	s_clause 0x1
	global_store_b64 v[28:29], v[12:13], off
	global_store_b64 v[30:31], v[14:15], off
	;; [unrolled: 4-line block ×3, first 2 shown]
	global_store_b64 v[38:39], v[142:143], off
	global_store_b64 v[44:45], v[144:145], off
	s_waitcnt vmcnt(10)
	s_clause 0x1
	global_store_b64 v[46:47], v[18:19], off
	global_store_b64 v[50:51], v[20:21], off
	s_waitcnt vmcnt(9)
	s_clause 0x1
	;; [unrolled: 4-line block ×3, first 2 shown]
	global_store_b64 v[64:65], v[122:123], off
	global_store_b64 v[68:69], v[124:125], off
	global_store_b64 v[72:73], v[146:147], off
	global_store_b64 v[76:77], v[148:149], off
	s_waitcnt vmcnt(7)
	s_clause 0x3
	global_store_b64 v[78:79], v[126:127], off
	global_store_b64 v[80:81], v[128:129], off
	global_store_b64 v[82:83], v[150:151], off
	global_store_b64 v[84:85], v[152:153], off
	s_waitcnt vmcnt(6)
	s_clause 0x3
	;; [unrolled: 6-line block ×3, first 2 shown]
	global_store_b64 v[94:95], v[52:53], off
	global_store_b64 v[96:97], v[54:55], off
	s_waitcnt vmcnt(4)
	s_clause 0x1
	global_store_b64 v[98:99], v[134:135], off
	global_store_b64 v[100:101], v[136:137], off
	s_waitcnt vmcnt(3)
	s_clause 0x1
	;; [unrolled: 4-line block ×4, first 2 shown]
	global_store_b64 v[110:111], v[0:1], off
	global_store_b64 v[112:113], v[2:3], off
	s_waitcnt vmcnt(0)
	global_store_b64 v[10:11], v[8:9], off
	s_endpgm
	.section	.rodata,"a",@progbits
	.p2align	6, 0x0
	.amdhsa_kernel _ZN9rocsolver6v33100L18getri_kernel_smallILi54EdPKPdEEvT1_iilPiilS6_bb
		.amdhsa_group_segment_fixed_size 872
		.amdhsa_private_segment_fixed_size 448
		.amdhsa_kernarg_size 60
		.amdhsa_user_sgpr_count 15
		.amdhsa_user_sgpr_dispatch_ptr 0
		.amdhsa_user_sgpr_queue_ptr 0
		.amdhsa_user_sgpr_kernarg_segment_ptr 1
		.amdhsa_user_sgpr_dispatch_id 0
		.amdhsa_user_sgpr_private_segment_size 0
		.amdhsa_wavefront_size32 1
		.amdhsa_uses_dynamic_stack 0
		.amdhsa_enable_private_segment 1
		.amdhsa_system_sgpr_workgroup_id_x 1
		.amdhsa_system_sgpr_workgroup_id_y 0
		.amdhsa_system_sgpr_workgroup_id_z 0
		.amdhsa_system_sgpr_workgroup_info 0
		.amdhsa_system_vgpr_workitem_id 0
		.amdhsa_next_free_vgpr 162
		.amdhsa_next_free_sgpr 17
		.amdhsa_reserve_vcc 1
		.amdhsa_float_round_mode_32 0
		.amdhsa_float_round_mode_16_64 0
		.amdhsa_float_denorm_mode_32 3
		.amdhsa_float_denorm_mode_16_64 3
		.amdhsa_dx10_clamp 1
		.amdhsa_ieee_mode 1
		.amdhsa_fp16_overflow 0
		.amdhsa_workgroup_processor_mode 1
		.amdhsa_memory_ordered 1
		.amdhsa_forward_progress 0
		.amdhsa_shared_vgpr_count 0
		.amdhsa_exception_fp_ieee_invalid_op 0
		.amdhsa_exception_fp_denorm_src 0
		.amdhsa_exception_fp_ieee_div_zero 0
		.amdhsa_exception_fp_ieee_overflow 0
		.amdhsa_exception_fp_ieee_underflow 0
		.amdhsa_exception_fp_ieee_inexact 0
		.amdhsa_exception_int_div_zero 0
	.end_amdhsa_kernel
	.section	.text._ZN9rocsolver6v33100L18getri_kernel_smallILi54EdPKPdEEvT1_iilPiilS6_bb,"axG",@progbits,_ZN9rocsolver6v33100L18getri_kernel_smallILi54EdPKPdEEvT1_iilPiilS6_bb,comdat
.Lfunc_end117:
	.size	_ZN9rocsolver6v33100L18getri_kernel_smallILi54EdPKPdEEvT1_iilPiilS6_bb, .Lfunc_end117-_ZN9rocsolver6v33100L18getri_kernel_smallILi54EdPKPdEEvT1_iilPiilS6_bb
                                        ; -- End function
	.section	.AMDGPU.csdata,"",@progbits
; Kernel info:
; codeLenInByte = 54340
; NumSgprs: 19
; NumVgprs: 162
; ScratchSize: 448
; MemoryBound: 0
; FloatMode: 240
; IeeeMode: 1
; LDSByteSize: 872 bytes/workgroup (compile time only)
; SGPRBlocks: 2
; VGPRBlocks: 20
; NumSGPRsForWavesPerEU: 19
; NumVGPRsForWavesPerEU: 162
; Occupancy: 9
; WaveLimiterHint : 1
; COMPUTE_PGM_RSRC2:SCRATCH_EN: 1
; COMPUTE_PGM_RSRC2:USER_SGPR: 15
; COMPUTE_PGM_RSRC2:TRAP_HANDLER: 0
; COMPUTE_PGM_RSRC2:TGID_X_EN: 1
; COMPUTE_PGM_RSRC2:TGID_Y_EN: 0
; COMPUTE_PGM_RSRC2:TGID_Z_EN: 0
; COMPUTE_PGM_RSRC2:TIDIG_COMP_CNT: 0
	.section	.text._ZN9rocsolver6v33100L18getri_kernel_smallILi55EdPKPdEEvT1_iilPiilS6_bb,"axG",@progbits,_ZN9rocsolver6v33100L18getri_kernel_smallILi55EdPKPdEEvT1_iilPiilS6_bb,comdat
	.globl	_ZN9rocsolver6v33100L18getri_kernel_smallILi55EdPKPdEEvT1_iilPiilS6_bb ; -- Begin function _ZN9rocsolver6v33100L18getri_kernel_smallILi55EdPKPdEEvT1_iilPiilS6_bb
	.p2align	8
	.type	_ZN9rocsolver6v33100L18getri_kernel_smallILi55EdPKPdEEvT1_iilPiilS6_bb,@function
_ZN9rocsolver6v33100L18getri_kernel_smallILi55EdPKPdEEvT1_iilPiilS6_bb: ; @_ZN9rocsolver6v33100L18getri_kernel_smallILi55EdPKPdEEvT1_iilPiilS6_bb
; %bb.0:
	s_mov_b32 s2, exec_lo
	v_cmpx_gt_u32_e32 55, v0
	s_cbranch_execz .LBB118_230
; %bb.1:
	s_clause 0x1
	s_load_b32 s13, s[0:1], 0x38
	s_load_b64 s[2:3], s[0:1], 0x0
	s_mov_b32 s8, s15
	s_load_b128 s[4:7], s[0:1], 0x28
	s_waitcnt lgkmcnt(0)
	s_bitcmp1_b32 s13, 8
	s_cselect_b32 s12, -1, 0
	s_ashr_i32 s9, s15, 31
	s_delay_alu instid0(SALU_CYCLE_1) | instskip(NEXT) | instid1(SALU_CYCLE_1)
	s_lshl_b64 s[10:11], s[8:9], 3
	s_add_u32 s2, s2, s10
	s_addc_u32 s3, s3, s11
	s_load_b64 s[10:11], s[2:3], 0x0
	s_bfe_u32 s2, s13, 0x10008
	s_delay_alu instid0(SALU_CYCLE_1)
	s_cmp_eq_u32 s2, 0
                                        ; implicit-def: $sgpr2_sgpr3
	s_cbranch_scc1 .LBB118_3
; %bb.2:
	s_clause 0x1
	s_load_b32 s2, s[0:1], 0x20
	s_load_b64 s[14:15], s[0:1], 0x18
	s_mul_i32 s3, s8, s5
	s_mul_hi_u32 s5, s8, s4
	s_mul_i32 s16, s9, s4
	s_add_i32 s3, s5, s3
	s_mul_i32 s4, s8, s4
	s_add_i32 s5, s3, s16
	s_delay_alu instid0(SALU_CYCLE_1)
	s_lshl_b64 s[4:5], s[4:5], 2
	s_waitcnt lgkmcnt(0)
	s_ashr_i32 s3, s2, 31
	s_add_u32 s4, s14, s4
	s_addc_u32 s5, s15, s5
	s_lshl_b64 s[2:3], s[2:3], 2
	s_delay_alu instid0(SALU_CYCLE_1)
	s_add_u32 s2, s4, s2
	s_addc_u32 s3, s5, s3
.LBB118_3:
	s_load_b64 s[0:1], s[0:1], 0x8
	v_lshlrev_b32_e32 v3, 3, v0
	s_waitcnt lgkmcnt(0)
	v_add3_u32 v1, s1, s1, v0
	s_ashr_i32 s5, s0, 31
	s_mov_b32 s4, s0
	s_mov_b32 s14, s1
	s_lshl_b64 s[4:5], s[4:5], 3
	v_add_nc_u32_e32 v4, s1, v1
	s_add_u32 s4, s10, s4
	s_addc_u32 s5, s11, s5
	v_add_co_u32 v16, s0, s4, v3
	s_ashr_i32 s15, s1, 31
	v_add_co_ci_u32_e64 v17, null, s5, 0, s0
	s_lshl_b64 s[10:11], s[14:15], 3
	v_ashrrev_i32_e32 v2, 31, v1
	v_add_nc_u32_e32 v6, s1, v4
	v_add_co_u32 v18, vcc_lo, v16, s10
	v_ashrrev_i32_e32 v5, 31, v4
	v_add_co_ci_u32_e32 v19, vcc_lo, s11, v17, vcc_lo
	v_lshlrev_b64 v[1:2], 3, v[1:2]
	v_add_nc_u32_e32 v10, s1, v6
	s_delay_alu instid0(VALU_DEP_4)
	v_lshlrev_b64 v[4:5], 3, v[4:5]
	v_ashrrev_i32_e32 v7, 31, v6
	s_clause 0x1
	global_load_b64 v[20:21], v3, s[4:5]
	global_load_b64 v[22:23], v[18:19], off
	v_add_co_u32 v30, vcc_lo, s4, v1
	v_ashrrev_i32_e32 v11, 31, v10
	v_add_co_ci_u32_e32 v31, vcc_lo, s5, v2, vcc_lo
	v_lshlrev_b64 v[1:2], 3, v[6:7]
	v_add_co_u32 v12, vcc_lo, s4, v4
	v_add_co_ci_u32_e32 v13, vcc_lo, s5, v5, vcc_lo
	v_lshlrev_b64 v[4:5], 3, v[10:11]
	s_delay_alu instid0(VALU_DEP_4) | instskip(SKIP_2) | instid1(VALU_DEP_4)
	v_add_co_u32 v14, vcc_lo, s4, v1
	v_add_co_ci_u32_e32 v15, vcc_lo, s5, v2, vcc_lo
	v_add_nc_u32_e32 v1, s1, v10
	v_add_co_u32 v8, vcc_lo, s4, v4
	v_add_co_ci_u32_e32 v9, vcc_lo, s5, v5, vcc_lo
	s_clause 0x3
	global_load_b64 v[44:45], v[30:31], off
	global_load_b64 v[46:47], v[12:13], off
	;; [unrolled: 1-line block ×4, first 2 shown]
	v_add_nc_u32_e32 v4, s1, v1
	v_ashrrev_i32_e32 v2, 31, v1
	s_bitcmp0_b32 s13, 0
	s_delay_alu instid0(VALU_DEP_2) | instskip(SKIP_1) | instid1(VALU_DEP_3)
	v_add_nc_u32_e32 v6, s1, v4
	v_ashrrev_i32_e32 v5, 31, v4
	v_lshlrev_b64 v[1:2], 3, v[1:2]
	s_delay_alu instid0(VALU_DEP_3) | instskip(SKIP_1) | instid1(VALU_DEP_4)
	v_add_nc_u32_e32 v10, s1, v6
	v_ashrrev_i32_e32 v7, 31, v6
	v_lshlrev_b64 v[4:5], 3, v[4:5]
	s_delay_alu instid0(VALU_DEP_4) | instskip(NEXT) | instid1(VALU_DEP_4)
	v_add_co_u32 v50, vcc_lo, s4, v1
	v_add_nc_u32_e32 v24, s1, v10
	v_add_co_ci_u32_e32 v51, vcc_lo, s5, v2, vcc_lo
	v_lshlrev_b64 v[1:2], 3, v[6:7]
	v_ashrrev_i32_e32 v11, 31, v10
	s_delay_alu instid0(VALU_DEP_4) | instskip(SKIP_3) | instid1(VALU_DEP_4)
	v_add_nc_u32_e32 v26, s1, v24
	v_add_co_u32 v38, vcc_lo, s4, v4
	v_ashrrev_i32_e32 v25, 31, v24
	v_add_co_ci_u32_e32 v39, vcc_lo, s5, v5, vcc_lo
	v_add_nc_u32_e32 v28, s1, v26
	v_lshlrev_b64 v[4:5], 3, v[10:11]
	v_add_co_u32 v42, vcc_lo, s4, v1
	v_add_co_ci_u32_e32 v43, vcc_lo, s5, v2, vcc_lo
	s_delay_alu instid0(VALU_DEP_4) | instskip(SKIP_3) | instid1(VALU_DEP_4)
	v_add_nc_u32_e32 v32, s1, v28
	v_lshlrev_b64 v[1:2], 3, v[24:25]
	v_ashrrev_i32_e32 v27, 31, v26
	v_add_co_u32 v34, vcc_lo, s4, v4
	v_add_nc_u32_e32 v40, s1, v32
	v_ashrrev_i32_e32 v29, 31, v28
	v_add_co_ci_u32_e32 v35, vcc_lo, s5, v5, vcc_lo
	v_lshlrev_b64 v[4:5], 3, v[26:27]
	s_delay_alu instid0(VALU_DEP_4) | instskip(SKIP_2) | instid1(VALU_DEP_3)
	v_add_nc_u32_e32 v48, s1, v40
	v_add_co_u32 v36, vcc_lo, s4, v1
	v_add_co_ci_u32_e32 v37, vcc_lo, s5, v2, vcc_lo
	v_add_nc_u32_e32 v72, s1, v48
	v_lshlrev_b64 v[1:2], 3, v[28:29]
	v_ashrrev_i32_e32 v33, 31, v32
	v_add_co_u32 v26, vcc_lo, s4, v4
	s_delay_alu instid0(VALU_DEP_4) | instskip(SKIP_1) | instid1(VALU_DEP_4)
	v_add_nc_u32_e32 v74, s1, v72
	v_add_co_ci_u32_e32 v27, vcc_lo, s5, v5, vcc_lo
	v_lshlrev_b64 v[4:5], 3, v[32:33]
	v_add_co_u32 v32, vcc_lo, s4, v1
	s_delay_alu instid0(VALU_DEP_4)
	v_add_nc_u32_e32 v80, s1, v74
	v_add_co_ci_u32_e32 v33, vcc_lo, s5, v2, vcc_lo
	v_ashrrev_i32_e32 v41, 31, v40
	s_clause 0x2
	global_load_b64 v[56:57], v[50:51], off
	global_load_b64 v[58:59], v[38:39], off
	;; [unrolled: 1-line block ×3, first 2 shown]
	v_add_nc_u32_e32 v82, s1, v80
	v_ashrrev_i32_e32 v49, 31, v48
	global_load_b64 v[62:63], v[34:35], off
	v_ashrrev_i32_e32 v73, 31, v72
	v_ashrrev_i32_e32 v75, 31, v74
	v_add_nc_u32_e32 v84, s1, v82
	v_ashrrev_i32_e32 v81, 31, v80
	v_ashrrev_i32_e32 v83, 31, v82
	s_delay_alu instid0(VALU_DEP_3) | instskip(SKIP_1) | instid1(VALU_DEP_2)
	v_add_nc_u32_e32 v86, s1, v84
	v_ashrrev_i32_e32 v85, 31, v84
	v_add_nc_u32_e32 v88, s1, v86
	v_ashrrev_i32_e32 v87, 31, v86
	s_delay_alu instid0(VALU_DEP_2) | instskip(SKIP_1) | instid1(VALU_DEP_2)
	v_add_nc_u32_e32 v90, s1, v88
	v_ashrrev_i32_e32 v89, 31, v88
	v_add_nc_u32_e32 v92, s1, v90
	v_ashrrev_i32_e32 v91, 31, v90
	s_delay_alu instid0(VALU_DEP_2) | instskip(SKIP_1) | instid1(VALU_DEP_2)
	;; [unrolled: 5-line block ×16, first 2 shown]
	v_add_nc_u32_e32 v150, s1, v148
	v_ashrrev_i32_e32 v149, 31, v148
	v_add_nc_u32_e32 v6, s1, v150
	v_ashrrev_i32_e32 v151, 31, v150
	s_mov_b32 s1, -1
	s_delay_alu instid0(VALU_DEP_2) | instskip(NEXT) | instid1(VALU_DEP_1)
	v_ashrrev_i32_e32 v7, 31, v6
	v_lshlrev_b64 v[6:7], 3, v[6:7]
	s_delay_alu instid0(VALU_DEP_1) | instskip(NEXT) | instid1(VALU_DEP_2)
	v_add_co_u32 v6, vcc_lo, s4, v6
	v_add_co_ci_u32_e32 v7, vcc_lo, s5, v7, vcc_lo
	v_add_co_u32 v10, vcc_lo, s4, v4
	v_add_co_ci_u32_e32 v11, vcc_lo, s5, v5, vcc_lo
	global_load_b64 v[1:2], v[6:7], off
	v_lshlrev_b64 v[4:5], 3, v[40:41]
	s_delay_alu instid0(VALU_DEP_1) | instskip(NEXT) | instid1(VALU_DEP_2)
	v_add_co_u32 v28, vcc_lo, s4, v4
	v_add_co_ci_u32_e32 v29, vcc_lo, s5, v5, vcc_lo
	v_lshlrev_b64 v[4:5], 3, v[72:73]
	s_waitcnt vmcnt(9)
	scratch_store_b128 off, v[20:23], off
	v_lshlrev_b64 v[20:21], 3, v[48:49]
	s_clause 0x3
	global_load_b64 v[64:65], v[36:37], off
	global_load_b64 v[66:67], v[26:27], off
	;; [unrolled: 1-line block ×4, first 2 shown]
	v_lshlrev_b64 v[48:49], 3, v[86:87]
	s_waitcnt vmcnt(11)
	scratch_store_b128 off, v[44:47], off offset:16
	s_waitcnt vmcnt(9)
	scratch_store_b128 off, v[52:55], off offset:32
	v_add_co_u32 v22, vcc_lo, s4, v20
	v_add_co_ci_u32_e32 v23, vcc_lo, s5, v21, vcc_lo
	v_lshlrev_b64 v[20:21], 3, v[74:75]
	v_add_co_u32 v24, vcc_lo, s4, v4
	v_add_co_ci_u32_e32 v25, vcc_lo, s5, v5, vcc_lo
	v_lshlrev_b64 v[4:5], 3, v[80:81]
	s_delay_alu instid0(VALU_DEP_4)
	v_add_co_u32 v20, vcc_lo, s4, v20
	v_add_co_ci_u32_e32 v21, vcc_lo, s5, v21, vcc_lo
	s_clause 0x3
	global_load_b64 v[72:73], v[28:29], off
	global_load_b64 v[74:75], v[22:23], off
	;; [unrolled: 1-line block ×4, first 2 shown]
	v_lshlrev_b64 v[44:45], 3, v[82:83]
	v_add_co_u32 v40, vcc_lo, s4, v4
	v_add_co_ci_u32_e32 v41, vcc_lo, s5, v5, vcc_lo
	v_lshlrev_b64 v[4:5], 3, v[84:85]
	s_delay_alu instid0(VALU_DEP_4) | instskip(SKIP_2) | instid1(VALU_DEP_4)
	v_add_co_u32 v44, vcc_lo, s4, v44
	v_add_co_ci_u32_e32 v45, vcc_lo, s5, v45, vcc_lo
	v_lshlrev_b64 v[54:55], 3, v[90:91]
	v_add_co_u32 v46, vcc_lo, s4, v4
	v_add_co_ci_u32_e32 v47, vcc_lo, s5, v5, vcc_lo
	v_lshlrev_b64 v[4:5], 3, v[88:89]
	v_add_co_u32 v48, vcc_lo, s4, v48
	v_add_co_ci_u32_e32 v49, vcc_lo, s5, v49, vcc_lo
	s_waitcnt vmcnt(11)
	scratch_store_b128 off, v[56:59], off offset:48
	s_waitcnt vmcnt(9)
	scratch_store_b128 off, v[60:63], off offset:64
	v_add_co_u32 v52, vcc_lo, s4, v4
	v_add_co_ci_u32_e32 v53, vcc_lo, s5, v5, vcc_lo
	v_lshlrev_b64 v[4:5], 3, v[92:93]
	v_add_co_u32 v54, vcc_lo, s4, v54
	v_add_co_ci_u32_e32 v55, vcc_lo, s5, v55, vcc_lo
	v_lshlrev_b64 v[58:59], 3, v[94:95]
	s_clause 0x3
	global_load_b64 v[80:81], v[40:41], off
	global_load_b64 v[82:83], v[44:45], off
	;; [unrolled: 1-line block ×4, first 2 shown]
	v_add_co_u32 v56, vcc_lo, s4, v4
	v_add_co_ci_u32_e32 v57, vcc_lo, s5, v5, vcc_lo
	v_lshlrev_b64 v[4:5], 3, v[96:97]
	v_add_co_u32 v58, vcc_lo, s4, v58
	v_add_co_ci_u32_e32 v59, vcc_lo, s5, v59, vcc_lo
	v_lshlrev_b64 v[62:63], 3, v[98:99]
	s_delay_alu instid0(VALU_DEP_4) | instskip(SKIP_2) | instid1(VALU_DEP_4)
	v_add_co_u32 v60, vcc_lo, s4, v4
	v_add_co_ci_u32_e32 v61, vcc_lo, s5, v5, vcc_lo
	v_lshlrev_b64 v[4:5], 3, v[100:101]
	v_add_co_u32 v62, vcc_lo, s4, v62
	v_add_co_ci_u32_e32 v63, vcc_lo, s5, v63, vcc_lo
	s_waitcnt vmcnt(10)
	scratch_store_b128 off, v[64:67], off offset:80
	s_waitcnt vmcnt(8)
	scratch_store_b128 off, v[68:71], off offset:96
	s_clause 0x3
	global_load_b64 v[88:89], v[52:53], off
	global_load_b64 v[90:91], v[54:55], off
	;; [unrolled: 1-line block ×4, first 2 shown]
	v_lshlrev_b64 v[66:67], 3, v[102:103]
	v_add_co_u32 v64, vcc_lo, s4, v4
	v_add_co_ci_u32_e32 v65, vcc_lo, s5, v5, vcc_lo
	v_lshlrev_b64 v[4:5], 3, v[104:105]
	s_delay_alu instid0(VALU_DEP_4)
	v_add_co_u32 v66, vcc_lo, s4, v66
	v_add_co_ci_u32_e32 v67, vcc_lo, s5, v67, vcc_lo
	s_waitcnt vmcnt(10)
	scratch_store_b128 off, v[72:75], off offset:112
	s_waitcnt vmcnt(8)
	scratch_store_b128 off, v[76:79], off offset:128
	s_clause 0x3
	global_load_b64 v[96:97], v[60:61], off
	global_load_b64 v[98:99], v[62:63], off
	;; [unrolled: 1-line block ×4, first 2 shown]
	v_lshlrev_b64 v[70:71], 3, v[106:107]
	v_add_co_u32 v68, vcc_lo, s4, v4
	v_add_co_ci_u32_e32 v69, vcc_lo, s5, v5, vcc_lo
	v_lshlrev_b64 v[4:5], 3, v[108:109]
	s_delay_alu instid0(VALU_DEP_4) | instskip(SKIP_2) | instid1(VALU_DEP_4)
	v_add_co_u32 v70, vcc_lo, s4, v70
	v_add_co_ci_u32_e32 v71, vcc_lo, s5, v71, vcc_lo
	v_lshlrev_b64 v[74:75], 3, v[110:111]
	v_add_co_u32 v72, vcc_lo, s4, v4
	v_add_co_ci_u32_e32 v73, vcc_lo, s5, v5, vcc_lo
	v_lshlrev_b64 v[4:5], 3, v[112:113]
	s_delay_alu instid0(VALU_DEP_4) | instskip(SKIP_2) | instid1(VALU_DEP_4)
	v_add_co_u32 v74, vcc_lo, s4, v74
	v_add_co_ci_u32_e32 v75, vcc_lo, s5, v75, vcc_lo
	v_lshlrev_b64 v[78:79], 3, v[114:115]
	v_add_co_u32 v76, vcc_lo, s4, v4
	v_add_co_ci_u32_e32 v77, vcc_lo, s5, v5, vcc_lo
	v_lshlrev_b64 v[4:5], 3, v[116:117]
	s_delay_alu instid0(VALU_DEP_4)
	v_add_co_u32 v78, vcc_lo, s4, v78
	s_waitcnt vmcnt(10)
	scratch_store_b128 off, v[80:83], off offset:144
	s_waitcnt vmcnt(8)
	scratch_store_b128 off, v[84:87], off offset:160
	v_add_co_ci_u32_e32 v79, vcc_lo, s5, v79, vcc_lo
	v_lshlrev_b64 v[82:83], 3, v[118:119]
	v_add_co_u32 v80, vcc_lo, s4, v4
	s_clause 0x3
	global_load_b64 v[104:105], v[68:69], off
	global_load_b64 v[106:107], v[70:71], off
	;; [unrolled: 1-line block ×4, first 2 shown]
	v_add_co_ci_u32_e32 v81, vcc_lo, s5, v5, vcc_lo
	v_lshlrev_b64 v[4:5], 3, v[120:121]
	v_add_co_u32 v82, vcc_lo, s4, v82
	v_add_co_ci_u32_e32 v83, vcc_lo, s5, v83, vcc_lo
	v_lshlrev_b64 v[86:87], 3, v[122:123]
	s_delay_alu instid0(VALU_DEP_4) | instskip(SKIP_2) | instid1(VALU_DEP_4)
	v_add_co_u32 v84, vcc_lo, s4, v4
	v_add_co_ci_u32_e32 v85, vcc_lo, s5, v5, vcc_lo
	v_lshlrev_b64 v[4:5], 3, v[124:125]
	v_add_co_u32 v86, vcc_lo, s4, v86
	v_add_co_ci_u32_e32 v87, vcc_lo, s5, v87, vcc_lo
	s_waitcnt vmcnt(10)
	scratch_store_b128 off, v[88:91], off offset:176
	s_waitcnt vmcnt(8)
	scratch_store_b128 off, v[92:95], off offset:192
	s_clause 0x3
	global_load_b64 v[112:113], v[76:77], off
	global_load_b64 v[114:115], v[78:79], off
	global_load_b64 v[116:117], v[80:81], off
	global_load_b64 v[118:119], v[82:83], off
	v_lshlrev_b64 v[90:91], 3, v[126:127]
	v_add_co_u32 v88, vcc_lo, s4, v4
	v_add_co_ci_u32_e32 v89, vcc_lo, s5, v5, vcc_lo
	v_lshlrev_b64 v[4:5], 3, v[128:129]
	s_delay_alu instid0(VALU_DEP_4)
	v_add_co_u32 v90, vcc_lo, s4, v90
	v_add_co_ci_u32_e32 v91, vcc_lo, s5, v91, vcc_lo
	s_waitcnt vmcnt(10)
	scratch_store_b128 off, v[96:99], off offset:208
	s_waitcnt vmcnt(8)
	scratch_store_b128 off, v[100:103], off offset:224
	s_clause 0x3
	global_load_b64 v[120:121], v[84:85], off
	global_load_b64 v[122:123], v[86:87], off
	global_load_b64 v[124:125], v[88:89], off
	global_load_b64 v[126:127], v[90:91], off
	v_lshlrev_b64 v[94:95], 3, v[130:131]
	v_add_co_u32 v92, vcc_lo, s4, v4
	v_add_co_ci_u32_e32 v93, vcc_lo, s5, v5, vcc_lo
	v_lshlrev_b64 v[4:5], 3, v[132:133]
	s_delay_alu instid0(VALU_DEP_4) | instskip(SKIP_2) | instid1(VALU_DEP_4)
	v_add_co_u32 v94, vcc_lo, s4, v94
	v_add_co_ci_u32_e32 v95, vcc_lo, s5, v95, vcc_lo
	v_lshlrev_b64 v[98:99], 3, v[134:135]
	v_add_co_u32 v96, vcc_lo, s4, v4
	v_add_co_ci_u32_e32 v97, vcc_lo, s5, v5, vcc_lo
	v_lshlrev_b64 v[4:5], 3, v[136:137]
	s_delay_alu instid0(VALU_DEP_4) | instskip(SKIP_2) | instid1(VALU_DEP_4)
	v_add_co_u32 v98, vcc_lo, s4, v98
	v_add_co_ci_u32_e32 v99, vcc_lo, s5, v99, vcc_lo
	v_lshlrev_b64 v[102:103], 3, v[138:139]
	v_add_co_u32 v100, vcc_lo, s4, v4
	v_add_co_ci_u32_e32 v101, vcc_lo, s5, v5, vcc_lo
	v_lshlrev_b64 v[4:5], 3, v[140:141]
	s_delay_alu instid0(VALU_DEP_4)
	v_add_co_u32 v102, vcc_lo, s4, v102
	s_waitcnt vmcnt(10)
	scratch_store_b128 off, v[104:107], off offset:240
	s_waitcnt vmcnt(8)
	scratch_store_b128 off, v[108:111], off offset:256
	v_add_co_ci_u32_e32 v103, vcc_lo, s5, v103, vcc_lo
	v_lshlrev_b64 v[106:107], 3, v[142:143]
	v_add_co_u32 v104, vcc_lo, s4, v4
	v_add_co_ci_u32_e32 v105, vcc_lo, s5, v5, vcc_lo
	v_lshlrev_b64 v[4:5], 3, v[144:145]
	s_delay_alu instid0(VALU_DEP_4) | instskip(SKIP_2) | instid1(VALU_DEP_4)
	v_add_co_u32 v106, vcc_lo, s4, v106
	v_lshlrev_b64 v[110:111], 3, v[146:147]
	v_add_co_ci_u32_e32 v107, vcc_lo, s5, v107, vcc_lo
	v_add_co_u32 v108, vcc_lo, s4, v4
	v_add_co_ci_u32_e32 v109, vcc_lo, s5, v5, vcc_lo
	v_lshlrev_b64 v[4:5], 3, v[148:149]
	s_clause 0x2
	global_load_b64 v[128:129], v[92:93], off
	global_load_b64 v[130:131], v[94:95], off
	;; [unrolled: 1-line block ×3, first 2 shown]
	s_waitcnt vmcnt(9)
	scratch_store_b128 off, v[112:115], off offset:272
	s_waitcnt vmcnt(7)
	scratch_store_b128 off, v[116:119], off offset:288
	v_add_co_u32 v112, vcc_lo, s4, v110
	v_add_co_ci_u32_e32 v113, vcc_lo, s5, v111, vcc_lo
	v_lshlrev_b64 v[110:111], 3, v[150:151]
	v_add_co_u32 v114, vcc_lo, s4, v4
	v_add_co_ci_u32_e32 v115, vcc_lo, s5, v5, vcc_lo
	s_clause 0x3
	global_load_b64 v[134:135], v[98:99], off
	global_load_b64 v[116:117], v[100:101], off
	;; [unrolled: 1-line block ×4, first 2 shown]
	v_add_co_u32 v110, vcc_lo, s4, v110
	v_add_co_ci_u32_e32 v111, vcc_lo, s5, v111, vcc_lo
	s_waitcnt vmcnt(9)
	scratch_store_b128 off, v[120:123], off offset:304
	s_waitcnt vmcnt(7)
	scratch_store_b128 off, v[124:127], off offset:320
	s_clause 0x4
	global_load_b64 v[138:139], v[106:107], off
	global_load_b64 v[120:121], v[108:109], off
	global_load_b64 v[122:123], v[112:113], off
	global_load_b64 v[124:125], v[114:115], off
	global_load_b64 v[126:127], v[110:111], off
	s_waitcnt vmcnt(10)
	scratch_store_b128 off, v[128:131], off offset:336
	s_waitcnt vmcnt(8)
	scratch_store_b128 off, v[132:135], off offset:352
	;; [unrolled: 2-line block ×5, first 2 shown]
	s_waitcnt vmcnt(0)
	s_clause 0x1
	scratch_store_b128 off, v[124:127], off offset:416
	scratch_store_b64 off, v[1:2], off offset:432
	s_cbranch_scc1 .LBB118_228
; %bb.4:
	v_cmp_eq_u32_e64 s0, 0, v0
	s_delay_alu instid0(VALU_DEP_1)
	s_and_saveexec_b32 s1, s0
	s_cbranch_execz .LBB118_6
; %bb.5:
	v_mov_b32_e32 v1, 0
	ds_store_b32 v1, v1 offset:440
.LBB118_6:
	s_or_b32 exec_lo, exec_lo, s1
	s_waitcnt lgkmcnt(0)
	s_waitcnt_vscnt null, 0x0
	s_barrier
	buffer_gl0_inv
	scratch_load_b64 v[1:2], v3, off
	s_mov_b32 s4, exec_lo
	s_waitcnt vmcnt(0)
	v_cmpx_eq_f64_e32 0, v[1:2]
	s_cbranch_execz .LBB118_10
; %bb.7:
	v_mov_b32_e32 v1, 0
	s_mov_b32 s5, 0
	ds_load_b32 v2, v1 offset:440
	s_waitcnt lgkmcnt(0)
	v_readfirstlane_b32 s1, v2
	v_add_nc_u32_e32 v2, 1, v0
	s_delay_alu instid0(VALU_DEP_2) | instskip(NEXT) | instid1(VALU_DEP_1)
	s_cmp_eq_u32 s1, 0
	v_cmp_gt_i32_e32 vcc_lo, s1, v2
	s_cselect_b32 s10, -1, 0
	s_delay_alu instid0(SALU_CYCLE_1) | instskip(NEXT) | instid1(SALU_CYCLE_1)
	s_or_b32 s10, s10, vcc_lo
	s_and_b32 exec_lo, exec_lo, s10
	s_cbranch_execz .LBB118_10
; %bb.8:
	v_mov_b32_e32 v4, s1
.LBB118_9:                              ; =>This Inner Loop Header: Depth=1
	ds_cmpstore_rtn_b32 v4, v1, v2, v4 offset:440
	s_waitcnt lgkmcnt(0)
	v_cmp_ne_u32_e32 vcc_lo, 0, v4
	v_cmp_le_i32_e64 s1, v4, v2
	s_delay_alu instid0(VALU_DEP_1) | instskip(NEXT) | instid1(SALU_CYCLE_1)
	s_and_b32 s1, vcc_lo, s1
	s_and_b32 s1, exec_lo, s1
	s_delay_alu instid0(SALU_CYCLE_1) | instskip(NEXT) | instid1(SALU_CYCLE_1)
	s_or_b32 s5, s1, s5
	s_and_not1_b32 exec_lo, exec_lo, s5
	s_cbranch_execnz .LBB118_9
.LBB118_10:
	s_or_b32 exec_lo, exec_lo, s4
	v_mov_b32_e32 v1, 0
	s_barrier
	buffer_gl0_inv
	ds_load_b32 v2, v1 offset:440
	s_and_saveexec_b32 s1, s0
	s_cbranch_execz .LBB118_12
; %bb.11:
	s_lshl_b64 s[4:5], s[8:9], 2
	s_delay_alu instid0(SALU_CYCLE_1)
	s_add_u32 s4, s6, s4
	s_addc_u32 s5, s7, s5
	s_waitcnt lgkmcnt(0)
	global_store_b32 v1, v2, s[4:5]
.LBB118_12:
	s_or_b32 exec_lo, exec_lo, s1
	s_waitcnt lgkmcnt(0)
	v_cmp_ne_u32_e32 vcc_lo, 0, v2
	s_mov_b32 s1, 0
	s_cbranch_vccnz .LBB118_228
; %bb.13:
	v_add_nc_u32_e32 v4, 0, v3
	v_add_nc_u32_e32 v5, 0x1c0, v3
	scratch_load_b64 v[1:2], v4, off
	s_waitcnt vmcnt(0)
	v_div_scale_f64 v[116:117], null, v[1:2], v[1:2], 1.0
	v_div_scale_f64 v[122:123], vcc_lo, 1.0, v[1:2], 1.0
	s_delay_alu instid0(VALU_DEP_2) | instskip(SKIP_2) | instid1(VALU_DEP_1)
	v_rcp_f64_e32 v[118:119], v[116:117]
	s_waitcnt_depctr 0xfff
	v_fma_f64 v[120:121], -v[116:117], v[118:119], 1.0
	v_fma_f64 v[118:119], v[118:119], v[120:121], v[118:119]
	s_delay_alu instid0(VALU_DEP_1) | instskip(NEXT) | instid1(VALU_DEP_1)
	v_fma_f64 v[120:121], -v[116:117], v[118:119], 1.0
	v_fma_f64 v[118:119], v[118:119], v[120:121], v[118:119]
	s_delay_alu instid0(VALU_DEP_1) | instskip(NEXT) | instid1(VALU_DEP_1)
	v_mul_f64 v[120:121], v[122:123], v[118:119]
	v_fma_f64 v[116:117], -v[116:117], v[120:121], v[122:123]
	s_delay_alu instid0(VALU_DEP_1) | instskip(NEXT) | instid1(VALU_DEP_1)
	v_div_fmas_f64 v[116:117], v[116:117], v[118:119], v[120:121]
	v_div_fixup_f64 v[1:2], v[116:117], v[1:2], 1.0
	scratch_store_b64 v4, v[1:2], off
	scratch_load_b64 v[116:117], off, off offset:8
	v_xor_b32_e32 v2, 0x80000000, v2
	s_waitcnt vmcnt(0)
	ds_store_2addr_b64 v3, v[1:2], v[116:117] offset1:56
	s_waitcnt lgkmcnt(0)
	s_waitcnt_vscnt null, 0x0
	s_barrier
	buffer_gl0_inv
	s_and_saveexec_b32 s1, s0
	s_cbranch_execz .LBB118_15
; %bb.14:
	scratch_load_b64 v[1:2], v4, off
	ds_load_b64 v[116:117], v5
	s_waitcnt vmcnt(0) lgkmcnt(0)
	v_fma_f64 v[1:2], v[1:2], v[116:117], 0
	v_mov_b32_e32 v116, 0
	ds_load_b64 v[116:117], v116 offset:8
	s_waitcnt lgkmcnt(0)
	v_mul_f64 v[1:2], v[1:2], v[116:117]
	scratch_store_b64 off, v[1:2], off offset:8
.LBB118_15:
	s_or_b32 exec_lo, exec_lo, s1
	s_waitcnt_vscnt null, 0x0
	s_barrier
	buffer_gl0_inv
	scratch_load_b64 v[1:2], off, off offset:16
	s_mov_b32 s1, exec_lo
	s_waitcnt vmcnt(0)
	ds_store_b64 v5, v[1:2]
	s_waitcnt lgkmcnt(0)
	s_barrier
	buffer_gl0_inv
	v_cmpx_gt_u32_e32 2, v0
	s_cbranch_execz .LBB118_19
; %bb.16:
	scratch_load_b64 v[1:2], v4, off
	ds_load_b64 v[116:117], v5
	s_waitcnt vmcnt(0) lgkmcnt(0)
	v_fma_f64 v[1:2], v[1:2], v[116:117], 0
	s_and_saveexec_b32 s4, s0
	s_cbranch_execz .LBB118_18
; %bb.17:
	scratch_load_b64 v[116:117], off, off offset:8
	v_mov_b32_e32 v118, 0
	ds_load_b64 v[118:119], v118 offset:456
	s_waitcnt vmcnt(0) lgkmcnt(0)
	v_fma_f64 v[1:2], v[116:117], v[118:119], v[1:2]
.LBB118_18:
	s_or_b32 exec_lo, exec_lo, s4
	v_mov_b32_e32 v116, 0
	ds_load_b64 v[116:117], v116 offset:16
	s_waitcnt lgkmcnt(0)
	v_mul_f64 v[1:2], v[1:2], v[116:117]
	scratch_store_b64 off, v[1:2], off offset:16
.LBB118_19:
	s_or_b32 exec_lo, exec_lo, s1
	s_waitcnt_vscnt null, 0x0
	s_barrier
	buffer_gl0_inv
	scratch_load_b64 v[1:2], off, off offset:24
	v_add_nc_u32_e32 v116, -1, v0
	s_mov_b32 s0, exec_lo
	s_waitcnt vmcnt(0)
	ds_store_b64 v5, v[1:2]
	s_waitcnt lgkmcnt(0)
	s_barrier
	buffer_gl0_inv
	v_cmpx_gt_u32_e32 3, v0
	s_cbranch_execz .LBB118_23
; %bb.20:
	v_dual_mov_b32 v1, 0 :: v_dual_add_nc_u32 v118, 0x1c0, v3
	v_dual_mov_b32 v2, 0 :: v_dual_add_nc_u32 v117, -1, v0
	v_add_nc_u32_e32 v119, 0, v3
	s_mov_b32 s1, 0
.LBB118_21:                             ; =>This Inner Loop Header: Depth=1
	scratch_load_b64 v[120:121], v119, off
	ds_load_b64 v[122:123], v118
	v_add_nc_u32_e32 v117, 1, v117
	v_add_nc_u32_e32 v118, 8, v118
	v_add_nc_u32_e32 v119, 8, v119
	s_delay_alu instid0(VALU_DEP_3)
	v_cmp_lt_u32_e32 vcc_lo, 1, v117
	s_or_b32 s1, vcc_lo, s1
	s_waitcnt vmcnt(0) lgkmcnt(0)
	v_fma_f64 v[1:2], v[120:121], v[122:123], v[1:2]
	s_and_not1_b32 exec_lo, exec_lo, s1
	s_cbranch_execnz .LBB118_21
; %bb.22:
	s_or_b32 exec_lo, exec_lo, s1
	v_mov_b32_e32 v117, 0
	ds_load_b64 v[117:118], v117 offset:24
	s_waitcnt lgkmcnt(0)
	v_mul_f64 v[1:2], v[1:2], v[117:118]
	scratch_store_b64 off, v[1:2], off offset:24
.LBB118_23:
	s_or_b32 exec_lo, exec_lo, s0
	s_waitcnt_vscnt null, 0x0
	s_barrier
	buffer_gl0_inv
	scratch_load_b64 v[1:2], off, off offset:32
	s_mov_b32 s0, exec_lo
	s_waitcnt vmcnt(0)
	ds_store_b64 v5, v[1:2]
	s_waitcnt lgkmcnt(0)
	s_barrier
	buffer_gl0_inv
	v_cmpx_gt_u32_e32 4, v0
	s_cbranch_execz .LBB118_27
; %bb.24:
	v_dual_mov_b32 v1, 0 :: v_dual_add_nc_u32 v118, 0x1c0, v3
	v_dual_mov_b32 v2, 0 :: v_dual_add_nc_u32 v117, -1, v0
	v_add_nc_u32_e32 v119, 0, v3
	s_mov_b32 s1, 0
.LBB118_25:                             ; =>This Inner Loop Header: Depth=1
	scratch_load_b64 v[120:121], v119, off
	ds_load_b64 v[122:123], v118
	v_add_nc_u32_e32 v117, 1, v117
	v_add_nc_u32_e32 v118, 8, v118
	v_add_nc_u32_e32 v119, 8, v119
	s_delay_alu instid0(VALU_DEP_3)
	v_cmp_lt_u32_e32 vcc_lo, 2, v117
	s_or_b32 s1, vcc_lo, s1
	s_waitcnt vmcnt(0) lgkmcnt(0)
	v_fma_f64 v[1:2], v[120:121], v[122:123], v[1:2]
	s_and_not1_b32 exec_lo, exec_lo, s1
	s_cbranch_execnz .LBB118_25
; %bb.26:
	s_or_b32 exec_lo, exec_lo, s1
	v_mov_b32_e32 v117, 0
	ds_load_b64 v[117:118], v117 offset:32
	s_waitcnt lgkmcnt(0)
	v_mul_f64 v[1:2], v[1:2], v[117:118]
	scratch_store_b64 off, v[1:2], off offset:32
.LBB118_27:
	s_or_b32 exec_lo, exec_lo, s0
	s_waitcnt_vscnt null, 0x0
	s_barrier
	buffer_gl0_inv
	scratch_load_b64 v[1:2], off, off offset:40
	s_mov_b32 s0, exec_lo
	s_waitcnt vmcnt(0)
	ds_store_b64 v5, v[1:2]
	s_waitcnt lgkmcnt(0)
	s_barrier
	buffer_gl0_inv
	v_cmpx_gt_u32_e32 5, v0
	s_cbranch_execz .LBB118_31
; %bb.28:
	v_dual_mov_b32 v1, 0 :: v_dual_add_nc_u32 v118, 0x1c0, v3
	v_dual_mov_b32 v2, 0 :: v_dual_add_nc_u32 v117, -1, v0
	v_add_nc_u32_e32 v119, 0, v3
	s_mov_b32 s1, 0
.LBB118_29:                             ; =>This Inner Loop Header: Depth=1
	scratch_load_b64 v[120:121], v119, off
	ds_load_b64 v[122:123], v118
	v_add_nc_u32_e32 v117, 1, v117
	v_add_nc_u32_e32 v118, 8, v118
	v_add_nc_u32_e32 v119, 8, v119
	s_delay_alu instid0(VALU_DEP_3)
	v_cmp_lt_u32_e32 vcc_lo, 3, v117
	s_or_b32 s1, vcc_lo, s1
	s_waitcnt vmcnt(0) lgkmcnt(0)
	v_fma_f64 v[1:2], v[120:121], v[122:123], v[1:2]
	s_and_not1_b32 exec_lo, exec_lo, s1
	s_cbranch_execnz .LBB118_29
; %bb.30:
	s_or_b32 exec_lo, exec_lo, s1
	v_mov_b32_e32 v117, 0
	ds_load_b64 v[117:118], v117 offset:40
	s_waitcnt lgkmcnt(0)
	v_mul_f64 v[1:2], v[1:2], v[117:118]
	scratch_store_b64 off, v[1:2], off offset:40
.LBB118_31:
	s_or_b32 exec_lo, exec_lo, s0
	s_waitcnt_vscnt null, 0x0
	s_barrier
	buffer_gl0_inv
	scratch_load_b64 v[1:2], off, off offset:48
	s_mov_b32 s0, exec_lo
	s_waitcnt vmcnt(0)
	ds_store_b64 v5, v[1:2]
	s_waitcnt lgkmcnt(0)
	s_barrier
	buffer_gl0_inv
	v_cmpx_gt_u32_e32 6, v0
	s_cbranch_execz .LBB118_35
; %bb.32:
	v_dual_mov_b32 v1, 0 :: v_dual_add_nc_u32 v118, 0x1c0, v3
	v_dual_mov_b32 v2, 0 :: v_dual_add_nc_u32 v117, -1, v0
	v_add_nc_u32_e32 v119, 0, v3
	s_mov_b32 s1, 0
.LBB118_33:                             ; =>This Inner Loop Header: Depth=1
	scratch_load_b64 v[120:121], v119, off
	ds_load_b64 v[122:123], v118
	v_add_nc_u32_e32 v117, 1, v117
	v_add_nc_u32_e32 v118, 8, v118
	v_add_nc_u32_e32 v119, 8, v119
	s_delay_alu instid0(VALU_DEP_3)
	v_cmp_lt_u32_e32 vcc_lo, 4, v117
	s_or_b32 s1, vcc_lo, s1
	s_waitcnt vmcnt(0) lgkmcnt(0)
	v_fma_f64 v[1:2], v[120:121], v[122:123], v[1:2]
	s_and_not1_b32 exec_lo, exec_lo, s1
	s_cbranch_execnz .LBB118_33
; %bb.34:
	s_or_b32 exec_lo, exec_lo, s1
	v_mov_b32_e32 v117, 0
	ds_load_b64 v[117:118], v117 offset:48
	s_waitcnt lgkmcnt(0)
	v_mul_f64 v[1:2], v[1:2], v[117:118]
	scratch_store_b64 off, v[1:2], off offset:48
.LBB118_35:
	s_or_b32 exec_lo, exec_lo, s0
	s_waitcnt_vscnt null, 0x0
	s_barrier
	buffer_gl0_inv
	scratch_load_b64 v[1:2], off, off offset:56
	s_mov_b32 s0, exec_lo
	s_waitcnt vmcnt(0)
	ds_store_b64 v5, v[1:2]
	s_waitcnt lgkmcnt(0)
	s_barrier
	buffer_gl0_inv
	v_cmpx_gt_u32_e32 7, v0
	s_cbranch_execz .LBB118_39
; %bb.36:
	v_dual_mov_b32 v1, 0 :: v_dual_add_nc_u32 v118, 0x1c0, v3
	v_dual_mov_b32 v2, 0 :: v_dual_add_nc_u32 v117, -1, v0
	v_add_nc_u32_e32 v119, 0, v3
	s_mov_b32 s1, 0
.LBB118_37:                             ; =>This Inner Loop Header: Depth=1
	scratch_load_b64 v[120:121], v119, off
	ds_load_b64 v[122:123], v118
	v_add_nc_u32_e32 v117, 1, v117
	v_add_nc_u32_e32 v118, 8, v118
	v_add_nc_u32_e32 v119, 8, v119
	s_delay_alu instid0(VALU_DEP_3)
	v_cmp_lt_u32_e32 vcc_lo, 5, v117
	s_or_b32 s1, vcc_lo, s1
	s_waitcnt vmcnt(0) lgkmcnt(0)
	v_fma_f64 v[1:2], v[120:121], v[122:123], v[1:2]
	s_and_not1_b32 exec_lo, exec_lo, s1
	s_cbranch_execnz .LBB118_37
; %bb.38:
	s_or_b32 exec_lo, exec_lo, s1
	v_mov_b32_e32 v117, 0
	ds_load_b64 v[117:118], v117 offset:56
	s_waitcnt lgkmcnt(0)
	v_mul_f64 v[1:2], v[1:2], v[117:118]
	scratch_store_b64 off, v[1:2], off offset:56
.LBB118_39:
	s_or_b32 exec_lo, exec_lo, s0
	s_waitcnt_vscnt null, 0x0
	s_barrier
	buffer_gl0_inv
	scratch_load_b64 v[1:2], off, off offset:64
	s_mov_b32 s0, exec_lo
	s_waitcnt vmcnt(0)
	ds_store_b64 v5, v[1:2]
	s_waitcnt lgkmcnt(0)
	s_barrier
	buffer_gl0_inv
	v_cmpx_gt_u32_e32 8, v0
	s_cbranch_execz .LBB118_43
; %bb.40:
	v_dual_mov_b32 v1, 0 :: v_dual_add_nc_u32 v118, 0x1c0, v3
	v_dual_mov_b32 v2, 0 :: v_dual_add_nc_u32 v117, -1, v0
	v_add_nc_u32_e32 v119, 0, v3
	s_mov_b32 s1, 0
.LBB118_41:                             ; =>This Inner Loop Header: Depth=1
	scratch_load_b64 v[120:121], v119, off
	ds_load_b64 v[122:123], v118
	v_add_nc_u32_e32 v117, 1, v117
	v_add_nc_u32_e32 v118, 8, v118
	v_add_nc_u32_e32 v119, 8, v119
	s_delay_alu instid0(VALU_DEP_3)
	v_cmp_lt_u32_e32 vcc_lo, 6, v117
	s_or_b32 s1, vcc_lo, s1
	s_waitcnt vmcnt(0) lgkmcnt(0)
	v_fma_f64 v[1:2], v[120:121], v[122:123], v[1:2]
	s_and_not1_b32 exec_lo, exec_lo, s1
	s_cbranch_execnz .LBB118_41
; %bb.42:
	s_or_b32 exec_lo, exec_lo, s1
	v_mov_b32_e32 v117, 0
	ds_load_b64 v[117:118], v117 offset:64
	s_waitcnt lgkmcnt(0)
	v_mul_f64 v[1:2], v[1:2], v[117:118]
	scratch_store_b64 off, v[1:2], off offset:64
.LBB118_43:
	s_or_b32 exec_lo, exec_lo, s0
	s_waitcnt_vscnt null, 0x0
	s_barrier
	buffer_gl0_inv
	scratch_load_b64 v[1:2], off, off offset:72
	s_mov_b32 s0, exec_lo
	s_waitcnt vmcnt(0)
	ds_store_b64 v5, v[1:2]
	s_waitcnt lgkmcnt(0)
	s_barrier
	buffer_gl0_inv
	v_cmpx_gt_u32_e32 9, v0
	s_cbranch_execz .LBB118_47
; %bb.44:
	v_dual_mov_b32 v1, 0 :: v_dual_add_nc_u32 v118, 0x1c0, v3
	v_dual_mov_b32 v2, 0 :: v_dual_add_nc_u32 v117, -1, v0
	v_add_nc_u32_e32 v119, 0, v3
	s_mov_b32 s1, 0
.LBB118_45:                             ; =>This Inner Loop Header: Depth=1
	scratch_load_b64 v[120:121], v119, off
	ds_load_b64 v[122:123], v118
	v_add_nc_u32_e32 v117, 1, v117
	v_add_nc_u32_e32 v118, 8, v118
	v_add_nc_u32_e32 v119, 8, v119
	s_delay_alu instid0(VALU_DEP_3)
	v_cmp_lt_u32_e32 vcc_lo, 7, v117
	s_or_b32 s1, vcc_lo, s1
	s_waitcnt vmcnt(0) lgkmcnt(0)
	v_fma_f64 v[1:2], v[120:121], v[122:123], v[1:2]
	s_and_not1_b32 exec_lo, exec_lo, s1
	s_cbranch_execnz .LBB118_45
; %bb.46:
	s_or_b32 exec_lo, exec_lo, s1
	v_mov_b32_e32 v117, 0
	ds_load_b64 v[117:118], v117 offset:72
	s_waitcnt lgkmcnt(0)
	v_mul_f64 v[1:2], v[1:2], v[117:118]
	scratch_store_b64 off, v[1:2], off offset:72
.LBB118_47:
	s_or_b32 exec_lo, exec_lo, s0
	s_waitcnt_vscnt null, 0x0
	s_barrier
	buffer_gl0_inv
	scratch_load_b64 v[1:2], off, off offset:80
	s_mov_b32 s0, exec_lo
	s_waitcnt vmcnt(0)
	ds_store_b64 v5, v[1:2]
	s_waitcnt lgkmcnt(0)
	s_barrier
	buffer_gl0_inv
	v_cmpx_gt_u32_e32 10, v0
	s_cbranch_execz .LBB118_51
; %bb.48:
	v_dual_mov_b32 v1, 0 :: v_dual_add_nc_u32 v118, 0x1c0, v3
	v_dual_mov_b32 v2, 0 :: v_dual_add_nc_u32 v117, -1, v0
	v_add_nc_u32_e32 v119, 0, v3
	s_mov_b32 s1, 0
.LBB118_49:                             ; =>This Inner Loop Header: Depth=1
	scratch_load_b64 v[120:121], v119, off
	ds_load_b64 v[122:123], v118
	v_add_nc_u32_e32 v117, 1, v117
	v_add_nc_u32_e32 v118, 8, v118
	v_add_nc_u32_e32 v119, 8, v119
	s_delay_alu instid0(VALU_DEP_3)
	v_cmp_lt_u32_e32 vcc_lo, 8, v117
	s_or_b32 s1, vcc_lo, s1
	s_waitcnt vmcnt(0) lgkmcnt(0)
	v_fma_f64 v[1:2], v[120:121], v[122:123], v[1:2]
	s_and_not1_b32 exec_lo, exec_lo, s1
	s_cbranch_execnz .LBB118_49
; %bb.50:
	s_or_b32 exec_lo, exec_lo, s1
	v_mov_b32_e32 v117, 0
	ds_load_b64 v[117:118], v117 offset:80
	s_waitcnt lgkmcnt(0)
	v_mul_f64 v[1:2], v[1:2], v[117:118]
	scratch_store_b64 off, v[1:2], off offset:80
.LBB118_51:
	s_or_b32 exec_lo, exec_lo, s0
	s_waitcnt_vscnt null, 0x0
	s_barrier
	buffer_gl0_inv
	scratch_load_b64 v[1:2], off, off offset:88
	s_mov_b32 s0, exec_lo
	s_waitcnt vmcnt(0)
	ds_store_b64 v5, v[1:2]
	s_waitcnt lgkmcnt(0)
	s_barrier
	buffer_gl0_inv
	v_cmpx_gt_u32_e32 11, v0
	s_cbranch_execz .LBB118_55
; %bb.52:
	v_dual_mov_b32 v1, 0 :: v_dual_add_nc_u32 v118, 0x1c0, v3
	v_dual_mov_b32 v2, 0 :: v_dual_add_nc_u32 v117, -1, v0
	v_add_nc_u32_e32 v119, 0, v3
	s_mov_b32 s1, 0
.LBB118_53:                             ; =>This Inner Loop Header: Depth=1
	scratch_load_b64 v[120:121], v119, off
	ds_load_b64 v[122:123], v118
	v_add_nc_u32_e32 v117, 1, v117
	v_add_nc_u32_e32 v118, 8, v118
	v_add_nc_u32_e32 v119, 8, v119
	s_delay_alu instid0(VALU_DEP_3)
	v_cmp_lt_u32_e32 vcc_lo, 9, v117
	s_or_b32 s1, vcc_lo, s1
	s_waitcnt vmcnt(0) lgkmcnt(0)
	v_fma_f64 v[1:2], v[120:121], v[122:123], v[1:2]
	s_and_not1_b32 exec_lo, exec_lo, s1
	s_cbranch_execnz .LBB118_53
; %bb.54:
	s_or_b32 exec_lo, exec_lo, s1
	v_mov_b32_e32 v117, 0
	ds_load_b64 v[117:118], v117 offset:88
	s_waitcnt lgkmcnt(0)
	v_mul_f64 v[1:2], v[1:2], v[117:118]
	scratch_store_b64 off, v[1:2], off offset:88
.LBB118_55:
	s_or_b32 exec_lo, exec_lo, s0
	s_waitcnt_vscnt null, 0x0
	s_barrier
	buffer_gl0_inv
	scratch_load_b64 v[1:2], off, off offset:96
	s_mov_b32 s0, exec_lo
	s_waitcnt vmcnt(0)
	ds_store_b64 v5, v[1:2]
	s_waitcnt lgkmcnt(0)
	s_barrier
	buffer_gl0_inv
	v_cmpx_gt_u32_e32 12, v0
	s_cbranch_execz .LBB118_59
; %bb.56:
	v_dual_mov_b32 v1, 0 :: v_dual_add_nc_u32 v118, 0x1c0, v3
	v_dual_mov_b32 v2, 0 :: v_dual_add_nc_u32 v117, -1, v0
	v_add_nc_u32_e32 v119, 0, v3
	s_mov_b32 s1, 0
.LBB118_57:                             ; =>This Inner Loop Header: Depth=1
	scratch_load_b64 v[120:121], v119, off
	ds_load_b64 v[122:123], v118
	v_add_nc_u32_e32 v117, 1, v117
	v_add_nc_u32_e32 v118, 8, v118
	v_add_nc_u32_e32 v119, 8, v119
	s_delay_alu instid0(VALU_DEP_3)
	v_cmp_lt_u32_e32 vcc_lo, 10, v117
	s_or_b32 s1, vcc_lo, s1
	s_waitcnt vmcnt(0) lgkmcnt(0)
	v_fma_f64 v[1:2], v[120:121], v[122:123], v[1:2]
	s_and_not1_b32 exec_lo, exec_lo, s1
	s_cbranch_execnz .LBB118_57
; %bb.58:
	s_or_b32 exec_lo, exec_lo, s1
	v_mov_b32_e32 v117, 0
	ds_load_b64 v[117:118], v117 offset:96
	s_waitcnt lgkmcnt(0)
	v_mul_f64 v[1:2], v[1:2], v[117:118]
	scratch_store_b64 off, v[1:2], off offset:96
.LBB118_59:
	s_or_b32 exec_lo, exec_lo, s0
	s_waitcnt_vscnt null, 0x0
	s_barrier
	buffer_gl0_inv
	scratch_load_b64 v[1:2], off, off offset:104
	s_mov_b32 s0, exec_lo
	s_waitcnt vmcnt(0)
	ds_store_b64 v5, v[1:2]
	s_waitcnt lgkmcnt(0)
	s_barrier
	buffer_gl0_inv
	v_cmpx_gt_u32_e32 13, v0
	s_cbranch_execz .LBB118_63
; %bb.60:
	v_dual_mov_b32 v1, 0 :: v_dual_add_nc_u32 v118, 0x1c0, v3
	v_dual_mov_b32 v2, 0 :: v_dual_add_nc_u32 v117, -1, v0
	v_add_nc_u32_e32 v119, 0, v3
	s_mov_b32 s1, 0
.LBB118_61:                             ; =>This Inner Loop Header: Depth=1
	scratch_load_b64 v[120:121], v119, off
	ds_load_b64 v[122:123], v118
	v_add_nc_u32_e32 v117, 1, v117
	v_add_nc_u32_e32 v118, 8, v118
	v_add_nc_u32_e32 v119, 8, v119
	s_delay_alu instid0(VALU_DEP_3)
	v_cmp_lt_u32_e32 vcc_lo, 11, v117
	s_or_b32 s1, vcc_lo, s1
	s_waitcnt vmcnt(0) lgkmcnt(0)
	v_fma_f64 v[1:2], v[120:121], v[122:123], v[1:2]
	s_and_not1_b32 exec_lo, exec_lo, s1
	s_cbranch_execnz .LBB118_61
; %bb.62:
	s_or_b32 exec_lo, exec_lo, s1
	v_mov_b32_e32 v117, 0
	ds_load_b64 v[117:118], v117 offset:104
	s_waitcnt lgkmcnt(0)
	v_mul_f64 v[1:2], v[1:2], v[117:118]
	scratch_store_b64 off, v[1:2], off offset:104
.LBB118_63:
	s_or_b32 exec_lo, exec_lo, s0
	s_waitcnt_vscnt null, 0x0
	s_barrier
	buffer_gl0_inv
	scratch_load_b64 v[1:2], off, off offset:112
	s_mov_b32 s0, exec_lo
	s_waitcnt vmcnt(0)
	ds_store_b64 v5, v[1:2]
	s_waitcnt lgkmcnt(0)
	s_barrier
	buffer_gl0_inv
	v_cmpx_gt_u32_e32 14, v0
	s_cbranch_execz .LBB118_67
; %bb.64:
	v_dual_mov_b32 v1, 0 :: v_dual_add_nc_u32 v118, 0x1c0, v3
	v_dual_mov_b32 v2, 0 :: v_dual_add_nc_u32 v117, -1, v0
	v_add_nc_u32_e32 v119, 0, v3
	s_mov_b32 s1, 0
.LBB118_65:                             ; =>This Inner Loop Header: Depth=1
	scratch_load_b64 v[120:121], v119, off
	ds_load_b64 v[122:123], v118
	v_add_nc_u32_e32 v117, 1, v117
	v_add_nc_u32_e32 v118, 8, v118
	v_add_nc_u32_e32 v119, 8, v119
	s_delay_alu instid0(VALU_DEP_3)
	v_cmp_lt_u32_e32 vcc_lo, 12, v117
	s_or_b32 s1, vcc_lo, s1
	s_waitcnt vmcnt(0) lgkmcnt(0)
	v_fma_f64 v[1:2], v[120:121], v[122:123], v[1:2]
	s_and_not1_b32 exec_lo, exec_lo, s1
	s_cbranch_execnz .LBB118_65
; %bb.66:
	s_or_b32 exec_lo, exec_lo, s1
	v_mov_b32_e32 v117, 0
	ds_load_b64 v[117:118], v117 offset:112
	s_waitcnt lgkmcnt(0)
	v_mul_f64 v[1:2], v[1:2], v[117:118]
	scratch_store_b64 off, v[1:2], off offset:112
.LBB118_67:
	s_or_b32 exec_lo, exec_lo, s0
	s_waitcnt_vscnt null, 0x0
	s_barrier
	buffer_gl0_inv
	scratch_load_b64 v[1:2], off, off offset:120
	s_mov_b32 s0, exec_lo
	s_waitcnt vmcnt(0)
	ds_store_b64 v5, v[1:2]
	s_waitcnt lgkmcnt(0)
	s_barrier
	buffer_gl0_inv
	v_cmpx_gt_u32_e32 15, v0
	s_cbranch_execz .LBB118_71
; %bb.68:
	v_dual_mov_b32 v1, 0 :: v_dual_add_nc_u32 v118, 0x1c0, v3
	v_dual_mov_b32 v2, 0 :: v_dual_add_nc_u32 v117, -1, v0
	v_add_nc_u32_e32 v119, 0, v3
	s_mov_b32 s1, 0
.LBB118_69:                             ; =>This Inner Loop Header: Depth=1
	scratch_load_b64 v[120:121], v119, off
	ds_load_b64 v[122:123], v118
	v_add_nc_u32_e32 v117, 1, v117
	v_add_nc_u32_e32 v118, 8, v118
	v_add_nc_u32_e32 v119, 8, v119
	s_delay_alu instid0(VALU_DEP_3)
	v_cmp_lt_u32_e32 vcc_lo, 13, v117
	s_or_b32 s1, vcc_lo, s1
	s_waitcnt vmcnt(0) lgkmcnt(0)
	v_fma_f64 v[1:2], v[120:121], v[122:123], v[1:2]
	s_and_not1_b32 exec_lo, exec_lo, s1
	s_cbranch_execnz .LBB118_69
; %bb.70:
	s_or_b32 exec_lo, exec_lo, s1
	v_mov_b32_e32 v117, 0
	ds_load_b64 v[117:118], v117 offset:120
	s_waitcnt lgkmcnt(0)
	v_mul_f64 v[1:2], v[1:2], v[117:118]
	scratch_store_b64 off, v[1:2], off offset:120
.LBB118_71:
	s_or_b32 exec_lo, exec_lo, s0
	s_waitcnt_vscnt null, 0x0
	s_barrier
	buffer_gl0_inv
	scratch_load_b64 v[1:2], off, off offset:128
	s_mov_b32 s0, exec_lo
	s_waitcnt vmcnt(0)
	ds_store_b64 v5, v[1:2]
	s_waitcnt lgkmcnt(0)
	s_barrier
	buffer_gl0_inv
	v_cmpx_gt_u32_e32 16, v0
	s_cbranch_execz .LBB118_75
; %bb.72:
	v_dual_mov_b32 v1, 0 :: v_dual_add_nc_u32 v118, 0x1c0, v3
	v_dual_mov_b32 v2, 0 :: v_dual_add_nc_u32 v117, -1, v0
	v_add_nc_u32_e32 v119, 0, v3
	s_mov_b32 s1, 0
.LBB118_73:                             ; =>This Inner Loop Header: Depth=1
	scratch_load_b64 v[120:121], v119, off
	ds_load_b64 v[122:123], v118
	v_add_nc_u32_e32 v117, 1, v117
	v_add_nc_u32_e32 v118, 8, v118
	v_add_nc_u32_e32 v119, 8, v119
	s_delay_alu instid0(VALU_DEP_3)
	v_cmp_lt_u32_e32 vcc_lo, 14, v117
	s_or_b32 s1, vcc_lo, s1
	s_waitcnt vmcnt(0) lgkmcnt(0)
	v_fma_f64 v[1:2], v[120:121], v[122:123], v[1:2]
	s_and_not1_b32 exec_lo, exec_lo, s1
	s_cbranch_execnz .LBB118_73
; %bb.74:
	s_or_b32 exec_lo, exec_lo, s1
	v_mov_b32_e32 v117, 0
	ds_load_b64 v[117:118], v117 offset:128
	s_waitcnt lgkmcnt(0)
	v_mul_f64 v[1:2], v[1:2], v[117:118]
	scratch_store_b64 off, v[1:2], off offset:128
.LBB118_75:
	s_or_b32 exec_lo, exec_lo, s0
	s_waitcnt_vscnt null, 0x0
	s_barrier
	buffer_gl0_inv
	scratch_load_b64 v[1:2], off, off offset:136
	s_mov_b32 s0, exec_lo
	s_waitcnt vmcnt(0)
	ds_store_b64 v5, v[1:2]
	s_waitcnt lgkmcnt(0)
	s_barrier
	buffer_gl0_inv
	v_cmpx_gt_u32_e32 17, v0
	s_cbranch_execz .LBB118_79
; %bb.76:
	v_dual_mov_b32 v1, 0 :: v_dual_add_nc_u32 v118, 0x1c0, v3
	v_dual_mov_b32 v2, 0 :: v_dual_add_nc_u32 v117, -1, v0
	v_add_nc_u32_e32 v119, 0, v3
	s_mov_b32 s1, 0
.LBB118_77:                             ; =>This Inner Loop Header: Depth=1
	scratch_load_b64 v[120:121], v119, off
	ds_load_b64 v[122:123], v118
	v_add_nc_u32_e32 v117, 1, v117
	v_add_nc_u32_e32 v118, 8, v118
	v_add_nc_u32_e32 v119, 8, v119
	s_delay_alu instid0(VALU_DEP_3)
	v_cmp_lt_u32_e32 vcc_lo, 15, v117
	s_or_b32 s1, vcc_lo, s1
	s_waitcnt vmcnt(0) lgkmcnt(0)
	v_fma_f64 v[1:2], v[120:121], v[122:123], v[1:2]
	s_and_not1_b32 exec_lo, exec_lo, s1
	s_cbranch_execnz .LBB118_77
; %bb.78:
	s_or_b32 exec_lo, exec_lo, s1
	v_mov_b32_e32 v117, 0
	ds_load_b64 v[117:118], v117 offset:136
	s_waitcnt lgkmcnt(0)
	v_mul_f64 v[1:2], v[1:2], v[117:118]
	scratch_store_b64 off, v[1:2], off offset:136
.LBB118_79:
	s_or_b32 exec_lo, exec_lo, s0
	s_waitcnt_vscnt null, 0x0
	s_barrier
	buffer_gl0_inv
	scratch_load_b64 v[1:2], off, off offset:144
	s_mov_b32 s0, exec_lo
	s_waitcnt vmcnt(0)
	ds_store_b64 v5, v[1:2]
	s_waitcnt lgkmcnt(0)
	s_barrier
	buffer_gl0_inv
	v_cmpx_gt_u32_e32 18, v0
	s_cbranch_execz .LBB118_83
; %bb.80:
	v_dual_mov_b32 v1, 0 :: v_dual_add_nc_u32 v118, 0x1c0, v3
	v_dual_mov_b32 v2, 0 :: v_dual_add_nc_u32 v117, -1, v0
	v_add_nc_u32_e32 v119, 0, v3
	s_mov_b32 s1, 0
.LBB118_81:                             ; =>This Inner Loop Header: Depth=1
	scratch_load_b64 v[120:121], v119, off
	ds_load_b64 v[122:123], v118
	v_add_nc_u32_e32 v117, 1, v117
	v_add_nc_u32_e32 v118, 8, v118
	v_add_nc_u32_e32 v119, 8, v119
	s_delay_alu instid0(VALU_DEP_3)
	v_cmp_lt_u32_e32 vcc_lo, 16, v117
	s_or_b32 s1, vcc_lo, s1
	s_waitcnt vmcnt(0) lgkmcnt(0)
	v_fma_f64 v[1:2], v[120:121], v[122:123], v[1:2]
	s_and_not1_b32 exec_lo, exec_lo, s1
	s_cbranch_execnz .LBB118_81
; %bb.82:
	s_or_b32 exec_lo, exec_lo, s1
	v_mov_b32_e32 v117, 0
	ds_load_b64 v[117:118], v117 offset:144
	s_waitcnt lgkmcnt(0)
	v_mul_f64 v[1:2], v[1:2], v[117:118]
	scratch_store_b64 off, v[1:2], off offset:144
.LBB118_83:
	s_or_b32 exec_lo, exec_lo, s0
	s_waitcnt_vscnt null, 0x0
	s_barrier
	buffer_gl0_inv
	scratch_load_b64 v[1:2], off, off offset:152
	s_mov_b32 s0, exec_lo
	s_waitcnt vmcnt(0)
	ds_store_b64 v5, v[1:2]
	s_waitcnt lgkmcnt(0)
	s_barrier
	buffer_gl0_inv
	v_cmpx_gt_u32_e32 19, v0
	s_cbranch_execz .LBB118_87
; %bb.84:
	v_dual_mov_b32 v1, 0 :: v_dual_add_nc_u32 v118, 0x1c0, v3
	v_dual_mov_b32 v2, 0 :: v_dual_add_nc_u32 v117, -1, v0
	v_add_nc_u32_e32 v119, 0, v3
	s_mov_b32 s1, 0
.LBB118_85:                             ; =>This Inner Loop Header: Depth=1
	scratch_load_b64 v[120:121], v119, off
	ds_load_b64 v[122:123], v118
	v_add_nc_u32_e32 v117, 1, v117
	v_add_nc_u32_e32 v118, 8, v118
	v_add_nc_u32_e32 v119, 8, v119
	s_delay_alu instid0(VALU_DEP_3)
	v_cmp_lt_u32_e32 vcc_lo, 17, v117
	s_or_b32 s1, vcc_lo, s1
	s_waitcnt vmcnt(0) lgkmcnt(0)
	v_fma_f64 v[1:2], v[120:121], v[122:123], v[1:2]
	s_and_not1_b32 exec_lo, exec_lo, s1
	s_cbranch_execnz .LBB118_85
; %bb.86:
	s_or_b32 exec_lo, exec_lo, s1
	v_mov_b32_e32 v117, 0
	ds_load_b64 v[117:118], v117 offset:152
	s_waitcnt lgkmcnt(0)
	v_mul_f64 v[1:2], v[1:2], v[117:118]
	scratch_store_b64 off, v[1:2], off offset:152
.LBB118_87:
	s_or_b32 exec_lo, exec_lo, s0
	s_waitcnt_vscnt null, 0x0
	s_barrier
	buffer_gl0_inv
	scratch_load_b64 v[1:2], off, off offset:160
	s_mov_b32 s0, exec_lo
	s_waitcnt vmcnt(0)
	ds_store_b64 v5, v[1:2]
	s_waitcnt lgkmcnt(0)
	s_barrier
	buffer_gl0_inv
	v_cmpx_gt_u32_e32 20, v0
	s_cbranch_execz .LBB118_91
; %bb.88:
	v_dual_mov_b32 v1, 0 :: v_dual_add_nc_u32 v118, 0x1c0, v3
	v_dual_mov_b32 v2, 0 :: v_dual_add_nc_u32 v117, -1, v0
	v_add_nc_u32_e32 v119, 0, v3
	s_mov_b32 s1, 0
.LBB118_89:                             ; =>This Inner Loop Header: Depth=1
	scratch_load_b64 v[120:121], v119, off
	ds_load_b64 v[122:123], v118
	v_add_nc_u32_e32 v117, 1, v117
	v_add_nc_u32_e32 v118, 8, v118
	v_add_nc_u32_e32 v119, 8, v119
	s_delay_alu instid0(VALU_DEP_3)
	v_cmp_lt_u32_e32 vcc_lo, 18, v117
	s_or_b32 s1, vcc_lo, s1
	s_waitcnt vmcnt(0) lgkmcnt(0)
	v_fma_f64 v[1:2], v[120:121], v[122:123], v[1:2]
	s_and_not1_b32 exec_lo, exec_lo, s1
	s_cbranch_execnz .LBB118_89
; %bb.90:
	s_or_b32 exec_lo, exec_lo, s1
	v_mov_b32_e32 v117, 0
	ds_load_b64 v[117:118], v117 offset:160
	s_waitcnt lgkmcnt(0)
	v_mul_f64 v[1:2], v[1:2], v[117:118]
	scratch_store_b64 off, v[1:2], off offset:160
.LBB118_91:
	s_or_b32 exec_lo, exec_lo, s0
	s_waitcnt_vscnt null, 0x0
	s_barrier
	buffer_gl0_inv
	scratch_load_b64 v[1:2], off, off offset:168
	s_mov_b32 s0, exec_lo
	s_waitcnt vmcnt(0)
	ds_store_b64 v5, v[1:2]
	s_waitcnt lgkmcnt(0)
	s_barrier
	buffer_gl0_inv
	v_cmpx_gt_u32_e32 21, v0
	s_cbranch_execz .LBB118_95
; %bb.92:
	v_dual_mov_b32 v1, 0 :: v_dual_add_nc_u32 v118, 0x1c0, v3
	v_dual_mov_b32 v2, 0 :: v_dual_add_nc_u32 v117, -1, v0
	v_add_nc_u32_e32 v119, 0, v3
	s_mov_b32 s1, 0
.LBB118_93:                             ; =>This Inner Loop Header: Depth=1
	scratch_load_b64 v[120:121], v119, off
	ds_load_b64 v[122:123], v118
	v_add_nc_u32_e32 v117, 1, v117
	v_add_nc_u32_e32 v118, 8, v118
	v_add_nc_u32_e32 v119, 8, v119
	s_delay_alu instid0(VALU_DEP_3)
	v_cmp_lt_u32_e32 vcc_lo, 19, v117
	s_or_b32 s1, vcc_lo, s1
	s_waitcnt vmcnt(0) lgkmcnt(0)
	v_fma_f64 v[1:2], v[120:121], v[122:123], v[1:2]
	s_and_not1_b32 exec_lo, exec_lo, s1
	s_cbranch_execnz .LBB118_93
; %bb.94:
	s_or_b32 exec_lo, exec_lo, s1
	v_mov_b32_e32 v117, 0
	ds_load_b64 v[117:118], v117 offset:168
	s_waitcnt lgkmcnt(0)
	v_mul_f64 v[1:2], v[1:2], v[117:118]
	scratch_store_b64 off, v[1:2], off offset:168
.LBB118_95:
	s_or_b32 exec_lo, exec_lo, s0
	s_waitcnt_vscnt null, 0x0
	s_barrier
	buffer_gl0_inv
	scratch_load_b64 v[1:2], off, off offset:176
	s_mov_b32 s0, exec_lo
	s_waitcnt vmcnt(0)
	ds_store_b64 v5, v[1:2]
	s_waitcnt lgkmcnt(0)
	s_barrier
	buffer_gl0_inv
	v_cmpx_gt_u32_e32 22, v0
	s_cbranch_execz .LBB118_99
; %bb.96:
	v_dual_mov_b32 v1, 0 :: v_dual_add_nc_u32 v118, 0x1c0, v3
	v_dual_mov_b32 v2, 0 :: v_dual_add_nc_u32 v117, -1, v0
	v_add_nc_u32_e32 v119, 0, v3
	s_mov_b32 s1, 0
.LBB118_97:                             ; =>This Inner Loop Header: Depth=1
	scratch_load_b64 v[120:121], v119, off
	ds_load_b64 v[122:123], v118
	v_add_nc_u32_e32 v117, 1, v117
	v_add_nc_u32_e32 v118, 8, v118
	v_add_nc_u32_e32 v119, 8, v119
	s_delay_alu instid0(VALU_DEP_3)
	v_cmp_lt_u32_e32 vcc_lo, 20, v117
	s_or_b32 s1, vcc_lo, s1
	s_waitcnt vmcnt(0) lgkmcnt(0)
	v_fma_f64 v[1:2], v[120:121], v[122:123], v[1:2]
	s_and_not1_b32 exec_lo, exec_lo, s1
	s_cbranch_execnz .LBB118_97
; %bb.98:
	s_or_b32 exec_lo, exec_lo, s1
	v_mov_b32_e32 v117, 0
	ds_load_b64 v[117:118], v117 offset:176
	s_waitcnt lgkmcnt(0)
	v_mul_f64 v[1:2], v[1:2], v[117:118]
	scratch_store_b64 off, v[1:2], off offset:176
.LBB118_99:
	s_or_b32 exec_lo, exec_lo, s0
	s_waitcnt_vscnt null, 0x0
	s_barrier
	buffer_gl0_inv
	scratch_load_b64 v[1:2], off, off offset:184
	s_mov_b32 s0, exec_lo
	s_waitcnt vmcnt(0)
	ds_store_b64 v5, v[1:2]
	s_waitcnt lgkmcnt(0)
	s_barrier
	buffer_gl0_inv
	v_cmpx_gt_u32_e32 23, v0
	s_cbranch_execz .LBB118_103
; %bb.100:
	v_dual_mov_b32 v1, 0 :: v_dual_add_nc_u32 v118, 0x1c0, v3
	v_dual_mov_b32 v2, 0 :: v_dual_add_nc_u32 v117, -1, v0
	v_add_nc_u32_e32 v119, 0, v3
	s_mov_b32 s1, 0
.LBB118_101:                            ; =>This Inner Loop Header: Depth=1
	scratch_load_b64 v[120:121], v119, off
	ds_load_b64 v[122:123], v118
	v_add_nc_u32_e32 v117, 1, v117
	v_add_nc_u32_e32 v118, 8, v118
	v_add_nc_u32_e32 v119, 8, v119
	s_delay_alu instid0(VALU_DEP_3)
	v_cmp_lt_u32_e32 vcc_lo, 21, v117
	s_or_b32 s1, vcc_lo, s1
	s_waitcnt vmcnt(0) lgkmcnt(0)
	v_fma_f64 v[1:2], v[120:121], v[122:123], v[1:2]
	s_and_not1_b32 exec_lo, exec_lo, s1
	s_cbranch_execnz .LBB118_101
; %bb.102:
	s_or_b32 exec_lo, exec_lo, s1
	v_mov_b32_e32 v117, 0
	ds_load_b64 v[117:118], v117 offset:184
	s_waitcnt lgkmcnt(0)
	v_mul_f64 v[1:2], v[1:2], v[117:118]
	scratch_store_b64 off, v[1:2], off offset:184
.LBB118_103:
	s_or_b32 exec_lo, exec_lo, s0
	s_waitcnt_vscnt null, 0x0
	s_barrier
	buffer_gl0_inv
	scratch_load_b64 v[1:2], off, off offset:192
	s_mov_b32 s0, exec_lo
	s_waitcnt vmcnt(0)
	ds_store_b64 v5, v[1:2]
	s_waitcnt lgkmcnt(0)
	s_barrier
	buffer_gl0_inv
	v_cmpx_gt_u32_e32 24, v0
	s_cbranch_execz .LBB118_107
; %bb.104:
	v_dual_mov_b32 v1, 0 :: v_dual_add_nc_u32 v118, 0x1c0, v3
	v_dual_mov_b32 v2, 0 :: v_dual_add_nc_u32 v117, -1, v0
	v_add_nc_u32_e32 v119, 0, v3
	s_mov_b32 s1, 0
.LBB118_105:                            ; =>This Inner Loop Header: Depth=1
	scratch_load_b64 v[120:121], v119, off
	ds_load_b64 v[122:123], v118
	v_add_nc_u32_e32 v117, 1, v117
	v_add_nc_u32_e32 v118, 8, v118
	v_add_nc_u32_e32 v119, 8, v119
	s_delay_alu instid0(VALU_DEP_3)
	v_cmp_lt_u32_e32 vcc_lo, 22, v117
	s_or_b32 s1, vcc_lo, s1
	s_waitcnt vmcnt(0) lgkmcnt(0)
	v_fma_f64 v[1:2], v[120:121], v[122:123], v[1:2]
	s_and_not1_b32 exec_lo, exec_lo, s1
	s_cbranch_execnz .LBB118_105
; %bb.106:
	s_or_b32 exec_lo, exec_lo, s1
	v_mov_b32_e32 v117, 0
	ds_load_b64 v[117:118], v117 offset:192
	s_waitcnt lgkmcnt(0)
	v_mul_f64 v[1:2], v[1:2], v[117:118]
	scratch_store_b64 off, v[1:2], off offset:192
.LBB118_107:
	s_or_b32 exec_lo, exec_lo, s0
	s_waitcnt_vscnt null, 0x0
	s_barrier
	buffer_gl0_inv
	scratch_load_b64 v[1:2], off, off offset:200
	;; [unrolled: 39-line block ×31, first 2 shown]
	s_mov_b32 s0, exec_lo
	s_waitcnt vmcnt(0)
	ds_store_b64 v5, v[1:2]
	s_waitcnt lgkmcnt(0)
	s_barrier
	buffer_gl0_inv
	v_cmpx_ne_u32_e32 54, v0
	s_cbranch_execz .LBB118_227
; %bb.224:
	v_mov_b32_e32 v1, 0
	v_mov_b32_e32 v2, 0
	s_mov_b32 s1, 0
.LBB118_225:                            ; =>This Inner Loop Header: Depth=1
	scratch_load_b64 v[117:118], v4, off
	ds_load_b64 v[119:120], v5
	v_add_nc_u32_e32 v116, 1, v116
	v_add_nc_u32_e32 v5, 8, v5
	;; [unrolled: 1-line block ×3, first 2 shown]
	s_delay_alu instid0(VALU_DEP_3)
	v_cmp_lt_u32_e32 vcc_lo, 52, v116
	s_or_b32 s1, vcc_lo, s1
	s_waitcnt vmcnt(0) lgkmcnt(0)
	v_fma_f64 v[1:2], v[117:118], v[119:120], v[1:2]
	s_and_not1_b32 exec_lo, exec_lo, s1
	s_cbranch_execnz .LBB118_225
; %bb.226:
	s_or_b32 exec_lo, exec_lo, s1
	v_mov_b32_e32 v3, 0
	ds_load_b64 v[3:4], v3 offset:432
	s_waitcnt lgkmcnt(0)
	v_mul_f64 v[1:2], v[1:2], v[3:4]
	scratch_store_b64 off, v[1:2], off offset:432
.LBB118_227:
	s_or_b32 exec_lo, exec_lo, s0
	s_mov_b32 s1, -1
	s_waitcnt_vscnt null, 0x0
	s_barrier
	buffer_gl0_inv
.LBB118_228:
	s_and_b32 vcc_lo, exec_lo, s1
	s_cbranch_vccz .LBB118_230
; %bb.229:
	s_lshl_b64 s[0:1], s[8:9], 2
	v_mov_b32_e32 v1, 0
	s_add_u32 s0, s6, s0
	s_addc_u32 s1, s7, s1
	global_load_b32 v1, v1, s[0:1]
	s_waitcnt vmcnt(0)
	v_cmp_ne_u32_e32 vcc_lo, 0, v1
	s_cbranch_vccz .LBB118_231
.LBB118_230:
	s_endpgm
.LBB118_231:
	v_lshl_add_u32 v5, v0, 3, 0x1c0
	s_mov_b32 s0, exec_lo
	v_cmpx_eq_u32_e32 54, v0
	s_cbranch_execz .LBB118_233
; %bb.232:
	scratch_load_b64 v[1:2], off, off offset:424
	v_mov_b32_e32 v3, 0
	s_delay_alu instid0(VALU_DEP_1)
	v_mov_b32_e32 v4, v3
	scratch_store_b64 off, v[3:4], off offset:424
	s_waitcnt vmcnt(0)
	ds_store_b64 v5, v[1:2]
.LBB118_233:
	s_or_b32 exec_lo, exec_lo, s0
	s_waitcnt lgkmcnt(0)
	s_waitcnt_vscnt null, 0x0
	s_barrier
	buffer_gl0_inv
	scratch_load_b128 v[116:119], off, off offset:424
	v_mov_b32_e32 v1, 0
	s_mov_b32 s0, exec_lo
	ds_load_b64 v[2:3], v1 offset:880
	s_waitcnt vmcnt(0) lgkmcnt(0)
	v_fma_f64 v[2:3], v[118:119], v[2:3], 0
	s_delay_alu instid0(VALU_DEP_1)
	v_add_f64 v[2:3], v[116:117], -v[2:3]
	scratch_store_b64 off, v[2:3], off offset:424
	v_cmpx_lt_u32_e32 52, v0
	s_cbranch_execz .LBB118_235
; %bb.234:
	scratch_load_b64 v[3:4], off, off offset:416
	v_mov_b32_e32 v2, v1
	scratch_store_b64 off, v[1:2], off offset:416
	s_waitcnt vmcnt(0)
	ds_store_b64 v5, v[3:4]
.LBB118_235:
	s_or_b32 exec_lo, exec_lo, s0
	s_waitcnt lgkmcnt(0)
	s_waitcnt_vscnt null, 0x0
	s_barrier
	buffer_gl0_inv
	s_clause 0x1
	scratch_load_b128 v[116:119], off, off offset:416
	scratch_load_b64 v[120:121], off, off offset:432
	ds_load_2addr_b64 v[1:4], v1 offset0:109 offset1:110
	s_mov_b32 s0, exec_lo
	s_waitcnt vmcnt(1) lgkmcnt(0)
	v_fma_f64 v[1:2], v[118:119], v[1:2], 0
	s_waitcnt vmcnt(0)
	s_delay_alu instid0(VALU_DEP_1) | instskip(NEXT) | instid1(VALU_DEP_1)
	v_fma_f64 v[1:2], v[120:121], v[3:4], v[1:2]
	v_add_f64 v[1:2], v[116:117], -v[1:2]
	scratch_store_b64 off, v[1:2], off offset:416
	v_cmpx_lt_u32_e32 51, v0
	s_cbranch_execz .LBB118_237
; %bb.236:
	scratch_load_b64 v[1:2], off, off offset:408
	v_mov_b32_e32 v3, 0
	s_delay_alu instid0(VALU_DEP_1)
	v_mov_b32_e32 v4, v3
	scratch_store_b64 off, v[3:4], off offset:408
	s_waitcnt vmcnt(0)
	ds_store_b64 v5, v[1:2]
.LBB118_237:
	s_or_b32 exec_lo, exec_lo, s0
	s_waitcnt lgkmcnt(0)
	s_waitcnt_vscnt null, 0x0
	s_barrier
	buffer_gl0_inv
	s_clause 0x1
	scratch_load_b128 v[116:119], off, off offset:408
	scratch_load_b128 v[120:123], off, off offset:424
	v_mov_b32_e32 v1, 0
	ds_load_b128 v[124:127], v1 offset:864
	ds_load_b64 v[2:3], v1 offset:880
	s_mov_b32 s0, exec_lo
	s_waitcnt vmcnt(1) lgkmcnt(1)
	v_fma_f64 v[118:119], v[118:119], v[124:125], 0
	s_waitcnt vmcnt(0)
	s_delay_alu instid0(VALU_DEP_1) | instskip(SKIP_1) | instid1(VALU_DEP_1)
	v_fma_f64 v[118:119], v[120:121], v[126:127], v[118:119]
	s_waitcnt lgkmcnt(0)
	v_fma_f64 v[2:3], v[122:123], v[2:3], v[118:119]
	s_delay_alu instid0(VALU_DEP_1)
	v_add_f64 v[2:3], v[116:117], -v[2:3]
	scratch_store_b64 off, v[2:3], off offset:408
	v_cmpx_lt_u32_e32 50, v0
	s_cbranch_execz .LBB118_239
; %bb.238:
	scratch_load_b64 v[3:4], off, off offset:400
	v_mov_b32_e32 v2, v1
	scratch_store_b64 off, v[1:2], off offset:400
	s_waitcnt vmcnt(0)
	ds_store_b64 v5, v[3:4]
.LBB118_239:
	s_or_b32 exec_lo, exec_lo, s0
	s_waitcnt lgkmcnt(0)
	s_waitcnt_vscnt null, 0x0
	s_barrier
	buffer_gl0_inv
	s_clause 0x2
	scratch_load_b128 v[116:119], off, off offset:400
	scratch_load_b128 v[120:123], off, off offset:416
	scratch_load_b64 v[128:129], off, off offset:432
	ds_load_2addr_b64 v[124:127], v1 offset0:107 offset1:108
	ds_load_2addr_b64 v[1:4], v1 offset0:109 offset1:110
	s_mov_b32 s0, exec_lo
	s_waitcnt vmcnt(2) lgkmcnt(1)
	v_fma_f64 v[118:119], v[118:119], v[124:125], 0
	s_waitcnt vmcnt(1)
	s_delay_alu instid0(VALU_DEP_1) | instskip(SKIP_1) | instid1(VALU_DEP_1)
	v_fma_f64 v[118:119], v[120:121], v[126:127], v[118:119]
	s_waitcnt lgkmcnt(0)
	v_fma_f64 v[1:2], v[122:123], v[1:2], v[118:119]
	s_waitcnt vmcnt(0)
	s_delay_alu instid0(VALU_DEP_1) | instskip(NEXT) | instid1(VALU_DEP_1)
	v_fma_f64 v[1:2], v[128:129], v[3:4], v[1:2]
	v_add_f64 v[1:2], v[116:117], -v[1:2]
	scratch_store_b64 off, v[1:2], off offset:400
	v_cmpx_lt_u32_e32 49, v0
	s_cbranch_execz .LBB118_241
; %bb.240:
	scratch_load_b64 v[1:2], off, off offset:392
	v_mov_b32_e32 v3, 0
	s_delay_alu instid0(VALU_DEP_1)
	v_mov_b32_e32 v4, v3
	scratch_store_b64 off, v[3:4], off offset:392
	s_waitcnt vmcnt(0)
	ds_store_b64 v5, v[1:2]
.LBB118_241:
	s_or_b32 exec_lo, exec_lo, s0
	s_waitcnt lgkmcnt(0)
	s_waitcnt_vscnt null, 0x0
	s_barrier
	buffer_gl0_inv
	s_clause 0x2
	scratch_load_b128 v[116:119], off, off offset:392
	scratch_load_b128 v[120:123], off, off offset:408
	;; [unrolled: 1-line block ×3, first 2 shown]
	v_mov_b32_e32 v1, 0
	ds_load_b128 v[128:131], v1 offset:848
	ds_load_b128 v[132:135], v1 offset:864
	s_mov_b32 s0, exec_lo
	s_waitcnt vmcnt(2) lgkmcnt(1)
	v_fma_f64 v[2:3], v[118:119], v[128:129], 0
	ds_load_b64 v[118:119], v1 offset:880
	s_waitcnt vmcnt(1)
	v_fma_f64 v[2:3], v[120:121], v[130:131], v[2:3]
	s_waitcnt lgkmcnt(1)
	s_delay_alu instid0(VALU_DEP_1) | instskip(SKIP_1) | instid1(VALU_DEP_1)
	v_fma_f64 v[2:3], v[122:123], v[132:133], v[2:3]
	s_waitcnt vmcnt(0)
	v_fma_f64 v[2:3], v[124:125], v[134:135], v[2:3]
	s_waitcnt lgkmcnt(0)
	s_delay_alu instid0(VALU_DEP_1) | instskip(NEXT) | instid1(VALU_DEP_1)
	v_fma_f64 v[2:3], v[126:127], v[118:119], v[2:3]
	v_add_f64 v[2:3], v[116:117], -v[2:3]
	scratch_store_b64 off, v[2:3], off offset:392
	v_cmpx_lt_u32_e32 48, v0
	s_cbranch_execz .LBB118_243
; %bb.242:
	scratch_load_b64 v[3:4], off, off offset:384
	v_mov_b32_e32 v2, v1
	scratch_store_b64 off, v[1:2], off offset:384
	s_waitcnt vmcnt(0)
	ds_store_b64 v5, v[3:4]
.LBB118_243:
	s_or_b32 exec_lo, exec_lo, s0
	s_waitcnt lgkmcnt(0)
	s_waitcnt_vscnt null, 0x0
	s_barrier
	buffer_gl0_inv
	s_clause 0x3
	scratch_load_b128 v[116:119], off, off offset:384
	scratch_load_b128 v[120:123], off, off offset:400
	;; [unrolled: 1-line block ×3, first 2 shown]
	scratch_load_b64 v[136:137], off, off offset:432
	ds_load_2addr_b64 v[128:131], v1 offset0:105 offset1:106
	ds_load_2addr_b64 v[132:135], v1 offset0:107 offset1:108
	s_mov_b32 s0, exec_lo
	s_waitcnt vmcnt(3) lgkmcnt(1)
	v_fma_f64 v[2:3], v[118:119], v[128:129], 0
	s_waitcnt vmcnt(2)
	s_delay_alu instid0(VALU_DEP_1) | instskip(SKIP_1) | instid1(VALU_DEP_1)
	v_fma_f64 v[2:3], v[120:121], v[130:131], v[2:3]
	s_waitcnt lgkmcnt(0)
	v_fma_f64 v[2:3], v[122:123], v[132:133], v[2:3]
	s_waitcnt vmcnt(1)
	s_delay_alu instid0(VALU_DEP_1) | instskip(SKIP_4) | instid1(VALU_DEP_1)
	v_fma_f64 v[118:119], v[124:125], v[134:135], v[2:3]
	ds_load_2addr_b64 v[1:4], v1 offset0:109 offset1:110
	s_waitcnt lgkmcnt(0)
	v_fma_f64 v[1:2], v[126:127], v[1:2], v[118:119]
	s_waitcnt vmcnt(0)
	v_fma_f64 v[1:2], v[136:137], v[3:4], v[1:2]
	s_delay_alu instid0(VALU_DEP_1)
	v_add_f64 v[1:2], v[116:117], -v[1:2]
	scratch_store_b64 off, v[1:2], off offset:384
	v_cmpx_lt_u32_e32 47, v0
	s_cbranch_execz .LBB118_245
; %bb.244:
	scratch_load_b64 v[1:2], off, off offset:376
	v_mov_b32_e32 v3, 0
	s_delay_alu instid0(VALU_DEP_1)
	v_mov_b32_e32 v4, v3
	scratch_store_b64 off, v[3:4], off offset:376
	s_waitcnt vmcnt(0)
	ds_store_b64 v5, v[1:2]
.LBB118_245:
	s_or_b32 exec_lo, exec_lo, s0
	s_waitcnt lgkmcnt(0)
	s_waitcnt_vscnt null, 0x0
	s_barrier
	buffer_gl0_inv
	s_clause 0x3
	scratch_load_b128 v[116:119], off, off offset:376
	scratch_load_b128 v[120:123], off, off offset:392
	;; [unrolled: 1-line block ×4, first 2 shown]
	v_mov_b32_e32 v1, 0
	ds_load_b128 v[132:135], v1 offset:832
	ds_load_b128 v[136:139], v1 offset:848
	s_mov_b32 s0, exec_lo
	s_waitcnt vmcnt(3) lgkmcnt(1)
	v_fma_f64 v[2:3], v[118:119], v[132:133], 0
	s_waitcnt vmcnt(2)
	s_delay_alu instid0(VALU_DEP_1) | instskip(SKIP_1) | instid1(VALU_DEP_1)
	v_fma_f64 v[2:3], v[120:121], v[134:135], v[2:3]
	s_waitcnt lgkmcnt(0)
	v_fma_f64 v[2:3], v[122:123], v[136:137], v[2:3]
	ds_load_b128 v[118:121], v1 offset:864
	ds_load_b64 v[122:123], v1 offset:880
	s_waitcnt vmcnt(1)
	v_fma_f64 v[2:3], v[124:125], v[138:139], v[2:3]
	s_waitcnt lgkmcnt(1)
	s_delay_alu instid0(VALU_DEP_1) | instskip(SKIP_1) | instid1(VALU_DEP_1)
	v_fma_f64 v[2:3], v[126:127], v[118:119], v[2:3]
	s_waitcnt vmcnt(0)
	v_fma_f64 v[2:3], v[128:129], v[120:121], v[2:3]
	s_waitcnt lgkmcnt(0)
	s_delay_alu instid0(VALU_DEP_1) | instskip(NEXT) | instid1(VALU_DEP_1)
	v_fma_f64 v[2:3], v[130:131], v[122:123], v[2:3]
	v_add_f64 v[2:3], v[116:117], -v[2:3]
	scratch_store_b64 off, v[2:3], off offset:376
	v_cmpx_lt_u32_e32 46, v0
	s_cbranch_execz .LBB118_247
; %bb.246:
	scratch_load_b64 v[3:4], off, off offset:368
	v_mov_b32_e32 v2, v1
	scratch_store_b64 off, v[1:2], off offset:368
	s_waitcnt vmcnt(0)
	ds_store_b64 v5, v[3:4]
.LBB118_247:
	s_or_b32 exec_lo, exec_lo, s0
	s_waitcnt lgkmcnt(0)
	s_waitcnt_vscnt null, 0x0
	s_barrier
	buffer_gl0_inv
	s_clause 0x4
	scratch_load_b128 v[116:119], off, off offset:368
	scratch_load_b128 v[120:123], off, off offset:384
	;; [unrolled: 1-line block ×4, first 2 shown]
	scratch_load_b64 v[140:141], off, off offset:432
	ds_load_2addr_b64 v[132:135], v1 offset0:103 offset1:104
	ds_load_2addr_b64 v[136:139], v1 offset0:105 offset1:106
	s_mov_b32 s0, exec_lo
	s_waitcnt vmcnt(4) lgkmcnt(1)
	v_fma_f64 v[2:3], v[118:119], v[132:133], 0
	s_waitcnt vmcnt(3)
	s_delay_alu instid0(VALU_DEP_1) | instskip(SKIP_1) | instid1(VALU_DEP_1)
	v_fma_f64 v[2:3], v[120:121], v[134:135], v[2:3]
	s_waitcnt lgkmcnt(0)
	v_fma_f64 v[2:3], v[122:123], v[136:137], v[2:3]
	s_waitcnt vmcnt(2)
	s_delay_alu instid0(VALU_DEP_1)
	v_fma_f64 v[122:123], v[124:125], v[138:139], v[2:3]
	ds_load_2addr_b64 v[118:121], v1 offset0:107 offset1:108
	ds_load_2addr_b64 v[1:4], v1 offset0:109 offset1:110
	s_waitcnt lgkmcnt(1)
	v_fma_f64 v[118:119], v[126:127], v[118:119], v[122:123]
	s_waitcnt vmcnt(1)
	s_delay_alu instid0(VALU_DEP_1) | instskip(SKIP_1) | instid1(VALU_DEP_1)
	v_fma_f64 v[118:119], v[128:129], v[120:121], v[118:119]
	s_waitcnt lgkmcnt(0)
	v_fma_f64 v[1:2], v[130:131], v[1:2], v[118:119]
	s_waitcnt vmcnt(0)
	s_delay_alu instid0(VALU_DEP_1) | instskip(NEXT) | instid1(VALU_DEP_1)
	v_fma_f64 v[1:2], v[140:141], v[3:4], v[1:2]
	v_add_f64 v[1:2], v[116:117], -v[1:2]
	scratch_store_b64 off, v[1:2], off offset:368
	v_cmpx_lt_u32_e32 45, v0
	s_cbranch_execz .LBB118_249
; %bb.248:
	scratch_load_b64 v[1:2], off, off offset:360
	v_mov_b32_e32 v3, 0
	s_delay_alu instid0(VALU_DEP_1)
	v_mov_b32_e32 v4, v3
	scratch_store_b64 off, v[3:4], off offset:360
	s_waitcnt vmcnt(0)
	ds_store_b64 v5, v[1:2]
.LBB118_249:
	s_or_b32 exec_lo, exec_lo, s0
	s_waitcnt lgkmcnt(0)
	s_waitcnt_vscnt null, 0x0
	s_barrier
	buffer_gl0_inv
	s_clause 0x4
	scratch_load_b128 v[116:119], off, off offset:360
	scratch_load_b128 v[120:123], off, off offset:376
	;; [unrolled: 1-line block ×5, first 2 shown]
	v_mov_b32_e32 v1, 0
	ds_load_b128 v[136:139], v1 offset:816
	ds_load_b128 v[140:143], v1 offset:832
	s_mov_b32 s0, exec_lo
	s_waitcnt vmcnt(4) lgkmcnt(1)
	v_fma_f64 v[2:3], v[118:119], v[136:137], 0
	s_waitcnt vmcnt(3)
	s_delay_alu instid0(VALU_DEP_1) | instskip(SKIP_1) | instid1(VALU_DEP_1)
	v_fma_f64 v[2:3], v[120:121], v[138:139], v[2:3]
	s_waitcnt lgkmcnt(0)
	v_fma_f64 v[2:3], v[122:123], v[140:141], v[2:3]
	s_waitcnt vmcnt(2)
	s_delay_alu instid0(VALU_DEP_1)
	v_fma_f64 v[2:3], v[124:125], v[142:143], v[2:3]
	ds_load_b128 v[118:121], v1 offset:848
	ds_load_b128 v[122:125], v1 offset:864
	s_waitcnt lgkmcnt(1)
	v_fma_f64 v[2:3], v[126:127], v[118:119], v[2:3]
	ds_load_b64 v[118:119], v1 offset:880
	s_waitcnt vmcnt(1)
	v_fma_f64 v[2:3], v[128:129], v[120:121], v[2:3]
	s_waitcnt lgkmcnt(1)
	s_delay_alu instid0(VALU_DEP_1) | instskip(SKIP_1) | instid1(VALU_DEP_1)
	v_fma_f64 v[2:3], v[130:131], v[122:123], v[2:3]
	s_waitcnt vmcnt(0)
	v_fma_f64 v[2:3], v[132:133], v[124:125], v[2:3]
	s_waitcnt lgkmcnt(0)
	s_delay_alu instid0(VALU_DEP_1) | instskip(NEXT) | instid1(VALU_DEP_1)
	v_fma_f64 v[2:3], v[134:135], v[118:119], v[2:3]
	v_add_f64 v[2:3], v[116:117], -v[2:3]
	scratch_store_b64 off, v[2:3], off offset:360
	v_cmpx_lt_u32_e32 44, v0
	s_cbranch_execz .LBB118_251
; %bb.250:
	scratch_load_b64 v[3:4], off, off offset:352
	v_mov_b32_e32 v2, v1
	scratch_store_b64 off, v[1:2], off offset:352
	s_waitcnt vmcnt(0)
	ds_store_b64 v5, v[3:4]
.LBB118_251:
	s_or_b32 exec_lo, exec_lo, s0
	s_waitcnt lgkmcnt(0)
	s_waitcnt_vscnt null, 0x0
	s_barrier
	buffer_gl0_inv
	s_clause 0x4
	scratch_load_b128 v[116:119], off, off offset:352
	scratch_load_b128 v[120:123], off, off offset:368
	;; [unrolled: 1-line block ×5, first 2 shown]
	ds_load_2addr_b64 v[136:139], v1 offset0:101 offset1:102
	ds_load_2addr_b64 v[140:143], v1 offset0:103 offset1:104
	s_mov_b32 s0, exec_lo
	s_waitcnt vmcnt(4) lgkmcnt(1)
	v_fma_f64 v[2:3], v[118:119], v[136:137], 0
	scratch_load_b64 v[136:137], off, off offset:432
	s_waitcnt vmcnt(4)
	v_fma_f64 v[2:3], v[120:121], v[138:139], v[2:3]
	s_waitcnt lgkmcnt(0)
	s_delay_alu instid0(VALU_DEP_1) | instskip(SKIP_1) | instid1(VALU_DEP_1)
	v_fma_f64 v[2:3], v[122:123], v[140:141], v[2:3]
	s_waitcnt vmcnt(3)
	v_fma_f64 v[2:3], v[124:125], v[142:143], v[2:3]
	ds_load_2addr_b64 v[118:121], v1 offset0:105 offset1:106
	ds_load_2addr_b64 v[122:125], v1 offset0:107 offset1:108
	s_waitcnt lgkmcnt(1)
	v_fma_f64 v[2:3], v[126:127], v[118:119], v[2:3]
	s_waitcnt vmcnt(2)
	s_delay_alu instid0(VALU_DEP_1) | instskip(SKIP_1) | instid1(VALU_DEP_1)
	v_fma_f64 v[2:3], v[128:129], v[120:121], v[2:3]
	s_waitcnt lgkmcnt(0)
	v_fma_f64 v[2:3], v[130:131], v[122:123], v[2:3]
	s_waitcnt vmcnt(1)
	s_delay_alu instid0(VALU_DEP_1) | instskip(SKIP_4) | instid1(VALU_DEP_1)
	v_fma_f64 v[118:119], v[132:133], v[124:125], v[2:3]
	ds_load_2addr_b64 v[1:4], v1 offset0:109 offset1:110
	s_waitcnt lgkmcnt(0)
	v_fma_f64 v[1:2], v[134:135], v[1:2], v[118:119]
	s_waitcnt vmcnt(0)
	v_fma_f64 v[1:2], v[136:137], v[3:4], v[1:2]
	s_delay_alu instid0(VALU_DEP_1)
	v_add_f64 v[1:2], v[116:117], -v[1:2]
	scratch_store_b64 off, v[1:2], off offset:352
	v_cmpx_lt_u32_e32 43, v0
	s_cbranch_execz .LBB118_253
; %bb.252:
	scratch_load_b64 v[1:2], off, off offset:344
	v_mov_b32_e32 v3, 0
	s_delay_alu instid0(VALU_DEP_1)
	v_mov_b32_e32 v4, v3
	scratch_store_b64 off, v[3:4], off offset:344
	s_waitcnt vmcnt(0)
	ds_store_b64 v5, v[1:2]
.LBB118_253:
	s_or_b32 exec_lo, exec_lo, s0
	s_waitcnt lgkmcnt(0)
	s_waitcnt_vscnt null, 0x0
	s_barrier
	buffer_gl0_inv
	s_clause 0x4
	scratch_load_b128 v[116:119], off, off offset:344
	scratch_load_b128 v[120:123], off, off offset:360
	;; [unrolled: 1-line block ×5, first 2 shown]
	v_mov_b32_e32 v1, 0
	scratch_load_b128 v[140:143], off, off offset:424
	s_mov_b32 s0, exec_lo
	ds_load_b128 v[136:139], v1 offset:800
	s_waitcnt vmcnt(5) lgkmcnt(0)
	v_fma_f64 v[2:3], v[118:119], v[136:137], 0
	s_waitcnt vmcnt(4)
	s_delay_alu instid0(VALU_DEP_1) | instskip(SKIP_4) | instid1(VALU_DEP_1)
	v_fma_f64 v[2:3], v[120:121], v[138:139], v[2:3]
	ds_load_b128 v[118:121], v1 offset:816
	s_waitcnt lgkmcnt(0)
	v_fma_f64 v[2:3], v[122:123], v[118:119], v[2:3]
	s_waitcnt vmcnt(3)
	v_fma_f64 v[2:3], v[124:125], v[120:121], v[2:3]
	ds_load_b128 v[118:121], v1 offset:832
	s_waitcnt lgkmcnt(0)
	v_fma_f64 v[2:3], v[126:127], v[118:119], v[2:3]
	s_waitcnt vmcnt(2)
	s_delay_alu instid0(VALU_DEP_1) | instskip(SKIP_4) | instid1(VALU_DEP_1)
	v_fma_f64 v[2:3], v[128:129], v[120:121], v[2:3]
	ds_load_b128 v[118:121], v1 offset:848
	s_waitcnt lgkmcnt(0)
	v_fma_f64 v[2:3], v[130:131], v[118:119], v[2:3]
	s_waitcnt vmcnt(1)
	v_fma_f64 v[2:3], v[132:133], v[120:121], v[2:3]
	ds_load_b128 v[118:121], v1 offset:864
	s_waitcnt lgkmcnt(0)
	v_fma_f64 v[2:3], v[134:135], v[118:119], v[2:3]
	ds_load_b64 v[118:119], v1 offset:880
	s_waitcnt vmcnt(0)
	v_fma_f64 v[2:3], v[140:141], v[120:121], v[2:3]
	s_waitcnt lgkmcnt(0)
	s_delay_alu instid0(VALU_DEP_1) | instskip(NEXT) | instid1(VALU_DEP_1)
	v_fma_f64 v[2:3], v[142:143], v[118:119], v[2:3]
	v_add_f64 v[2:3], v[116:117], -v[2:3]
	scratch_store_b64 off, v[2:3], off offset:344
	v_cmpx_lt_u32_e32 42, v0
	s_cbranch_execz .LBB118_255
; %bb.254:
	scratch_load_b64 v[3:4], off, off offset:336
	v_mov_b32_e32 v2, v1
	scratch_store_b64 off, v[1:2], off offset:336
	s_waitcnt vmcnt(0)
	ds_store_b64 v5, v[3:4]
.LBB118_255:
	s_or_b32 exec_lo, exec_lo, s0
	s_waitcnt lgkmcnt(0)
	s_waitcnt_vscnt null, 0x0
	s_barrier
	buffer_gl0_inv
	s_clause 0x4
	scratch_load_b128 v[116:119], off, off offset:336
	scratch_load_b128 v[120:123], off, off offset:352
	;; [unrolled: 1-line block ×5, first 2 shown]
	ds_load_2addr_b64 v[136:139], v1 offset0:99 offset1:100
	scratch_load_b128 v[140:143], off, off offset:416
	s_mov_b32 s0, exec_lo
	s_waitcnt vmcnt(5) lgkmcnt(0)
	v_fma_f64 v[2:3], v[118:119], v[136:137], 0
	s_waitcnt vmcnt(4)
	s_delay_alu instid0(VALU_DEP_1)
	v_fma_f64 v[2:3], v[120:121], v[138:139], v[2:3]
	ds_load_2addr_b64 v[118:121], v1 offset0:101 offset1:102
	s_waitcnt lgkmcnt(0)
	v_fma_f64 v[2:3], v[122:123], v[118:119], v[2:3]
	scratch_load_b64 v[122:123], off, off offset:432
	s_waitcnt vmcnt(4)
	v_fma_f64 v[2:3], v[124:125], v[120:121], v[2:3]
	ds_load_2addr_b64 v[118:121], v1 offset0:103 offset1:104
	s_waitcnt lgkmcnt(0)
	v_fma_f64 v[2:3], v[126:127], v[118:119], v[2:3]
	s_waitcnt vmcnt(3)
	s_delay_alu instid0(VALU_DEP_1) | instskip(SKIP_4) | instid1(VALU_DEP_1)
	v_fma_f64 v[2:3], v[128:129], v[120:121], v[2:3]
	ds_load_2addr_b64 v[118:121], v1 offset0:105 offset1:106
	s_waitcnt lgkmcnt(0)
	v_fma_f64 v[2:3], v[130:131], v[118:119], v[2:3]
	s_waitcnt vmcnt(2)
	v_fma_f64 v[2:3], v[132:133], v[120:121], v[2:3]
	ds_load_2addr_b64 v[118:121], v1 offset0:107 offset1:108
	s_waitcnt lgkmcnt(0)
	v_fma_f64 v[2:3], v[134:135], v[118:119], v[2:3]
	s_waitcnt vmcnt(1)
	s_delay_alu instid0(VALU_DEP_1) | instskip(SKIP_4) | instid1(VALU_DEP_1)
	v_fma_f64 v[118:119], v[140:141], v[120:121], v[2:3]
	ds_load_2addr_b64 v[1:4], v1 offset0:109 offset1:110
	s_waitcnt lgkmcnt(0)
	v_fma_f64 v[1:2], v[142:143], v[1:2], v[118:119]
	s_waitcnt vmcnt(0)
	v_fma_f64 v[1:2], v[122:123], v[3:4], v[1:2]
	s_delay_alu instid0(VALU_DEP_1)
	v_add_f64 v[1:2], v[116:117], -v[1:2]
	scratch_store_b64 off, v[1:2], off offset:336
	v_cmpx_lt_u32_e32 41, v0
	s_cbranch_execz .LBB118_257
; %bb.256:
	scratch_load_b64 v[1:2], off, off offset:328
	v_mov_b32_e32 v3, 0
	s_delay_alu instid0(VALU_DEP_1)
	v_mov_b32_e32 v4, v3
	scratch_store_b64 off, v[3:4], off offset:328
	s_waitcnt vmcnt(0)
	ds_store_b64 v5, v[1:2]
.LBB118_257:
	s_or_b32 exec_lo, exec_lo, s0
	s_waitcnt lgkmcnt(0)
	s_waitcnt_vscnt null, 0x0
	s_barrier
	buffer_gl0_inv
	s_clause 0x4
	scratch_load_b128 v[116:119], off, off offset:328
	scratch_load_b128 v[120:123], off, off offset:344
	;; [unrolled: 1-line block ×5, first 2 shown]
	v_mov_b32_e32 v1, 0
	scratch_load_b128 v[140:143], off, off offset:408
	s_mov_b32 s0, exec_lo
	ds_load_b128 v[136:139], v1 offset:784
	s_waitcnt vmcnt(5) lgkmcnt(0)
	v_fma_f64 v[2:3], v[118:119], v[136:137], 0
	s_waitcnt vmcnt(4)
	s_delay_alu instid0(VALU_DEP_1)
	v_fma_f64 v[2:3], v[120:121], v[138:139], v[2:3]
	scratch_load_b128 v[136:139], off, off offset:424
	ds_load_b128 v[118:121], v1 offset:800
	s_waitcnt lgkmcnt(0)
	v_fma_f64 v[2:3], v[122:123], v[118:119], v[2:3]
	s_waitcnt vmcnt(4)
	s_delay_alu instid0(VALU_DEP_1) | instskip(SKIP_4) | instid1(VALU_DEP_1)
	v_fma_f64 v[2:3], v[124:125], v[120:121], v[2:3]
	ds_load_b128 v[118:121], v1 offset:816
	s_waitcnt lgkmcnt(0)
	v_fma_f64 v[2:3], v[126:127], v[118:119], v[2:3]
	s_waitcnt vmcnt(3)
	v_fma_f64 v[2:3], v[128:129], v[120:121], v[2:3]
	ds_load_b128 v[118:121], v1 offset:832
	s_waitcnt lgkmcnt(0)
	v_fma_f64 v[2:3], v[130:131], v[118:119], v[2:3]
	s_waitcnt vmcnt(2)
	s_delay_alu instid0(VALU_DEP_1) | instskip(SKIP_4) | instid1(VALU_DEP_1)
	v_fma_f64 v[2:3], v[132:133], v[120:121], v[2:3]
	ds_load_b128 v[118:121], v1 offset:848
	s_waitcnt lgkmcnt(0)
	v_fma_f64 v[2:3], v[134:135], v[118:119], v[2:3]
	s_waitcnt vmcnt(1)
	v_fma_f64 v[2:3], v[140:141], v[120:121], v[2:3]
	ds_load_b128 v[118:121], v1 offset:864
	s_waitcnt lgkmcnt(0)
	v_fma_f64 v[2:3], v[142:143], v[118:119], v[2:3]
	ds_load_b64 v[118:119], v1 offset:880
	s_waitcnt vmcnt(0)
	v_fma_f64 v[2:3], v[136:137], v[120:121], v[2:3]
	s_waitcnt lgkmcnt(0)
	s_delay_alu instid0(VALU_DEP_1) | instskip(NEXT) | instid1(VALU_DEP_1)
	v_fma_f64 v[2:3], v[138:139], v[118:119], v[2:3]
	v_add_f64 v[2:3], v[116:117], -v[2:3]
	scratch_store_b64 off, v[2:3], off offset:328
	v_cmpx_lt_u32_e32 40, v0
	s_cbranch_execz .LBB118_259
; %bb.258:
	scratch_load_b64 v[3:4], off, off offset:320
	v_mov_b32_e32 v2, v1
	scratch_store_b64 off, v[1:2], off offset:320
	s_waitcnt vmcnt(0)
	ds_store_b64 v5, v[3:4]
.LBB118_259:
	s_or_b32 exec_lo, exec_lo, s0
	s_waitcnt lgkmcnt(0)
	s_waitcnt_vscnt null, 0x0
	s_barrier
	buffer_gl0_inv
	s_clause 0x4
	scratch_load_b128 v[116:119], off, off offset:320
	scratch_load_b128 v[120:123], off, off offset:336
	;; [unrolled: 1-line block ×5, first 2 shown]
	ds_load_2addr_b64 v[136:139], v1 offset0:97 offset1:98
	scratch_load_b128 v[140:143], off, off offset:400
	s_mov_b32 s0, exec_lo
	s_waitcnt vmcnt(5) lgkmcnt(0)
	v_fma_f64 v[2:3], v[118:119], v[136:137], 0
	s_waitcnt vmcnt(4)
	s_delay_alu instid0(VALU_DEP_1)
	v_fma_f64 v[2:3], v[120:121], v[138:139], v[2:3]
	scratch_load_b128 v[136:139], off, off offset:416
	ds_load_2addr_b64 v[118:121], v1 offset0:99 offset1:100
	s_waitcnt lgkmcnt(0)
	v_fma_f64 v[2:3], v[122:123], v[118:119], v[2:3]
	scratch_load_b64 v[122:123], off, off offset:432
	s_waitcnt vmcnt(5)
	v_fma_f64 v[2:3], v[124:125], v[120:121], v[2:3]
	ds_load_2addr_b64 v[118:121], v1 offset0:101 offset1:102
	s_waitcnt lgkmcnt(0)
	v_fma_f64 v[2:3], v[126:127], v[118:119], v[2:3]
	s_waitcnt vmcnt(4)
	s_delay_alu instid0(VALU_DEP_1) | instskip(SKIP_4) | instid1(VALU_DEP_1)
	v_fma_f64 v[2:3], v[128:129], v[120:121], v[2:3]
	ds_load_2addr_b64 v[118:121], v1 offset0:103 offset1:104
	s_waitcnt lgkmcnt(0)
	v_fma_f64 v[2:3], v[130:131], v[118:119], v[2:3]
	s_waitcnt vmcnt(3)
	v_fma_f64 v[2:3], v[132:133], v[120:121], v[2:3]
	ds_load_2addr_b64 v[118:121], v1 offset0:105 offset1:106
	s_waitcnt lgkmcnt(0)
	v_fma_f64 v[2:3], v[134:135], v[118:119], v[2:3]
	s_waitcnt vmcnt(2)
	s_delay_alu instid0(VALU_DEP_1) | instskip(SKIP_4) | instid1(VALU_DEP_1)
	v_fma_f64 v[2:3], v[140:141], v[120:121], v[2:3]
	ds_load_2addr_b64 v[118:121], v1 offset0:107 offset1:108
	s_waitcnt lgkmcnt(0)
	v_fma_f64 v[2:3], v[142:143], v[118:119], v[2:3]
	s_waitcnt vmcnt(1)
	v_fma_f64 v[118:119], v[136:137], v[120:121], v[2:3]
	ds_load_2addr_b64 v[1:4], v1 offset0:109 offset1:110
	s_waitcnt lgkmcnt(0)
	v_fma_f64 v[1:2], v[138:139], v[1:2], v[118:119]
	s_waitcnt vmcnt(0)
	s_delay_alu instid0(VALU_DEP_1) | instskip(NEXT) | instid1(VALU_DEP_1)
	v_fma_f64 v[1:2], v[122:123], v[3:4], v[1:2]
	v_add_f64 v[1:2], v[116:117], -v[1:2]
	scratch_store_b64 off, v[1:2], off offset:320
	v_cmpx_lt_u32_e32 39, v0
	s_cbranch_execz .LBB118_261
; %bb.260:
	scratch_load_b64 v[1:2], off, off offset:312
	v_mov_b32_e32 v3, 0
	s_delay_alu instid0(VALU_DEP_1)
	v_mov_b32_e32 v4, v3
	scratch_store_b64 off, v[3:4], off offset:312
	s_waitcnt vmcnt(0)
	ds_store_b64 v5, v[1:2]
.LBB118_261:
	s_or_b32 exec_lo, exec_lo, s0
	s_waitcnt lgkmcnt(0)
	s_waitcnt_vscnt null, 0x0
	s_barrier
	buffer_gl0_inv
	s_clause 0x4
	scratch_load_b128 v[116:119], off, off offset:312
	scratch_load_b128 v[120:123], off, off offset:328
	;; [unrolled: 1-line block ×5, first 2 shown]
	v_mov_b32_e32 v1, 0
	scratch_load_b128 v[140:143], off, off offset:392
	s_mov_b32 s0, exec_lo
	ds_load_b128 v[136:139], v1 offset:768
	s_waitcnt vmcnt(5) lgkmcnt(0)
	v_fma_f64 v[2:3], v[118:119], v[136:137], 0
	s_waitcnt vmcnt(4)
	s_delay_alu instid0(VALU_DEP_1)
	v_fma_f64 v[2:3], v[120:121], v[138:139], v[2:3]
	scratch_load_b128 v[136:139], off, off offset:408
	ds_load_b128 v[118:121], v1 offset:784
	s_waitcnt lgkmcnt(0)
	v_fma_f64 v[2:3], v[122:123], v[118:119], v[2:3]
	s_waitcnt vmcnt(4)
	s_delay_alu instid0(VALU_DEP_1)
	v_fma_f64 v[2:3], v[124:125], v[120:121], v[2:3]
	ds_load_b128 v[118:121], v1 offset:800
	scratch_load_b128 v[122:125], off, off offset:424
	s_waitcnt lgkmcnt(0)
	v_fma_f64 v[2:3], v[126:127], v[118:119], v[2:3]
	s_waitcnt vmcnt(4)
	s_delay_alu instid0(VALU_DEP_1) | instskip(SKIP_4) | instid1(VALU_DEP_1)
	v_fma_f64 v[2:3], v[128:129], v[120:121], v[2:3]
	ds_load_b128 v[118:121], v1 offset:816
	s_waitcnt lgkmcnt(0)
	v_fma_f64 v[2:3], v[130:131], v[118:119], v[2:3]
	s_waitcnt vmcnt(3)
	v_fma_f64 v[2:3], v[132:133], v[120:121], v[2:3]
	ds_load_b128 v[118:121], v1 offset:832
	s_waitcnt lgkmcnt(0)
	v_fma_f64 v[2:3], v[134:135], v[118:119], v[2:3]
	s_waitcnt vmcnt(2)
	s_delay_alu instid0(VALU_DEP_1) | instskip(SKIP_4) | instid1(VALU_DEP_1)
	v_fma_f64 v[2:3], v[140:141], v[120:121], v[2:3]
	ds_load_b128 v[118:121], v1 offset:848
	s_waitcnt lgkmcnt(0)
	v_fma_f64 v[2:3], v[142:143], v[118:119], v[2:3]
	s_waitcnt vmcnt(1)
	v_fma_f64 v[2:3], v[136:137], v[120:121], v[2:3]
	ds_load_b128 v[118:121], v1 offset:864
	s_waitcnt lgkmcnt(0)
	v_fma_f64 v[2:3], v[138:139], v[118:119], v[2:3]
	ds_load_b64 v[118:119], v1 offset:880
	s_waitcnt vmcnt(0)
	v_fma_f64 v[2:3], v[122:123], v[120:121], v[2:3]
	s_waitcnt lgkmcnt(0)
	s_delay_alu instid0(VALU_DEP_1) | instskip(NEXT) | instid1(VALU_DEP_1)
	v_fma_f64 v[2:3], v[124:125], v[118:119], v[2:3]
	v_add_f64 v[2:3], v[116:117], -v[2:3]
	scratch_store_b64 off, v[2:3], off offset:312
	v_cmpx_lt_u32_e32 38, v0
	s_cbranch_execz .LBB118_263
; %bb.262:
	scratch_load_b64 v[3:4], off, off offset:304
	v_mov_b32_e32 v2, v1
	scratch_store_b64 off, v[1:2], off offset:304
	s_waitcnt vmcnt(0)
	ds_store_b64 v5, v[3:4]
.LBB118_263:
	s_or_b32 exec_lo, exec_lo, s0
	s_waitcnt lgkmcnt(0)
	s_waitcnt_vscnt null, 0x0
	s_barrier
	buffer_gl0_inv
	s_clause 0x4
	scratch_load_b128 v[116:119], off, off offset:304
	scratch_load_b128 v[120:123], off, off offset:320
	;; [unrolled: 1-line block ×5, first 2 shown]
	ds_load_2addr_b64 v[136:139], v1 offset0:95 offset1:96
	scratch_load_b128 v[140:143], off, off offset:384
	s_mov_b32 s0, exec_lo
	s_waitcnt vmcnt(5) lgkmcnt(0)
	v_fma_f64 v[2:3], v[118:119], v[136:137], 0
	s_waitcnt vmcnt(4)
	s_delay_alu instid0(VALU_DEP_1)
	v_fma_f64 v[2:3], v[120:121], v[138:139], v[2:3]
	scratch_load_b128 v[136:139], off, off offset:400
	ds_load_2addr_b64 v[118:121], v1 offset0:97 offset1:98
	s_waitcnt lgkmcnt(0)
	v_fma_f64 v[2:3], v[122:123], v[118:119], v[2:3]
	s_waitcnt vmcnt(4)
	s_delay_alu instid0(VALU_DEP_1)
	v_fma_f64 v[2:3], v[124:125], v[120:121], v[2:3]
	ds_load_2addr_b64 v[118:121], v1 offset0:99 offset1:100
	scratch_load_b128 v[122:125], off, off offset:416
	s_waitcnt lgkmcnt(0)
	v_fma_f64 v[2:3], v[126:127], v[118:119], v[2:3]
	scratch_load_b64 v[126:127], off, off offset:432
	s_waitcnt vmcnt(5)
	v_fma_f64 v[2:3], v[128:129], v[120:121], v[2:3]
	ds_load_2addr_b64 v[118:121], v1 offset0:101 offset1:102
	s_waitcnt lgkmcnt(0)
	v_fma_f64 v[2:3], v[130:131], v[118:119], v[2:3]
	s_waitcnt vmcnt(4)
	s_delay_alu instid0(VALU_DEP_1) | instskip(SKIP_4) | instid1(VALU_DEP_1)
	v_fma_f64 v[2:3], v[132:133], v[120:121], v[2:3]
	ds_load_2addr_b64 v[118:121], v1 offset0:103 offset1:104
	s_waitcnt lgkmcnt(0)
	v_fma_f64 v[2:3], v[134:135], v[118:119], v[2:3]
	s_waitcnt vmcnt(3)
	v_fma_f64 v[2:3], v[140:141], v[120:121], v[2:3]
	ds_load_2addr_b64 v[118:121], v1 offset0:105 offset1:106
	s_waitcnt lgkmcnt(0)
	v_fma_f64 v[2:3], v[142:143], v[118:119], v[2:3]
	s_waitcnt vmcnt(2)
	s_delay_alu instid0(VALU_DEP_1) | instskip(SKIP_4) | instid1(VALU_DEP_1)
	v_fma_f64 v[2:3], v[136:137], v[120:121], v[2:3]
	ds_load_2addr_b64 v[118:121], v1 offset0:107 offset1:108
	s_waitcnt lgkmcnt(0)
	v_fma_f64 v[2:3], v[138:139], v[118:119], v[2:3]
	s_waitcnt vmcnt(1)
	v_fma_f64 v[118:119], v[122:123], v[120:121], v[2:3]
	ds_load_2addr_b64 v[1:4], v1 offset0:109 offset1:110
	s_waitcnt lgkmcnt(0)
	v_fma_f64 v[1:2], v[124:125], v[1:2], v[118:119]
	s_waitcnt vmcnt(0)
	s_delay_alu instid0(VALU_DEP_1) | instskip(NEXT) | instid1(VALU_DEP_1)
	v_fma_f64 v[1:2], v[126:127], v[3:4], v[1:2]
	v_add_f64 v[1:2], v[116:117], -v[1:2]
	scratch_store_b64 off, v[1:2], off offset:304
	v_cmpx_lt_u32_e32 37, v0
	s_cbranch_execz .LBB118_265
; %bb.264:
	scratch_load_b64 v[1:2], off, off offset:296
	v_mov_b32_e32 v3, 0
	s_delay_alu instid0(VALU_DEP_1)
	v_mov_b32_e32 v4, v3
	scratch_store_b64 off, v[3:4], off offset:296
	s_waitcnt vmcnt(0)
	ds_store_b64 v5, v[1:2]
.LBB118_265:
	s_or_b32 exec_lo, exec_lo, s0
	s_waitcnt lgkmcnt(0)
	s_waitcnt_vscnt null, 0x0
	s_barrier
	buffer_gl0_inv
	s_clause 0x4
	scratch_load_b128 v[116:119], off, off offset:296
	scratch_load_b128 v[120:123], off, off offset:312
	;; [unrolled: 1-line block ×5, first 2 shown]
	v_mov_b32_e32 v1, 0
	scratch_load_b128 v[140:143], off, off offset:376
	s_mov_b32 s0, exec_lo
	ds_load_b128 v[136:139], v1 offset:752
	s_waitcnt vmcnt(5) lgkmcnt(0)
	v_fma_f64 v[2:3], v[118:119], v[136:137], 0
	s_waitcnt vmcnt(4)
	s_delay_alu instid0(VALU_DEP_1)
	v_fma_f64 v[2:3], v[120:121], v[138:139], v[2:3]
	scratch_load_b128 v[136:139], off, off offset:392
	ds_load_b128 v[118:121], v1 offset:768
	s_waitcnt lgkmcnt(0)
	v_fma_f64 v[2:3], v[122:123], v[118:119], v[2:3]
	s_waitcnt vmcnt(4)
	s_delay_alu instid0(VALU_DEP_1)
	v_fma_f64 v[2:3], v[124:125], v[120:121], v[2:3]
	ds_load_b128 v[118:121], v1 offset:784
	scratch_load_b128 v[122:125], off, off offset:408
	s_waitcnt lgkmcnt(0)
	v_fma_f64 v[2:3], v[126:127], v[118:119], v[2:3]
	s_waitcnt vmcnt(4)
	s_delay_alu instid0(VALU_DEP_1)
	v_fma_f64 v[2:3], v[128:129], v[120:121], v[2:3]
	scratch_load_b128 v[126:129], off, off offset:424
	ds_load_b128 v[118:121], v1 offset:800
	s_waitcnt lgkmcnt(0)
	v_fma_f64 v[2:3], v[130:131], v[118:119], v[2:3]
	s_waitcnt vmcnt(4)
	s_delay_alu instid0(VALU_DEP_1) | instskip(SKIP_4) | instid1(VALU_DEP_1)
	v_fma_f64 v[2:3], v[132:133], v[120:121], v[2:3]
	ds_load_b128 v[118:121], v1 offset:816
	s_waitcnt lgkmcnt(0)
	v_fma_f64 v[2:3], v[134:135], v[118:119], v[2:3]
	s_waitcnt vmcnt(3)
	v_fma_f64 v[2:3], v[140:141], v[120:121], v[2:3]
	ds_load_b128 v[118:121], v1 offset:832
	s_waitcnt lgkmcnt(0)
	v_fma_f64 v[2:3], v[142:143], v[118:119], v[2:3]
	s_waitcnt vmcnt(2)
	s_delay_alu instid0(VALU_DEP_1) | instskip(SKIP_4) | instid1(VALU_DEP_1)
	v_fma_f64 v[2:3], v[136:137], v[120:121], v[2:3]
	ds_load_b128 v[118:121], v1 offset:848
	s_waitcnt lgkmcnt(0)
	v_fma_f64 v[2:3], v[138:139], v[118:119], v[2:3]
	s_waitcnt vmcnt(1)
	v_fma_f64 v[2:3], v[122:123], v[120:121], v[2:3]
	ds_load_b128 v[118:121], v1 offset:864
	s_waitcnt lgkmcnt(0)
	v_fma_f64 v[2:3], v[124:125], v[118:119], v[2:3]
	ds_load_b64 v[118:119], v1 offset:880
	s_waitcnt vmcnt(0)
	v_fma_f64 v[2:3], v[126:127], v[120:121], v[2:3]
	s_waitcnt lgkmcnt(0)
	s_delay_alu instid0(VALU_DEP_1) | instskip(NEXT) | instid1(VALU_DEP_1)
	v_fma_f64 v[2:3], v[128:129], v[118:119], v[2:3]
	v_add_f64 v[2:3], v[116:117], -v[2:3]
	scratch_store_b64 off, v[2:3], off offset:296
	v_cmpx_lt_u32_e32 36, v0
	s_cbranch_execz .LBB118_267
; %bb.266:
	scratch_load_b64 v[3:4], off, off offset:288
	v_mov_b32_e32 v2, v1
	scratch_store_b64 off, v[1:2], off offset:288
	s_waitcnt vmcnt(0)
	ds_store_b64 v5, v[3:4]
.LBB118_267:
	s_or_b32 exec_lo, exec_lo, s0
	s_waitcnt lgkmcnt(0)
	s_waitcnt_vscnt null, 0x0
	s_barrier
	buffer_gl0_inv
	s_clause 0x4
	scratch_load_b128 v[116:119], off, off offset:288
	scratch_load_b128 v[120:123], off, off offset:304
	;; [unrolled: 1-line block ×5, first 2 shown]
	ds_load_2addr_b64 v[136:139], v1 offset0:93 offset1:94
	scratch_load_b128 v[140:143], off, off offset:368
	s_mov_b32 s0, exec_lo
	s_waitcnt vmcnt(5) lgkmcnt(0)
	v_fma_f64 v[2:3], v[118:119], v[136:137], 0
	s_waitcnt vmcnt(4)
	s_delay_alu instid0(VALU_DEP_1)
	v_fma_f64 v[2:3], v[120:121], v[138:139], v[2:3]
	scratch_load_b128 v[136:139], off, off offset:384
	ds_load_2addr_b64 v[118:121], v1 offset0:95 offset1:96
	s_waitcnt lgkmcnt(0)
	v_fma_f64 v[2:3], v[122:123], v[118:119], v[2:3]
	s_waitcnt vmcnt(4)
	s_delay_alu instid0(VALU_DEP_1)
	v_fma_f64 v[2:3], v[124:125], v[120:121], v[2:3]
	ds_load_2addr_b64 v[118:121], v1 offset0:97 offset1:98
	scratch_load_b128 v[122:125], off, off offset:400
	s_waitcnt lgkmcnt(0)
	v_fma_f64 v[2:3], v[126:127], v[118:119], v[2:3]
	s_waitcnt vmcnt(4)
	s_delay_alu instid0(VALU_DEP_1)
	v_fma_f64 v[2:3], v[128:129], v[120:121], v[2:3]
	scratch_load_b128 v[126:129], off, off offset:416
	ds_load_2addr_b64 v[118:121], v1 offset0:99 offset1:100
	s_waitcnt lgkmcnt(0)
	v_fma_f64 v[2:3], v[130:131], v[118:119], v[2:3]
	scratch_load_b64 v[130:131], off, off offset:432
	s_waitcnt vmcnt(5)
	v_fma_f64 v[2:3], v[132:133], v[120:121], v[2:3]
	ds_load_2addr_b64 v[118:121], v1 offset0:101 offset1:102
	s_waitcnt lgkmcnt(0)
	v_fma_f64 v[2:3], v[134:135], v[118:119], v[2:3]
	s_waitcnt vmcnt(4)
	s_delay_alu instid0(VALU_DEP_1) | instskip(SKIP_4) | instid1(VALU_DEP_1)
	v_fma_f64 v[2:3], v[140:141], v[120:121], v[2:3]
	ds_load_2addr_b64 v[118:121], v1 offset0:103 offset1:104
	s_waitcnt lgkmcnt(0)
	v_fma_f64 v[2:3], v[142:143], v[118:119], v[2:3]
	s_waitcnt vmcnt(3)
	v_fma_f64 v[2:3], v[136:137], v[120:121], v[2:3]
	ds_load_2addr_b64 v[118:121], v1 offset0:105 offset1:106
	s_waitcnt lgkmcnt(0)
	v_fma_f64 v[2:3], v[138:139], v[118:119], v[2:3]
	s_waitcnt vmcnt(2)
	s_delay_alu instid0(VALU_DEP_1) | instskip(SKIP_4) | instid1(VALU_DEP_1)
	v_fma_f64 v[2:3], v[122:123], v[120:121], v[2:3]
	ds_load_2addr_b64 v[118:121], v1 offset0:107 offset1:108
	s_waitcnt lgkmcnt(0)
	v_fma_f64 v[2:3], v[124:125], v[118:119], v[2:3]
	s_waitcnt vmcnt(1)
	v_fma_f64 v[118:119], v[126:127], v[120:121], v[2:3]
	ds_load_2addr_b64 v[1:4], v1 offset0:109 offset1:110
	s_waitcnt lgkmcnt(0)
	v_fma_f64 v[1:2], v[128:129], v[1:2], v[118:119]
	s_waitcnt vmcnt(0)
	s_delay_alu instid0(VALU_DEP_1) | instskip(NEXT) | instid1(VALU_DEP_1)
	v_fma_f64 v[1:2], v[130:131], v[3:4], v[1:2]
	v_add_f64 v[1:2], v[116:117], -v[1:2]
	scratch_store_b64 off, v[1:2], off offset:288
	v_cmpx_lt_u32_e32 35, v0
	s_cbranch_execz .LBB118_269
; %bb.268:
	scratch_load_b64 v[1:2], off, off offset:280
	v_mov_b32_e32 v3, 0
	s_delay_alu instid0(VALU_DEP_1)
	v_mov_b32_e32 v4, v3
	scratch_store_b64 off, v[3:4], off offset:280
	s_waitcnt vmcnt(0)
	ds_store_b64 v5, v[1:2]
.LBB118_269:
	s_or_b32 exec_lo, exec_lo, s0
	s_waitcnt lgkmcnt(0)
	s_waitcnt_vscnt null, 0x0
	s_barrier
	buffer_gl0_inv
	s_clause 0x4
	scratch_load_b128 v[116:119], off, off offset:280
	scratch_load_b128 v[120:123], off, off offset:296
	;; [unrolled: 1-line block ×5, first 2 shown]
	v_mov_b32_e32 v1, 0
	scratch_load_b128 v[140:143], off, off offset:360
	s_mov_b32 s0, exec_lo
	ds_load_b128 v[136:139], v1 offset:736
	s_waitcnt vmcnt(5) lgkmcnt(0)
	v_fma_f64 v[2:3], v[118:119], v[136:137], 0
	s_waitcnt vmcnt(4)
	s_delay_alu instid0(VALU_DEP_1)
	v_fma_f64 v[2:3], v[120:121], v[138:139], v[2:3]
	scratch_load_b128 v[136:139], off, off offset:376
	ds_load_b128 v[118:121], v1 offset:752
	s_waitcnt lgkmcnt(0)
	v_fma_f64 v[2:3], v[122:123], v[118:119], v[2:3]
	s_waitcnt vmcnt(4)
	s_delay_alu instid0(VALU_DEP_1)
	v_fma_f64 v[2:3], v[124:125], v[120:121], v[2:3]
	ds_load_b128 v[118:121], v1 offset:768
	scratch_load_b128 v[122:125], off, off offset:392
	s_waitcnt lgkmcnt(0)
	v_fma_f64 v[2:3], v[126:127], v[118:119], v[2:3]
	s_waitcnt vmcnt(4)
	s_delay_alu instid0(VALU_DEP_1)
	v_fma_f64 v[2:3], v[128:129], v[120:121], v[2:3]
	scratch_load_b128 v[126:129], off, off offset:408
	ds_load_b128 v[118:121], v1 offset:784
	s_waitcnt lgkmcnt(0)
	v_fma_f64 v[2:3], v[130:131], v[118:119], v[2:3]
	s_waitcnt vmcnt(4)
	s_delay_alu instid0(VALU_DEP_1)
	v_fma_f64 v[2:3], v[132:133], v[120:121], v[2:3]
	ds_load_b128 v[118:121], v1 offset:800
	scratch_load_b128 v[130:133], off, off offset:424
	s_waitcnt lgkmcnt(0)
	v_fma_f64 v[2:3], v[134:135], v[118:119], v[2:3]
	s_waitcnt vmcnt(4)
	s_delay_alu instid0(VALU_DEP_1) | instskip(SKIP_4) | instid1(VALU_DEP_1)
	v_fma_f64 v[2:3], v[140:141], v[120:121], v[2:3]
	ds_load_b128 v[118:121], v1 offset:816
	s_waitcnt lgkmcnt(0)
	v_fma_f64 v[2:3], v[142:143], v[118:119], v[2:3]
	s_waitcnt vmcnt(3)
	v_fma_f64 v[2:3], v[136:137], v[120:121], v[2:3]
	ds_load_b128 v[118:121], v1 offset:832
	s_waitcnt lgkmcnt(0)
	v_fma_f64 v[2:3], v[138:139], v[118:119], v[2:3]
	s_waitcnt vmcnt(2)
	s_delay_alu instid0(VALU_DEP_1) | instskip(SKIP_4) | instid1(VALU_DEP_1)
	v_fma_f64 v[2:3], v[122:123], v[120:121], v[2:3]
	ds_load_b128 v[118:121], v1 offset:848
	s_waitcnt lgkmcnt(0)
	v_fma_f64 v[2:3], v[124:125], v[118:119], v[2:3]
	s_waitcnt vmcnt(1)
	v_fma_f64 v[2:3], v[126:127], v[120:121], v[2:3]
	ds_load_b128 v[118:121], v1 offset:864
	s_waitcnt lgkmcnt(0)
	v_fma_f64 v[2:3], v[128:129], v[118:119], v[2:3]
	ds_load_b64 v[118:119], v1 offset:880
	s_waitcnt vmcnt(0)
	v_fma_f64 v[2:3], v[130:131], v[120:121], v[2:3]
	s_waitcnt lgkmcnt(0)
	s_delay_alu instid0(VALU_DEP_1) | instskip(NEXT) | instid1(VALU_DEP_1)
	v_fma_f64 v[2:3], v[132:133], v[118:119], v[2:3]
	v_add_f64 v[2:3], v[116:117], -v[2:3]
	scratch_store_b64 off, v[2:3], off offset:280
	v_cmpx_lt_u32_e32 34, v0
	s_cbranch_execz .LBB118_271
; %bb.270:
	scratch_load_b64 v[3:4], off, off offset:272
	v_mov_b32_e32 v2, v1
	scratch_store_b64 off, v[1:2], off offset:272
	s_waitcnt vmcnt(0)
	ds_store_b64 v5, v[3:4]
.LBB118_271:
	s_or_b32 exec_lo, exec_lo, s0
	s_waitcnt lgkmcnt(0)
	s_waitcnt_vscnt null, 0x0
	s_barrier
	buffer_gl0_inv
	s_clause 0x4
	scratch_load_b128 v[116:119], off, off offset:272
	scratch_load_b128 v[120:123], off, off offset:288
	;; [unrolled: 1-line block ×5, first 2 shown]
	ds_load_2addr_b64 v[136:139], v1 offset0:91 offset1:92
	scratch_load_b128 v[140:143], off, off offset:352
	s_mov_b32 s0, exec_lo
	s_waitcnt vmcnt(5) lgkmcnt(0)
	v_fma_f64 v[2:3], v[118:119], v[136:137], 0
	s_waitcnt vmcnt(4)
	s_delay_alu instid0(VALU_DEP_1)
	v_fma_f64 v[2:3], v[120:121], v[138:139], v[2:3]
	scratch_load_b128 v[136:139], off, off offset:368
	ds_load_2addr_b64 v[118:121], v1 offset0:93 offset1:94
	s_waitcnt lgkmcnt(0)
	v_fma_f64 v[2:3], v[122:123], v[118:119], v[2:3]
	s_waitcnt vmcnt(4)
	s_delay_alu instid0(VALU_DEP_1)
	v_fma_f64 v[2:3], v[124:125], v[120:121], v[2:3]
	ds_load_2addr_b64 v[118:121], v1 offset0:95 offset1:96
	scratch_load_b128 v[122:125], off, off offset:384
	s_waitcnt lgkmcnt(0)
	v_fma_f64 v[2:3], v[126:127], v[118:119], v[2:3]
	s_waitcnt vmcnt(4)
	s_delay_alu instid0(VALU_DEP_1)
	v_fma_f64 v[2:3], v[128:129], v[120:121], v[2:3]
	scratch_load_b128 v[126:129], off, off offset:400
	ds_load_2addr_b64 v[118:121], v1 offset0:97 offset1:98
	s_waitcnt lgkmcnt(0)
	v_fma_f64 v[2:3], v[130:131], v[118:119], v[2:3]
	s_waitcnt vmcnt(4)
	s_delay_alu instid0(VALU_DEP_1)
	v_fma_f64 v[2:3], v[132:133], v[120:121], v[2:3]
	ds_load_2addr_b64 v[118:121], v1 offset0:99 offset1:100
	scratch_load_b128 v[130:133], off, off offset:416
	s_waitcnt lgkmcnt(0)
	v_fma_f64 v[2:3], v[134:135], v[118:119], v[2:3]
	scratch_load_b64 v[134:135], off, off offset:432
	s_waitcnt vmcnt(5)
	v_fma_f64 v[2:3], v[140:141], v[120:121], v[2:3]
	ds_load_2addr_b64 v[118:121], v1 offset0:101 offset1:102
	s_waitcnt lgkmcnt(0)
	v_fma_f64 v[2:3], v[142:143], v[118:119], v[2:3]
	s_waitcnt vmcnt(4)
	s_delay_alu instid0(VALU_DEP_1) | instskip(SKIP_4) | instid1(VALU_DEP_1)
	v_fma_f64 v[2:3], v[136:137], v[120:121], v[2:3]
	ds_load_2addr_b64 v[118:121], v1 offset0:103 offset1:104
	s_waitcnt lgkmcnt(0)
	v_fma_f64 v[2:3], v[138:139], v[118:119], v[2:3]
	s_waitcnt vmcnt(3)
	v_fma_f64 v[2:3], v[122:123], v[120:121], v[2:3]
	ds_load_2addr_b64 v[118:121], v1 offset0:105 offset1:106
	s_waitcnt lgkmcnt(0)
	v_fma_f64 v[2:3], v[124:125], v[118:119], v[2:3]
	s_waitcnt vmcnt(2)
	s_delay_alu instid0(VALU_DEP_1) | instskip(SKIP_4) | instid1(VALU_DEP_1)
	v_fma_f64 v[2:3], v[126:127], v[120:121], v[2:3]
	ds_load_2addr_b64 v[118:121], v1 offset0:107 offset1:108
	s_waitcnt lgkmcnt(0)
	v_fma_f64 v[2:3], v[128:129], v[118:119], v[2:3]
	s_waitcnt vmcnt(1)
	v_fma_f64 v[118:119], v[130:131], v[120:121], v[2:3]
	ds_load_2addr_b64 v[1:4], v1 offset0:109 offset1:110
	s_waitcnt lgkmcnt(0)
	v_fma_f64 v[1:2], v[132:133], v[1:2], v[118:119]
	s_waitcnt vmcnt(0)
	s_delay_alu instid0(VALU_DEP_1) | instskip(NEXT) | instid1(VALU_DEP_1)
	v_fma_f64 v[1:2], v[134:135], v[3:4], v[1:2]
	v_add_f64 v[1:2], v[116:117], -v[1:2]
	scratch_store_b64 off, v[1:2], off offset:272
	v_cmpx_lt_u32_e32 33, v0
	s_cbranch_execz .LBB118_273
; %bb.272:
	scratch_load_b64 v[1:2], off, off offset:264
	v_mov_b32_e32 v3, 0
	s_delay_alu instid0(VALU_DEP_1)
	v_mov_b32_e32 v4, v3
	scratch_store_b64 off, v[3:4], off offset:264
	s_waitcnt vmcnt(0)
	ds_store_b64 v5, v[1:2]
.LBB118_273:
	s_or_b32 exec_lo, exec_lo, s0
	s_waitcnt lgkmcnt(0)
	s_waitcnt_vscnt null, 0x0
	s_barrier
	buffer_gl0_inv
	s_clause 0x4
	scratch_load_b128 v[116:119], off, off offset:264
	scratch_load_b128 v[120:123], off, off offset:280
	;; [unrolled: 1-line block ×5, first 2 shown]
	v_mov_b32_e32 v1, 0
	scratch_load_b128 v[140:143], off, off offset:344
	s_mov_b32 s0, exec_lo
	ds_load_b128 v[136:139], v1 offset:720
	s_waitcnt vmcnt(5) lgkmcnt(0)
	v_fma_f64 v[2:3], v[118:119], v[136:137], 0
	s_waitcnt vmcnt(4)
	s_delay_alu instid0(VALU_DEP_1)
	v_fma_f64 v[2:3], v[120:121], v[138:139], v[2:3]
	scratch_load_b128 v[136:139], off, off offset:360
	ds_load_b128 v[118:121], v1 offset:736
	s_waitcnt lgkmcnt(0)
	v_fma_f64 v[2:3], v[122:123], v[118:119], v[2:3]
	s_waitcnt vmcnt(4)
	s_delay_alu instid0(VALU_DEP_1)
	v_fma_f64 v[2:3], v[124:125], v[120:121], v[2:3]
	ds_load_b128 v[118:121], v1 offset:752
	scratch_load_b128 v[122:125], off, off offset:376
	s_waitcnt lgkmcnt(0)
	v_fma_f64 v[2:3], v[126:127], v[118:119], v[2:3]
	s_waitcnt vmcnt(4)
	s_delay_alu instid0(VALU_DEP_1)
	v_fma_f64 v[2:3], v[128:129], v[120:121], v[2:3]
	scratch_load_b128 v[126:129], off, off offset:392
	ds_load_b128 v[118:121], v1 offset:768
	s_waitcnt lgkmcnt(0)
	v_fma_f64 v[2:3], v[130:131], v[118:119], v[2:3]
	s_waitcnt vmcnt(4)
	s_delay_alu instid0(VALU_DEP_1)
	v_fma_f64 v[2:3], v[132:133], v[120:121], v[2:3]
	ds_load_b128 v[118:121], v1 offset:784
	scratch_load_b128 v[130:133], off, off offset:408
	s_waitcnt lgkmcnt(0)
	v_fma_f64 v[2:3], v[134:135], v[118:119], v[2:3]
	s_waitcnt vmcnt(4)
	s_delay_alu instid0(VALU_DEP_1)
	v_fma_f64 v[2:3], v[140:141], v[120:121], v[2:3]
	ds_load_b128 v[118:121], v1 offset:800
	s_waitcnt lgkmcnt(0)
	v_fma_f64 v[2:3], v[142:143], v[118:119], v[2:3]
	scratch_load_b128 v[140:143], off, off offset:424
	s_waitcnt vmcnt(4)
	v_fma_f64 v[2:3], v[136:137], v[120:121], v[2:3]
	ds_load_b128 v[118:121], v1 offset:816
	s_waitcnt lgkmcnt(0)
	v_fma_f64 v[2:3], v[138:139], v[118:119], v[2:3]
	s_waitcnt vmcnt(3)
	s_delay_alu instid0(VALU_DEP_1) | instskip(SKIP_4) | instid1(VALU_DEP_1)
	v_fma_f64 v[2:3], v[122:123], v[120:121], v[2:3]
	ds_load_b128 v[118:121], v1 offset:832
	s_waitcnt lgkmcnt(0)
	v_fma_f64 v[2:3], v[124:125], v[118:119], v[2:3]
	s_waitcnt vmcnt(2)
	v_fma_f64 v[2:3], v[126:127], v[120:121], v[2:3]
	ds_load_b128 v[118:121], v1 offset:848
	s_waitcnt lgkmcnt(0)
	v_fma_f64 v[2:3], v[128:129], v[118:119], v[2:3]
	s_waitcnt vmcnt(1)
	s_delay_alu instid0(VALU_DEP_1)
	v_fma_f64 v[2:3], v[130:131], v[120:121], v[2:3]
	ds_load_b128 v[118:121], v1 offset:864
	s_waitcnt lgkmcnt(0)
	v_fma_f64 v[2:3], v[132:133], v[118:119], v[2:3]
	ds_load_b64 v[118:119], v1 offset:880
	s_waitcnt vmcnt(0)
	v_fma_f64 v[2:3], v[140:141], v[120:121], v[2:3]
	s_waitcnt lgkmcnt(0)
	s_delay_alu instid0(VALU_DEP_1) | instskip(NEXT) | instid1(VALU_DEP_1)
	v_fma_f64 v[2:3], v[142:143], v[118:119], v[2:3]
	v_add_f64 v[2:3], v[116:117], -v[2:3]
	scratch_store_b64 off, v[2:3], off offset:264
	v_cmpx_lt_u32_e32 32, v0
	s_cbranch_execz .LBB118_275
; %bb.274:
	scratch_load_b64 v[3:4], off, off offset:256
	v_mov_b32_e32 v2, v1
	scratch_store_b64 off, v[1:2], off offset:256
	s_waitcnt vmcnt(0)
	ds_store_b64 v5, v[3:4]
.LBB118_275:
	s_or_b32 exec_lo, exec_lo, s0
	s_waitcnt lgkmcnt(0)
	s_waitcnt_vscnt null, 0x0
	s_barrier
	buffer_gl0_inv
	s_clause 0x4
	scratch_load_b128 v[116:119], off, off offset:256
	scratch_load_b128 v[120:123], off, off offset:272
	;; [unrolled: 1-line block ×5, first 2 shown]
	ds_load_2addr_b64 v[136:139], v1 offset0:89 offset1:90
	scratch_load_b128 v[140:143], off, off offset:336
	s_mov_b32 s0, exec_lo
	s_waitcnt vmcnt(5) lgkmcnt(0)
	v_fma_f64 v[2:3], v[118:119], v[136:137], 0
	s_waitcnt vmcnt(4)
	s_delay_alu instid0(VALU_DEP_1)
	v_fma_f64 v[2:3], v[120:121], v[138:139], v[2:3]
	scratch_load_b128 v[136:139], off, off offset:352
	ds_load_2addr_b64 v[118:121], v1 offset0:91 offset1:92
	s_waitcnt lgkmcnt(0)
	v_fma_f64 v[2:3], v[122:123], v[118:119], v[2:3]
	s_waitcnt vmcnt(4)
	s_delay_alu instid0(VALU_DEP_1)
	v_fma_f64 v[2:3], v[124:125], v[120:121], v[2:3]
	ds_load_2addr_b64 v[118:121], v1 offset0:93 offset1:94
	scratch_load_b128 v[122:125], off, off offset:368
	s_waitcnt lgkmcnt(0)
	v_fma_f64 v[2:3], v[126:127], v[118:119], v[2:3]
	s_waitcnt vmcnt(4)
	s_delay_alu instid0(VALU_DEP_1)
	v_fma_f64 v[2:3], v[128:129], v[120:121], v[2:3]
	scratch_load_b128 v[126:129], off, off offset:384
	ds_load_2addr_b64 v[118:121], v1 offset0:95 offset1:96
	s_waitcnt lgkmcnt(0)
	v_fma_f64 v[2:3], v[130:131], v[118:119], v[2:3]
	s_waitcnt vmcnt(4)
	s_delay_alu instid0(VALU_DEP_1)
	v_fma_f64 v[2:3], v[132:133], v[120:121], v[2:3]
	ds_load_2addr_b64 v[118:121], v1 offset0:97 offset1:98
	scratch_load_b128 v[130:133], off, off offset:400
	s_waitcnt lgkmcnt(0)
	v_fma_f64 v[2:3], v[134:135], v[118:119], v[2:3]
	scratch_load_b64 v[134:135], off, off offset:432
	s_waitcnt vmcnt(5)
	v_fma_f64 v[2:3], v[140:141], v[120:121], v[2:3]
	ds_load_2addr_b64 v[118:121], v1 offset0:99 offset1:100
	s_waitcnt lgkmcnt(0)
	v_fma_f64 v[2:3], v[142:143], v[118:119], v[2:3]
	scratch_load_b128 v[140:143], off, off offset:416
	s_waitcnt vmcnt(5)
	v_fma_f64 v[2:3], v[136:137], v[120:121], v[2:3]
	ds_load_2addr_b64 v[118:121], v1 offset0:101 offset1:102
	s_waitcnt lgkmcnt(0)
	v_fma_f64 v[2:3], v[138:139], v[118:119], v[2:3]
	s_waitcnt vmcnt(4)
	s_delay_alu instid0(VALU_DEP_1) | instskip(SKIP_4) | instid1(VALU_DEP_1)
	v_fma_f64 v[2:3], v[122:123], v[120:121], v[2:3]
	ds_load_2addr_b64 v[118:121], v1 offset0:103 offset1:104
	s_waitcnt lgkmcnt(0)
	v_fma_f64 v[2:3], v[124:125], v[118:119], v[2:3]
	s_waitcnt vmcnt(3)
	v_fma_f64 v[2:3], v[126:127], v[120:121], v[2:3]
	ds_load_2addr_b64 v[118:121], v1 offset0:105 offset1:106
	s_waitcnt lgkmcnt(0)
	v_fma_f64 v[2:3], v[128:129], v[118:119], v[2:3]
	s_waitcnt vmcnt(2)
	s_delay_alu instid0(VALU_DEP_1) | instskip(SKIP_4) | instid1(VALU_DEP_1)
	v_fma_f64 v[2:3], v[130:131], v[120:121], v[2:3]
	ds_load_2addr_b64 v[118:121], v1 offset0:107 offset1:108
	s_waitcnt lgkmcnt(0)
	v_fma_f64 v[2:3], v[132:133], v[118:119], v[2:3]
	s_waitcnt vmcnt(0)
	v_fma_f64 v[118:119], v[140:141], v[120:121], v[2:3]
	ds_load_2addr_b64 v[1:4], v1 offset0:109 offset1:110
	s_waitcnt lgkmcnt(0)
	v_fma_f64 v[1:2], v[142:143], v[1:2], v[118:119]
	s_delay_alu instid0(VALU_DEP_1) | instskip(NEXT) | instid1(VALU_DEP_1)
	v_fma_f64 v[1:2], v[134:135], v[3:4], v[1:2]
	v_add_f64 v[1:2], v[116:117], -v[1:2]
	scratch_store_b64 off, v[1:2], off offset:256
	v_cmpx_lt_u32_e32 31, v0
	s_cbranch_execz .LBB118_277
; %bb.276:
	scratch_load_b64 v[1:2], off, off offset:248
	v_mov_b32_e32 v3, 0
	s_delay_alu instid0(VALU_DEP_1)
	v_mov_b32_e32 v4, v3
	scratch_store_b64 off, v[3:4], off offset:248
	s_waitcnt vmcnt(0)
	ds_store_b64 v5, v[1:2]
.LBB118_277:
	s_or_b32 exec_lo, exec_lo, s0
	s_waitcnt lgkmcnt(0)
	s_waitcnt_vscnt null, 0x0
	s_barrier
	buffer_gl0_inv
	s_clause 0x4
	scratch_load_b128 v[116:119], off, off offset:248
	scratch_load_b128 v[120:123], off, off offset:264
	;; [unrolled: 1-line block ×5, first 2 shown]
	v_mov_b32_e32 v1, 0
	scratch_load_b128 v[140:143], off, off offset:328
	s_mov_b32 s0, exec_lo
	ds_load_b128 v[136:139], v1 offset:704
	s_waitcnt vmcnt(5) lgkmcnt(0)
	v_fma_f64 v[2:3], v[118:119], v[136:137], 0
	s_waitcnt vmcnt(4)
	s_delay_alu instid0(VALU_DEP_1)
	v_fma_f64 v[2:3], v[120:121], v[138:139], v[2:3]
	scratch_load_b128 v[136:139], off, off offset:344
	ds_load_b128 v[118:121], v1 offset:720
	s_waitcnt lgkmcnt(0)
	v_fma_f64 v[2:3], v[122:123], v[118:119], v[2:3]
	s_waitcnt vmcnt(4)
	s_delay_alu instid0(VALU_DEP_1)
	v_fma_f64 v[2:3], v[124:125], v[120:121], v[2:3]
	ds_load_b128 v[118:121], v1 offset:736
	scratch_load_b128 v[122:125], off, off offset:360
	s_waitcnt lgkmcnt(0)
	v_fma_f64 v[2:3], v[126:127], v[118:119], v[2:3]
	s_waitcnt vmcnt(4)
	s_delay_alu instid0(VALU_DEP_1)
	v_fma_f64 v[2:3], v[128:129], v[120:121], v[2:3]
	scratch_load_b128 v[126:129], off, off offset:376
	ds_load_b128 v[118:121], v1 offset:752
	s_waitcnt lgkmcnt(0)
	v_fma_f64 v[2:3], v[130:131], v[118:119], v[2:3]
	s_waitcnt vmcnt(4)
	s_delay_alu instid0(VALU_DEP_1)
	v_fma_f64 v[2:3], v[132:133], v[120:121], v[2:3]
	ds_load_b128 v[118:121], v1 offset:768
	scratch_load_b128 v[130:133], off, off offset:392
	s_waitcnt lgkmcnt(0)
	v_fma_f64 v[2:3], v[134:135], v[118:119], v[2:3]
	s_waitcnt vmcnt(4)
	s_delay_alu instid0(VALU_DEP_1)
	v_fma_f64 v[2:3], v[140:141], v[120:121], v[2:3]
	ds_load_b128 v[118:121], v1 offset:784
	s_waitcnt lgkmcnt(0)
	v_fma_f64 v[2:3], v[142:143], v[118:119], v[2:3]
	scratch_load_b128 v[140:143], off, off offset:408
	s_waitcnt vmcnt(4)
	v_fma_f64 v[2:3], v[136:137], v[120:121], v[2:3]
	ds_load_b128 v[118:121], v1 offset:800
	scratch_load_b128 v[134:137], off, off offset:424
	s_waitcnt lgkmcnt(0)
	v_fma_f64 v[2:3], v[138:139], v[118:119], v[2:3]
	s_waitcnt vmcnt(4)
	s_delay_alu instid0(VALU_DEP_1) | instskip(SKIP_4) | instid1(VALU_DEP_1)
	v_fma_f64 v[2:3], v[122:123], v[120:121], v[2:3]
	ds_load_b128 v[118:121], v1 offset:816
	s_waitcnt lgkmcnt(0)
	v_fma_f64 v[2:3], v[124:125], v[118:119], v[2:3]
	s_waitcnt vmcnt(3)
	v_fma_f64 v[2:3], v[126:127], v[120:121], v[2:3]
	ds_load_b128 v[118:121], v1 offset:832
	s_waitcnt lgkmcnt(0)
	v_fma_f64 v[2:3], v[128:129], v[118:119], v[2:3]
	s_waitcnt vmcnt(2)
	s_delay_alu instid0(VALU_DEP_1) | instskip(SKIP_4) | instid1(VALU_DEP_1)
	v_fma_f64 v[2:3], v[130:131], v[120:121], v[2:3]
	ds_load_b128 v[118:121], v1 offset:848
	s_waitcnt lgkmcnt(0)
	v_fma_f64 v[2:3], v[132:133], v[118:119], v[2:3]
	s_waitcnt vmcnt(1)
	v_fma_f64 v[2:3], v[140:141], v[120:121], v[2:3]
	ds_load_b128 v[118:121], v1 offset:864
	s_waitcnt lgkmcnt(0)
	v_fma_f64 v[2:3], v[142:143], v[118:119], v[2:3]
	ds_load_b64 v[118:119], v1 offset:880
	s_waitcnt vmcnt(0)
	v_fma_f64 v[2:3], v[134:135], v[120:121], v[2:3]
	s_waitcnt lgkmcnt(0)
	s_delay_alu instid0(VALU_DEP_1) | instskip(NEXT) | instid1(VALU_DEP_1)
	v_fma_f64 v[2:3], v[136:137], v[118:119], v[2:3]
	v_add_f64 v[2:3], v[116:117], -v[2:3]
	scratch_store_b64 off, v[2:3], off offset:248
	v_cmpx_lt_u32_e32 30, v0
	s_cbranch_execz .LBB118_279
; %bb.278:
	scratch_load_b64 v[3:4], off, off offset:240
	v_mov_b32_e32 v2, v1
	scratch_store_b64 off, v[1:2], off offset:240
	s_waitcnt vmcnt(0)
	ds_store_b64 v5, v[3:4]
.LBB118_279:
	s_or_b32 exec_lo, exec_lo, s0
	s_waitcnt lgkmcnt(0)
	s_waitcnt_vscnt null, 0x0
	s_barrier
	buffer_gl0_inv
	s_clause 0x4
	scratch_load_b128 v[116:119], off, off offset:240
	scratch_load_b128 v[120:123], off, off offset:256
	;; [unrolled: 1-line block ×5, first 2 shown]
	ds_load_2addr_b64 v[136:139], v1 offset0:87 offset1:88
	scratch_load_b128 v[140:143], off, off offset:320
	s_mov_b32 s0, exec_lo
	s_waitcnt vmcnt(5) lgkmcnt(0)
	v_fma_f64 v[2:3], v[118:119], v[136:137], 0
	s_waitcnt vmcnt(4)
	s_delay_alu instid0(VALU_DEP_1)
	v_fma_f64 v[2:3], v[120:121], v[138:139], v[2:3]
	scratch_load_b128 v[136:139], off, off offset:336
	ds_load_2addr_b64 v[118:121], v1 offset0:89 offset1:90
	s_waitcnt lgkmcnt(0)
	v_fma_f64 v[2:3], v[122:123], v[118:119], v[2:3]
	s_waitcnt vmcnt(4)
	s_delay_alu instid0(VALU_DEP_1)
	v_fma_f64 v[2:3], v[124:125], v[120:121], v[2:3]
	ds_load_2addr_b64 v[118:121], v1 offset0:91 offset1:92
	scratch_load_b128 v[122:125], off, off offset:352
	s_waitcnt lgkmcnt(0)
	v_fma_f64 v[2:3], v[126:127], v[118:119], v[2:3]
	s_waitcnt vmcnt(4)
	s_delay_alu instid0(VALU_DEP_1)
	v_fma_f64 v[2:3], v[128:129], v[120:121], v[2:3]
	scratch_load_b128 v[126:129], off, off offset:368
	ds_load_2addr_b64 v[118:121], v1 offset0:93 offset1:94
	s_waitcnt lgkmcnt(0)
	v_fma_f64 v[2:3], v[130:131], v[118:119], v[2:3]
	s_waitcnt vmcnt(4)
	s_delay_alu instid0(VALU_DEP_1)
	v_fma_f64 v[2:3], v[132:133], v[120:121], v[2:3]
	ds_load_2addr_b64 v[118:121], v1 offset0:95 offset1:96
	scratch_load_b128 v[130:133], off, off offset:384
	s_waitcnt lgkmcnt(0)
	v_fma_f64 v[2:3], v[134:135], v[118:119], v[2:3]
	s_waitcnt vmcnt(4)
	s_delay_alu instid0(VALU_DEP_1)
	v_fma_f64 v[2:3], v[140:141], v[120:121], v[2:3]
	ds_load_2addr_b64 v[118:121], v1 offset0:97 offset1:98
	s_waitcnt lgkmcnt(0)
	v_fma_f64 v[2:3], v[142:143], v[118:119], v[2:3]
	scratch_load_b128 v[140:143], off, off offset:400
	s_waitcnt vmcnt(4)
	v_fma_f64 v[2:3], v[136:137], v[120:121], v[2:3]
	ds_load_2addr_b64 v[118:121], v1 offset0:99 offset1:100
	scratch_load_b128 v[134:137], off, off offset:416
	s_waitcnt lgkmcnt(0)
	v_fma_f64 v[2:3], v[138:139], v[118:119], v[2:3]
	s_waitcnt vmcnt(4)
	s_delay_alu instid0(VALU_DEP_1)
	v_fma_f64 v[2:3], v[122:123], v[120:121], v[2:3]
	scratch_load_b64 v[122:123], off, off offset:432
	ds_load_2addr_b64 v[118:121], v1 offset0:101 offset1:102
	s_waitcnt lgkmcnt(0)
	v_fma_f64 v[2:3], v[124:125], v[118:119], v[2:3]
	s_waitcnt vmcnt(4)
	s_delay_alu instid0(VALU_DEP_1) | instskip(SKIP_4) | instid1(VALU_DEP_1)
	v_fma_f64 v[2:3], v[126:127], v[120:121], v[2:3]
	ds_load_2addr_b64 v[118:121], v1 offset0:103 offset1:104
	s_waitcnt lgkmcnt(0)
	v_fma_f64 v[2:3], v[128:129], v[118:119], v[2:3]
	s_waitcnt vmcnt(3)
	v_fma_f64 v[2:3], v[130:131], v[120:121], v[2:3]
	ds_load_2addr_b64 v[118:121], v1 offset0:105 offset1:106
	s_waitcnt lgkmcnt(0)
	v_fma_f64 v[2:3], v[132:133], v[118:119], v[2:3]
	s_waitcnt vmcnt(2)
	s_delay_alu instid0(VALU_DEP_1) | instskip(SKIP_4) | instid1(VALU_DEP_1)
	v_fma_f64 v[2:3], v[140:141], v[120:121], v[2:3]
	ds_load_2addr_b64 v[118:121], v1 offset0:107 offset1:108
	s_waitcnt lgkmcnt(0)
	v_fma_f64 v[2:3], v[142:143], v[118:119], v[2:3]
	s_waitcnt vmcnt(1)
	v_fma_f64 v[118:119], v[134:135], v[120:121], v[2:3]
	ds_load_2addr_b64 v[1:4], v1 offset0:109 offset1:110
	s_waitcnt lgkmcnt(0)
	v_fma_f64 v[1:2], v[136:137], v[1:2], v[118:119]
	s_waitcnt vmcnt(0)
	s_delay_alu instid0(VALU_DEP_1) | instskip(NEXT) | instid1(VALU_DEP_1)
	v_fma_f64 v[1:2], v[122:123], v[3:4], v[1:2]
	v_add_f64 v[1:2], v[116:117], -v[1:2]
	scratch_store_b64 off, v[1:2], off offset:240
	v_cmpx_lt_u32_e32 29, v0
	s_cbranch_execz .LBB118_281
; %bb.280:
	scratch_load_b64 v[1:2], off, off offset:232
	v_mov_b32_e32 v3, 0
	s_delay_alu instid0(VALU_DEP_1)
	v_mov_b32_e32 v4, v3
	scratch_store_b64 off, v[3:4], off offset:232
	s_waitcnt vmcnt(0)
	ds_store_b64 v5, v[1:2]
.LBB118_281:
	s_or_b32 exec_lo, exec_lo, s0
	s_waitcnt lgkmcnt(0)
	s_waitcnt_vscnt null, 0x0
	s_barrier
	buffer_gl0_inv
	s_clause 0x4
	scratch_load_b128 v[116:119], off, off offset:232
	scratch_load_b128 v[120:123], off, off offset:248
	;; [unrolled: 1-line block ×5, first 2 shown]
	v_mov_b32_e32 v1, 0
	scratch_load_b128 v[140:143], off, off offset:312
	s_mov_b32 s0, exec_lo
	ds_load_b128 v[136:139], v1 offset:688
	s_waitcnt vmcnt(5) lgkmcnt(0)
	v_fma_f64 v[2:3], v[118:119], v[136:137], 0
	s_waitcnt vmcnt(4)
	s_delay_alu instid0(VALU_DEP_1)
	v_fma_f64 v[2:3], v[120:121], v[138:139], v[2:3]
	scratch_load_b128 v[136:139], off, off offset:328
	ds_load_b128 v[118:121], v1 offset:704
	s_waitcnt lgkmcnt(0)
	v_fma_f64 v[2:3], v[122:123], v[118:119], v[2:3]
	s_waitcnt vmcnt(4)
	s_delay_alu instid0(VALU_DEP_1)
	v_fma_f64 v[2:3], v[124:125], v[120:121], v[2:3]
	ds_load_b128 v[118:121], v1 offset:720
	scratch_load_b128 v[122:125], off, off offset:344
	s_waitcnt lgkmcnt(0)
	v_fma_f64 v[2:3], v[126:127], v[118:119], v[2:3]
	s_waitcnt vmcnt(4)
	s_delay_alu instid0(VALU_DEP_1)
	v_fma_f64 v[2:3], v[128:129], v[120:121], v[2:3]
	scratch_load_b128 v[126:129], off, off offset:360
	ds_load_b128 v[118:121], v1 offset:736
	s_waitcnt lgkmcnt(0)
	v_fma_f64 v[2:3], v[130:131], v[118:119], v[2:3]
	s_waitcnt vmcnt(4)
	s_delay_alu instid0(VALU_DEP_1)
	v_fma_f64 v[2:3], v[132:133], v[120:121], v[2:3]
	ds_load_b128 v[118:121], v1 offset:752
	scratch_load_b128 v[130:133], off, off offset:376
	s_waitcnt lgkmcnt(0)
	v_fma_f64 v[2:3], v[134:135], v[118:119], v[2:3]
	s_waitcnt vmcnt(4)
	s_delay_alu instid0(VALU_DEP_1)
	v_fma_f64 v[2:3], v[140:141], v[120:121], v[2:3]
	ds_load_b128 v[118:121], v1 offset:768
	s_waitcnt lgkmcnt(0)
	v_fma_f64 v[2:3], v[142:143], v[118:119], v[2:3]
	scratch_load_b128 v[140:143], off, off offset:392
	s_waitcnt vmcnt(4)
	v_fma_f64 v[2:3], v[136:137], v[120:121], v[2:3]
	ds_load_b128 v[118:121], v1 offset:784
	scratch_load_b128 v[134:137], off, off offset:408
	s_waitcnt lgkmcnt(0)
	v_fma_f64 v[2:3], v[138:139], v[118:119], v[2:3]
	s_waitcnt vmcnt(4)
	s_delay_alu instid0(VALU_DEP_1)
	v_fma_f64 v[2:3], v[122:123], v[120:121], v[2:3]
	ds_load_b128 v[118:121], v1 offset:800
	s_waitcnt lgkmcnt(0)
	v_fma_f64 v[2:3], v[124:125], v[118:119], v[2:3]
	scratch_load_b128 v[122:125], off, off offset:424
	s_waitcnt vmcnt(4)
	v_fma_f64 v[2:3], v[126:127], v[120:121], v[2:3]
	ds_load_b128 v[118:121], v1 offset:816
	s_waitcnt lgkmcnt(0)
	v_fma_f64 v[2:3], v[128:129], v[118:119], v[2:3]
	s_waitcnt vmcnt(3)
	s_delay_alu instid0(VALU_DEP_1) | instskip(SKIP_4) | instid1(VALU_DEP_1)
	v_fma_f64 v[2:3], v[130:131], v[120:121], v[2:3]
	ds_load_b128 v[118:121], v1 offset:832
	s_waitcnt lgkmcnt(0)
	v_fma_f64 v[2:3], v[132:133], v[118:119], v[2:3]
	s_waitcnt vmcnt(2)
	v_fma_f64 v[2:3], v[140:141], v[120:121], v[2:3]
	ds_load_b128 v[118:121], v1 offset:848
	s_waitcnt lgkmcnt(0)
	v_fma_f64 v[2:3], v[142:143], v[118:119], v[2:3]
	s_waitcnt vmcnt(1)
	s_delay_alu instid0(VALU_DEP_1)
	v_fma_f64 v[2:3], v[134:135], v[120:121], v[2:3]
	ds_load_b128 v[118:121], v1 offset:864
	s_waitcnt lgkmcnt(0)
	v_fma_f64 v[2:3], v[136:137], v[118:119], v[2:3]
	ds_load_b64 v[118:119], v1 offset:880
	s_waitcnt vmcnt(0)
	v_fma_f64 v[2:3], v[122:123], v[120:121], v[2:3]
	s_waitcnt lgkmcnt(0)
	s_delay_alu instid0(VALU_DEP_1) | instskip(NEXT) | instid1(VALU_DEP_1)
	v_fma_f64 v[2:3], v[124:125], v[118:119], v[2:3]
	v_add_f64 v[2:3], v[116:117], -v[2:3]
	scratch_store_b64 off, v[2:3], off offset:232
	v_cmpx_lt_u32_e32 28, v0
	s_cbranch_execz .LBB118_283
; %bb.282:
	scratch_load_b64 v[3:4], off, off offset:224
	v_mov_b32_e32 v2, v1
	scratch_store_b64 off, v[1:2], off offset:224
	s_waitcnt vmcnt(0)
	ds_store_b64 v5, v[3:4]
.LBB118_283:
	s_or_b32 exec_lo, exec_lo, s0
	s_waitcnt lgkmcnt(0)
	s_waitcnt_vscnt null, 0x0
	s_barrier
	buffer_gl0_inv
	s_clause 0x4
	scratch_load_b128 v[116:119], off, off offset:224
	scratch_load_b128 v[120:123], off, off offset:240
	;; [unrolled: 1-line block ×5, first 2 shown]
	ds_load_2addr_b64 v[136:139], v1 offset0:85 offset1:86
	scratch_load_b128 v[140:143], off, off offset:304
	s_mov_b32 s0, exec_lo
	s_waitcnt vmcnt(5) lgkmcnt(0)
	v_fma_f64 v[2:3], v[118:119], v[136:137], 0
	s_waitcnt vmcnt(4)
	s_delay_alu instid0(VALU_DEP_1)
	v_fma_f64 v[2:3], v[120:121], v[138:139], v[2:3]
	scratch_load_b128 v[136:139], off, off offset:320
	ds_load_2addr_b64 v[118:121], v1 offset0:87 offset1:88
	s_waitcnt lgkmcnt(0)
	v_fma_f64 v[2:3], v[122:123], v[118:119], v[2:3]
	s_waitcnt vmcnt(4)
	s_delay_alu instid0(VALU_DEP_1)
	v_fma_f64 v[2:3], v[124:125], v[120:121], v[2:3]
	ds_load_2addr_b64 v[118:121], v1 offset0:89 offset1:90
	scratch_load_b128 v[122:125], off, off offset:336
	s_waitcnt lgkmcnt(0)
	v_fma_f64 v[2:3], v[126:127], v[118:119], v[2:3]
	s_waitcnt vmcnt(4)
	s_delay_alu instid0(VALU_DEP_1)
	v_fma_f64 v[2:3], v[128:129], v[120:121], v[2:3]
	scratch_load_b128 v[126:129], off, off offset:352
	ds_load_2addr_b64 v[118:121], v1 offset0:91 offset1:92
	s_waitcnt lgkmcnt(0)
	v_fma_f64 v[2:3], v[130:131], v[118:119], v[2:3]
	s_waitcnt vmcnt(4)
	s_delay_alu instid0(VALU_DEP_1)
	v_fma_f64 v[2:3], v[132:133], v[120:121], v[2:3]
	ds_load_2addr_b64 v[118:121], v1 offset0:93 offset1:94
	scratch_load_b128 v[130:133], off, off offset:368
	s_waitcnt lgkmcnt(0)
	v_fma_f64 v[2:3], v[134:135], v[118:119], v[2:3]
	s_waitcnt vmcnt(4)
	s_delay_alu instid0(VALU_DEP_1)
	v_fma_f64 v[2:3], v[140:141], v[120:121], v[2:3]
	ds_load_2addr_b64 v[118:121], v1 offset0:95 offset1:96
	s_waitcnt lgkmcnt(0)
	v_fma_f64 v[2:3], v[142:143], v[118:119], v[2:3]
	scratch_load_b128 v[140:143], off, off offset:384
	s_waitcnt vmcnt(4)
	v_fma_f64 v[2:3], v[136:137], v[120:121], v[2:3]
	ds_load_2addr_b64 v[118:121], v1 offset0:97 offset1:98
	scratch_load_b128 v[134:137], off, off offset:400
	s_waitcnt lgkmcnt(0)
	v_fma_f64 v[2:3], v[138:139], v[118:119], v[2:3]
	s_waitcnt vmcnt(4)
	s_delay_alu instid0(VALU_DEP_1)
	v_fma_f64 v[2:3], v[122:123], v[120:121], v[2:3]
	ds_load_2addr_b64 v[118:121], v1 offset0:99 offset1:100
	s_waitcnt lgkmcnt(0)
	v_fma_f64 v[2:3], v[124:125], v[118:119], v[2:3]
	scratch_load_b128 v[122:125], off, off offset:416
	s_waitcnt vmcnt(4)
	v_fma_f64 v[2:3], v[126:127], v[120:121], v[2:3]
	ds_load_2addr_b64 v[118:121], v1 offset0:101 offset1:102
	scratch_load_b64 v[126:127], off, off offset:432
	s_waitcnt lgkmcnt(0)
	v_fma_f64 v[2:3], v[128:129], v[118:119], v[2:3]
	s_waitcnt vmcnt(4)
	s_delay_alu instid0(VALU_DEP_1) | instskip(SKIP_4) | instid1(VALU_DEP_1)
	v_fma_f64 v[2:3], v[130:131], v[120:121], v[2:3]
	ds_load_2addr_b64 v[118:121], v1 offset0:103 offset1:104
	s_waitcnt lgkmcnt(0)
	v_fma_f64 v[2:3], v[132:133], v[118:119], v[2:3]
	s_waitcnt vmcnt(3)
	v_fma_f64 v[2:3], v[140:141], v[120:121], v[2:3]
	ds_load_2addr_b64 v[118:121], v1 offset0:105 offset1:106
	s_waitcnt lgkmcnt(0)
	v_fma_f64 v[2:3], v[142:143], v[118:119], v[2:3]
	s_waitcnt vmcnt(2)
	s_delay_alu instid0(VALU_DEP_1) | instskip(SKIP_4) | instid1(VALU_DEP_1)
	v_fma_f64 v[2:3], v[134:135], v[120:121], v[2:3]
	ds_load_2addr_b64 v[118:121], v1 offset0:107 offset1:108
	s_waitcnt lgkmcnt(0)
	v_fma_f64 v[2:3], v[136:137], v[118:119], v[2:3]
	s_waitcnt vmcnt(1)
	v_fma_f64 v[118:119], v[122:123], v[120:121], v[2:3]
	ds_load_2addr_b64 v[1:4], v1 offset0:109 offset1:110
	s_waitcnt lgkmcnt(0)
	v_fma_f64 v[1:2], v[124:125], v[1:2], v[118:119]
	s_waitcnt vmcnt(0)
	s_delay_alu instid0(VALU_DEP_1) | instskip(NEXT) | instid1(VALU_DEP_1)
	v_fma_f64 v[1:2], v[126:127], v[3:4], v[1:2]
	v_add_f64 v[1:2], v[116:117], -v[1:2]
	scratch_store_b64 off, v[1:2], off offset:224
	v_cmpx_lt_u32_e32 27, v0
	s_cbranch_execz .LBB118_285
; %bb.284:
	scratch_load_b64 v[1:2], off, off offset:216
	v_mov_b32_e32 v3, 0
	s_delay_alu instid0(VALU_DEP_1)
	v_mov_b32_e32 v4, v3
	scratch_store_b64 off, v[3:4], off offset:216
	s_waitcnt vmcnt(0)
	ds_store_b64 v5, v[1:2]
.LBB118_285:
	s_or_b32 exec_lo, exec_lo, s0
	s_waitcnt lgkmcnt(0)
	s_waitcnt_vscnt null, 0x0
	s_barrier
	buffer_gl0_inv
	s_clause 0x4
	scratch_load_b128 v[116:119], off, off offset:216
	scratch_load_b128 v[120:123], off, off offset:232
	;; [unrolled: 1-line block ×5, first 2 shown]
	v_mov_b32_e32 v1, 0
	scratch_load_b128 v[140:143], off, off offset:296
	s_mov_b32 s0, exec_lo
	ds_load_b128 v[136:139], v1 offset:672
	s_waitcnt vmcnt(5) lgkmcnt(0)
	v_fma_f64 v[2:3], v[118:119], v[136:137], 0
	s_waitcnt vmcnt(4)
	s_delay_alu instid0(VALU_DEP_1)
	v_fma_f64 v[2:3], v[120:121], v[138:139], v[2:3]
	scratch_load_b128 v[136:139], off, off offset:312
	ds_load_b128 v[118:121], v1 offset:688
	s_waitcnt lgkmcnt(0)
	v_fma_f64 v[2:3], v[122:123], v[118:119], v[2:3]
	s_waitcnt vmcnt(4)
	s_delay_alu instid0(VALU_DEP_1)
	v_fma_f64 v[2:3], v[124:125], v[120:121], v[2:3]
	ds_load_b128 v[118:121], v1 offset:704
	scratch_load_b128 v[122:125], off, off offset:328
	s_waitcnt lgkmcnt(0)
	v_fma_f64 v[2:3], v[126:127], v[118:119], v[2:3]
	s_waitcnt vmcnt(4)
	s_delay_alu instid0(VALU_DEP_1)
	v_fma_f64 v[2:3], v[128:129], v[120:121], v[2:3]
	scratch_load_b128 v[126:129], off, off offset:344
	ds_load_b128 v[118:121], v1 offset:720
	s_waitcnt lgkmcnt(0)
	v_fma_f64 v[2:3], v[130:131], v[118:119], v[2:3]
	s_waitcnt vmcnt(4)
	s_delay_alu instid0(VALU_DEP_1)
	v_fma_f64 v[2:3], v[132:133], v[120:121], v[2:3]
	ds_load_b128 v[118:121], v1 offset:736
	scratch_load_b128 v[130:133], off, off offset:360
	s_waitcnt lgkmcnt(0)
	v_fma_f64 v[2:3], v[134:135], v[118:119], v[2:3]
	s_waitcnt vmcnt(4)
	s_delay_alu instid0(VALU_DEP_1)
	v_fma_f64 v[2:3], v[140:141], v[120:121], v[2:3]
	ds_load_b128 v[118:121], v1 offset:752
	s_waitcnt lgkmcnt(0)
	v_fma_f64 v[2:3], v[142:143], v[118:119], v[2:3]
	scratch_load_b128 v[140:143], off, off offset:376
	s_waitcnt vmcnt(4)
	v_fma_f64 v[2:3], v[136:137], v[120:121], v[2:3]
	ds_load_b128 v[118:121], v1 offset:768
	scratch_load_b128 v[134:137], off, off offset:392
	s_waitcnt lgkmcnt(0)
	v_fma_f64 v[2:3], v[138:139], v[118:119], v[2:3]
	s_waitcnt vmcnt(4)
	s_delay_alu instid0(VALU_DEP_1)
	v_fma_f64 v[2:3], v[122:123], v[120:121], v[2:3]
	ds_load_b128 v[118:121], v1 offset:784
	s_waitcnt lgkmcnt(0)
	v_fma_f64 v[2:3], v[124:125], v[118:119], v[2:3]
	scratch_load_b128 v[122:125], off, off offset:408
	s_waitcnt vmcnt(4)
	v_fma_f64 v[2:3], v[126:127], v[120:121], v[2:3]
	ds_load_b128 v[118:121], v1 offset:800
	s_waitcnt lgkmcnt(0)
	v_fma_f64 v[2:3], v[128:129], v[118:119], v[2:3]
	scratch_load_b128 v[126:129], off, off offset:424
	s_waitcnt vmcnt(4)
	v_fma_f64 v[2:3], v[130:131], v[120:121], v[2:3]
	ds_load_b128 v[118:121], v1 offset:816
	s_waitcnt lgkmcnt(0)
	v_fma_f64 v[2:3], v[132:133], v[118:119], v[2:3]
	s_waitcnt vmcnt(3)
	s_delay_alu instid0(VALU_DEP_1) | instskip(SKIP_4) | instid1(VALU_DEP_1)
	v_fma_f64 v[2:3], v[140:141], v[120:121], v[2:3]
	ds_load_b128 v[118:121], v1 offset:832
	s_waitcnt lgkmcnt(0)
	v_fma_f64 v[2:3], v[142:143], v[118:119], v[2:3]
	s_waitcnt vmcnt(2)
	v_fma_f64 v[2:3], v[134:135], v[120:121], v[2:3]
	ds_load_b128 v[118:121], v1 offset:848
	s_waitcnt lgkmcnt(0)
	v_fma_f64 v[2:3], v[136:137], v[118:119], v[2:3]
	s_waitcnt vmcnt(1)
	s_delay_alu instid0(VALU_DEP_1)
	v_fma_f64 v[2:3], v[122:123], v[120:121], v[2:3]
	ds_load_b128 v[118:121], v1 offset:864
	s_waitcnt lgkmcnt(0)
	v_fma_f64 v[2:3], v[124:125], v[118:119], v[2:3]
	ds_load_b64 v[118:119], v1 offset:880
	s_waitcnt vmcnt(0)
	v_fma_f64 v[2:3], v[126:127], v[120:121], v[2:3]
	s_waitcnt lgkmcnt(0)
	s_delay_alu instid0(VALU_DEP_1) | instskip(NEXT) | instid1(VALU_DEP_1)
	v_fma_f64 v[2:3], v[128:129], v[118:119], v[2:3]
	v_add_f64 v[2:3], v[116:117], -v[2:3]
	scratch_store_b64 off, v[2:3], off offset:216
	v_cmpx_lt_u32_e32 26, v0
	s_cbranch_execz .LBB118_287
; %bb.286:
	scratch_load_b64 v[3:4], off, off offset:208
	v_mov_b32_e32 v2, v1
	scratch_store_b64 off, v[1:2], off offset:208
	s_waitcnt vmcnt(0)
	ds_store_b64 v5, v[3:4]
.LBB118_287:
	s_or_b32 exec_lo, exec_lo, s0
	s_waitcnt lgkmcnt(0)
	s_waitcnt_vscnt null, 0x0
	s_barrier
	buffer_gl0_inv
	s_clause 0x4
	scratch_load_b128 v[116:119], off, off offset:208
	scratch_load_b128 v[120:123], off, off offset:224
	scratch_load_b128 v[124:127], off, off offset:240
	scratch_load_b128 v[128:131], off, off offset:256
	scratch_load_b128 v[132:135], off, off offset:272
	ds_load_2addr_b64 v[136:139], v1 offset0:83 offset1:84
	scratch_load_b128 v[140:143], off, off offset:288
	s_mov_b32 s0, exec_lo
	s_waitcnt vmcnt(5) lgkmcnt(0)
	v_fma_f64 v[2:3], v[118:119], v[136:137], 0
	s_waitcnt vmcnt(4)
	s_delay_alu instid0(VALU_DEP_1)
	v_fma_f64 v[2:3], v[120:121], v[138:139], v[2:3]
	scratch_load_b128 v[136:139], off, off offset:304
	ds_load_2addr_b64 v[118:121], v1 offset0:85 offset1:86
	s_waitcnt lgkmcnt(0)
	v_fma_f64 v[2:3], v[122:123], v[118:119], v[2:3]
	s_waitcnt vmcnt(4)
	s_delay_alu instid0(VALU_DEP_1)
	v_fma_f64 v[2:3], v[124:125], v[120:121], v[2:3]
	ds_load_2addr_b64 v[118:121], v1 offset0:87 offset1:88
	scratch_load_b128 v[122:125], off, off offset:320
	s_waitcnt lgkmcnt(0)
	v_fma_f64 v[2:3], v[126:127], v[118:119], v[2:3]
	s_waitcnt vmcnt(4)
	s_delay_alu instid0(VALU_DEP_1)
	v_fma_f64 v[2:3], v[128:129], v[120:121], v[2:3]
	scratch_load_b128 v[126:129], off, off offset:336
	ds_load_2addr_b64 v[118:121], v1 offset0:89 offset1:90
	s_waitcnt lgkmcnt(0)
	v_fma_f64 v[2:3], v[130:131], v[118:119], v[2:3]
	s_waitcnt vmcnt(4)
	s_delay_alu instid0(VALU_DEP_1)
	v_fma_f64 v[2:3], v[132:133], v[120:121], v[2:3]
	ds_load_2addr_b64 v[118:121], v1 offset0:91 offset1:92
	scratch_load_b128 v[130:133], off, off offset:352
	s_waitcnt lgkmcnt(0)
	v_fma_f64 v[2:3], v[134:135], v[118:119], v[2:3]
	s_waitcnt vmcnt(4)
	s_delay_alu instid0(VALU_DEP_1)
	v_fma_f64 v[2:3], v[140:141], v[120:121], v[2:3]
	ds_load_2addr_b64 v[118:121], v1 offset0:93 offset1:94
	s_waitcnt lgkmcnt(0)
	v_fma_f64 v[2:3], v[142:143], v[118:119], v[2:3]
	scratch_load_b128 v[140:143], off, off offset:368
	s_waitcnt vmcnt(4)
	v_fma_f64 v[2:3], v[136:137], v[120:121], v[2:3]
	ds_load_2addr_b64 v[118:121], v1 offset0:95 offset1:96
	scratch_load_b128 v[134:137], off, off offset:384
	s_waitcnt lgkmcnt(0)
	v_fma_f64 v[2:3], v[138:139], v[118:119], v[2:3]
	s_waitcnt vmcnt(4)
	s_delay_alu instid0(VALU_DEP_1)
	v_fma_f64 v[2:3], v[122:123], v[120:121], v[2:3]
	ds_load_2addr_b64 v[118:121], v1 offset0:97 offset1:98
	s_waitcnt lgkmcnt(0)
	v_fma_f64 v[2:3], v[124:125], v[118:119], v[2:3]
	scratch_load_b128 v[122:125], off, off offset:400
	s_waitcnt vmcnt(4)
	v_fma_f64 v[2:3], v[126:127], v[120:121], v[2:3]
	ds_load_2addr_b64 v[118:121], v1 offset0:99 offset1:100
	s_waitcnt lgkmcnt(0)
	v_fma_f64 v[2:3], v[128:129], v[118:119], v[2:3]
	scratch_load_b128 v[126:129], off, off offset:416
	s_waitcnt vmcnt(4)
	v_fma_f64 v[2:3], v[130:131], v[120:121], v[2:3]
	scratch_load_b64 v[130:131], off, off offset:432
	ds_load_2addr_b64 v[118:121], v1 offset0:101 offset1:102
	s_waitcnt lgkmcnt(0)
	v_fma_f64 v[2:3], v[132:133], v[118:119], v[2:3]
	s_waitcnt vmcnt(4)
	s_delay_alu instid0(VALU_DEP_1) | instskip(SKIP_4) | instid1(VALU_DEP_1)
	v_fma_f64 v[2:3], v[140:141], v[120:121], v[2:3]
	ds_load_2addr_b64 v[118:121], v1 offset0:103 offset1:104
	s_waitcnt lgkmcnt(0)
	v_fma_f64 v[2:3], v[142:143], v[118:119], v[2:3]
	s_waitcnt vmcnt(3)
	v_fma_f64 v[2:3], v[134:135], v[120:121], v[2:3]
	ds_load_2addr_b64 v[118:121], v1 offset0:105 offset1:106
	s_waitcnt lgkmcnt(0)
	v_fma_f64 v[2:3], v[136:137], v[118:119], v[2:3]
	s_waitcnt vmcnt(2)
	s_delay_alu instid0(VALU_DEP_1) | instskip(SKIP_4) | instid1(VALU_DEP_1)
	v_fma_f64 v[2:3], v[122:123], v[120:121], v[2:3]
	ds_load_2addr_b64 v[118:121], v1 offset0:107 offset1:108
	s_waitcnt lgkmcnt(0)
	v_fma_f64 v[2:3], v[124:125], v[118:119], v[2:3]
	s_waitcnt vmcnt(1)
	v_fma_f64 v[118:119], v[126:127], v[120:121], v[2:3]
	ds_load_2addr_b64 v[1:4], v1 offset0:109 offset1:110
	s_waitcnt lgkmcnt(0)
	v_fma_f64 v[1:2], v[128:129], v[1:2], v[118:119]
	s_waitcnt vmcnt(0)
	s_delay_alu instid0(VALU_DEP_1) | instskip(NEXT) | instid1(VALU_DEP_1)
	v_fma_f64 v[1:2], v[130:131], v[3:4], v[1:2]
	v_add_f64 v[1:2], v[116:117], -v[1:2]
	scratch_store_b64 off, v[1:2], off offset:208
	v_cmpx_lt_u32_e32 25, v0
	s_cbranch_execz .LBB118_289
; %bb.288:
	scratch_load_b64 v[1:2], off, off offset:200
	v_mov_b32_e32 v3, 0
	s_delay_alu instid0(VALU_DEP_1)
	v_mov_b32_e32 v4, v3
	scratch_store_b64 off, v[3:4], off offset:200
	s_waitcnt vmcnt(0)
	ds_store_b64 v5, v[1:2]
.LBB118_289:
	s_or_b32 exec_lo, exec_lo, s0
	s_waitcnt lgkmcnt(0)
	s_waitcnt_vscnt null, 0x0
	s_barrier
	buffer_gl0_inv
	s_clause 0x4
	scratch_load_b128 v[116:119], off, off offset:200
	scratch_load_b128 v[120:123], off, off offset:216
	;; [unrolled: 1-line block ×5, first 2 shown]
	v_mov_b32_e32 v1, 0
	scratch_load_b128 v[140:143], off, off offset:280
	s_mov_b32 s0, exec_lo
	ds_load_b128 v[136:139], v1 offset:656
	s_waitcnt vmcnt(5) lgkmcnt(0)
	v_fma_f64 v[2:3], v[118:119], v[136:137], 0
	s_waitcnt vmcnt(4)
	s_delay_alu instid0(VALU_DEP_1)
	v_fma_f64 v[2:3], v[120:121], v[138:139], v[2:3]
	scratch_load_b128 v[136:139], off, off offset:296
	ds_load_b128 v[118:121], v1 offset:672
	s_waitcnt lgkmcnt(0)
	v_fma_f64 v[2:3], v[122:123], v[118:119], v[2:3]
	s_waitcnt vmcnt(4)
	s_delay_alu instid0(VALU_DEP_1)
	v_fma_f64 v[2:3], v[124:125], v[120:121], v[2:3]
	ds_load_b128 v[118:121], v1 offset:688
	scratch_load_b128 v[122:125], off, off offset:312
	s_waitcnt lgkmcnt(0)
	v_fma_f64 v[2:3], v[126:127], v[118:119], v[2:3]
	s_waitcnt vmcnt(4)
	s_delay_alu instid0(VALU_DEP_1)
	v_fma_f64 v[2:3], v[128:129], v[120:121], v[2:3]
	scratch_load_b128 v[126:129], off, off offset:328
	ds_load_b128 v[118:121], v1 offset:704
	s_waitcnt lgkmcnt(0)
	v_fma_f64 v[2:3], v[130:131], v[118:119], v[2:3]
	s_waitcnt vmcnt(4)
	s_delay_alu instid0(VALU_DEP_1)
	v_fma_f64 v[2:3], v[132:133], v[120:121], v[2:3]
	ds_load_b128 v[118:121], v1 offset:720
	scratch_load_b128 v[130:133], off, off offset:344
	s_waitcnt lgkmcnt(0)
	v_fma_f64 v[2:3], v[134:135], v[118:119], v[2:3]
	s_waitcnt vmcnt(4)
	s_delay_alu instid0(VALU_DEP_1)
	v_fma_f64 v[2:3], v[140:141], v[120:121], v[2:3]
	ds_load_b128 v[118:121], v1 offset:736
	s_waitcnt lgkmcnt(0)
	v_fma_f64 v[2:3], v[142:143], v[118:119], v[2:3]
	scratch_load_b128 v[140:143], off, off offset:360
	s_waitcnt vmcnt(4)
	v_fma_f64 v[2:3], v[136:137], v[120:121], v[2:3]
	ds_load_b128 v[118:121], v1 offset:752
	scratch_load_b128 v[134:137], off, off offset:376
	s_waitcnt lgkmcnt(0)
	v_fma_f64 v[2:3], v[138:139], v[118:119], v[2:3]
	s_waitcnt vmcnt(4)
	s_delay_alu instid0(VALU_DEP_1)
	v_fma_f64 v[2:3], v[122:123], v[120:121], v[2:3]
	ds_load_b128 v[118:121], v1 offset:768
	s_waitcnt lgkmcnt(0)
	v_fma_f64 v[2:3], v[124:125], v[118:119], v[2:3]
	scratch_load_b128 v[122:125], off, off offset:392
	s_waitcnt vmcnt(4)
	v_fma_f64 v[2:3], v[126:127], v[120:121], v[2:3]
	ds_load_b128 v[118:121], v1 offset:784
	s_waitcnt lgkmcnt(0)
	v_fma_f64 v[2:3], v[128:129], v[118:119], v[2:3]
	scratch_load_b128 v[126:129], off, off offset:408
	s_waitcnt vmcnt(4)
	;; [unrolled: 6-line block ×3, first 2 shown]
	v_fma_f64 v[2:3], v[140:141], v[120:121], v[2:3]
	ds_load_b128 v[118:121], v1 offset:816
	s_waitcnt lgkmcnt(0)
	v_fma_f64 v[2:3], v[142:143], v[118:119], v[2:3]
	s_waitcnt vmcnt(3)
	s_delay_alu instid0(VALU_DEP_1) | instskip(SKIP_4) | instid1(VALU_DEP_1)
	v_fma_f64 v[2:3], v[134:135], v[120:121], v[2:3]
	ds_load_b128 v[118:121], v1 offset:832
	s_waitcnt lgkmcnt(0)
	v_fma_f64 v[2:3], v[136:137], v[118:119], v[2:3]
	s_waitcnt vmcnt(2)
	v_fma_f64 v[2:3], v[122:123], v[120:121], v[2:3]
	ds_load_b128 v[118:121], v1 offset:848
	s_waitcnt lgkmcnt(0)
	v_fma_f64 v[2:3], v[124:125], v[118:119], v[2:3]
	s_waitcnt vmcnt(1)
	s_delay_alu instid0(VALU_DEP_1)
	v_fma_f64 v[2:3], v[126:127], v[120:121], v[2:3]
	ds_load_b128 v[118:121], v1 offset:864
	s_waitcnt lgkmcnt(0)
	v_fma_f64 v[2:3], v[128:129], v[118:119], v[2:3]
	ds_load_b64 v[118:119], v1 offset:880
	s_waitcnt vmcnt(0)
	v_fma_f64 v[2:3], v[130:131], v[120:121], v[2:3]
	s_waitcnt lgkmcnt(0)
	s_delay_alu instid0(VALU_DEP_1) | instskip(NEXT) | instid1(VALU_DEP_1)
	v_fma_f64 v[2:3], v[132:133], v[118:119], v[2:3]
	v_add_f64 v[2:3], v[116:117], -v[2:3]
	scratch_store_b64 off, v[2:3], off offset:200
	v_cmpx_lt_u32_e32 24, v0
	s_cbranch_execz .LBB118_291
; %bb.290:
	scratch_load_b64 v[3:4], off, off offset:192
	v_mov_b32_e32 v2, v1
	scratch_store_b64 off, v[1:2], off offset:192
	s_waitcnt vmcnt(0)
	ds_store_b64 v5, v[3:4]
.LBB118_291:
	s_or_b32 exec_lo, exec_lo, s0
	s_waitcnt lgkmcnt(0)
	s_waitcnt_vscnt null, 0x0
	s_barrier
	buffer_gl0_inv
	s_clause 0x4
	scratch_load_b128 v[116:119], off, off offset:192
	scratch_load_b128 v[120:123], off, off offset:208
	;; [unrolled: 1-line block ×5, first 2 shown]
	ds_load_2addr_b64 v[136:139], v1 offset0:81 offset1:82
	scratch_load_b128 v[140:143], off, off offset:272
	s_mov_b32 s0, exec_lo
	s_waitcnt vmcnt(5) lgkmcnt(0)
	v_fma_f64 v[2:3], v[118:119], v[136:137], 0
	s_waitcnt vmcnt(4)
	s_delay_alu instid0(VALU_DEP_1)
	v_fma_f64 v[2:3], v[120:121], v[138:139], v[2:3]
	scratch_load_b128 v[136:139], off, off offset:288
	ds_load_2addr_b64 v[118:121], v1 offset0:83 offset1:84
	s_waitcnt lgkmcnt(0)
	v_fma_f64 v[2:3], v[122:123], v[118:119], v[2:3]
	s_waitcnt vmcnt(4)
	s_delay_alu instid0(VALU_DEP_1)
	v_fma_f64 v[2:3], v[124:125], v[120:121], v[2:3]
	ds_load_2addr_b64 v[118:121], v1 offset0:85 offset1:86
	scratch_load_b128 v[122:125], off, off offset:304
	s_waitcnt lgkmcnt(0)
	v_fma_f64 v[2:3], v[126:127], v[118:119], v[2:3]
	s_waitcnt vmcnt(4)
	s_delay_alu instid0(VALU_DEP_1)
	v_fma_f64 v[2:3], v[128:129], v[120:121], v[2:3]
	scratch_load_b128 v[126:129], off, off offset:320
	ds_load_2addr_b64 v[118:121], v1 offset0:87 offset1:88
	s_waitcnt lgkmcnt(0)
	v_fma_f64 v[2:3], v[130:131], v[118:119], v[2:3]
	s_waitcnt vmcnt(4)
	s_delay_alu instid0(VALU_DEP_1)
	v_fma_f64 v[2:3], v[132:133], v[120:121], v[2:3]
	ds_load_2addr_b64 v[118:121], v1 offset0:89 offset1:90
	scratch_load_b128 v[130:133], off, off offset:336
	s_waitcnt lgkmcnt(0)
	v_fma_f64 v[2:3], v[134:135], v[118:119], v[2:3]
	s_waitcnt vmcnt(4)
	s_delay_alu instid0(VALU_DEP_1)
	v_fma_f64 v[2:3], v[140:141], v[120:121], v[2:3]
	ds_load_2addr_b64 v[118:121], v1 offset0:91 offset1:92
	s_waitcnt lgkmcnt(0)
	v_fma_f64 v[2:3], v[142:143], v[118:119], v[2:3]
	scratch_load_b128 v[140:143], off, off offset:352
	s_waitcnt vmcnt(4)
	v_fma_f64 v[2:3], v[136:137], v[120:121], v[2:3]
	ds_load_2addr_b64 v[118:121], v1 offset0:93 offset1:94
	scratch_load_b128 v[134:137], off, off offset:368
	s_waitcnt lgkmcnt(0)
	v_fma_f64 v[2:3], v[138:139], v[118:119], v[2:3]
	scratch_load_b64 v[138:139], off, off offset:432
	s_waitcnt vmcnt(5)
	v_fma_f64 v[2:3], v[122:123], v[120:121], v[2:3]
	ds_load_2addr_b64 v[118:121], v1 offset0:95 offset1:96
	s_waitcnt lgkmcnt(0)
	v_fma_f64 v[2:3], v[124:125], v[118:119], v[2:3]
	scratch_load_b128 v[122:125], off, off offset:384
	s_waitcnt vmcnt(5)
	v_fma_f64 v[2:3], v[126:127], v[120:121], v[2:3]
	ds_load_2addr_b64 v[118:121], v1 offset0:97 offset1:98
	s_waitcnt lgkmcnt(0)
	v_fma_f64 v[2:3], v[128:129], v[118:119], v[2:3]
	scratch_load_b128 v[126:129], off, off offset:400
	;; [unrolled: 6-line block ×3, first 2 shown]
	s_waitcnt vmcnt(5)
	v_fma_f64 v[2:3], v[140:141], v[120:121], v[2:3]
	ds_load_2addr_b64 v[118:121], v1 offset0:101 offset1:102
	s_waitcnt lgkmcnt(0)
	v_fma_f64 v[2:3], v[142:143], v[118:119], v[2:3]
	s_waitcnt vmcnt(4)
	s_delay_alu instid0(VALU_DEP_1) | instskip(SKIP_4) | instid1(VALU_DEP_1)
	v_fma_f64 v[2:3], v[134:135], v[120:121], v[2:3]
	ds_load_2addr_b64 v[118:121], v1 offset0:103 offset1:104
	s_waitcnt lgkmcnt(0)
	v_fma_f64 v[2:3], v[136:137], v[118:119], v[2:3]
	s_waitcnt vmcnt(2)
	v_fma_f64 v[2:3], v[122:123], v[120:121], v[2:3]
	ds_load_2addr_b64 v[118:121], v1 offset0:105 offset1:106
	s_waitcnt lgkmcnt(0)
	v_fma_f64 v[2:3], v[124:125], v[118:119], v[2:3]
	s_waitcnt vmcnt(1)
	s_delay_alu instid0(VALU_DEP_1) | instskip(SKIP_4) | instid1(VALU_DEP_1)
	v_fma_f64 v[2:3], v[126:127], v[120:121], v[2:3]
	ds_load_2addr_b64 v[118:121], v1 offset0:107 offset1:108
	s_waitcnt lgkmcnt(0)
	v_fma_f64 v[2:3], v[128:129], v[118:119], v[2:3]
	s_waitcnt vmcnt(0)
	v_fma_f64 v[118:119], v[130:131], v[120:121], v[2:3]
	ds_load_2addr_b64 v[1:4], v1 offset0:109 offset1:110
	s_waitcnt lgkmcnt(0)
	v_fma_f64 v[1:2], v[132:133], v[1:2], v[118:119]
	s_delay_alu instid0(VALU_DEP_1) | instskip(NEXT) | instid1(VALU_DEP_1)
	v_fma_f64 v[1:2], v[138:139], v[3:4], v[1:2]
	v_add_f64 v[1:2], v[116:117], -v[1:2]
	scratch_store_b64 off, v[1:2], off offset:192
	v_cmpx_lt_u32_e32 23, v0
	s_cbranch_execz .LBB118_293
; %bb.292:
	scratch_load_b64 v[1:2], off, off offset:184
	v_mov_b32_e32 v3, 0
	s_delay_alu instid0(VALU_DEP_1)
	v_mov_b32_e32 v4, v3
	scratch_store_b64 off, v[3:4], off offset:184
	s_waitcnt vmcnt(0)
	ds_store_b64 v5, v[1:2]
.LBB118_293:
	s_or_b32 exec_lo, exec_lo, s0
	s_waitcnt lgkmcnt(0)
	s_waitcnt_vscnt null, 0x0
	s_barrier
	buffer_gl0_inv
	s_clause 0x4
	scratch_load_b128 v[116:119], off, off offset:184
	scratch_load_b128 v[120:123], off, off offset:200
	scratch_load_b128 v[124:127], off, off offset:216
	scratch_load_b128 v[128:131], off, off offset:232
	scratch_load_b128 v[132:135], off, off offset:248
	v_mov_b32_e32 v1, 0
	scratch_load_b128 v[140:143], off, off offset:264
	s_mov_b32 s0, exec_lo
	ds_load_b128 v[136:139], v1 offset:640
	s_waitcnt vmcnt(5) lgkmcnt(0)
	v_fma_f64 v[2:3], v[118:119], v[136:137], 0
	s_waitcnt vmcnt(4)
	s_delay_alu instid0(VALU_DEP_1)
	v_fma_f64 v[2:3], v[120:121], v[138:139], v[2:3]
	scratch_load_b128 v[136:139], off, off offset:280
	ds_load_b128 v[118:121], v1 offset:656
	s_waitcnt lgkmcnt(0)
	v_fma_f64 v[2:3], v[122:123], v[118:119], v[2:3]
	s_waitcnt vmcnt(4)
	s_delay_alu instid0(VALU_DEP_1)
	v_fma_f64 v[2:3], v[124:125], v[120:121], v[2:3]
	ds_load_b128 v[118:121], v1 offset:672
	scratch_load_b128 v[122:125], off, off offset:296
	s_waitcnt lgkmcnt(0)
	v_fma_f64 v[2:3], v[126:127], v[118:119], v[2:3]
	s_waitcnt vmcnt(4)
	s_delay_alu instid0(VALU_DEP_1)
	v_fma_f64 v[2:3], v[128:129], v[120:121], v[2:3]
	scratch_load_b128 v[126:129], off, off offset:312
	ds_load_b128 v[118:121], v1 offset:688
	s_waitcnt lgkmcnt(0)
	v_fma_f64 v[2:3], v[130:131], v[118:119], v[2:3]
	s_waitcnt vmcnt(4)
	s_delay_alu instid0(VALU_DEP_1)
	v_fma_f64 v[2:3], v[132:133], v[120:121], v[2:3]
	ds_load_b128 v[118:121], v1 offset:704
	scratch_load_b128 v[130:133], off, off offset:328
	s_waitcnt lgkmcnt(0)
	v_fma_f64 v[2:3], v[134:135], v[118:119], v[2:3]
	s_waitcnt vmcnt(4)
	s_delay_alu instid0(VALU_DEP_1)
	v_fma_f64 v[2:3], v[140:141], v[120:121], v[2:3]
	ds_load_b128 v[118:121], v1 offset:720
	s_waitcnt lgkmcnt(0)
	v_fma_f64 v[2:3], v[142:143], v[118:119], v[2:3]
	scratch_load_b128 v[140:143], off, off offset:344
	s_waitcnt vmcnt(4)
	v_fma_f64 v[2:3], v[136:137], v[120:121], v[2:3]
	ds_load_b128 v[118:121], v1 offset:736
	scratch_load_b128 v[134:137], off, off offset:360
	s_waitcnt lgkmcnt(0)
	v_fma_f64 v[2:3], v[138:139], v[118:119], v[2:3]
	s_waitcnt vmcnt(4)
	s_delay_alu instid0(VALU_DEP_1)
	v_fma_f64 v[2:3], v[122:123], v[120:121], v[2:3]
	ds_load_b128 v[118:121], v1 offset:752
	s_waitcnt lgkmcnt(0)
	v_fma_f64 v[2:3], v[124:125], v[118:119], v[2:3]
	scratch_load_b128 v[122:125], off, off offset:376
	s_waitcnt vmcnt(4)
	v_fma_f64 v[2:3], v[126:127], v[120:121], v[2:3]
	ds_load_b128 v[118:121], v1 offset:768
	s_waitcnt lgkmcnt(0)
	v_fma_f64 v[2:3], v[128:129], v[118:119], v[2:3]
	scratch_load_b128 v[126:129], off, off offset:392
	s_waitcnt vmcnt(4)
	;; [unrolled: 6-line block ×3, first 2 shown]
	v_fma_f64 v[2:3], v[140:141], v[120:121], v[2:3]
	ds_load_b128 v[118:121], v1 offset:800
	scratch_load_b128 v[138:141], off, off offset:424
	s_waitcnt lgkmcnt(0)
	v_fma_f64 v[2:3], v[142:143], v[118:119], v[2:3]
	s_waitcnt vmcnt(4)
	s_delay_alu instid0(VALU_DEP_1) | instskip(SKIP_4) | instid1(VALU_DEP_1)
	v_fma_f64 v[2:3], v[134:135], v[120:121], v[2:3]
	ds_load_b128 v[118:121], v1 offset:816
	s_waitcnt lgkmcnt(0)
	v_fma_f64 v[2:3], v[136:137], v[118:119], v[2:3]
	s_waitcnt vmcnt(3)
	v_fma_f64 v[2:3], v[122:123], v[120:121], v[2:3]
	ds_load_b128 v[118:121], v1 offset:832
	s_waitcnt lgkmcnt(0)
	v_fma_f64 v[2:3], v[124:125], v[118:119], v[2:3]
	s_waitcnt vmcnt(2)
	s_delay_alu instid0(VALU_DEP_1) | instskip(SKIP_4) | instid1(VALU_DEP_1)
	v_fma_f64 v[2:3], v[126:127], v[120:121], v[2:3]
	ds_load_b128 v[118:121], v1 offset:848
	s_waitcnt lgkmcnt(0)
	v_fma_f64 v[2:3], v[128:129], v[118:119], v[2:3]
	s_waitcnt vmcnt(1)
	v_fma_f64 v[2:3], v[130:131], v[120:121], v[2:3]
	ds_load_b128 v[118:121], v1 offset:864
	s_waitcnt lgkmcnt(0)
	v_fma_f64 v[2:3], v[132:133], v[118:119], v[2:3]
	ds_load_b64 v[118:119], v1 offset:880
	s_waitcnt vmcnt(0)
	v_fma_f64 v[2:3], v[138:139], v[120:121], v[2:3]
	s_waitcnt lgkmcnt(0)
	s_delay_alu instid0(VALU_DEP_1) | instskip(NEXT) | instid1(VALU_DEP_1)
	v_fma_f64 v[2:3], v[140:141], v[118:119], v[2:3]
	v_add_f64 v[2:3], v[116:117], -v[2:3]
	scratch_store_b64 off, v[2:3], off offset:184
	v_cmpx_lt_u32_e32 22, v0
	s_cbranch_execz .LBB118_295
; %bb.294:
	scratch_load_b64 v[3:4], off, off offset:176
	v_mov_b32_e32 v2, v1
	scratch_store_b64 off, v[1:2], off offset:176
	s_waitcnt vmcnt(0)
	ds_store_b64 v5, v[3:4]
.LBB118_295:
	s_or_b32 exec_lo, exec_lo, s0
	s_waitcnt lgkmcnt(0)
	s_waitcnt_vscnt null, 0x0
	s_barrier
	buffer_gl0_inv
	s_clause 0x4
	scratch_load_b128 v[116:119], off, off offset:176
	scratch_load_b128 v[120:123], off, off offset:192
	;; [unrolled: 1-line block ×5, first 2 shown]
	ds_load_2addr_b64 v[136:139], v1 offset0:79 offset1:80
	scratch_load_b128 v[140:143], off, off offset:256
	s_mov_b32 s0, exec_lo
	s_waitcnt vmcnt(5) lgkmcnt(0)
	v_fma_f64 v[2:3], v[118:119], v[136:137], 0
	s_waitcnt vmcnt(4)
	s_delay_alu instid0(VALU_DEP_1)
	v_fma_f64 v[2:3], v[120:121], v[138:139], v[2:3]
	scratch_load_b128 v[136:139], off, off offset:272
	ds_load_2addr_b64 v[118:121], v1 offset0:81 offset1:82
	s_waitcnt lgkmcnt(0)
	v_fma_f64 v[2:3], v[122:123], v[118:119], v[2:3]
	s_waitcnt vmcnt(4)
	s_delay_alu instid0(VALU_DEP_1)
	v_fma_f64 v[2:3], v[124:125], v[120:121], v[2:3]
	ds_load_2addr_b64 v[118:121], v1 offset0:83 offset1:84
	scratch_load_b128 v[122:125], off, off offset:288
	s_waitcnt lgkmcnt(0)
	v_fma_f64 v[2:3], v[126:127], v[118:119], v[2:3]
	s_waitcnt vmcnt(4)
	s_delay_alu instid0(VALU_DEP_1)
	v_fma_f64 v[2:3], v[128:129], v[120:121], v[2:3]
	scratch_load_b128 v[126:129], off, off offset:304
	ds_load_2addr_b64 v[118:121], v1 offset0:85 offset1:86
	s_waitcnt lgkmcnt(0)
	v_fma_f64 v[2:3], v[130:131], v[118:119], v[2:3]
	s_waitcnt vmcnt(4)
	s_delay_alu instid0(VALU_DEP_1)
	v_fma_f64 v[2:3], v[132:133], v[120:121], v[2:3]
	ds_load_2addr_b64 v[118:121], v1 offset0:87 offset1:88
	scratch_load_b128 v[130:133], off, off offset:320
	s_waitcnt lgkmcnt(0)
	v_fma_f64 v[2:3], v[134:135], v[118:119], v[2:3]
	s_waitcnt vmcnt(4)
	s_delay_alu instid0(VALU_DEP_1)
	v_fma_f64 v[2:3], v[140:141], v[120:121], v[2:3]
	ds_load_2addr_b64 v[118:121], v1 offset0:89 offset1:90
	s_waitcnt lgkmcnt(0)
	v_fma_f64 v[2:3], v[142:143], v[118:119], v[2:3]
	scratch_load_b128 v[140:143], off, off offset:336
	s_waitcnt vmcnt(4)
	v_fma_f64 v[2:3], v[136:137], v[120:121], v[2:3]
	ds_load_2addr_b64 v[118:121], v1 offset0:91 offset1:92
	scratch_load_b128 v[134:137], off, off offset:352
	s_waitcnt lgkmcnt(0)
	v_fma_f64 v[2:3], v[138:139], v[118:119], v[2:3]
	s_waitcnt vmcnt(4)
	s_delay_alu instid0(VALU_DEP_1)
	v_fma_f64 v[2:3], v[122:123], v[120:121], v[2:3]
	ds_load_2addr_b64 v[118:121], v1 offset0:93 offset1:94
	s_waitcnt lgkmcnt(0)
	v_fma_f64 v[2:3], v[124:125], v[118:119], v[2:3]
	scratch_load_b128 v[122:125], off, off offset:368
	s_waitcnt vmcnt(4)
	v_fma_f64 v[2:3], v[126:127], v[120:121], v[2:3]
	ds_load_2addr_b64 v[118:121], v1 offset0:95 offset1:96
	s_waitcnt lgkmcnt(0)
	v_fma_f64 v[2:3], v[128:129], v[118:119], v[2:3]
	scratch_load_b128 v[126:129], off, off offset:384
	s_waitcnt vmcnt(4)
	;; [unrolled: 6-line block ×3, first 2 shown]
	v_fma_f64 v[2:3], v[140:141], v[120:121], v[2:3]
	ds_load_2addr_b64 v[118:121], v1 offset0:99 offset1:100
	scratch_load_b128 v[138:141], off, off offset:416
	s_waitcnt lgkmcnt(0)
	v_fma_f64 v[2:3], v[142:143], v[118:119], v[2:3]
	s_waitcnt vmcnt(4)
	s_delay_alu instid0(VALU_DEP_1)
	v_fma_f64 v[2:3], v[134:135], v[120:121], v[2:3]
	scratch_load_b64 v[134:135], off, off offset:432
	ds_load_2addr_b64 v[118:121], v1 offset0:101 offset1:102
	s_waitcnt lgkmcnt(0)
	v_fma_f64 v[2:3], v[136:137], v[118:119], v[2:3]
	s_waitcnt vmcnt(4)
	s_delay_alu instid0(VALU_DEP_1) | instskip(SKIP_4) | instid1(VALU_DEP_1)
	v_fma_f64 v[2:3], v[122:123], v[120:121], v[2:3]
	ds_load_2addr_b64 v[118:121], v1 offset0:103 offset1:104
	s_waitcnt lgkmcnt(0)
	v_fma_f64 v[2:3], v[124:125], v[118:119], v[2:3]
	s_waitcnt vmcnt(3)
	v_fma_f64 v[2:3], v[126:127], v[120:121], v[2:3]
	ds_load_2addr_b64 v[118:121], v1 offset0:105 offset1:106
	s_waitcnt lgkmcnt(0)
	v_fma_f64 v[2:3], v[128:129], v[118:119], v[2:3]
	s_waitcnt vmcnt(2)
	s_delay_alu instid0(VALU_DEP_1) | instskip(SKIP_4) | instid1(VALU_DEP_1)
	v_fma_f64 v[2:3], v[130:131], v[120:121], v[2:3]
	ds_load_2addr_b64 v[118:121], v1 offset0:107 offset1:108
	s_waitcnt lgkmcnt(0)
	v_fma_f64 v[2:3], v[132:133], v[118:119], v[2:3]
	s_waitcnt vmcnt(1)
	v_fma_f64 v[118:119], v[138:139], v[120:121], v[2:3]
	ds_load_2addr_b64 v[1:4], v1 offset0:109 offset1:110
	s_waitcnt lgkmcnt(0)
	v_fma_f64 v[1:2], v[140:141], v[1:2], v[118:119]
	s_waitcnt vmcnt(0)
	s_delay_alu instid0(VALU_DEP_1) | instskip(NEXT) | instid1(VALU_DEP_1)
	v_fma_f64 v[1:2], v[134:135], v[3:4], v[1:2]
	v_add_f64 v[1:2], v[116:117], -v[1:2]
	scratch_store_b64 off, v[1:2], off offset:176
	v_cmpx_lt_u32_e32 21, v0
	s_cbranch_execz .LBB118_297
; %bb.296:
	scratch_load_b64 v[1:2], off, off offset:168
	v_mov_b32_e32 v3, 0
	s_delay_alu instid0(VALU_DEP_1)
	v_mov_b32_e32 v4, v3
	scratch_store_b64 off, v[3:4], off offset:168
	s_waitcnt vmcnt(0)
	ds_store_b64 v5, v[1:2]
.LBB118_297:
	s_or_b32 exec_lo, exec_lo, s0
	s_waitcnt lgkmcnt(0)
	s_waitcnt_vscnt null, 0x0
	s_barrier
	buffer_gl0_inv
	s_clause 0x4
	scratch_load_b128 v[116:119], off, off offset:168
	scratch_load_b128 v[120:123], off, off offset:184
	;; [unrolled: 1-line block ×5, first 2 shown]
	v_mov_b32_e32 v1, 0
	scratch_load_b128 v[140:143], off, off offset:248
	s_mov_b32 s0, exec_lo
	ds_load_b128 v[136:139], v1 offset:624
	s_waitcnt vmcnt(5) lgkmcnt(0)
	v_fma_f64 v[2:3], v[118:119], v[136:137], 0
	s_waitcnt vmcnt(4)
	s_delay_alu instid0(VALU_DEP_1)
	v_fma_f64 v[2:3], v[120:121], v[138:139], v[2:3]
	scratch_load_b128 v[136:139], off, off offset:264
	ds_load_b128 v[118:121], v1 offset:640
	s_waitcnt lgkmcnt(0)
	v_fma_f64 v[2:3], v[122:123], v[118:119], v[2:3]
	s_waitcnt vmcnt(4)
	s_delay_alu instid0(VALU_DEP_1)
	v_fma_f64 v[2:3], v[124:125], v[120:121], v[2:3]
	ds_load_b128 v[118:121], v1 offset:656
	scratch_load_b128 v[122:125], off, off offset:280
	s_waitcnt lgkmcnt(0)
	v_fma_f64 v[2:3], v[126:127], v[118:119], v[2:3]
	s_waitcnt vmcnt(4)
	s_delay_alu instid0(VALU_DEP_1)
	v_fma_f64 v[2:3], v[128:129], v[120:121], v[2:3]
	scratch_load_b128 v[126:129], off, off offset:296
	ds_load_b128 v[118:121], v1 offset:672
	s_waitcnt lgkmcnt(0)
	v_fma_f64 v[2:3], v[130:131], v[118:119], v[2:3]
	s_waitcnt vmcnt(4)
	s_delay_alu instid0(VALU_DEP_1)
	v_fma_f64 v[2:3], v[132:133], v[120:121], v[2:3]
	ds_load_b128 v[118:121], v1 offset:688
	scratch_load_b128 v[130:133], off, off offset:312
	s_waitcnt lgkmcnt(0)
	v_fma_f64 v[2:3], v[134:135], v[118:119], v[2:3]
	s_waitcnt vmcnt(4)
	s_delay_alu instid0(VALU_DEP_1)
	v_fma_f64 v[2:3], v[140:141], v[120:121], v[2:3]
	ds_load_b128 v[118:121], v1 offset:704
	s_waitcnt lgkmcnt(0)
	v_fma_f64 v[2:3], v[142:143], v[118:119], v[2:3]
	scratch_load_b128 v[140:143], off, off offset:328
	s_waitcnt vmcnt(4)
	v_fma_f64 v[2:3], v[136:137], v[120:121], v[2:3]
	ds_load_b128 v[118:121], v1 offset:720
	scratch_load_b128 v[134:137], off, off offset:344
	s_waitcnt lgkmcnt(0)
	v_fma_f64 v[2:3], v[138:139], v[118:119], v[2:3]
	s_waitcnt vmcnt(4)
	s_delay_alu instid0(VALU_DEP_1)
	v_fma_f64 v[2:3], v[122:123], v[120:121], v[2:3]
	ds_load_b128 v[118:121], v1 offset:736
	s_waitcnt lgkmcnt(0)
	v_fma_f64 v[2:3], v[124:125], v[118:119], v[2:3]
	scratch_load_b128 v[122:125], off, off offset:360
	s_waitcnt vmcnt(4)
	v_fma_f64 v[2:3], v[126:127], v[120:121], v[2:3]
	ds_load_b128 v[118:121], v1 offset:752
	s_waitcnt lgkmcnt(0)
	v_fma_f64 v[2:3], v[128:129], v[118:119], v[2:3]
	scratch_load_b128 v[126:129], off, off offset:376
	s_waitcnt vmcnt(4)
	;; [unrolled: 6-line block ×3, first 2 shown]
	v_fma_f64 v[2:3], v[140:141], v[120:121], v[2:3]
	ds_load_b128 v[118:121], v1 offset:784
	scratch_load_b128 v[138:141], off, off offset:408
	s_waitcnt lgkmcnt(0)
	v_fma_f64 v[2:3], v[142:143], v[118:119], v[2:3]
	s_waitcnt vmcnt(4)
	s_delay_alu instid0(VALU_DEP_1)
	v_fma_f64 v[2:3], v[134:135], v[120:121], v[2:3]
	ds_load_b128 v[118:121], v1 offset:800
	s_waitcnt lgkmcnt(0)
	v_fma_f64 v[2:3], v[136:137], v[118:119], v[2:3]
	scratch_load_b128 v[134:137], off, off offset:424
	s_waitcnt vmcnt(4)
	v_fma_f64 v[2:3], v[122:123], v[120:121], v[2:3]
	ds_load_b128 v[118:121], v1 offset:816
	s_waitcnt lgkmcnt(0)
	v_fma_f64 v[2:3], v[124:125], v[118:119], v[2:3]
	s_waitcnt vmcnt(3)
	s_delay_alu instid0(VALU_DEP_1) | instskip(SKIP_4) | instid1(VALU_DEP_1)
	v_fma_f64 v[2:3], v[126:127], v[120:121], v[2:3]
	ds_load_b128 v[118:121], v1 offset:832
	s_waitcnt lgkmcnt(0)
	v_fma_f64 v[2:3], v[128:129], v[118:119], v[2:3]
	s_waitcnt vmcnt(2)
	v_fma_f64 v[2:3], v[130:131], v[120:121], v[2:3]
	ds_load_b128 v[118:121], v1 offset:848
	s_waitcnt lgkmcnt(0)
	v_fma_f64 v[2:3], v[132:133], v[118:119], v[2:3]
	s_waitcnt vmcnt(1)
	s_delay_alu instid0(VALU_DEP_1)
	v_fma_f64 v[2:3], v[138:139], v[120:121], v[2:3]
	ds_load_b128 v[118:121], v1 offset:864
	s_waitcnt lgkmcnt(0)
	v_fma_f64 v[2:3], v[140:141], v[118:119], v[2:3]
	ds_load_b64 v[118:119], v1 offset:880
	s_waitcnt vmcnt(0)
	v_fma_f64 v[2:3], v[134:135], v[120:121], v[2:3]
	s_waitcnt lgkmcnt(0)
	s_delay_alu instid0(VALU_DEP_1) | instskip(NEXT) | instid1(VALU_DEP_1)
	v_fma_f64 v[2:3], v[136:137], v[118:119], v[2:3]
	v_add_f64 v[2:3], v[116:117], -v[2:3]
	scratch_store_b64 off, v[2:3], off offset:168
	v_cmpx_lt_u32_e32 20, v0
	s_cbranch_execz .LBB118_299
; %bb.298:
	scratch_load_b64 v[3:4], off, off offset:160
	v_mov_b32_e32 v2, v1
	scratch_store_b64 off, v[1:2], off offset:160
	s_waitcnt vmcnt(0)
	ds_store_b64 v5, v[3:4]
.LBB118_299:
	s_or_b32 exec_lo, exec_lo, s0
	s_waitcnt lgkmcnt(0)
	s_waitcnt_vscnt null, 0x0
	s_barrier
	buffer_gl0_inv
	s_clause 0x4
	scratch_load_b128 v[116:119], off, off offset:160
	scratch_load_b128 v[120:123], off, off offset:176
	;; [unrolled: 1-line block ×5, first 2 shown]
	ds_load_2addr_b64 v[136:139], v1 offset0:77 offset1:78
	scratch_load_b128 v[140:143], off, off offset:240
	s_mov_b32 s0, exec_lo
	s_waitcnt vmcnt(5) lgkmcnt(0)
	v_fma_f64 v[2:3], v[118:119], v[136:137], 0
	s_waitcnt vmcnt(4)
	s_delay_alu instid0(VALU_DEP_1)
	v_fma_f64 v[2:3], v[120:121], v[138:139], v[2:3]
	scratch_load_b128 v[136:139], off, off offset:256
	ds_load_2addr_b64 v[118:121], v1 offset0:79 offset1:80
	s_waitcnt lgkmcnt(0)
	v_fma_f64 v[2:3], v[122:123], v[118:119], v[2:3]
	s_waitcnt vmcnt(4)
	s_delay_alu instid0(VALU_DEP_1)
	v_fma_f64 v[2:3], v[124:125], v[120:121], v[2:3]
	ds_load_2addr_b64 v[118:121], v1 offset0:81 offset1:82
	scratch_load_b128 v[122:125], off, off offset:272
	s_waitcnt lgkmcnt(0)
	v_fma_f64 v[2:3], v[126:127], v[118:119], v[2:3]
	s_waitcnt vmcnt(4)
	s_delay_alu instid0(VALU_DEP_1)
	v_fma_f64 v[2:3], v[128:129], v[120:121], v[2:3]
	scratch_load_b128 v[126:129], off, off offset:288
	ds_load_2addr_b64 v[118:121], v1 offset0:83 offset1:84
	s_waitcnt lgkmcnt(0)
	v_fma_f64 v[2:3], v[130:131], v[118:119], v[2:3]
	s_waitcnt vmcnt(4)
	s_delay_alu instid0(VALU_DEP_1)
	v_fma_f64 v[2:3], v[132:133], v[120:121], v[2:3]
	ds_load_2addr_b64 v[118:121], v1 offset0:85 offset1:86
	scratch_load_b128 v[130:133], off, off offset:304
	s_waitcnt lgkmcnt(0)
	v_fma_f64 v[2:3], v[134:135], v[118:119], v[2:3]
	s_waitcnt vmcnt(4)
	s_delay_alu instid0(VALU_DEP_1)
	v_fma_f64 v[2:3], v[140:141], v[120:121], v[2:3]
	ds_load_2addr_b64 v[118:121], v1 offset0:87 offset1:88
	s_waitcnt lgkmcnt(0)
	v_fma_f64 v[2:3], v[142:143], v[118:119], v[2:3]
	scratch_load_b128 v[140:143], off, off offset:320
	s_waitcnt vmcnt(4)
	v_fma_f64 v[2:3], v[136:137], v[120:121], v[2:3]
	ds_load_2addr_b64 v[118:121], v1 offset0:89 offset1:90
	scratch_load_b128 v[134:137], off, off offset:336
	s_waitcnt lgkmcnt(0)
	v_fma_f64 v[2:3], v[138:139], v[118:119], v[2:3]
	s_waitcnt vmcnt(4)
	s_delay_alu instid0(VALU_DEP_1)
	v_fma_f64 v[2:3], v[122:123], v[120:121], v[2:3]
	ds_load_2addr_b64 v[118:121], v1 offset0:91 offset1:92
	s_waitcnt lgkmcnt(0)
	v_fma_f64 v[2:3], v[124:125], v[118:119], v[2:3]
	scratch_load_b128 v[122:125], off, off offset:352
	s_waitcnt vmcnt(4)
	v_fma_f64 v[2:3], v[126:127], v[120:121], v[2:3]
	ds_load_2addr_b64 v[118:121], v1 offset0:93 offset1:94
	s_waitcnt lgkmcnt(0)
	v_fma_f64 v[2:3], v[128:129], v[118:119], v[2:3]
	scratch_load_b128 v[126:129], off, off offset:368
	s_waitcnt vmcnt(4)
	v_fma_f64 v[2:3], v[130:131], v[120:121], v[2:3]
	ds_load_2addr_b64 v[118:121], v1 offset0:95 offset1:96
	s_waitcnt lgkmcnt(0)
	v_fma_f64 v[2:3], v[132:133], v[118:119], v[2:3]
	scratch_load_b128 v[130:133], off, off offset:384
	s_waitcnt vmcnt(4)
	v_fma_f64 v[2:3], v[140:141], v[120:121], v[2:3]
	ds_load_2addr_b64 v[118:121], v1 offset0:97 offset1:98
	scratch_load_b128 v[138:141], off, off offset:400
	s_waitcnt lgkmcnt(0)
	v_fma_f64 v[2:3], v[142:143], v[118:119], v[2:3]
	s_waitcnt vmcnt(4)
	s_delay_alu instid0(VALU_DEP_1)
	v_fma_f64 v[2:3], v[134:135], v[120:121], v[2:3]
	ds_load_2addr_b64 v[118:121], v1 offset0:99 offset1:100
	s_waitcnt lgkmcnt(0)
	v_fma_f64 v[2:3], v[136:137], v[118:119], v[2:3]
	scratch_load_b128 v[134:137], off, off offset:416
	s_waitcnt vmcnt(4)
	v_fma_f64 v[2:3], v[122:123], v[120:121], v[2:3]
	ds_load_2addr_b64 v[118:121], v1 offset0:101 offset1:102
	scratch_load_b64 v[122:123], off, off offset:432
	s_waitcnt lgkmcnt(0)
	v_fma_f64 v[2:3], v[124:125], v[118:119], v[2:3]
	s_waitcnt vmcnt(4)
	s_delay_alu instid0(VALU_DEP_1) | instskip(SKIP_4) | instid1(VALU_DEP_1)
	v_fma_f64 v[2:3], v[126:127], v[120:121], v[2:3]
	ds_load_2addr_b64 v[118:121], v1 offset0:103 offset1:104
	s_waitcnt lgkmcnt(0)
	v_fma_f64 v[2:3], v[128:129], v[118:119], v[2:3]
	s_waitcnt vmcnt(3)
	v_fma_f64 v[2:3], v[130:131], v[120:121], v[2:3]
	ds_load_2addr_b64 v[118:121], v1 offset0:105 offset1:106
	s_waitcnt lgkmcnt(0)
	v_fma_f64 v[2:3], v[132:133], v[118:119], v[2:3]
	s_waitcnt vmcnt(2)
	s_delay_alu instid0(VALU_DEP_1) | instskip(SKIP_4) | instid1(VALU_DEP_1)
	v_fma_f64 v[2:3], v[138:139], v[120:121], v[2:3]
	ds_load_2addr_b64 v[118:121], v1 offset0:107 offset1:108
	s_waitcnt lgkmcnt(0)
	v_fma_f64 v[2:3], v[140:141], v[118:119], v[2:3]
	s_waitcnt vmcnt(1)
	v_fma_f64 v[118:119], v[134:135], v[120:121], v[2:3]
	ds_load_2addr_b64 v[1:4], v1 offset0:109 offset1:110
	s_waitcnt lgkmcnt(0)
	v_fma_f64 v[1:2], v[136:137], v[1:2], v[118:119]
	s_waitcnt vmcnt(0)
	s_delay_alu instid0(VALU_DEP_1) | instskip(NEXT) | instid1(VALU_DEP_1)
	v_fma_f64 v[1:2], v[122:123], v[3:4], v[1:2]
	v_add_f64 v[1:2], v[116:117], -v[1:2]
	scratch_store_b64 off, v[1:2], off offset:160
	v_cmpx_lt_u32_e32 19, v0
	s_cbranch_execz .LBB118_301
; %bb.300:
	scratch_load_b64 v[1:2], off, off offset:152
	v_mov_b32_e32 v3, 0
	s_delay_alu instid0(VALU_DEP_1)
	v_mov_b32_e32 v4, v3
	scratch_store_b64 off, v[3:4], off offset:152
	s_waitcnt vmcnt(0)
	ds_store_b64 v5, v[1:2]
.LBB118_301:
	s_or_b32 exec_lo, exec_lo, s0
	s_waitcnt lgkmcnt(0)
	s_waitcnt_vscnt null, 0x0
	s_barrier
	buffer_gl0_inv
	s_clause 0x4
	scratch_load_b128 v[116:119], off, off offset:152
	scratch_load_b128 v[120:123], off, off offset:168
	scratch_load_b128 v[124:127], off, off offset:184
	scratch_load_b128 v[128:131], off, off offset:200
	scratch_load_b128 v[132:135], off, off offset:216
	v_mov_b32_e32 v1, 0
	scratch_load_b128 v[140:143], off, off offset:232
	s_mov_b32 s0, exec_lo
	ds_load_b128 v[136:139], v1 offset:608
	s_waitcnt vmcnt(5) lgkmcnt(0)
	v_fma_f64 v[2:3], v[118:119], v[136:137], 0
	s_waitcnt vmcnt(4)
	s_delay_alu instid0(VALU_DEP_1)
	v_fma_f64 v[2:3], v[120:121], v[138:139], v[2:3]
	scratch_load_b128 v[136:139], off, off offset:248
	ds_load_b128 v[118:121], v1 offset:624
	s_waitcnt lgkmcnt(0)
	v_fma_f64 v[2:3], v[122:123], v[118:119], v[2:3]
	s_waitcnt vmcnt(4)
	s_delay_alu instid0(VALU_DEP_1)
	v_fma_f64 v[2:3], v[124:125], v[120:121], v[2:3]
	ds_load_b128 v[118:121], v1 offset:640
	scratch_load_b128 v[122:125], off, off offset:264
	s_waitcnt lgkmcnt(0)
	v_fma_f64 v[2:3], v[126:127], v[118:119], v[2:3]
	s_waitcnt vmcnt(4)
	s_delay_alu instid0(VALU_DEP_1)
	v_fma_f64 v[2:3], v[128:129], v[120:121], v[2:3]
	scratch_load_b128 v[126:129], off, off offset:280
	ds_load_b128 v[118:121], v1 offset:656
	s_waitcnt lgkmcnt(0)
	v_fma_f64 v[2:3], v[130:131], v[118:119], v[2:3]
	s_waitcnt vmcnt(4)
	s_delay_alu instid0(VALU_DEP_1)
	v_fma_f64 v[2:3], v[132:133], v[120:121], v[2:3]
	ds_load_b128 v[118:121], v1 offset:672
	scratch_load_b128 v[130:133], off, off offset:296
	s_waitcnt lgkmcnt(0)
	v_fma_f64 v[2:3], v[134:135], v[118:119], v[2:3]
	s_waitcnt vmcnt(4)
	s_delay_alu instid0(VALU_DEP_1)
	v_fma_f64 v[2:3], v[140:141], v[120:121], v[2:3]
	ds_load_b128 v[118:121], v1 offset:688
	s_waitcnt lgkmcnt(0)
	v_fma_f64 v[2:3], v[142:143], v[118:119], v[2:3]
	scratch_load_b128 v[140:143], off, off offset:312
	s_waitcnt vmcnt(4)
	v_fma_f64 v[2:3], v[136:137], v[120:121], v[2:3]
	ds_load_b128 v[118:121], v1 offset:704
	scratch_load_b128 v[134:137], off, off offset:328
	s_waitcnt lgkmcnt(0)
	v_fma_f64 v[2:3], v[138:139], v[118:119], v[2:3]
	s_waitcnt vmcnt(4)
	s_delay_alu instid0(VALU_DEP_1)
	v_fma_f64 v[2:3], v[122:123], v[120:121], v[2:3]
	ds_load_b128 v[118:121], v1 offset:720
	s_waitcnt lgkmcnt(0)
	v_fma_f64 v[2:3], v[124:125], v[118:119], v[2:3]
	scratch_load_b128 v[122:125], off, off offset:344
	s_waitcnt vmcnt(4)
	v_fma_f64 v[2:3], v[126:127], v[120:121], v[2:3]
	ds_load_b128 v[118:121], v1 offset:736
	s_waitcnt lgkmcnt(0)
	v_fma_f64 v[2:3], v[128:129], v[118:119], v[2:3]
	scratch_load_b128 v[126:129], off, off offset:360
	s_waitcnt vmcnt(4)
	;; [unrolled: 6-line block ×3, first 2 shown]
	v_fma_f64 v[2:3], v[140:141], v[120:121], v[2:3]
	ds_load_b128 v[118:121], v1 offset:768
	scratch_load_b128 v[138:141], off, off offset:392
	s_waitcnt lgkmcnt(0)
	v_fma_f64 v[2:3], v[142:143], v[118:119], v[2:3]
	s_waitcnt vmcnt(4)
	s_delay_alu instid0(VALU_DEP_1)
	v_fma_f64 v[2:3], v[134:135], v[120:121], v[2:3]
	ds_load_b128 v[118:121], v1 offset:784
	s_waitcnt lgkmcnt(0)
	v_fma_f64 v[2:3], v[136:137], v[118:119], v[2:3]
	scratch_load_b128 v[134:137], off, off offset:408
	s_waitcnt vmcnt(4)
	v_fma_f64 v[2:3], v[122:123], v[120:121], v[2:3]
	ds_load_b128 v[118:121], v1 offset:800
	s_waitcnt lgkmcnt(0)
	v_fma_f64 v[2:3], v[124:125], v[118:119], v[2:3]
	scratch_load_b128 v[122:125], off, off offset:424
	s_waitcnt vmcnt(4)
	v_fma_f64 v[2:3], v[126:127], v[120:121], v[2:3]
	ds_load_b128 v[118:121], v1 offset:816
	s_waitcnt lgkmcnt(0)
	v_fma_f64 v[2:3], v[128:129], v[118:119], v[2:3]
	s_waitcnt vmcnt(3)
	s_delay_alu instid0(VALU_DEP_1) | instskip(SKIP_4) | instid1(VALU_DEP_1)
	v_fma_f64 v[2:3], v[130:131], v[120:121], v[2:3]
	ds_load_b128 v[118:121], v1 offset:832
	s_waitcnt lgkmcnt(0)
	v_fma_f64 v[2:3], v[132:133], v[118:119], v[2:3]
	s_waitcnt vmcnt(2)
	v_fma_f64 v[2:3], v[138:139], v[120:121], v[2:3]
	ds_load_b128 v[118:121], v1 offset:848
	s_waitcnt lgkmcnt(0)
	v_fma_f64 v[2:3], v[140:141], v[118:119], v[2:3]
	s_waitcnt vmcnt(1)
	s_delay_alu instid0(VALU_DEP_1)
	v_fma_f64 v[2:3], v[134:135], v[120:121], v[2:3]
	ds_load_b128 v[118:121], v1 offset:864
	s_waitcnt lgkmcnt(0)
	v_fma_f64 v[2:3], v[136:137], v[118:119], v[2:3]
	ds_load_b64 v[118:119], v1 offset:880
	s_waitcnt vmcnt(0)
	v_fma_f64 v[2:3], v[122:123], v[120:121], v[2:3]
	s_waitcnt lgkmcnt(0)
	s_delay_alu instid0(VALU_DEP_1) | instskip(NEXT) | instid1(VALU_DEP_1)
	v_fma_f64 v[2:3], v[124:125], v[118:119], v[2:3]
	v_add_f64 v[2:3], v[116:117], -v[2:3]
	scratch_store_b64 off, v[2:3], off offset:152
	v_cmpx_lt_u32_e32 18, v0
	s_cbranch_execz .LBB118_303
; %bb.302:
	scratch_load_b64 v[3:4], off, off offset:144
	v_mov_b32_e32 v2, v1
	scratch_store_b64 off, v[1:2], off offset:144
	s_waitcnt vmcnt(0)
	ds_store_b64 v5, v[3:4]
.LBB118_303:
	s_or_b32 exec_lo, exec_lo, s0
	s_waitcnt lgkmcnt(0)
	s_waitcnt_vscnt null, 0x0
	s_barrier
	buffer_gl0_inv
	s_clause 0x4
	scratch_load_b128 v[116:119], off, off offset:144
	scratch_load_b128 v[120:123], off, off offset:160
	;; [unrolled: 1-line block ×5, first 2 shown]
	ds_load_2addr_b64 v[136:139], v1 offset0:75 offset1:76
	scratch_load_b128 v[140:143], off, off offset:224
	s_mov_b32 s0, exec_lo
	s_waitcnt vmcnt(5) lgkmcnt(0)
	v_fma_f64 v[2:3], v[118:119], v[136:137], 0
	s_waitcnt vmcnt(4)
	s_delay_alu instid0(VALU_DEP_1)
	v_fma_f64 v[2:3], v[120:121], v[138:139], v[2:3]
	scratch_load_b128 v[136:139], off, off offset:240
	ds_load_2addr_b64 v[118:121], v1 offset0:77 offset1:78
	s_waitcnt lgkmcnt(0)
	v_fma_f64 v[2:3], v[122:123], v[118:119], v[2:3]
	s_waitcnt vmcnt(4)
	s_delay_alu instid0(VALU_DEP_1)
	v_fma_f64 v[2:3], v[124:125], v[120:121], v[2:3]
	ds_load_2addr_b64 v[118:121], v1 offset0:79 offset1:80
	scratch_load_b128 v[122:125], off, off offset:256
	s_waitcnt lgkmcnt(0)
	v_fma_f64 v[2:3], v[126:127], v[118:119], v[2:3]
	s_waitcnt vmcnt(4)
	s_delay_alu instid0(VALU_DEP_1)
	v_fma_f64 v[2:3], v[128:129], v[120:121], v[2:3]
	scratch_load_b128 v[126:129], off, off offset:272
	ds_load_2addr_b64 v[118:121], v1 offset0:81 offset1:82
	s_waitcnt lgkmcnt(0)
	v_fma_f64 v[2:3], v[130:131], v[118:119], v[2:3]
	s_waitcnt vmcnt(4)
	s_delay_alu instid0(VALU_DEP_1)
	v_fma_f64 v[2:3], v[132:133], v[120:121], v[2:3]
	ds_load_2addr_b64 v[118:121], v1 offset0:83 offset1:84
	scratch_load_b128 v[130:133], off, off offset:288
	s_waitcnt lgkmcnt(0)
	v_fma_f64 v[2:3], v[134:135], v[118:119], v[2:3]
	s_waitcnt vmcnt(4)
	s_delay_alu instid0(VALU_DEP_1)
	v_fma_f64 v[2:3], v[140:141], v[120:121], v[2:3]
	ds_load_2addr_b64 v[118:121], v1 offset0:85 offset1:86
	s_waitcnt lgkmcnt(0)
	v_fma_f64 v[2:3], v[142:143], v[118:119], v[2:3]
	scratch_load_b128 v[140:143], off, off offset:304
	s_waitcnt vmcnt(4)
	v_fma_f64 v[2:3], v[136:137], v[120:121], v[2:3]
	ds_load_2addr_b64 v[118:121], v1 offset0:87 offset1:88
	scratch_load_b128 v[134:137], off, off offset:320
	s_waitcnt lgkmcnt(0)
	v_fma_f64 v[2:3], v[138:139], v[118:119], v[2:3]
	s_waitcnt vmcnt(4)
	s_delay_alu instid0(VALU_DEP_1)
	v_fma_f64 v[2:3], v[122:123], v[120:121], v[2:3]
	ds_load_2addr_b64 v[118:121], v1 offset0:89 offset1:90
	s_waitcnt lgkmcnt(0)
	v_fma_f64 v[2:3], v[124:125], v[118:119], v[2:3]
	scratch_load_b128 v[122:125], off, off offset:336
	s_waitcnt vmcnt(4)
	v_fma_f64 v[2:3], v[126:127], v[120:121], v[2:3]
	ds_load_2addr_b64 v[118:121], v1 offset0:91 offset1:92
	s_waitcnt lgkmcnt(0)
	v_fma_f64 v[2:3], v[128:129], v[118:119], v[2:3]
	scratch_load_b128 v[126:129], off, off offset:352
	s_waitcnt vmcnt(4)
	;; [unrolled: 6-line block ×3, first 2 shown]
	v_fma_f64 v[2:3], v[140:141], v[120:121], v[2:3]
	ds_load_2addr_b64 v[118:121], v1 offset0:95 offset1:96
	scratch_load_b128 v[138:141], off, off offset:384
	s_waitcnt lgkmcnt(0)
	v_fma_f64 v[2:3], v[142:143], v[118:119], v[2:3]
	s_waitcnt vmcnt(4)
	s_delay_alu instid0(VALU_DEP_1)
	v_fma_f64 v[2:3], v[134:135], v[120:121], v[2:3]
	ds_load_2addr_b64 v[118:121], v1 offset0:97 offset1:98
	s_waitcnt lgkmcnt(0)
	v_fma_f64 v[2:3], v[136:137], v[118:119], v[2:3]
	scratch_load_b128 v[134:137], off, off offset:400
	s_waitcnt vmcnt(4)
	v_fma_f64 v[2:3], v[122:123], v[120:121], v[2:3]
	ds_load_2addr_b64 v[118:121], v1 offset0:99 offset1:100
	s_waitcnt lgkmcnt(0)
	v_fma_f64 v[2:3], v[124:125], v[118:119], v[2:3]
	scratch_load_b128 v[122:125], off, off offset:416
	s_waitcnt vmcnt(4)
	v_fma_f64 v[2:3], v[126:127], v[120:121], v[2:3]
	scratch_load_b64 v[126:127], off, off offset:432
	ds_load_2addr_b64 v[118:121], v1 offset0:101 offset1:102
	s_waitcnt lgkmcnt(0)
	v_fma_f64 v[2:3], v[128:129], v[118:119], v[2:3]
	s_waitcnt vmcnt(4)
	s_delay_alu instid0(VALU_DEP_1) | instskip(SKIP_4) | instid1(VALU_DEP_1)
	v_fma_f64 v[2:3], v[130:131], v[120:121], v[2:3]
	ds_load_2addr_b64 v[118:121], v1 offset0:103 offset1:104
	s_waitcnt lgkmcnt(0)
	v_fma_f64 v[2:3], v[132:133], v[118:119], v[2:3]
	s_waitcnt vmcnt(3)
	v_fma_f64 v[2:3], v[138:139], v[120:121], v[2:3]
	ds_load_2addr_b64 v[118:121], v1 offset0:105 offset1:106
	s_waitcnt lgkmcnt(0)
	v_fma_f64 v[2:3], v[140:141], v[118:119], v[2:3]
	s_waitcnt vmcnt(2)
	s_delay_alu instid0(VALU_DEP_1) | instskip(SKIP_4) | instid1(VALU_DEP_1)
	v_fma_f64 v[2:3], v[134:135], v[120:121], v[2:3]
	ds_load_2addr_b64 v[118:121], v1 offset0:107 offset1:108
	s_waitcnt lgkmcnt(0)
	v_fma_f64 v[2:3], v[136:137], v[118:119], v[2:3]
	s_waitcnt vmcnt(1)
	v_fma_f64 v[118:119], v[122:123], v[120:121], v[2:3]
	ds_load_2addr_b64 v[1:4], v1 offset0:109 offset1:110
	s_waitcnt lgkmcnt(0)
	v_fma_f64 v[1:2], v[124:125], v[1:2], v[118:119]
	s_waitcnt vmcnt(0)
	s_delay_alu instid0(VALU_DEP_1) | instskip(NEXT) | instid1(VALU_DEP_1)
	v_fma_f64 v[1:2], v[126:127], v[3:4], v[1:2]
	v_add_f64 v[1:2], v[116:117], -v[1:2]
	scratch_store_b64 off, v[1:2], off offset:144
	v_cmpx_lt_u32_e32 17, v0
	s_cbranch_execz .LBB118_305
; %bb.304:
	scratch_load_b64 v[1:2], off, off offset:136
	v_mov_b32_e32 v3, 0
	s_delay_alu instid0(VALU_DEP_1)
	v_mov_b32_e32 v4, v3
	scratch_store_b64 off, v[3:4], off offset:136
	s_waitcnt vmcnt(0)
	ds_store_b64 v5, v[1:2]
.LBB118_305:
	s_or_b32 exec_lo, exec_lo, s0
	s_waitcnt lgkmcnt(0)
	s_waitcnt_vscnt null, 0x0
	s_barrier
	buffer_gl0_inv
	s_clause 0x4
	scratch_load_b128 v[116:119], off, off offset:136
	scratch_load_b128 v[120:123], off, off offset:152
	;; [unrolled: 1-line block ×5, first 2 shown]
	v_mov_b32_e32 v1, 0
	scratch_load_b128 v[140:143], off, off offset:216
	s_mov_b32 s0, exec_lo
	ds_load_b128 v[136:139], v1 offset:592
	s_waitcnt vmcnt(5) lgkmcnt(0)
	v_fma_f64 v[2:3], v[118:119], v[136:137], 0
	s_waitcnt vmcnt(4)
	s_delay_alu instid0(VALU_DEP_1)
	v_fma_f64 v[2:3], v[120:121], v[138:139], v[2:3]
	scratch_load_b128 v[136:139], off, off offset:232
	ds_load_b128 v[118:121], v1 offset:608
	s_waitcnt lgkmcnt(0)
	v_fma_f64 v[2:3], v[122:123], v[118:119], v[2:3]
	s_waitcnt vmcnt(4)
	s_delay_alu instid0(VALU_DEP_1)
	v_fma_f64 v[2:3], v[124:125], v[120:121], v[2:3]
	ds_load_b128 v[118:121], v1 offset:624
	scratch_load_b128 v[122:125], off, off offset:248
	s_waitcnt lgkmcnt(0)
	v_fma_f64 v[2:3], v[126:127], v[118:119], v[2:3]
	s_waitcnt vmcnt(4)
	s_delay_alu instid0(VALU_DEP_1)
	v_fma_f64 v[2:3], v[128:129], v[120:121], v[2:3]
	scratch_load_b128 v[126:129], off, off offset:264
	ds_load_b128 v[118:121], v1 offset:640
	s_waitcnt lgkmcnt(0)
	v_fma_f64 v[2:3], v[130:131], v[118:119], v[2:3]
	s_waitcnt vmcnt(4)
	s_delay_alu instid0(VALU_DEP_1)
	v_fma_f64 v[2:3], v[132:133], v[120:121], v[2:3]
	ds_load_b128 v[118:121], v1 offset:656
	scratch_load_b128 v[130:133], off, off offset:280
	s_waitcnt lgkmcnt(0)
	v_fma_f64 v[2:3], v[134:135], v[118:119], v[2:3]
	s_waitcnt vmcnt(4)
	s_delay_alu instid0(VALU_DEP_1)
	v_fma_f64 v[2:3], v[140:141], v[120:121], v[2:3]
	ds_load_b128 v[118:121], v1 offset:672
	s_waitcnt lgkmcnt(0)
	v_fma_f64 v[2:3], v[142:143], v[118:119], v[2:3]
	scratch_load_b128 v[140:143], off, off offset:296
	s_waitcnt vmcnt(4)
	v_fma_f64 v[2:3], v[136:137], v[120:121], v[2:3]
	ds_load_b128 v[118:121], v1 offset:688
	scratch_load_b128 v[134:137], off, off offset:312
	s_waitcnt lgkmcnt(0)
	v_fma_f64 v[2:3], v[138:139], v[118:119], v[2:3]
	s_waitcnt vmcnt(4)
	s_delay_alu instid0(VALU_DEP_1)
	v_fma_f64 v[2:3], v[122:123], v[120:121], v[2:3]
	ds_load_b128 v[118:121], v1 offset:704
	s_waitcnt lgkmcnt(0)
	v_fma_f64 v[2:3], v[124:125], v[118:119], v[2:3]
	scratch_load_b128 v[122:125], off, off offset:328
	s_waitcnt vmcnt(4)
	v_fma_f64 v[2:3], v[126:127], v[120:121], v[2:3]
	ds_load_b128 v[118:121], v1 offset:720
	s_waitcnt lgkmcnt(0)
	v_fma_f64 v[2:3], v[128:129], v[118:119], v[2:3]
	scratch_load_b128 v[126:129], off, off offset:344
	s_waitcnt vmcnt(4)
	;; [unrolled: 6-line block ×3, first 2 shown]
	v_fma_f64 v[2:3], v[140:141], v[120:121], v[2:3]
	ds_load_b128 v[118:121], v1 offset:752
	scratch_load_b128 v[138:141], off, off offset:376
	s_waitcnt lgkmcnt(0)
	v_fma_f64 v[2:3], v[142:143], v[118:119], v[2:3]
	s_waitcnt vmcnt(4)
	s_delay_alu instid0(VALU_DEP_1)
	v_fma_f64 v[2:3], v[134:135], v[120:121], v[2:3]
	ds_load_b128 v[118:121], v1 offset:768
	s_waitcnt lgkmcnt(0)
	v_fma_f64 v[2:3], v[136:137], v[118:119], v[2:3]
	scratch_load_b128 v[134:137], off, off offset:392
	s_waitcnt vmcnt(4)
	v_fma_f64 v[2:3], v[122:123], v[120:121], v[2:3]
	ds_load_b128 v[118:121], v1 offset:784
	s_waitcnt lgkmcnt(0)
	v_fma_f64 v[2:3], v[124:125], v[118:119], v[2:3]
	scratch_load_b128 v[122:125], off, off offset:408
	s_waitcnt vmcnt(4)
	;; [unrolled: 6-line block ×3, first 2 shown]
	v_fma_f64 v[2:3], v[130:131], v[120:121], v[2:3]
	ds_load_b128 v[118:121], v1 offset:816
	s_waitcnt lgkmcnt(0)
	v_fma_f64 v[2:3], v[132:133], v[118:119], v[2:3]
	s_waitcnt vmcnt(3)
	s_delay_alu instid0(VALU_DEP_1) | instskip(SKIP_4) | instid1(VALU_DEP_1)
	v_fma_f64 v[2:3], v[138:139], v[120:121], v[2:3]
	ds_load_b128 v[118:121], v1 offset:832
	s_waitcnt lgkmcnt(0)
	v_fma_f64 v[2:3], v[140:141], v[118:119], v[2:3]
	s_waitcnt vmcnt(2)
	v_fma_f64 v[2:3], v[134:135], v[120:121], v[2:3]
	ds_load_b128 v[118:121], v1 offset:848
	s_waitcnt lgkmcnt(0)
	v_fma_f64 v[2:3], v[136:137], v[118:119], v[2:3]
	s_waitcnt vmcnt(1)
	s_delay_alu instid0(VALU_DEP_1)
	v_fma_f64 v[2:3], v[122:123], v[120:121], v[2:3]
	ds_load_b128 v[118:121], v1 offset:864
	s_waitcnt lgkmcnt(0)
	v_fma_f64 v[2:3], v[124:125], v[118:119], v[2:3]
	ds_load_b64 v[118:119], v1 offset:880
	s_waitcnt vmcnt(0)
	v_fma_f64 v[2:3], v[126:127], v[120:121], v[2:3]
	s_waitcnt lgkmcnt(0)
	s_delay_alu instid0(VALU_DEP_1) | instskip(NEXT) | instid1(VALU_DEP_1)
	v_fma_f64 v[2:3], v[128:129], v[118:119], v[2:3]
	v_add_f64 v[2:3], v[116:117], -v[2:3]
	scratch_store_b64 off, v[2:3], off offset:136
	v_cmpx_lt_u32_e32 16, v0
	s_cbranch_execz .LBB118_307
; %bb.306:
	scratch_load_b64 v[3:4], off, off offset:128
	v_mov_b32_e32 v2, v1
	scratch_store_b64 off, v[1:2], off offset:128
	s_waitcnt vmcnt(0)
	ds_store_b64 v5, v[3:4]
.LBB118_307:
	s_or_b32 exec_lo, exec_lo, s0
	s_waitcnt lgkmcnt(0)
	s_waitcnt_vscnt null, 0x0
	s_barrier
	buffer_gl0_inv
	s_clause 0x4
	scratch_load_b128 v[116:119], off, off offset:128
	scratch_load_b128 v[120:123], off, off offset:144
	;; [unrolled: 1-line block ×5, first 2 shown]
	ds_load_2addr_b64 v[136:139], v1 offset0:73 offset1:74
	scratch_load_b128 v[140:143], off, off offset:208
	s_mov_b32 s0, exec_lo
	s_waitcnt vmcnt(5) lgkmcnt(0)
	v_fma_f64 v[2:3], v[118:119], v[136:137], 0
	s_waitcnt vmcnt(4)
	s_delay_alu instid0(VALU_DEP_1)
	v_fma_f64 v[2:3], v[120:121], v[138:139], v[2:3]
	scratch_load_b128 v[136:139], off, off offset:224
	ds_load_2addr_b64 v[118:121], v1 offset0:75 offset1:76
	s_waitcnt lgkmcnt(0)
	v_fma_f64 v[2:3], v[122:123], v[118:119], v[2:3]
	s_waitcnt vmcnt(4)
	s_delay_alu instid0(VALU_DEP_1)
	v_fma_f64 v[2:3], v[124:125], v[120:121], v[2:3]
	ds_load_2addr_b64 v[118:121], v1 offset0:77 offset1:78
	scratch_load_b128 v[122:125], off, off offset:240
	s_waitcnt lgkmcnt(0)
	v_fma_f64 v[2:3], v[126:127], v[118:119], v[2:3]
	s_waitcnt vmcnt(4)
	s_delay_alu instid0(VALU_DEP_1)
	v_fma_f64 v[2:3], v[128:129], v[120:121], v[2:3]
	scratch_load_b128 v[126:129], off, off offset:256
	ds_load_2addr_b64 v[118:121], v1 offset0:79 offset1:80
	s_waitcnt lgkmcnt(0)
	v_fma_f64 v[2:3], v[130:131], v[118:119], v[2:3]
	s_waitcnt vmcnt(4)
	s_delay_alu instid0(VALU_DEP_1)
	v_fma_f64 v[2:3], v[132:133], v[120:121], v[2:3]
	ds_load_2addr_b64 v[118:121], v1 offset0:81 offset1:82
	scratch_load_b128 v[130:133], off, off offset:272
	s_waitcnt lgkmcnt(0)
	v_fma_f64 v[2:3], v[134:135], v[118:119], v[2:3]
	s_waitcnt vmcnt(4)
	s_delay_alu instid0(VALU_DEP_1)
	v_fma_f64 v[2:3], v[140:141], v[120:121], v[2:3]
	ds_load_2addr_b64 v[118:121], v1 offset0:83 offset1:84
	s_waitcnt lgkmcnt(0)
	v_fma_f64 v[2:3], v[142:143], v[118:119], v[2:3]
	scratch_load_b128 v[140:143], off, off offset:288
	s_waitcnt vmcnt(4)
	v_fma_f64 v[2:3], v[136:137], v[120:121], v[2:3]
	ds_load_2addr_b64 v[118:121], v1 offset0:85 offset1:86
	scratch_load_b128 v[134:137], off, off offset:304
	s_waitcnt lgkmcnt(0)
	v_fma_f64 v[2:3], v[138:139], v[118:119], v[2:3]
	s_waitcnt vmcnt(4)
	s_delay_alu instid0(VALU_DEP_1)
	v_fma_f64 v[2:3], v[122:123], v[120:121], v[2:3]
	ds_load_2addr_b64 v[118:121], v1 offset0:87 offset1:88
	s_waitcnt lgkmcnt(0)
	v_fma_f64 v[2:3], v[124:125], v[118:119], v[2:3]
	scratch_load_b128 v[122:125], off, off offset:320
	s_waitcnt vmcnt(4)
	v_fma_f64 v[2:3], v[126:127], v[120:121], v[2:3]
	ds_load_2addr_b64 v[118:121], v1 offset0:89 offset1:90
	s_waitcnt lgkmcnt(0)
	v_fma_f64 v[2:3], v[128:129], v[118:119], v[2:3]
	scratch_load_b128 v[126:129], off, off offset:336
	s_waitcnt vmcnt(4)
	;; [unrolled: 6-line block ×3, first 2 shown]
	v_fma_f64 v[2:3], v[140:141], v[120:121], v[2:3]
	ds_load_2addr_b64 v[118:121], v1 offset0:93 offset1:94
	scratch_load_b128 v[138:141], off, off offset:368
	s_waitcnt lgkmcnt(0)
	v_fma_f64 v[2:3], v[142:143], v[118:119], v[2:3]
	s_waitcnt vmcnt(4)
	s_delay_alu instid0(VALU_DEP_1)
	v_fma_f64 v[2:3], v[134:135], v[120:121], v[2:3]
	ds_load_2addr_b64 v[118:121], v1 offset0:95 offset1:96
	s_waitcnt lgkmcnt(0)
	v_fma_f64 v[2:3], v[136:137], v[118:119], v[2:3]
	scratch_load_b128 v[134:137], off, off offset:384
	s_waitcnt vmcnt(4)
	v_fma_f64 v[2:3], v[122:123], v[120:121], v[2:3]
	ds_load_2addr_b64 v[118:121], v1 offset0:97 offset1:98
	s_waitcnt lgkmcnt(0)
	v_fma_f64 v[2:3], v[124:125], v[118:119], v[2:3]
	scratch_load_b128 v[122:125], off, off offset:400
	s_waitcnt vmcnt(4)
	;; [unrolled: 6-line block ×3, first 2 shown]
	v_fma_f64 v[2:3], v[130:131], v[120:121], v[2:3]
	ds_load_2addr_b64 v[118:121], v1 offset0:101 offset1:102
	scratch_load_b64 v[130:131], off, off offset:432
	s_waitcnt lgkmcnt(0)
	v_fma_f64 v[2:3], v[132:133], v[118:119], v[2:3]
	s_waitcnt vmcnt(4)
	s_delay_alu instid0(VALU_DEP_1) | instskip(SKIP_4) | instid1(VALU_DEP_1)
	v_fma_f64 v[2:3], v[138:139], v[120:121], v[2:3]
	ds_load_2addr_b64 v[118:121], v1 offset0:103 offset1:104
	s_waitcnt lgkmcnt(0)
	v_fma_f64 v[2:3], v[140:141], v[118:119], v[2:3]
	s_waitcnt vmcnt(3)
	v_fma_f64 v[2:3], v[134:135], v[120:121], v[2:3]
	ds_load_2addr_b64 v[118:121], v1 offset0:105 offset1:106
	s_waitcnt lgkmcnt(0)
	v_fma_f64 v[2:3], v[136:137], v[118:119], v[2:3]
	s_waitcnt vmcnt(2)
	s_delay_alu instid0(VALU_DEP_1) | instskip(SKIP_4) | instid1(VALU_DEP_1)
	v_fma_f64 v[2:3], v[122:123], v[120:121], v[2:3]
	ds_load_2addr_b64 v[118:121], v1 offset0:107 offset1:108
	s_waitcnt lgkmcnt(0)
	v_fma_f64 v[2:3], v[124:125], v[118:119], v[2:3]
	s_waitcnt vmcnt(1)
	v_fma_f64 v[118:119], v[126:127], v[120:121], v[2:3]
	ds_load_2addr_b64 v[1:4], v1 offset0:109 offset1:110
	s_waitcnt lgkmcnt(0)
	v_fma_f64 v[1:2], v[128:129], v[1:2], v[118:119]
	s_waitcnt vmcnt(0)
	s_delay_alu instid0(VALU_DEP_1) | instskip(NEXT) | instid1(VALU_DEP_1)
	v_fma_f64 v[1:2], v[130:131], v[3:4], v[1:2]
	v_add_f64 v[1:2], v[116:117], -v[1:2]
	scratch_store_b64 off, v[1:2], off offset:128
	v_cmpx_lt_u32_e32 15, v0
	s_cbranch_execz .LBB118_309
; %bb.308:
	scratch_load_b64 v[1:2], off, off offset:120
	v_mov_b32_e32 v3, 0
	s_delay_alu instid0(VALU_DEP_1)
	v_mov_b32_e32 v4, v3
	scratch_store_b64 off, v[3:4], off offset:120
	s_waitcnt vmcnt(0)
	ds_store_b64 v5, v[1:2]
.LBB118_309:
	s_or_b32 exec_lo, exec_lo, s0
	s_waitcnt lgkmcnt(0)
	s_waitcnt_vscnt null, 0x0
	s_barrier
	buffer_gl0_inv
	s_clause 0x4
	scratch_load_b128 v[116:119], off, off offset:120
	scratch_load_b128 v[120:123], off, off offset:136
	;; [unrolled: 1-line block ×5, first 2 shown]
	v_mov_b32_e32 v1, 0
	scratch_load_b128 v[140:143], off, off offset:200
	s_mov_b32 s0, exec_lo
	ds_load_b128 v[136:139], v1 offset:576
	s_waitcnt vmcnt(5) lgkmcnt(0)
	v_fma_f64 v[2:3], v[118:119], v[136:137], 0
	s_waitcnt vmcnt(4)
	s_delay_alu instid0(VALU_DEP_1)
	v_fma_f64 v[2:3], v[120:121], v[138:139], v[2:3]
	scratch_load_b128 v[136:139], off, off offset:216
	ds_load_b128 v[118:121], v1 offset:592
	s_waitcnt lgkmcnt(0)
	v_fma_f64 v[2:3], v[122:123], v[118:119], v[2:3]
	s_waitcnt vmcnt(4)
	s_delay_alu instid0(VALU_DEP_1)
	v_fma_f64 v[2:3], v[124:125], v[120:121], v[2:3]
	ds_load_b128 v[118:121], v1 offset:608
	scratch_load_b128 v[122:125], off, off offset:232
	s_waitcnt lgkmcnt(0)
	v_fma_f64 v[2:3], v[126:127], v[118:119], v[2:3]
	s_waitcnt vmcnt(4)
	s_delay_alu instid0(VALU_DEP_1)
	v_fma_f64 v[2:3], v[128:129], v[120:121], v[2:3]
	scratch_load_b128 v[126:129], off, off offset:248
	ds_load_b128 v[118:121], v1 offset:624
	s_waitcnt lgkmcnt(0)
	v_fma_f64 v[2:3], v[130:131], v[118:119], v[2:3]
	s_waitcnt vmcnt(4)
	s_delay_alu instid0(VALU_DEP_1)
	v_fma_f64 v[2:3], v[132:133], v[120:121], v[2:3]
	ds_load_b128 v[118:121], v1 offset:640
	scratch_load_b128 v[130:133], off, off offset:264
	s_waitcnt lgkmcnt(0)
	v_fma_f64 v[2:3], v[134:135], v[118:119], v[2:3]
	s_waitcnt vmcnt(4)
	s_delay_alu instid0(VALU_DEP_1)
	v_fma_f64 v[2:3], v[140:141], v[120:121], v[2:3]
	ds_load_b128 v[118:121], v1 offset:656
	s_waitcnt lgkmcnt(0)
	v_fma_f64 v[2:3], v[142:143], v[118:119], v[2:3]
	scratch_load_b128 v[140:143], off, off offset:280
	s_waitcnt vmcnt(4)
	v_fma_f64 v[2:3], v[136:137], v[120:121], v[2:3]
	ds_load_b128 v[118:121], v1 offset:672
	scratch_load_b128 v[134:137], off, off offset:296
	s_waitcnt lgkmcnt(0)
	v_fma_f64 v[2:3], v[138:139], v[118:119], v[2:3]
	s_waitcnt vmcnt(4)
	s_delay_alu instid0(VALU_DEP_1)
	v_fma_f64 v[2:3], v[122:123], v[120:121], v[2:3]
	ds_load_b128 v[118:121], v1 offset:688
	s_waitcnt lgkmcnt(0)
	v_fma_f64 v[2:3], v[124:125], v[118:119], v[2:3]
	scratch_load_b128 v[122:125], off, off offset:312
	s_waitcnt vmcnt(4)
	v_fma_f64 v[2:3], v[126:127], v[120:121], v[2:3]
	ds_load_b128 v[118:121], v1 offset:704
	s_waitcnt lgkmcnt(0)
	v_fma_f64 v[2:3], v[128:129], v[118:119], v[2:3]
	scratch_load_b128 v[126:129], off, off offset:328
	s_waitcnt vmcnt(4)
	;; [unrolled: 6-line block ×3, first 2 shown]
	v_fma_f64 v[2:3], v[140:141], v[120:121], v[2:3]
	ds_load_b128 v[118:121], v1 offset:736
	scratch_load_b128 v[138:141], off, off offset:360
	s_waitcnt lgkmcnt(0)
	v_fma_f64 v[2:3], v[142:143], v[118:119], v[2:3]
	s_waitcnt vmcnt(4)
	s_delay_alu instid0(VALU_DEP_1)
	v_fma_f64 v[2:3], v[134:135], v[120:121], v[2:3]
	ds_load_b128 v[118:121], v1 offset:752
	s_waitcnt lgkmcnt(0)
	v_fma_f64 v[2:3], v[136:137], v[118:119], v[2:3]
	scratch_load_b128 v[134:137], off, off offset:376
	s_waitcnt vmcnt(4)
	v_fma_f64 v[2:3], v[122:123], v[120:121], v[2:3]
	ds_load_b128 v[118:121], v1 offset:768
	s_waitcnt lgkmcnt(0)
	v_fma_f64 v[2:3], v[124:125], v[118:119], v[2:3]
	scratch_load_b128 v[122:125], off, off offset:392
	s_waitcnt vmcnt(4)
	;; [unrolled: 6-line block ×4, first 2 shown]
	v_fma_f64 v[2:3], v[138:139], v[120:121], v[2:3]
	ds_load_b128 v[118:121], v1 offset:816
	s_waitcnt lgkmcnt(0)
	v_fma_f64 v[2:3], v[140:141], v[118:119], v[2:3]
	s_waitcnt vmcnt(3)
	s_delay_alu instid0(VALU_DEP_1) | instskip(SKIP_4) | instid1(VALU_DEP_1)
	v_fma_f64 v[2:3], v[134:135], v[120:121], v[2:3]
	ds_load_b128 v[118:121], v1 offset:832
	s_waitcnt lgkmcnt(0)
	v_fma_f64 v[2:3], v[136:137], v[118:119], v[2:3]
	s_waitcnt vmcnt(2)
	v_fma_f64 v[2:3], v[122:123], v[120:121], v[2:3]
	ds_load_b128 v[118:121], v1 offset:848
	s_waitcnt lgkmcnt(0)
	v_fma_f64 v[2:3], v[124:125], v[118:119], v[2:3]
	s_waitcnt vmcnt(1)
	s_delay_alu instid0(VALU_DEP_1)
	v_fma_f64 v[2:3], v[126:127], v[120:121], v[2:3]
	ds_load_b128 v[118:121], v1 offset:864
	s_waitcnt lgkmcnt(0)
	v_fma_f64 v[2:3], v[128:129], v[118:119], v[2:3]
	ds_load_b64 v[118:119], v1 offset:880
	s_waitcnt vmcnt(0)
	v_fma_f64 v[2:3], v[130:131], v[120:121], v[2:3]
	s_waitcnt lgkmcnt(0)
	s_delay_alu instid0(VALU_DEP_1) | instskip(NEXT) | instid1(VALU_DEP_1)
	v_fma_f64 v[2:3], v[132:133], v[118:119], v[2:3]
	v_add_f64 v[2:3], v[116:117], -v[2:3]
	scratch_store_b64 off, v[2:3], off offset:120
	v_cmpx_lt_u32_e32 14, v0
	s_cbranch_execz .LBB118_311
; %bb.310:
	scratch_load_b64 v[3:4], off, off offset:112
	v_mov_b32_e32 v2, v1
	scratch_store_b64 off, v[1:2], off offset:112
	s_waitcnt vmcnt(0)
	ds_store_b64 v5, v[3:4]
.LBB118_311:
	s_or_b32 exec_lo, exec_lo, s0
	s_waitcnt lgkmcnt(0)
	s_waitcnt_vscnt null, 0x0
	s_barrier
	buffer_gl0_inv
	s_clause 0x4
	scratch_load_b128 v[116:119], off, off offset:112
	scratch_load_b128 v[120:123], off, off offset:128
	;; [unrolled: 1-line block ×5, first 2 shown]
	ds_load_2addr_b64 v[136:139], v1 offset0:71 offset1:72
	scratch_load_b128 v[140:143], off, off offset:192
	s_mov_b32 s0, exec_lo
	s_waitcnt vmcnt(5) lgkmcnt(0)
	v_fma_f64 v[2:3], v[118:119], v[136:137], 0
	s_waitcnt vmcnt(4)
	s_delay_alu instid0(VALU_DEP_1)
	v_fma_f64 v[2:3], v[120:121], v[138:139], v[2:3]
	scratch_load_b128 v[136:139], off, off offset:208
	ds_load_2addr_b64 v[118:121], v1 offset0:73 offset1:74
	s_waitcnt lgkmcnt(0)
	v_fma_f64 v[2:3], v[122:123], v[118:119], v[2:3]
	s_waitcnt vmcnt(4)
	s_delay_alu instid0(VALU_DEP_1)
	v_fma_f64 v[2:3], v[124:125], v[120:121], v[2:3]
	ds_load_2addr_b64 v[118:121], v1 offset0:75 offset1:76
	scratch_load_b128 v[122:125], off, off offset:224
	s_waitcnt lgkmcnt(0)
	v_fma_f64 v[2:3], v[126:127], v[118:119], v[2:3]
	s_waitcnt vmcnt(4)
	s_delay_alu instid0(VALU_DEP_1)
	v_fma_f64 v[2:3], v[128:129], v[120:121], v[2:3]
	scratch_load_b128 v[126:129], off, off offset:240
	ds_load_2addr_b64 v[118:121], v1 offset0:77 offset1:78
	s_waitcnt lgkmcnt(0)
	v_fma_f64 v[2:3], v[130:131], v[118:119], v[2:3]
	s_waitcnt vmcnt(4)
	s_delay_alu instid0(VALU_DEP_1)
	v_fma_f64 v[2:3], v[132:133], v[120:121], v[2:3]
	ds_load_2addr_b64 v[118:121], v1 offset0:79 offset1:80
	scratch_load_b128 v[130:133], off, off offset:256
	s_waitcnt lgkmcnt(0)
	v_fma_f64 v[2:3], v[134:135], v[118:119], v[2:3]
	s_waitcnt vmcnt(4)
	s_delay_alu instid0(VALU_DEP_1)
	v_fma_f64 v[2:3], v[140:141], v[120:121], v[2:3]
	ds_load_2addr_b64 v[118:121], v1 offset0:81 offset1:82
	s_waitcnt lgkmcnt(0)
	v_fma_f64 v[2:3], v[142:143], v[118:119], v[2:3]
	scratch_load_b128 v[140:143], off, off offset:272
	s_waitcnt vmcnt(4)
	v_fma_f64 v[2:3], v[136:137], v[120:121], v[2:3]
	ds_load_2addr_b64 v[118:121], v1 offset0:83 offset1:84
	scratch_load_b128 v[134:137], off, off offset:288
	s_waitcnt lgkmcnt(0)
	v_fma_f64 v[2:3], v[138:139], v[118:119], v[2:3]
	s_waitcnt vmcnt(4)
	s_delay_alu instid0(VALU_DEP_1)
	v_fma_f64 v[2:3], v[122:123], v[120:121], v[2:3]
	ds_load_2addr_b64 v[118:121], v1 offset0:85 offset1:86
	s_waitcnt lgkmcnt(0)
	v_fma_f64 v[2:3], v[124:125], v[118:119], v[2:3]
	scratch_load_b128 v[122:125], off, off offset:304
	s_waitcnt vmcnt(4)
	v_fma_f64 v[2:3], v[126:127], v[120:121], v[2:3]
	ds_load_2addr_b64 v[118:121], v1 offset0:87 offset1:88
	s_waitcnt lgkmcnt(0)
	v_fma_f64 v[2:3], v[128:129], v[118:119], v[2:3]
	scratch_load_b128 v[126:129], off, off offset:320
	s_waitcnt vmcnt(4)
	;; [unrolled: 6-line block ×3, first 2 shown]
	v_fma_f64 v[2:3], v[140:141], v[120:121], v[2:3]
	ds_load_2addr_b64 v[118:121], v1 offset0:91 offset1:92
	scratch_load_b128 v[138:141], off, off offset:352
	s_waitcnt lgkmcnt(0)
	v_fma_f64 v[2:3], v[142:143], v[118:119], v[2:3]
	s_waitcnt vmcnt(4)
	s_delay_alu instid0(VALU_DEP_1)
	v_fma_f64 v[2:3], v[134:135], v[120:121], v[2:3]
	ds_load_2addr_b64 v[118:121], v1 offset0:93 offset1:94
	s_waitcnt lgkmcnt(0)
	v_fma_f64 v[2:3], v[136:137], v[118:119], v[2:3]
	scratch_load_b128 v[134:137], off, off offset:368
	s_waitcnt vmcnt(4)
	v_fma_f64 v[2:3], v[122:123], v[120:121], v[2:3]
	ds_load_2addr_b64 v[118:121], v1 offset0:95 offset1:96
	s_waitcnt lgkmcnt(0)
	v_fma_f64 v[2:3], v[124:125], v[118:119], v[2:3]
	scratch_load_b128 v[122:125], off, off offset:384
	s_waitcnt vmcnt(4)
	v_fma_f64 v[2:3], v[126:127], v[120:121], v[2:3]
	ds_load_2addr_b64 v[118:121], v1 offset0:97 offset1:98
	s_waitcnt lgkmcnt(0)
	v_fma_f64 v[2:3], v[128:129], v[118:119], v[2:3]
	scratch_load_b128 v[126:129], off, off offset:400
	s_waitcnt vmcnt(4)
	v_fma_f64 v[2:3], v[130:131], v[120:121], v[2:3]
	ds_load_2addr_b64 v[118:121], v1 offset0:99 offset1:100
	s_waitcnt lgkmcnt(0)
	v_fma_f64 v[2:3], v[132:133], v[118:119], v[2:3]
	scratch_load_b128 v[130:133], off, off offset:416
	s_waitcnt vmcnt(4)
	v_fma_f64 v[2:3], v[138:139], v[120:121], v[2:3]
	scratch_load_b64 v[138:139], off, off offset:432
	ds_load_2addr_b64 v[118:121], v1 offset0:101 offset1:102
	s_waitcnt lgkmcnt(0)
	v_fma_f64 v[2:3], v[140:141], v[118:119], v[2:3]
	s_waitcnt vmcnt(4)
	s_delay_alu instid0(VALU_DEP_1) | instskip(SKIP_4) | instid1(VALU_DEP_1)
	v_fma_f64 v[2:3], v[134:135], v[120:121], v[2:3]
	ds_load_2addr_b64 v[118:121], v1 offset0:103 offset1:104
	s_waitcnt lgkmcnt(0)
	v_fma_f64 v[2:3], v[136:137], v[118:119], v[2:3]
	s_waitcnt vmcnt(3)
	v_fma_f64 v[2:3], v[122:123], v[120:121], v[2:3]
	ds_load_2addr_b64 v[118:121], v1 offset0:105 offset1:106
	s_waitcnt lgkmcnt(0)
	v_fma_f64 v[2:3], v[124:125], v[118:119], v[2:3]
	s_waitcnt vmcnt(2)
	s_delay_alu instid0(VALU_DEP_1) | instskip(SKIP_4) | instid1(VALU_DEP_1)
	v_fma_f64 v[2:3], v[126:127], v[120:121], v[2:3]
	ds_load_2addr_b64 v[118:121], v1 offset0:107 offset1:108
	s_waitcnt lgkmcnt(0)
	v_fma_f64 v[2:3], v[128:129], v[118:119], v[2:3]
	s_waitcnt vmcnt(1)
	v_fma_f64 v[118:119], v[130:131], v[120:121], v[2:3]
	ds_load_2addr_b64 v[1:4], v1 offset0:109 offset1:110
	s_waitcnt lgkmcnt(0)
	v_fma_f64 v[1:2], v[132:133], v[1:2], v[118:119]
	s_waitcnt vmcnt(0)
	s_delay_alu instid0(VALU_DEP_1) | instskip(NEXT) | instid1(VALU_DEP_1)
	v_fma_f64 v[1:2], v[138:139], v[3:4], v[1:2]
	v_add_f64 v[1:2], v[116:117], -v[1:2]
	scratch_store_b64 off, v[1:2], off offset:112
	v_cmpx_lt_u32_e32 13, v0
	s_cbranch_execz .LBB118_313
; %bb.312:
	scratch_load_b64 v[1:2], off, off offset:104
	v_mov_b32_e32 v3, 0
	s_delay_alu instid0(VALU_DEP_1)
	v_mov_b32_e32 v4, v3
	scratch_store_b64 off, v[3:4], off offset:104
	s_waitcnt vmcnt(0)
	ds_store_b64 v5, v[1:2]
.LBB118_313:
	s_or_b32 exec_lo, exec_lo, s0
	s_waitcnt lgkmcnt(0)
	s_waitcnt_vscnt null, 0x0
	s_barrier
	buffer_gl0_inv
	s_clause 0x4
	scratch_load_b128 v[116:119], off, off offset:104
	scratch_load_b128 v[120:123], off, off offset:120
	;; [unrolled: 1-line block ×5, first 2 shown]
	v_mov_b32_e32 v1, 0
	scratch_load_b128 v[140:143], off, off offset:184
	s_mov_b32 s0, exec_lo
	ds_load_b128 v[136:139], v1 offset:560
	s_waitcnt vmcnt(5) lgkmcnt(0)
	v_fma_f64 v[2:3], v[118:119], v[136:137], 0
	s_waitcnt vmcnt(4)
	s_delay_alu instid0(VALU_DEP_1)
	v_fma_f64 v[2:3], v[120:121], v[138:139], v[2:3]
	scratch_load_b128 v[136:139], off, off offset:200
	ds_load_b128 v[118:121], v1 offset:576
	s_waitcnt lgkmcnt(0)
	v_fma_f64 v[2:3], v[122:123], v[118:119], v[2:3]
	s_waitcnt vmcnt(4)
	s_delay_alu instid0(VALU_DEP_1)
	v_fma_f64 v[2:3], v[124:125], v[120:121], v[2:3]
	ds_load_b128 v[118:121], v1 offset:592
	scratch_load_b128 v[122:125], off, off offset:216
	s_waitcnt lgkmcnt(0)
	v_fma_f64 v[2:3], v[126:127], v[118:119], v[2:3]
	s_waitcnt vmcnt(4)
	s_delay_alu instid0(VALU_DEP_1)
	v_fma_f64 v[2:3], v[128:129], v[120:121], v[2:3]
	scratch_load_b128 v[126:129], off, off offset:232
	ds_load_b128 v[118:121], v1 offset:608
	s_waitcnt lgkmcnt(0)
	v_fma_f64 v[2:3], v[130:131], v[118:119], v[2:3]
	s_waitcnt vmcnt(4)
	s_delay_alu instid0(VALU_DEP_1)
	v_fma_f64 v[2:3], v[132:133], v[120:121], v[2:3]
	ds_load_b128 v[118:121], v1 offset:624
	scratch_load_b128 v[130:133], off, off offset:248
	s_waitcnt lgkmcnt(0)
	v_fma_f64 v[2:3], v[134:135], v[118:119], v[2:3]
	s_waitcnt vmcnt(4)
	s_delay_alu instid0(VALU_DEP_1)
	v_fma_f64 v[2:3], v[140:141], v[120:121], v[2:3]
	ds_load_b128 v[118:121], v1 offset:640
	s_waitcnt lgkmcnt(0)
	v_fma_f64 v[2:3], v[142:143], v[118:119], v[2:3]
	scratch_load_b128 v[140:143], off, off offset:264
	s_waitcnt vmcnt(4)
	v_fma_f64 v[2:3], v[136:137], v[120:121], v[2:3]
	ds_load_b128 v[118:121], v1 offset:656
	scratch_load_b128 v[134:137], off, off offset:280
	s_waitcnt lgkmcnt(0)
	v_fma_f64 v[2:3], v[138:139], v[118:119], v[2:3]
	s_waitcnt vmcnt(4)
	s_delay_alu instid0(VALU_DEP_1)
	v_fma_f64 v[2:3], v[122:123], v[120:121], v[2:3]
	ds_load_b128 v[118:121], v1 offset:672
	s_waitcnt lgkmcnt(0)
	v_fma_f64 v[2:3], v[124:125], v[118:119], v[2:3]
	scratch_load_b128 v[122:125], off, off offset:296
	s_waitcnt vmcnt(4)
	v_fma_f64 v[2:3], v[126:127], v[120:121], v[2:3]
	ds_load_b128 v[118:121], v1 offset:688
	s_waitcnt lgkmcnt(0)
	v_fma_f64 v[2:3], v[128:129], v[118:119], v[2:3]
	scratch_load_b128 v[126:129], off, off offset:312
	s_waitcnt vmcnt(4)
	;; [unrolled: 6-line block ×3, first 2 shown]
	v_fma_f64 v[2:3], v[140:141], v[120:121], v[2:3]
	ds_load_b128 v[118:121], v1 offset:720
	scratch_load_b128 v[138:141], off, off offset:344
	s_waitcnt lgkmcnt(0)
	v_fma_f64 v[2:3], v[142:143], v[118:119], v[2:3]
	s_waitcnt vmcnt(4)
	s_delay_alu instid0(VALU_DEP_1)
	v_fma_f64 v[2:3], v[134:135], v[120:121], v[2:3]
	ds_load_b128 v[118:121], v1 offset:736
	s_waitcnt lgkmcnt(0)
	v_fma_f64 v[2:3], v[136:137], v[118:119], v[2:3]
	scratch_load_b128 v[134:137], off, off offset:360
	s_waitcnt vmcnt(4)
	v_fma_f64 v[2:3], v[122:123], v[120:121], v[2:3]
	ds_load_b128 v[118:121], v1 offset:752
	s_waitcnt lgkmcnt(0)
	v_fma_f64 v[2:3], v[124:125], v[118:119], v[2:3]
	scratch_load_b128 v[122:125], off, off offset:376
	s_waitcnt vmcnt(4)
	;; [unrolled: 6-line block ×5, first 2 shown]
	v_fma_f64 v[2:3], v[134:135], v[120:121], v[2:3]
	ds_load_b128 v[118:121], v1 offset:816
	s_waitcnt lgkmcnt(0)
	v_fma_f64 v[2:3], v[136:137], v[118:119], v[2:3]
	s_waitcnt vmcnt(3)
	s_delay_alu instid0(VALU_DEP_1) | instskip(SKIP_4) | instid1(VALU_DEP_1)
	v_fma_f64 v[2:3], v[122:123], v[120:121], v[2:3]
	ds_load_b128 v[118:121], v1 offset:832
	s_waitcnt lgkmcnt(0)
	v_fma_f64 v[2:3], v[124:125], v[118:119], v[2:3]
	s_waitcnt vmcnt(2)
	v_fma_f64 v[2:3], v[126:127], v[120:121], v[2:3]
	ds_load_b128 v[118:121], v1 offset:848
	s_waitcnt lgkmcnt(0)
	v_fma_f64 v[2:3], v[128:129], v[118:119], v[2:3]
	s_waitcnt vmcnt(1)
	s_delay_alu instid0(VALU_DEP_1)
	v_fma_f64 v[2:3], v[130:131], v[120:121], v[2:3]
	ds_load_b128 v[118:121], v1 offset:864
	s_waitcnt lgkmcnt(0)
	v_fma_f64 v[2:3], v[132:133], v[118:119], v[2:3]
	ds_load_b64 v[118:119], v1 offset:880
	s_waitcnt vmcnt(0)
	v_fma_f64 v[2:3], v[138:139], v[120:121], v[2:3]
	s_waitcnt lgkmcnt(0)
	s_delay_alu instid0(VALU_DEP_1) | instskip(NEXT) | instid1(VALU_DEP_1)
	v_fma_f64 v[2:3], v[140:141], v[118:119], v[2:3]
	v_add_f64 v[2:3], v[116:117], -v[2:3]
	scratch_store_b64 off, v[2:3], off offset:104
	v_cmpx_lt_u32_e32 12, v0
	s_cbranch_execz .LBB118_315
; %bb.314:
	scratch_load_b64 v[3:4], off, off offset:96
	v_mov_b32_e32 v2, v1
	scratch_store_b64 off, v[1:2], off offset:96
	s_waitcnt vmcnt(0)
	ds_store_b64 v5, v[3:4]
.LBB118_315:
	s_or_b32 exec_lo, exec_lo, s0
	s_waitcnt lgkmcnt(0)
	s_waitcnt_vscnt null, 0x0
	s_barrier
	buffer_gl0_inv
	s_clause 0x4
	scratch_load_b128 v[116:119], off, off offset:96
	scratch_load_b128 v[120:123], off, off offset:112
	scratch_load_b128 v[124:127], off, off offset:128
	scratch_load_b128 v[128:131], off, off offset:144
	scratch_load_b128 v[132:135], off, off offset:160
	ds_load_2addr_b64 v[136:139], v1 offset0:69 offset1:70
	scratch_load_b128 v[140:143], off, off offset:176
	s_mov_b32 s0, exec_lo
	s_waitcnt vmcnt(5) lgkmcnt(0)
	v_fma_f64 v[2:3], v[118:119], v[136:137], 0
	s_waitcnt vmcnt(4)
	s_delay_alu instid0(VALU_DEP_1)
	v_fma_f64 v[2:3], v[120:121], v[138:139], v[2:3]
	scratch_load_b128 v[136:139], off, off offset:192
	ds_load_2addr_b64 v[118:121], v1 offset0:71 offset1:72
	s_waitcnt lgkmcnt(0)
	v_fma_f64 v[2:3], v[122:123], v[118:119], v[2:3]
	s_waitcnt vmcnt(4)
	s_delay_alu instid0(VALU_DEP_1)
	v_fma_f64 v[2:3], v[124:125], v[120:121], v[2:3]
	ds_load_2addr_b64 v[118:121], v1 offset0:73 offset1:74
	scratch_load_b128 v[122:125], off, off offset:208
	s_waitcnt lgkmcnt(0)
	v_fma_f64 v[2:3], v[126:127], v[118:119], v[2:3]
	s_waitcnt vmcnt(4)
	s_delay_alu instid0(VALU_DEP_1)
	v_fma_f64 v[2:3], v[128:129], v[120:121], v[2:3]
	scratch_load_b128 v[126:129], off, off offset:224
	ds_load_2addr_b64 v[118:121], v1 offset0:75 offset1:76
	s_waitcnt lgkmcnt(0)
	v_fma_f64 v[2:3], v[130:131], v[118:119], v[2:3]
	s_waitcnt vmcnt(4)
	s_delay_alu instid0(VALU_DEP_1)
	v_fma_f64 v[2:3], v[132:133], v[120:121], v[2:3]
	ds_load_2addr_b64 v[118:121], v1 offset0:77 offset1:78
	scratch_load_b128 v[130:133], off, off offset:240
	s_waitcnt lgkmcnt(0)
	v_fma_f64 v[2:3], v[134:135], v[118:119], v[2:3]
	s_waitcnt vmcnt(4)
	s_delay_alu instid0(VALU_DEP_1)
	v_fma_f64 v[2:3], v[140:141], v[120:121], v[2:3]
	ds_load_2addr_b64 v[118:121], v1 offset0:79 offset1:80
	s_waitcnt lgkmcnt(0)
	v_fma_f64 v[2:3], v[142:143], v[118:119], v[2:3]
	scratch_load_b128 v[140:143], off, off offset:256
	s_waitcnt vmcnt(4)
	v_fma_f64 v[2:3], v[136:137], v[120:121], v[2:3]
	ds_load_2addr_b64 v[118:121], v1 offset0:81 offset1:82
	scratch_load_b128 v[134:137], off, off offset:272
	s_waitcnt lgkmcnt(0)
	v_fma_f64 v[2:3], v[138:139], v[118:119], v[2:3]
	s_waitcnt vmcnt(4)
	s_delay_alu instid0(VALU_DEP_1)
	v_fma_f64 v[2:3], v[122:123], v[120:121], v[2:3]
	ds_load_2addr_b64 v[118:121], v1 offset0:83 offset1:84
	s_waitcnt lgkmcnt(0)
	v_fma_f64 v[2:3], v[124:125], v[118:119], v[2:3]
	scratch_load_b128 v[122:125], off, off offset:288
	s_waitcnt vmcnt(4)
	v_fma_f64 v[2:3], v[126:127], v[120:121], v[2:3]
	ds_load_2addr_b64 v[118:121], v1 offset0:85 offset1:86
	s_waitcnt lgkmcnt(0)
	v_fma_f64 v[2:3], v[128:129], v[118:119], v[2:3]
	scratch_load_b128 v[126:129], off, off offset:304
	s_waitcnt vmcnt(4)
	;; [unrolled: 6-line block ×3, first 2 shown]
	v_fma_f64 v[2:3], v[140:141], v[120:121], v[2:3]
	ds_load_2addr_b64 v[118:121], v1 offset0:89 offset1:90
	scratch_load_b128 v[138:141], off, off offset:336
	s_waitcnt lgkmcnt(0)
	v_fma_f64 v[2:3], v[142:143], v[118:119], v[2:3]
	s_waitcnt vmcnt(4)
	s_delay_alu instid0(VALU_DEP_1)
	v_fma_f64 v[2:3], v[134:135], v[120:121], v[2:3]
	ds_load_2addr_b64 v[118:121], v1 offset0:91 offset1:92
	s_waitcnt lgkmcnt(0)
	v_fma_f64 v[2:3], v[136:137], v[118:119], v[2:3]
	scratch_load_b128 v[134:137], off, off offset:352
	s_waitcnt vmcnt(4)
	v_fma_f64 v[2:3], v[122:123], v[120:121], v[2:3]
	ds_load_2addr_b64 v[118:121], v1 offset0:93 offset1:94
	s_waitcnt lgkmcnt(0)
	v_fma_f64 v[2:3], v[124:125], v[118:119], v[2:3]
	scratch_load_b128 v[122:125], off, off offset:368
	s_waitcnt vmcnt(4)
	;; [unrolled: 6-line block ×5, first 2 shown]
	v_fma_f64 v[2:3], v[134:135], v[120:121], v[2:3]
	ds_load_2addr_b64 v[118:121], v1 offset0:101 offset1:102
	scratch_load_b64 v[134:135], off, off offset:432
	s_waitcnt lgkmcnt(0)
	v_fma_f64 v[2:3], v[136:137], v[118:119], v[2:3]
	s_waitcnt vmcnt(4)
	s_delay_alu instid0(VALU_DEP_1) | instskip(SKIP_4) | instid1(VALU_DEP_1)
	v_fma_f64 v[2:3], v[122:123], v[120:121], v[2:3]
	ds_load_2addr_b64 v[118:121], v1 offset0:103 offset1:104
	s_waitcnt lgkmcnt(0)
	v_fma_f64 v[2:3], v[124:125], v[118:119], v[2:3]
	s_waitcnt vmcnt(3)
	v_fma_f64 v[2:3], v[126:127], v[120:121], v[2:3]
	ds_load_2addr_b64 v[118:121], v1 offset0:105 offset1:106
	s_waitcnt lgkmcnt(0)
	v_fma_f64 v[2:3], v[128:129], v[118:119], v[2:3]
	s_waitcnt vmcnt(2)
	s_delay_alu instid0(VALU_DEP_1) | instskip(SKIP_4) | instid1(VALU_DEP_1)
	v_fma_f64 v[2:3], v[130:131], v[120:121], v[2:3]
	ds_load_2addr_b64 v[118:121], v1 offset0:107 offset1:108
	s_waitcnt lgkmcnt(0)
	v_fma_f64 v[2:3], v[132:133], v[118:119], v[2:3]
	s_waitcnt vmcnt(1)
	v_fma_f64 v[118:119], v[138:139], v[120:121], v[2:3]
	ds_load_2addr_b64 v[1:4], v1 offset0:109 offset1:110
	s_waitcnt lgkmcnt(0)
	v_fma_f64 v[1:2], v[140:141], v[1:2], v[118:119]
	s_waitcnt vmcnt(0)
	s_delay_alu instid0(VALU_DEP_1) | instskip(NEXT) | instid1(VALU_DEP_1)
	v_fma_f64 v[1:2], v[134:135], v[3:4], v[1:2]
	v_add_f64 v[1:2], v[116:117], -v[1:2]
	scratch_store_b64 off, v[1:2], off offset:96
	v_cmpx_lt_u32_e32 11, v0
	s_cbranch_execz .LBB118_317
; %bb.316:
	scratch_load_b64 v[1:2], off, off offset:88
	v_mov_b32_e32 v3, 0
	s_delay_alu instid0(VALU_DEP_1)
	v_mov_b32_e32 v4, v3
	scratch_store_b64 off, v[3:4], off offset:88
	s_waitcnt vmcnt(0)
	ds_store_b64 v5, v[1:2]
.LBB118_317:
	s_or_b32 exec_lo, exec_lo, s0
	s_waitcnt lgkmcnt(0)
	s_waitcnt_vscnt null, 0x0
	s_barrier
	buffer_gl0_inv
	s_clause 0x4
	scratch_load_b128 v[1:4], off, off offset:88
	scratch_load_b128 v[117:120], off, off offset:104
	;; [unrolled: 1-line block ×5, first 2 shown]
	v_mov_b32_e32 v116, 0
	scratch_load_b128 v[137:140], off, off offset:168
	s_mov_b32 s0, exec_lo
	ds_load_b128 v[133:136], v116 offset:544
	s_waitcnt vmcnt(5) lgkmcnt(0)
	v_fma_f64 v[3:4], v[3:4], v[133:134], 0
	s_waitcnt vmcnt(4)
	s_delay_alu instid0(VALU_DEP_1)
	v_fma_f64 v[3:4], v[117:118], v[135:136], v[3:4]
	ds_load_b128 v[133:136], v116 offset:560
	s_waitcnt lgkmcnt(0)
	v_fma_f64 v[3:4], v[119:120], v[133:134], v[3:4]
	scratch_load_b128 v[117:120], off, off offset:184
	s_waitcnt vmcnt(4)
	v_fma_f64 v[3:4], v[121:122], v[135:136], v[3:4]
	ds_load_b128 v[133:136], v116 offset:576
	s_waitcnt lgkmcnt(0)
	v_fma_f64 v[3:4], v[123:124], v[133:134], v[3:4]
	scratch_load_b128 v[121:124], off, off offset:200
	s_waitcnt vmcnt(4)
	;; [unrolled: 6-line block ×16, first 2 shown]
	v_fma_f64 v[3:4], v[121:122], v[135:136], v[3:4]
	ds_load_b128 v[133:136], v116 offset:816
	s_waitcnt lgkmcnt(0)
	v_fma_f64 v[3:4], v[123:124], v[133:134], v[3:4]
	ds_load_b128 v[121:124], v116 offset:832
	s_waitcnt vmcnt(3)
	v_fma_f64 v[3:4], v[125:126], v[135:136], v[3:4]
	s_waitcnt lgkmcnt(0)
	s_delay_alu instid0(VALU_DEP_1) | instskip(SKIP_1) | instid1(VALU_DEP_1)
	v_fma_f64 v[3:4], v[127:128], v[121:122], v[3:4]
	s_waitcnt vmcnt(2)
	v_fma_f64 v[3:4], v[129:130], v[123:124], v[3:4]
	ds_load_b128 v[121:124], v116 offset:848
	s_waitcnt lgkmcnt(0)
	v_fma_f64 v[3:4], v[131:132], v[121:122], v[3:4]
	s_waitcnt vmcnt(1)
	s_delay_alu instid0(VALU_DEP_1) | instskip(SKIP_4) | instid1(VALU_DEP_1)
	v_fma_f64 v[3:4], v[137:138], v[123:124], v[3:4]
	ds_load_b128 v[121:124], v116 offset:864
	s_waitcnt lgkmcnt(0)
	v_fma_f64 v[3:4], v[139:140], v[121:122], v[3:4]
	s_waitcnt vmcnt(0)
	v_fma_f64 v[3:4], v[117:118], v[123:124], v[3:4]
	ds_load_b64 v[117:118], v116 offset:880
	s_waitcnt lgkmcnt(0)
	v_fma_f64 v[3:4], v[119:120], v[117:118], v[3:4]
	s_delay_alu instid0(VALU_DEP_1)
	v_add_f64 v[1:2], v[1:2], -v[3:4]
	scratch_store_b64 off, v[1:2], off offset:88
	v_cmpx_lt_u32_e32 10, v0
	s_cbranch_execz .LBB118_319
; %bb.318:
	scratch_load_b64 v[1:2], off, off offset:80
	v_mov_b32_e32 v117, v116
	scratch_store_b64 off, v[116:117], off offset:80
	s_waitcnt vmcnt(0)
	ds_store_b64 v5, v[1:2]
.LBB118_319:
	s_or_b32 exec_lo, exec_lo, s0
	s_waitcnt lgkmcnt(0)
	s_waitcnt_vscnt null, 0x0
	s_barrier
	buffer_gl0_inv
	s_clause 0x4
	scratch_load_b128 v[1:4], off, off offset:80
	scratch_load_b128 v[117:120], off, off offset:96
	;; [unrolled: 1-line block ×5, first 2 shown]
	ds_load_2addr_b64 v[133:136], v116 offset0:67 offset1:68
	scratch_load_b128 v[137:140], off, off offset:160
	s_mov_b32 s0, exec_lo
	s_waitcnt vmcnt(5) lgkmcnt(0)
	v_fma_f64 v[3:4], v[3:4], v[133:134], 0
	s_waitcnt vmcnt(4)
	s_delay_alu instid0(VALU_DEP_1)
	v_fma_f64 v[3:4], v[117:118], v[135:136], v[3:4]
	ds_load_2addr_b64 v[133:136], v116 offset0:69 offset1:70
	s_waitcnt lgkmcnt(0)
	v_fma_f64 v[3:4], v[119:120], v[133:134], v[3:4]
	scratch_load_b128 v[117:120], off, off offset:176
	s_waitcnt vmcnt(4)
	v_fma_f64 v[3:4], v[121:122], v[135:136], v[3:4]
	ds_load_2addr_b64 v[133:136], v116 offset0:71 offset1:72
	s_waitcnt lgkmcnt(0)
	v_fma_f64 v[3:4], v[123:124], v[133:134], v[3:4]
	scratch_load_b128 v[121:124], off, off offset:192
	s_waitcnt vmcnt(4)
	;; [unrolled: 6-line block ×16, first 2 shown]
	v_fma_f64 v[3:4], v[121:122], v[135:136], v[3:4]
	ds_load_2addr_b64 v[133:136], v116 offset0:101 offset1:102
	s_waitcnt lgkmcnt(0)
	v_fma_f64 v[3:4], v[123:124], v[133:134], v[3:4]
	scratch_load_b64 v[133:134], off, off offset:432
	ds_load_2addr_b64 v[121:124], v116 offset0:103 offset1:104
	s_waitcnt vmcnt(4)
	v_fma_f64 v[3:4], v[125:126], v[135:136], v[3:4]
	s_waitcnt lgkmcnt(0)
	s_delay_alu instid0(VALU_DEP_1) | instskip(SKIP_1) | instid1(VALU_DEP_1)
	v_fma_f64 v[3:4], v[127:128], v[121:122], v[3:4]
	s_waitcnt vmcnt(3)
	v_fma_f64 v[3:4], v[129:130], v[123:124], v[3:4]
	ds_load_2addr_b64 v[121:124], v116 offset0:105 offset1:106
	s_waitcnt lgkmcnt(0)
	v_fma_f64 v[3:4], v[131:132], v[121:122], v[3:4]
	s_waitcnt vmcnt(2)
	s_delay_alu instid0(VALU_DEP_1) | instskip(SKIP_4) | instid1(VALU_DEP_1)
	v_fma_f64 v[3:4], v[137:138], v[123:124], v[3:4]
	ds_load_2addr_b64 v[121:124], v116 offset0:107 offset1:108
	s_waitcnt lgkmcnt(0)
	v_fma_f64 v[3:4], v[139:140], v[121:122], v[3:4]
	s_waitcnt vmcnt(1)
	v_fma_f64 v[3:4], v[117:118], v[123:124], v[3:4]
	ds_load_2addr_b64 v[121:124], v116 offset0:109 offset1:110
	s_waitcnt lgkmcnt(0)
	v_fma_f64 v[3:4], v[119:120], v[121:122], v[3:4]
	s_waitcnt vmcnt(0)
	s_delay_alu instid0(VALU_DEP_1) | instskip(NEXT) | instid1(VALU_DEP_1)
	v_fma_f64 v[3:4], v[133:134], v[123:124], v[3:4]
	v_add_f64 v[1:2], v[1:2], -v[3:4]
	scratch_store_b64 off, v[1:2], off offset:80
	v_cmpx_lt_u32_e32 9, v0
	s_cbranch_execz .LBB118_321
; %bb.320:
	scratch_load_b64 v[1:2], off, off offset:72
	v_mov_b32_e32 v3, 0
	s_delay_alu instid0(VALU_DEP_1)
	v_mov_b32_e32 v4, v3
	scratch_store_b64 off, v[3:4], off offset:72
	s_waitcnt vmcnt(0)
	ds_store_b64 v5, v[1:2]
.LBB118_321:
	s_or_b32 exec_lo, exec_lo, s0
	s_waitcnt lgkmcnt(0)
	s_waitcnt_vscnt null, 0x0
	s_barrier
	buffer_gl0_inv
	s_clause 0x4
	scratch_load_b128 v[1:4], off, off offset:72
	scratch_load_b128 v[117:120], off, off offset:88
	;; [unrolled: 1-line block ×5, first 2 shown]
	v_mov_b32_e32 v116, 0
	scratch_load_b128 v[137:140], off, off offset:152
	s_mov_b32 s0, exec_lo
	ds_load_b128 v[133:136], v116 offset:528
	s_waitcnt vmcnt(5) lgkmcnt(0)
	v_fma_f64 v[3:4], v[3:4], v[133:134], 0
	s_waitcnt vmcnt(4)
	s_delay_alu instid0(VALU_DEP_1)
	v_fma_f64 v[3:4], v[117:118], v[135:136], v[3:4]
	ds_load_b128 v[133:136], v116 offset:544
	s_waitcnt lgkmcnt(0)
	v_fma_f64 v[3:4], v[119:120], v[133:134], v[3:4]
	scratch_load_b128 v[117:120], off, off offset:168
	s_waitcnt vmcnt(4)
	v_fma_f64 v[3:4], v[121:122], v[135:136], v[3:4]
	ds_load_b128 v[133:136], v116 offset:560
	s_waitcnt lgkmcnt(0)
	v_fma_f64 v[3:4], v[123:124], v[133:134], v[3:4]
	scratch_load_b128 v[121:124], off, off offset:184
	s_waitcnt vmcnt(4)
	;; [unrolled: 6-line block ×17, first 2 shown]
	v_fma_f64 v[3:4], v[125:126], v[135:136], v[3:4]
	ds_load_b128 v[133:136], v116 offset:816
	s_waitcnt lgkmcnt(0)
	v_fma_f64 v[3:4], v[127:128], v[133:134], v[3:4]
	ds_load_b128 v[125:128], v116 offset:832
	s_waitcnt vmcnt(3)
	v_fma_f64 v[3:4], v[129:130], v[135:136], v[3:4]
	s_waitcnt lgkmcnt(0)
	s_delay_alu instid0(VALU_DEP_1) | instskip(SKIP_1) | instid1(VALU_DEP_1)
	v_fma_f64 v[3:4], v[131:132], v[125:126], v[3:4]
	s_waitcnt vmcnt(2)
	v_fma_f64 v[3:4], v[137:138], v[127:128], v[3:4]
	ds_load_b128 v[125:128], v116 offset:848
	s_waitcnt lgkmcnt(0)
	v_fma_f64 v[3:4], v[139:140], v[125:126], v[3:4]
	s_waitcnt vmcnt(1)
	s_delay_alu instid0(VALU_DEP_1)
	v_fma_f64 v[3:4], v[117:118], v[127:128], v[3:4]
	ds_load_b128 v[125:128], v116 offset:864
	ds_load_b64 v[117:118], v116 offset:880
	s_waitcnt lgkmcnt(1)
	v_fma_f64 v[3:4], v[119:120], v[125:126], v[3:4]
	s_waitcnt vmcnt(0)
	s_delay_alu instid0(VALU_DEP_1) | instskip(SKIP_1) | instid1(VALU_DEP_1)
	v_fma_f64 v[3:4], v[121:122], v[127:128], v[3:4]
	s_waitcnt lgkmcnt(0)
	v_fma_f64 v[3:4], v[123:124], v[117:118], v[3:4]
	s_delay_alu instid0(VALU_DEP_1)
	v_add_f64 v[1:2], v[1:2], -v[3:4]
	scratch_store_b64 off, v[1:2], off offset:72
	v_cmpx_lt_u32_e32 8, v0
	s_cbranch_execz .LBB118_323
; %bb.322:
	scratch_load_b64 v[1:2], off, off offset:64
	v_mov_b32_e32 v117, v116
	scratch_store_b64 off, v[116:117], off offset:64
	s_waitcnt vmcnt(0)
	ds_store_b64 v5, v[1:2]
.LBB118_323:
	s_or_b32 exec_lo, exec_lo, s0
	s_waitcnt lgkmcnt(0)
	s_waitcnt_vscnt null, 0x0
	s_barrier
	buffer_gl0_inv
	s_clause 0x4
	scratch_load_b128 v[1:4], off, off offset:64
	scratch_load_b128 v[117:120], off, off offset:80
	;; [unrolled: 1-line block ×5, first 2 shown]
	ds_load_2addr_b64 v[133:136], v116 offset0:65 offset1:66
	scratch_load_b128 v[137:140], off, off offset:144
	s_mov_b32 s0, exec_lo
	s_waitcnt vmcnt(5) lgkmcnt(0)
	v_fma_f64 v[3:4], v[3:4], v[133:134], 0
	s_waitcnt vmcnt(4)
	s_delay_alu instid0(VALU_DEP_1)
	v_fma_f64 v[3:4], v[117:118], v[135:136], v[3:4]
	ds_load_2addr_b64 v[133:136], v116 offset0:67 offset1:68
	s_waitcnt lgkmcnt(0)
	v_fma_f64 v[3:4], v[119:120], v[133:134], v[3:4]
	scratch_load_b128 v[117:120], off, off offset:160
	s_waitcnt vmcnt(4)
	v_fma_f64 v[3:4], v[121:122], v[135:136], v[3:4]
	ds_load_2addr_b64 v[133:136], v116 offset0:69 offset1:70
	s_waitcnt lgkmcnt(0)
	v_fma_f64 v[3:4], v[123:124], v[133:134], v[3:4]
	scratch_load_b128 v[121:124], off, off offset:176
	s_waitcnt vmcnt(4)
	;; [unrolled: 6-line block ×17, first 2 shown]
	v_fma_f64 v[3:4], v[125:126], v[135:136], v[3:4]
	ds_load_2addr_b64 v[133:136], v116 offset0:101 offset1:102
	s_waitcnt lgkmcnt(0)
	v_fma_f64 v[3:4], v[127:128], v[133:134], v[3:4]
	scratch_load_b64 v[133:134], off, off offset:432
	ds_load_2addr_b64 v[125:128], v116 offset0:103 offset1:104
	s_waitcnt vmcnt(4)
	v_fma_f64 v[3:4], v[129:130], v[135:136], v[3:4]
	s_waitcnt lgkmcnt(0)
	s_delay_alu instid0(VALU_DEP_1) | instskip(SKIP_1) | instid1(VALU_DEP_1)
	v_fma_f64 v[3:4], v[131:132], v[125:126], v[3:4]
	s_waitcnt vmcnt(3)
	v_fma_f64 v[3:4], v[137:138], v[127:128], v[3:4]
	ds_load_2addr_b64 v[125:128], v116 offset0:105 offset1:106
	s_waitcnt lgkmcnt(0)
	v_fma_f64 v[3:4], v[139:140], v[125:126], v[3:4]
	s_waitcnt vmcnt(2)
	s_delay_alu instid0(VALU_DEP_1)
	v_fma_f64 v[3:4], v[117:118], v[127:128], v[3:4]
	ds_load_2addr_b64 v[125:128], v116 offset0:107 offset1:108
	s_waitcnt lgkmcnt(0)
	v_fma_f64 v[3:4], v[119:120], v[125:126], v[3:4]
	ds_load_2addr_b64 v[116:119], v116 offset0:109 offset1:110
	s_waitcnt vmcnt(1)
	v_fma_f64 v[3:4], v[121:122], v[127:128], v[3:4]
	s_waitcnt lgkmcnt(0)
	s_delay_alu instid0(VALU_DEP_1) | instskip(SKIP_1) | instid1(VALU_DEP_1)
	v_fma_f64 v[3:4], v[123:124], v[116:117], v[3:4]
	s_waitcnt vmcnt(0)
	v_fma_f64 v[3:4], v[133:134], v[118:119], v[3:4]
	s_delay_alu instid0(VALU_DEP_1)
	v_add_f64 v[1:2], v[1:2], -v[3:4]
	scratch_store_b64 off, v[1:2], off offset:64
	v_cmpx_lt_u32_e32 7, v0
	s_cbranch_execz .LBB118_325
; %bb.324:
	scratch_load_b64 v[1:2], off, off offset:56
	v_mov_b32_e32 v3, 0
	s_delay_alu instid0(VALU_DEP_1)
	v_mov_b32_e32 v4, v3
	scratch_store_b64 off, v[3:4], off offset:56
	s_waitcnt vmcnt(0)
	ds_store_b64 v5, v[1:2]
.LBB118_325:
	s_or_b32 exec_lo, exec_lo, s0
	s_waitcnt lgkmcnt(0)
	s_waitcnt_vscnt null, 0x0
	s_barrier
	buffer_gl0_inv
	s_clause 0x4
	scratch_load_b128 v[1:4], off, off offset:56
	scratch_load_b128 v[117:120], off, off offset:72
	;; [unrolled: 1-line block ×5, first 2 shown]
	v_mov_b32_e32 v116, 0
	scratch_load_b128 v[137:140], off, off offset:136
	s_mov_b32 s0, exec_lo
	ds_load_b128 v[133:136], v116 offset:512
	s_waitcnt vmcnt(5) lgkmcnt(0)
	v_fma_f64 v[3:4], v[3:4], v[133:134], 0
	s_waitcnt vmcnt(4)
	s_delay_alu instid0(VALU_DEP_1)
	v_fma_f64 v[3:4], v[117:118], v[135:136], v[3:4]
	ds_load_b128 v[133:136], v116 offset:528
	s_waitcnt lgkmcnt(0)
	v_fma_f64 v[3:4], v[119:120], v[133:134], v[3:4]
	scratch_load_b128 v[117:120], off, off offset:152
	s_waitcnt vmcnt(4)
	v_fma_f64 v[3:4], v[121:122], v[135:136], v[3:4]
	ds_load_b128 v[133:136], v116 offset:544
	s_waitcnt lgkmcnt(0)
	v_fma_f64 v[3:4], v[123:124], v[133:134], v[3:4]
	scratch_load_b128 v[121:124], off, off offset:168
	s_waitcnt vmcnt(4)
	v_fma_f64 v[3:4], v[125:126], v[135:136], v[3:4]
	ds_load_b128 v[133:136], v116 offset:560
	s_waitcnt lgkmcnt(0)
	v_fma_f64 v[3:4], v[127:128], v[133:134], v[3:4]
	scratch_load_b128 v[125:128], off, off offset:184
	s_waitcnt vmcnt(4)
	v_fma_f64 v[3:4], v[129:130], v[135:136], v[3:4]
	ds_load_b128 v[133:136], v116 offset:576
	s_waitcnt lgkmcnt(0)
	v_fma_f64 v[3:4], v[131:132], v[133:134], v[3:4]
	scratch_load_b128 v[129:132], off, off offset:200
	s_waitcnt vmcnt(4)
	v_fma_f64 v[3:4], v[137:138], v[135:136], v[3:4]
	ds_load_b128 v[133:136], v116 offset:592
	s_waitcnt lgkmcnt(0)
	v_fma_f64 v[3:4], v[139:140], v[133:134], v[3:4]
	scratch_load_b128 v[137:140], off, off offset:216
	s_waitcnt vmcnt(4)
	v_fma_f64 v[3:4], v[117:118], v[135:136], v[3:4]
	ds_load_b128 v[133:136], v116 offset:608
	s_waitcnt lgkmcnt(0)
	v_fma_f64 v[3:4], v[119:120], v[133:134], v[3:4]
	scratch_load_b128 v[117:120], off, off offset:232
	s_waitcnt vmcnt(4)
	v_fma_f64 v[3:4], v[121:122], v[135:136], v[3:4]
	ds_load_b128 v[133:136], v116 offset:624
	s_waitcnt lgkmcnt(0)
	v_fma_f64 v[3:4], v[123:124], v[133:134], v[3:4]
	scratch_load_b128 v[121:124], off, off offset:248
	s_waitcnt vmcnt(4)
	v_fma_f64 v[3:4], v[125:126], v[135:136], v[3:4]
	ds_load_b128 v[133:136], v116 offset:640
	s_waitcnt lgkmcnt(0)
	v_fma_f64 v[3:4], v[127:128], v[133:134], v[3:4]
	scratch_load_b128 v[125:128], off, off offset:264
	s_waitcnt vmcnt(4)
	v_fma_f64 v[3:4], v[129:130], v[135:136], v[3:4]
	ds_load_b128 v[133:136], v116 offset:656
	s_waitcnt lgkmcnt(0)
	v_fma_f64 v[3:4], v[131:132], v[133:134], v[3:4]
	scratch_load_b128 v[129:132], off, off offset:280
	s_waitcnt vmcnt(4)
	v_fma_f64 v[3:4], v[137:138], v[135:136], v[3:4]
	ds_load_b128 v[133:136], v116 offset:672
	s_waitcnt lgkmcnt(0)
	v_fma_f64 v[3:4], v[139:140], v[133:134], v[3:4]
	scratch_load_b128 v[137:140], off, off offset:296
	s_waitcnt vmcnt(4)
	v_fma_f64 v[3:4], v[117:118], v[135:136], v[3:4]
	ds_load_b128 v[133:136], v116 offset:688
	s_waitcnt lgkmcnt(0)
	v_fma_f64 v[3:4], v[119:120], v[133:134], v[3:4]
	scratch_load_b128 v[117:120], off, off offset:312
	s_waitcnt vmcnt(4)
	v_fma_f64 v[3:4], v[121:122], v[135:136], v[3:4]
	ds_load_b128 v[133:136], v116 offset:704
	s_waitcnt lgkmcnt(0)
	v_fma_f64 v[3:4], v[123:124], v[133:134], v[3:4]
	scratch_load_b128 v[121:124], off, off offset:328
	s_waitcnt vmcnt(4)
	v_fma_f64 v[3:4], v[125:126], v[135:136], v[3:4]
	ds_load_b128 v[133:136], v116 offset:720
	s_waitcnt lgkmcnt(0)
	v_fma_f64 v[3:4], v[127:128], v[133:134], v[3:4]
	scratch_load_b128 v[125:128], off, off offset:344
	s_waitcnt vmcnt(4)
	v_fma_f64 v[3:4], v[129:130], v[135:136], v[3:4]
	ds_load_b128 v[133:136], v116 offset:736
	s_waitcnt lgkmcnt(0)
	v_fma_f64 v[3:4], v[131:132], v[133:134], v[3:4]
	scratch_load_b128 v[129:132], off, off offset:360
	s_waitcnt vmcnt(4)
	v_fma_f64 v[3:4], v[137:138], v[135:136], v[3:4]
	ds_load_b128 v[133:136], v116 offset:752
	s_waitcnt lgkmcnt(0)
	v_fma_f64 v[3:4], v[139:140], v[133:134], v[3:4]
	scratch_load_b128 v[137:140], off, off offset:376
	s_waitcnt vmcnt(4)
	v_fma_f64 v[3:4], v[117:118], v[135:136], v[3:4]
	ds_load_b128 v[133:136], v116 offset:768
	s_waitcnt lgkmcnt(0)
	v_fma_f64 v[3:4], v[119:120], v[133:134], v[3:4]
	scratch_load_b128 v[117:120], off, off offset:392
	s_waitcnt vmcnt(4)
	v_fma_f64 v[3:4], v[121:122], v[135:136], v[3:4]
	ds_load_b128 v[133:136], v116 offset:784
	s_waitcnt lgkmcnt(0)
	v_fma_f64 v[3:4], v[123:124], v[133:134], v[3:4]
	scratch_load_b128 v[121:124], off, off offset:408
	s_waitcnt vmcnt(4)
	v_fma_f64 v[3:4], v[125:126], v[135:136], v[3:4]
	ds_load_b128 v[133:136], v116 offset:800
	s_waitcnt lgkmcnt(0)
	v_fma_f64 v[3:4], v[127:128], v[133:134], v[3:4]
	scratch_load_b128 v[125:128], off, off offset:424
	s_waitcnt vmcnt(4)
	v_fma_f64 v[3:4], v[129:130], v[135:136], v[3:4]
	ds_load_b128 v[133:136], v116 offset:816
	s_waitcnt lgkmcnt(0)
	v_fma_f64 v[3:4], v[131:132], v[133:134], v[3:4]
	ds_load_b128 v[129:132], v116 offset:832
	s_waitcnt vmcnt(3)
	v_fma_f64 v[3:4], v[137:138], v[135:136], v[3:4]
	s_waitcnt lgkmcnt(0)
	s_delay_alu instid0(VALU_DEP_1) | instskip(SKIP_1) | instid1(VALU_DEP_1)
	v_fma_f64 v[3:4], v[139:140], v[129:130], v[3:4]
	s_waitcnt vmcnt(2)
	v_fma_f64 v[3:4], v[117:118], v[131:132], v[3:4]
	ds_load_b128 v[129:132], v116 offset:848
	s_waitcnt lgkmcnt(0)
	v_fma_f64 v[3:4], v[119:120], v[129:130], v[3:4]
	ds_load_b128 v[117:120], v116 offset:864
	s_waitcnt vmcnt(1)
	v_fma_f64 v[3:4], v[121:122], v[131:132], v[3:4]
	s_waitcnt lgkmcnt(0)
	s_delay_alu instid0(VALU_DEP_1) | instskip(SKIP_4) | instid1(VALU_DEP_1)
	v_fma_f64 v[3:4], v[123:124], v[117:118], v[3:4]
	ds_load_b64 v[117:118], v116 offset:880
	s_waitcnt vmcnt(0)
	v_fma_f64 v[3:4], v[125:126], v[119:120], v[3:4]
	s_waitcnt lgkmcnt(0)
	v_fma_f64 v[3:4], v[127:128], v[117:118], v[3:4]
	s_delay_alu instid0(VALU_DEP_1)
	v_add_f64 v[1:2], v[1:2], -v[3:4]
	scratch_store_b64 off, v[1:2], off offset:56
	v_cmpx_lt_u32_e32 6, v0
	s_cbranch_execz .LBB118_327
; %bb.326:
	scratch_load_b64 v[1:2], off, off offset:48
	v_mov_b32_e32 v117, v116
	scratch_store_b64 off, v[116:117], off offset:48
	s_waitcnt vmcnt(0)
	ds_store_b64 v5, v[1:2]
.LBB118_327:
	s_or_b32 exec_lo, exec_lo, s0
	s_waitcnt lgkmcnt(0)
	s_waitcnt_vscnt null, 0x0
	s_barrier
	buffer_gl0_inv
	s_clause 0x4
	scratch_load_b128 v[1:4], off, off offset:48
	scratch_load_b128 v[117:120], off, off offset:64
	;; [unrolled: 1-line block ×5, first 2 shown]
	ds_load_2addr_b64 v[133:136], v116 offset0:63 offset1:64
	scratch_load_b128 v[137:140], off, off offset:128
	s_mov_b32 s0, exec_lo
	s_waitcnt vmcnt(5) lgkmcnt(0)
	v_fma_f64 v[3:4], v[3:4], v[133:134], 0
	s_waitcnt vmcnt(4)
	s_delay_alu instid0(VALU_DEP_1)
	v_fma_f64 v[3:4], v[117:118], v[135:136], v[3:4]
	ds_load_2addr_b64 v[133:136], v116 offset0:65 offset1:66
	s_waitcnt lgkmcnt(0)
	v_fma_f64 v[3:4], v[119:120], v[133:134], v[3:4]
	scratch_load_b128 v[117:120], off, off offset:144
	s_waitcnt vmcnt(4)
	v_fma_f64 v[3:4], v[121:122], v[135:136], v[3:4]
	ds_load_2addr_b64 v[133:136], v116 offset0:67 offset1:68
	s_waitcnt lgkmcnt(0)
	v_fma_f64 v[3:4], v[123:124], v[133:134], v[3:4]
	scratch_load_b128 v[121:124], off, off offset:160
	s_waitcnt vmcnt(4)
	;; [unrolled: 6-line block ×18, first 2 shown]
	v_fma_f64 v[3:4], v[129:130], v[135:136], v[3:4]
	ds_load_2addr_b64 v[133:136], v116 offset0:101 offset1:102
	s_waitcnt lgkmcnt(0)
	v_fma_f64 v[3:4], v[131:132], v[133:134], v[3:4]
	scratch_load_b64 v[133:134], off, off offset:432
	ds_load_2addr_b64 v[129:132], v116 offset0:103 offset1:104
	s_waitcnt vmcnt(4)
	v_fma_f64 v[3:4], v[137:138], v[135:136], v[3:4]
	s_waitcnt lgkmcnt(0)
	s_delay_alu instid0(VALU_DEP_1) | instskip(SKIP_1) | instid1(VALU_DEP_1)
	v_fma_f64 v[3:4], v[139:140], v[129:130], v[3:4]
	s_waitcnt vmcnt(3)
	v_fma_f64 v[3:4], v[117:118], v[131:132], v[3:4]
	ds_load_2addr_b64 v[129:132], v116 offset0:105 offset1:106
	s_waitcnt lgkmcnt(0)
	v_fma_f64 v[3:4], v[119:120], v[129:130], v[3:4]
	ds_load_2addr_b64 v[117:120], v116 offset0:107 offset1:108
	s_waitcnt vmcnt(2)
	v_fma_f64 v[3:4], v[121:122], v[131:132], v[3:4]
	s_waitcnt lgkmcnt(0)
	s_delay_alu instid0(VALU_DEP_1) | instskip(SKIP_1) | instid1(VALU_DEP_1)
	v_fma_f64 v[3:4], v[123:124], v[117:118], v[3:4]
	s_waitcnt vmcnt(1)
	v_fma_f64 v[3:4], v[125:126], v[119:120], v[3:4]
	ds_load_2addr_b64 v[116:119], v116 offset0:109 offset1:110
	s_waitcnt lgkmcnt(0)
	v_fma_f64 v[3:4], v[127:128], v[116:117], v[3:4]
	s_waitcnt vmcnt(0)
	s_delay_alu instid0(VALU_DEP_1) | instskip(NEXT) | instid1(VALU_DEP_1)
	v_fma_f64 v[3:4], v[133:134], v[118:119], v[3:4]
	v_add_f64 v[1:2], v[1:2], -v[3:4]
	scratch_store_b64 off, v[1:2], off offset:48
	v_cmpx_lt_u32_e32 5, v0
	s_cbranch_execz .LBB118_329
; %bb.328:
	scratch_load_b64 v[1:2], off, off offset:40
	v_mov_b32_e32 v3, 0
	s_delay_alu instid0(VALU_DEP_1)
	v_mov_b32_e32 v4, v3
	scratch_store_b64 off, v[3:4], off offset:40
	s_waitcnt vmcnt(0)
	ds_store_b64 v5, v[1:2]
.LBB118_329:
	s_or_b32 exec_lo, exec_lo, s0
	s_waitcnt lgkmcnt(0)
	s_waitcnt_vscnt null, 0x0
	s_barrier
	buffer_gl0_inv
	s_clause 0x4
	scratch_load_b128 v[1:4], off, off offset:40
	scratch_load_b128 v[117:120], off, off offset:56
	;; [unrolled: 1-line block ×5, first 2 shown]
	v_mov_b32_e32 v116, 0
	scratch_load_b128 v[137:140], off, off offset:120
	s_mov_b32 s0, exec_lo
	ds_load_b128 v[133:136], v116 offset:496
	s_waitcnt vmcnt(5) lgkmcnt(0)
	v_fma_f64 v[3:4], v[3:4], v[133:134], 0
	s_waitcnt vmcnt(4)
	s_delay_alu instid0(VALU_DEP_1)
	v_fma_f64 v[3:4], v[117:118], v[135:136], v[3:4]
	ds_load_b128 v[133:136], v116 offset:512
	s_waitcnt lgkmcnt(0)
	v_fma_f64 v[3:4], v[119:120], v[133:134], v[3:4]
	scratch_load_b128 v[117:120], off, off offset:136
	s_waitcnt vmcnt(4)
	v_fma_f64 v[3:4], v[121:122], v[135:136], v[3:4]
	ds_load_b128 v[133:136], v116 offset:528
	s_waitcnt lgkmcnt(0)
	v_fma_f64 v[3:4], v[123:124], v[133:134], v[3:4]
	scratch_load_b128 v[121:124], off, off offset:152
	s_waitcnt vmcnt(4)
	;; [unrolled: 6-line block ×19, first 2 shown]
	v_fma_f64 v[3:4], v[137:138], v[135:136], v[3:4]
	ds_load_b128 v[133:136], v116 offset:816
	s_waitcnt lgkmcnt(0)
	v_fma_f64 v[3:4], v[139:140], v[133:134], v[3:4]
	s_waitcnt vmcnt(3)
	s_delay_alu instid0(VALU_DEP_1)
	v_fma_f64 v[3:4], v[117:118], v[135:136], v[3:4]
	ds_load_b128 v[133:136], v116 offset:832
	s_waitcnt lgkmcnt(0)
	v_fma_f64 v[3:4], v[119:120], v[133:134], v[3:4]
	ds_load_b128 v[117:120], v116 offset:848
	s_waitcnt vmcnt(2)
	v_fma_f64 v[3:4], v[121:122], v[135:136], v[3:4]
	s_waitcnt lgkmcnt(0)
	s_delay_alu instid0(VALU_DEP_1) | instskip(SKIP_1) | instid1(VALU_DEP_1)
	v_fma_f64 v[3:4], v[123:124], v[117:118], v[3:4]
	s_waitcnt vmcnt(1)
	v_fma_f64 v[3:4], v[125:126], v[119:120], v[3:4]
	ds_load_b128 v[117:120], v116 offset:864
	s_waitcnt lgkmcnt(0)
	v_fma_f64 v[3:4], v[127:128], v[117:118], v[3:4]
	ds_load_b64 v[117:118], v116 offset:880
	s_waitcnt vmcnt(0)
	v_fma_f64 v[3:4], v[129:130], v[119:120], v[3:4]
	s_waitcnt lgkmcnt(0)
	s_delay_alu instid0(VALU_DEP_1) | instskip(NEXT) | instid1(VALU_DEP_1)
	v_fma_f64 v[3:4], v[131:132], v[117:118], v[3:4]
	v_add_f64 v[1:2], v[1:2], -v[3:4]
	scratch_store_b64 off, v[1:2], off offset:40
	v_cmpx_lt_u32_e32 4, v0
	s_cbranch_execz .LBB118_331
; %bb.330:
	scratch_load_b64 v[1:2], off, off offset:32
	v_mov_b32_e32 v117, v116
	scratch_store_b64 off, v[116:117], off offset:32
	s_waitcnt vmcnt(0)
	ds_store_b64 v5, v[1:2]
.LBB118_331:
	s_or_b32 exec_lo, exec_lo, s0
	s_waitcnt lgkmcnt(0)
	s_waitcnt_vscnt null, 0x0
	s_barrier
	buffer_gl0_inv
	s_clause 0x4
	scratch_load_b128 v[1:4], off, off offset:32
	scratch_load_b128 v[117:120], off, off offset:48
	;; [unrolled: 1-line block ×5, first 2 shown]
	ds_load_2addr_b64 v[133:136], v116 offset0:61 offset1:62
	scratch_load_b128 v[137:140], off, off offset:112
	s_mov_b32 s0, exec_lo
	s_waitcnt vmcnt(5) lgkmcnt(0)
	v_fma_f64 v[3:4], v[3:4], v[133:134], 0
	s_waitcnt vmcnt(4)
	s_delay_alu instid0(VALU_DEP_1)
	v_fma_f64 v[3:4], v[117:118], v[135:136], v[3:4]
	ds_load_2addr_b64 v[133:136], v116 offset0:63 offset1:64
	s_waitcnt lgkmcnt(0)
	v_fma_f64 v[3:4], v[119:120], v[133:134], v[3:4]
	scratch_load_b128 v[117:120], off, off offset:128
	s_waitcnt vmcnt(4)
	v_fma_f64 v[3:4], v[121:122], v[135:136], v[3:4]
	ds_load_2addr_b64 v[133:136], v116 offset0:65 offset1:66
	s_waitcnt lgkmcnt(0)
	v_fma_f64 v[3:4], v[123:124], v[133:134], v[3:4]
	scratch_load_b128 v[121:124], off, off offset:144
	s_waitcnt vmcnt(4)
	;; [unrolled: 6-line block ×19, first 2 shown]
	v_fma_f64 v[3:4], v[137:138], v[135:136], v[3:4]
	ds_load_2addr_b64 v[133:136], v116 offset0:101 offset1:102
	scratch_load_b64 v[137:138], off, off offset:432
	s_waitcnt lgkmcnt(0)
	v_fma_f64 v[3:4], v[139:140], v[133:134], v[3:4]
	s_waitcnt vmcnt(4)
	s_delay_alu instid0(VALU_DEP_1)
	v_fma_f64 v[3:4], v[117:118], v[135:136], v[3:4]
	ds_load_2addr_b64 v[133:136], v116 offset0:103 offset1:104
	s_waitcnt lgkmcnt(0)
	v_fma_f64 v[3:4], v[119:120], v[133:134], v[3:4]
	ds_load_2addr_b64 v[117:120], v116 offset0:105 offset1:106
	s_waitcnt vmcnt(3)
	v_fma_f64 v[3:4], v[121:122], v[135:136], v[3:4]
	s_waitcnt lgkmcnt(0)
	s_delay_alu instid0(VALU_DEP_1) | instskip(SKIP_1) | instid1(VALU_DEP_1)
	v_fma_f64 v[3:4], v[123:124], v[117:118], v[3:4]
	s_waitcnt vmcnt(2)
	v_fma_f64 v[3:4], v[125:126], v[119:120], v[3:4]
	ds_load_2addr_b64 v[117:120], v116 offset0:107 offset1:108
	s_waitcnt lgkmcnt(0)
	v_fma_f64 v[3:4], v[127:128], v[117:118], v[3:4]
	s_waitcnt vmcnt(1)
	s_delay_alu instid0(VALU_DEP_1) | instskip(SKIP_4) | instid1(VALU_DEP_1)
	v_fma_f64 v[3:4], v[129:130], v[119:120], v[3:4]
	ds_load_2addr_b64 v[116:119], v116 offset0:109 offset1:110
	s_waitcnt lgkmcnt(0)
	v_fma_f64 v[3:4], v[131:132], v[116:117], v[3:4]
	s_waitcnt vmcnt(0)
	v_fma_f64 v[3:4], v[137:138], v[118:119], v[3:4]
	s_delay_alu instid0(VALU_DEP_1)
	v_add_f64 v[1:2], v[1:2], -v[3:4]
	scratch_store_b64 off, v[1:2], off offset:32
	v_cmpx_lt_u32_e32 3, v0
	s_cbranch_execz .LBB118_333
; %bb.332:
	scratch_load_b64 v[1:2], off, off offset:24
	v_mov_b32_e32 v3, 0
	s_delay_alu instid0(VALU_DEP_1)
	v_mov_b32_e32 v4, v3
	scratch_store_b64 off, v[3:4], off offset:24
	s_waitcnt vmcnt(0)
	ds_store_b64 v5, v[1:2]
.LBB118_333:
	s_or_b32 exec_lo, exec_lo, s0
	s_waitcnt lgkmcnt(0)
	s_waitcnt_vscnt null, 0x0
	s_barrier
	buffer_gl0_inv
	s_clause 0x4
	scratch_load_b128 v[1:4], off, off offset:24
	scratch_load_b128 v[117:120], off, off offset:40
	;; [unrolled: 1-line block ×5, first 2 shown]
	v_mov_b32_e32 v116, 0
	scratch_load_b128 v[137:140], off, off offset:104
	s_mov_b32 s0, exec_lo
	ds_load_b128 v[133:136], v116 offset:480
	s_waitcnt vmcnt(5) lgkmcnt(0)
	v_fma_f64 v[3:4], v[3:4], v[133:134], 0
	s_waitcnt vmcnt(4)
	s_delay_alu instid0(VALU_DEP_1)
	v_fma_f64 v[3:4], v[117:118], v[135:136], v[3:4]
	ds_load_b128 v[133:136], v116 offset:496
	s_waitcnt lgkmcnt(0)
	v_fma_f64 v[3:4], v[119:120], v[133:134], v[3:4]
	scratch_load_b128 v[117:120], off, off offset:120
	s_waitcnt vmcnt(4)
	v_fma_f64 v[3:4], v[121:122], v[135:136], v[3:4]
	ds_load_b128 v[133:136], v116 offset:512
	s_waitcnt lgkmcnt(0)
	v_fma_f64 v[3:4], v[123:124], v[133:134], v[3:4]
	scratch_load_b128 v[121:124], off, off offset:136
	s_waitcnt vmcnt(4)
	;; [unrolled: 6-line block ×20, first 2 shown]
	v_fma_f64 v[3:4], v[117:118], v[135:136], v[3:4]
	ds_load_b128 v[133:136], v116 offset:816
	s_waitcnt lgkmcnt(0)
	v_fma_f64 v[3:4], v[119:120], v[133:134], v[3:4]
	ds_load_b128 v[117:120], v116 offset:832
	s_waitcnt vmcnt(3)
	v_fma_f64 v[3:4], v[121:122], v[135:136], v[3:4]
	s_waitcnt lgkmcnt(0)
	s_delay_alu instid0(VALU_DEP_1) | instskip(SKIP_1) | instid1(VALU_DEP_1)
	v_fma_f64 v[3:4], v[123:124], v[117:118], v[3:4]
	s_waitcnt vmcnt(2)
	v_fma_f64 v[3:4], v[125:126], v[119:120], v[3:4]
	ds_load_b128 v[117:120], v116 offset:848
	s_waitcnt lgkmcnt(0)
	v_fma_f64 v[3:4], v[127:128], v[117:118], v[3:4]
	s_waitcnt vmcnt(1)
	s_delay_alu instid0(VALU_DEP_1)
	v_fma_f64 v[3:4], v[129:130], v[119:120], v[3:4]
	ds_load_b128 v[117:120], v116 offset:864
	s_waitcnt lgkmcnt(0)
	v_fma_f64 v[3:4], v[131:132], v[117:118], v[3:4]
	ds_load_b64 v[117:118], v116 offset:880
	s_waitcnt vmcnt(0)
	v_fma_f64 v[3:4], v[137:138], v[119:120], v[3:4]
	s_waitcnt lgkmcnt(0)
	s_delay_alu instid0(VALU_DEP_1) | instskip(NEXT) | instid1(VALU_DEP_1)
	v_fma_f64 v[3:4], v[139:140], v[117:118], v[3:4]
	v_add_f64 v[1:2], v[1:2], -v[3:4]
	scratch_store_b64 off, v[1:2], off offset:24
	v_cmpx_lt_u32_e32 2, v0
	s_cbranch_execz .LBB118_335
; %bb.334:
	scratch_load_b64 v[1:2], off, off offset:16
	v_mov_b32_e32 v117, v116
	scratch_store_b64 off, v[116:117], off offset:16
	s_waitcnt vmcnt(0)
	ds_store_b64 v5, v[1:2]
.LBB118_335:
	s_or_b32 exec_lo, exec_lo, s0
	s_waitcnt lgkmcnt(0)
	s_waitcnt_vscnt null, 0x0
	s_barrier
	buffer_gl0_inv
	s_clause 0x4
	scratch_load_b128 v[1:4], off, off offset:16
	scratch_load_b128 v[117:120], off, off offset:32
	;; [unrolled: 1-line block ×5, first 2 shown]
	ds_load_2addr_b64 v[133:136], v116 offset0:59 offset1:60
	scratch_load_b128 v[137:140], off, off offset:96
	s_mov_b32 s0, exec_lo
	s_waitcnt vmcnt(5) lgkmcnt(0)
	v_fma_f64 v[3:4], v[3:4], v[133:134], 0
	s_waitcnt vmcnt(4)
	s_delay_alu instid0(VALU_DEP_1)
	v_fma_f64 v[3:4], v[117:118], v[135:136], v[3:4]
	ds_load_2addr_b64 v[133:136], v116 offset0:61 offset1:62
	s_waitcnt lgkmcnt(0)
	v_fma_f64 v[3:4], v[119:120], v[133:134], v[3:4]
	scratch_load_b128 v[117:120], off, off offset:112
	s_waitcnt vmcnt(4)
	v_fma_f64 v[3:4], v[121:122], v[135:136], v[3:4]
	ds_load_2addr_b64 v[133:136], v116 offset0:63 offset1:64
	s_waitcnt lgkmcnt(0)
	v_fma_f64 v[3:4], v[123:124], v[133:134], v[3:4]
	scratch_load_b128 v[121:124], off, off offset:128
	s_waitcnt vmcnt(4)
	;; [unrolled: 6-line block ×20, first 2 shown]
	v_fma_f64 v[3:4], v[117:118], v[135:136], v[3:4]
	ds_load_2addr_b64 v[133:136], v116 offset0:101 offset1:102
	s_waitcnt lgkmcnt(0)
	v_fma_f64 v[3:4], v[119:120], v[133:134], v[3:4]
	scratch_load_b64 v[133:134], off, off offset:432
	ds_load_2addr_b64 v[117:120], v116 offset0:103 offset1:104
	s_waitcnt vmcnt(4)
	v_fma_f64 v[3:4], v[121:122], v[135:136], v[3:4]
	s_waitcnt lgkmcnt(0)
	s_delay_alu instid0(VALU_DEP_1) | instskip(SKIP_1) | instid1(VALU_DEP_1)
	v_fma_f64 v[3:4], v[123:124], v[117:118], v[3:4]
	s_waitcnt vmcnt(3)
	v_fma_f64 v[3:4], v[125:126], v[119:120], v[3:4]
	ds_load_2addr_b64 v[117:120], v116 offset0:105 offset1:106
	s_waitcnt lgkmcnt(0)
	v_fma_f64 v[3:4], v[127:128], v[117:118], v[3:4]
	s_waitcnt vmcnt(2)
	s_delay_alu instid0(VALU_DEP_1) | instskip(SKIP_4) | instid1(VALU_DEP_1)
	v_fma_f64 v[3:4], v[129:130], v[119:120], v[3:4]
	ds_load_2addr_b64 v[117:120], v116 offset0:107 offset1:108
	s_waitcnt lgkmcnt(0)
	v_fma_f64 v[3:4], v[131:132], v[117:118], v[3:4]
	s_waitcnt vmcnt(1)
	v_fma_f64 v[3:4], v[137:138], v[119:120], v[3:4]
	ds_load_2addr_b64 v[116:119], v116 offset0:109 offset1:110
	s_waitcnt lgkmcnt(0)
	v_fma_f64 v[3:4], v[139:140], v[116:117], v[3:4]
	s_waitcnt vmcnt(0)
	s_delay_alu instid0(VALU_DEP_1) | instskip(NEXT) | instid1(VALU_DEP_1)
	v_fma_f64 v[3:4], v[133:134], v[118:119], v[3:4]
	v_add_f64 v[1:2], v[1:2], -v[3:4]
	scratch_store_b64 off, v[1:2], off offset:16
	v_cmpx_lt_u32_e32 1, v0
	s_cbranch_execz .LBB118_337
; %bb.336:
	scratch_load_b64 v[1:2], off, off offset:8
	v_mov_b32_e32 v3, 0
	s_delay_alu instid0(VALU_DEP_1)
	v_mov_b32_e32 v4, v3
	scratch_store_b64 off, v[3:4], off offset:8
	s_waitcnt vmcnt(0)
	ds_store_b64 v5, v[1:2]
.LBB118_337:
	s_or_b32 exec_lo, exec_lo, s0
	s_waitcnt lgkmcnt(0)
	s_waitcnt_vscnt null, 0x0
	s_barrier
	buffer_gl0_inv
	s_clause 0x4
	scratch_load_b128 v[1:4], off, off offset:8
	scratch_load_b128 v[117:120], off, off offset:24
	scratch_load_b128 v[121:124], off, off offset:40
	scratch_load_b128 v[125:128], off, off offset:56
	scratch_load_b128 v[129:132], off, off offset:72
	v_mov_b32_e32 v116, 0
	scratch_load_b128 v[137:140], off, off offset:88
	s_mov_b32 s0, exec_lo
	ds_load_b128 v[133:136], v116 offset:464
	s_waitcnt vmcnt(5) lgkmcnt(0)
	v_fma_f64 v[3:4], v[3:4], v[133:134], 0
	s_waitcnt vmcnt(4)
	s_delay_alu instid0(VALU_DEP_1)
	v_fma_f64 v[3:4], v[117:118], v[135:136], v[3:4]
	ds_load_b128 v[133:136], v116 offset:480
	s_waitcnt lgkmcnt(0)
	v_fma_f64 v[3:4], v[119:120], v[133:134], v[3:4]
	scratch_load_b128 v[117:120], off, off offset:104
	s_waitcnt vmcnt(4)
	v_fma_f64 v[3:4], v[121:122], v[135:136], v[3:4]
	ds_load_b128 v[133:136], v116 offset:496
	s_waitcnt lgkmcnt(0)
	v_fma_f64 v[3:4], v[123:124], v[133:134], v[3:4]
	scratch_load_b128 v[121:124], off, off offset:120
	s_waitcnt vmcnt(4)
	;; [unrolled: 6-line block ×21, first 2 shown]
	v_fma_f64 v[3:4], v[121:122], v[135:136], v[3:4]
	ds_load_b128 v[133:136], v116 offset:816
	s_waitcnt lgkmcnt(0)
	v_fma_f64 v[3:4], v[123:124], v[133:134], v[3:4]
	ds_load_b128 v[121:124], v116 offset:832
	s_waitcnt vmcnt(3)
	v_fma_f64 v[3:4], v[125:126], v[135:136], v[3:4]
	s_waitcnt lgkmcnt(0)
	s_delay_alu instid0(VALU_DEP_1) | instskip(SKIP_1) | instid1(VALU_DEP_1)
	v_fma_f64 v[3:4], v[127:128], v[121:122], v[3:4]
	s_waitcnt vmcnt(2)
	v_fma_f64 v[3:4], v[129:130], v[123:124], v[3:4]
	ds_load_b128 v[121:124], v116 offset:848
	s_waitcnt lgkmcnt(0)
	v_fma_f64 v[3:4], v[131:132], v[121:122], v[3:4]
	s_waitcnt vmcnt(1)
	s_delay_alu instid0(VALU_DEP_1) | instskip(SKIP_4) | instid1(VALU_DEP_1)
	v_fma_f64 v[3:4], v[137:138], v[123:124], v[3:4]
	ds_load_b128 v[121:124], v116 offset:864
	s_waitcnt lgkmcnt(0)
	v_fma_f64 v[3:4], v[139:140], v[121:122], v[3:4]
	s_waitcnt vmcnt(0)
	v_fma_f64 v[3:4], v[117:118], v[123:124], v[3:4]
	ds_load_b64 v[117:118], v116 offset:880
	s_waitcnt lgkmcnt(0)
	v_fma_f64 v[3:4], v[119:120], v[117:118], v[3:4]
	s_delay_alu instid0(VALU_DEP_1)
	v_add_f64 v[1:2], v[1:2], -v[3:4]
	scratch_store_b64 off, v[1:2], off offset:8
	v_cmpx_ne_u32_e32 0, v0
	s_cbranch_execz .LBB118_339
; %bb.338:
	scratch_load_b64 v[0:1], off, off
	v_mov_b32_e32 v117, v116
	scratch_store_b64 off, v[116:117], off
	s_waitcnt vmcnt(0)
	ds_store_b64 v5, v[0:1]
.LBB118_339:
	s_or_b32 exec_lo, exec_lo, s0
	s_waitcnt lgkmcnt(0)
	s_waitcnt_vscnt null, 0x0
	s_barrier
	buffer_gl0_inv
	s_clause 0x4
	scratch_load_b128 v[0:3], off, off
	scratch_load_b128 v[117:120], off, off offset:16
	scratch_load_b128 v[121:124], off, off offset:32
	;; [unrolled: 1-line block ×4, first 2 shown]
	ds_load_2addr_b64 v[133:136], v116 offset0:57 offset1:58
	ds_load_2addr_b64 v[137:140], v116 offset0:59 offset1:60
	s_and_b32 vcc_lo, exec_lo, s12
	s_waitcnt vmcnt(4) lgkmcnt(1)
	v_fma_f64 v[133:134], v[2:3], v[133:134], 0
	scratch_load_b128 v[2:5], off, off offset:80
	s_waitcnt vmcnt(4)
	v_fma_f64 v[117:118], v[117:118], v[135:136], v[133:134]
	s_waitcnt lgkmcnt(0)
	s_delay_alu instid0(VALU_DEP_1)
	v_fma_f64 v[133:134], v[119:120], v[137:138], v[117:118]
	scratch_load_b128 v[117:120], off, off offset:96
	s_waitcnt vmcnt(4)
	v_fma_f64 v[121:122], v[121:122], v[139:140], v[133:134]
	ds_load_2addr_b64 v[133:136], v116 offset0:61 offset1:62
	ds_load_2addr_b64 v[137:140], v116 offset0:63 offset1:64
	s_waitcnt lgkmcnt(1)
	v_fma_f64 v[133:134], v[123:124], v[133:134], v[121:122]
	scratch_load_b128 v[121:124], off, off offset:112
	s_waitcnt vmcnt(4)
	v_fma_f64 v[125:126], v[125:126], v[135:136], v[133:134]
	s_waitcnt lgkmcnt(0)
	s_delay_alu instid0(VALU_DEP_1)
	v_fma_f64 v[133:134], v[127:128], v[137:138], v[125:126]
	scratch_load_b128 v[125:128], off, off offset:128
	s_waitcnt vmcnt(4)
	v_fma_f64 v[129:130], v[129:130], v[139:140], v[133:134]
	ds_load_2addr_b64 v[133:136], v116 offset0:65 offset1:66
	ds_load_2addr_b64 v[137:140], v116 offset0:67 offset1:68
	s_waitcnt lgkmcnt(1)
	;; [unrolled: 13-line block ×9, first 2 shown]
	v_fma_f64 v[133:134], v[127:128], v[133:134], v[125:126]
	scratch_load_b128 v[125:128], off, off offset:368
	s_waitcnt vmcnt(4)
	v_fma_f64 v[129:130], v[129:130], v[135:136], v[133:134]
	s_waitcnt lgkmcnt(0)
	s_delay_alu instid0(VALU_DEP_1)
	v_fma_f64 v[133:134], v[131:132], v[137:138], v[129:130]
	scratch_load_b128 v[129:132], off, off offset:384
	s_waitcnt vmcnt(4)
	v_fma_f64 v[2:3], v[2:3], v[139:140], v[133:134]
	ds_load_2addr_b64 v[133:136], v116 offset0:97 offset1:98
	ds_load_2addr_b64 v[137:140], v116 offset0:99 offset1:100
	scratch_load_b128 v[141:144], off, off offset:400
	s_waitcnt lgkmcnt(1)
	v_fma_f64 v[2:3], v[4:5], v[133:134], v[2:3]
	s_waitcnt vmcnt(4)
	s_delay_alu instid0(VALU_DEP_1) | instskip(SKIP_1) | instid1(VALU_DEP_1)
	v_fma_f64 v[2:3], v[117:118], v[135:136], v[2:3]
	s_waitcnt lgkmcnt(0)
	v_fma_f64 v[117:118], v[119:120], v[137:138], v[2:3]
	scratch_load_b128 v[2:5], off, off offset:416
	s_waitcnt vmcnt(4)
	v_fma_f64 v[121:122], v[121:122], v[139:140], v[117:118]
	ds_load_2addr_b64 v[117:120], v116 offset0:101 offset1:102
	ds_load_2addr_b64 v[133:136], v116 offset0:103 offset1:104
	scratch_load_b64 v[137:138], off, off offset:432
	s_waitcnt lgkmcnt(1)
	v_fma_f64 v[117:118], v[123:124], v[117:118], v[121:122]
	s_waitcnt vmcnt(4)
	s_delay_alu instid0(VALU_DEP_1) | instskip(SKIP_1) | instid1(VALU_DEP_1)
	v_fma_f64 v[117:118], v[125:126], v[119:120], v[117:118]
	s_waitcnt lgkmcnt(0)
	v_fma_f64 v[117:118], v[127:128], v[133:134], v[117:118]
	s_waitcnt vmcnt(3)
	s_delay_alu instid0(VALU_DEP_1)
	v_fma_f64 v[125:126], v[129:130], v[135:136], v[117:118]
	ds_load_2addr_b64 v[117:120], v116 offset0:105 offset1:106
	ds_load_2addr_b64 v[121:124], v116 offset0:107 offset1:108
	s_waitcnt lgkmcnt(1)
	v_fma_f64 v[117:118], v[131:132], v[117:118], v[125:126]
	s_waitcnt vmcnt(2)
	s_delay_alu instid0(VALU_DEP_1) | instskip(SKIP_1) | instid1(VALU_DEP_1)
	v_fma_f64 v[117:118], v[141:142], v[119:120], v[117:118]
	s_waitcnt lgkmcnt(0)
	v_fma_f64 v[117:118], v[143:144], v[121:122], v[117:118]
	s_waitcnt vmcnt(1)
	s_delay_alu instid0(VALU_DEP_1) | instskip(SKIP_4) | instid1(VALU_DEP_1)
	v_fma_f64 v[2:3], v[2:3], v[123:124], v[117:118]
	ds_load_2addr_b64 v[116:119], v116 offset0:109 offset1:110
	s_waitcnt lgkmcnt(0)
	v_fma_f64 v[2:3], v[4:5], v[116:117], v[2:3]
	s_waitcnt vmcnt(0)
	v_fma_f64 v[2:3], v[137:138], v[118:119], v[2:3]
	s_delay_alu instid0(VALU_DEP_1)
	v_add_f64 v[0:1], v[0:1], -v[2:3]
	scratch_store_b64 off, v[0:1], off
	s_cbranch_vccz .LBB118_449
; %bb.340:
	v_dual_mov_b32 v0, s2 :: v_dual_mov_b32 v1, s3
	s_mov_b32 s0, exec_lo
	flat_load_b32 v0, v[0:1] offset:212
	s_waitcnt vmcnt(0) lgkmcnt(0)
	v_cmpx_ne_u32_e32 54, v0
	s_cbranch_execz .LBB118_342
; %bb.341:
	v_lshl_add_u32 v2, v0, 3, 0
	scratch_load_b64 v[0:1], v2, off offset:-8
	s_waitcnt vmcnt(0)
	scratch_store_b64 off, v[0:1], off offset:424
	scratch_store_b64 v2, v[4:5], off offset:-8
.LBB118_342:
	s_or_b32 exec_lo, exec_lo, s0
	v_dual_mov_b32 v0, s2 :: v_dual_mov_b32 v1, s3
	s_mov_b32 s0, exec_lo
	flat_load_b32 v0, v[0:1] offset:208
	s_waitcnt vmcnt(0) lgkmcnt(0)
	v_cmpx_ne_u32_e32 53, v0
	s_cbranch_execz .LBB118_344
; %bb.343:
	v_lshl_add_u32 v4, v0, 3, 0
	scratch_load_b64 v[0:1], v4, off offset:-8
	scratch_load_b64 v[2:3], off, off offset:416
	s_waitcnt vmcnt(1)
	scratch_store_b64 off, v[0:1], off offset:416
	s_waitcnt vmcnt(0)
	scratch_store_b64 v4, v[2:3], off offset:-8
.LBB118_344:
	s_or_b32 exec_lo, exec_lo, s0
	v_dual_mov_b32 v0, s2 :: v_dual_mov_b32 v1, s3
	s_mov_b32 s0, exec_lo
	flat_load_b32 v0, v[0:1] offset:204
	s_waitcnt vmcnt(0) lgkmcnt(0)
	v_cmpx_ne_u32_e32 52, v0
	s_cbranch_execz .LBB118_346
; %bb.345:
	v_lshl_add_u32 v4, v0, 3, 0
	scratch_load_b64 v[0:1], v4, off offset:-8
	scratch_load_b64 v[2:3], off, off offset:408
	s_waitcnt vmcnt(1)
	scratch_store_b64 off, v[0:1], off offset:408
	s_waitcnt vmcnt(0)
	scratch_store_b64 v4, v[2:3], off offset:-8
.LBB118_346:
	s_or_b32 exec_lo, exec_lo, s0
	v_dual_mov_b32 v0, s2 :: v_dual_mov_b32 v1, s3
	s_mov_b32 s0, exec_lo
	flat_load_b32 v0, v[0:1] offset:200
	s_waitcnt vmcnt(0) lgkmcnt(0)
	v_cmpx_ne_u32_e32 51, v0
	s_cbranch_execz .LBB118_348
; %bb.347:
	v_lshl_add_u32 v4, v0, 3, 0
	scratch_load_b64 v[0:1], v4, off offset:-8
	scratch_load_b64 v[2:3], off, off offset:400
	s_waitcnt vmcnt(1)
	scratch_store_b64 off, v[0:1], off offset:400
	s_waitcnt vmcnt(0)
	scratch_store_b64 v4, v[2:3], off offset:-8
.LBB118_348:
	s_or_b32 exec_lo, exec_lo, s0
	v_dual_mov_b32 v0, s2 :: v_dual_mov_b32 v1, s3
	s_mov_b32 s0, exec_lo
	flat_load_b32 v0, v[0:1] offset:196
	s_waitcnt vmcnt(0) lgkmcnt(0)
	v_cmpx_ne_u32_e32 50, v0
	s_cbranch_execz .LBB118_350
; %bb.349:
	v_lshl_add_u32 v4, v0, 3, 0
	scratch_load_b64 v[0:1], v4, off offset:-8
	scratch_load_b64 v[2:3], off, off offset:392
	s_waitcnt vmcnt(1)
	scratch_store_b64 off, v[0:1], off offset:392
	s_waitcnt vmcnt(0)
	scratch_store_b64 v4, v[2:3], off offset:-8
.LBB118_350:
	s_or_b32 exec_lo, exec_lo, s0
	v_dual_mov_b32 v0, s2 :: v_dual_mov_b32 v1, s3
	s_mov_b32 s0, exec_lo
	flat_load_b32 v0, v[0:1] offset:192
	s_waitcnt vmcnt(0) lgkmcnt(0)
	v_cmpx_ne_u32_e32 49, v0
	s_cbranch_execz .LBB118_352
; %bb.351:
	v_lshl_add_u32 v4, v0, 3, 0
	scratch_load_b64 v[0:1], v4, off offset:-8
	scratch_load_b64 v[2:3], off, off offset:384
	s_waitcnt vmcnt(1)
	scratch_store_b64 off, v[0:1], off offset:384
	s_waitcnt vmcnt(0)
	scratch_store_b64 v4, v[2:3], off offset:-8
.LBB118_352:
	s_or_b32 exec_lo, exec_lo, s0
	v_dual_mov_b32 v0, s2 :: v_dual_mov_b32 v1, s3
	s_mov_b32 s0, exec_lo
	flat_load_b32 v0, v[0:1] offset:188
	s_waitcnt vmcnt(0) lgkmcnt(0)
	v_cmpx_ne_u32_e32 48, v0
	s_cbranch_execz .LBB118_354
; %bb.353:
	v_lshl_add_u32 v4, v0, 3, 0
	scratch_load_b64 v[0:1], v4, off offset:-8
	scratch_load_b64 v[2:3], off, off offset:376
	s_waitcnt vmcnt(1)
	scratch_store_b64 off, v[0:1], off offset:376
	s_waitcnt vmcnt(0)
	scratch_store_b64 v4, v[2:3], off offset:-8
.LBB118_354:
	s_or_b32 exec_lo, exec_lo, s0
	v_dual_mov_b32 v0, s2 :: v_dual_mov_b32 v1, s3
	s_mov_b32 s0, exec_lo
	flat_load_b32 v0, v[0:1] offset:184
	s_waitcnt vmcnt(0) lgkmcnt(0)
	v_cmpx_ne_u32_e32 47, v0
	s_cbranch_execz .LBB118_356
; %bb.355:
	v_lshl_add_u32 v4, v0, 3, 0
	scratch_load_b64 v[0:1], v4, off offset:-8
	scratch_load_b64 v[2:3], off, off offset:368
	s_waitcnt vmcnt(1)
	scratch_store_b64 off, v[0:1], off offset:368
	s_waitcnt vmcnt(0)
	scratch_store_b64 v4, v[2:3], off offset:-8
.LBB118_356:
	s_or_b32 exec_lo, exec_lo, s0
	v_dual_mov_b32 v0, s2 :: v_dual_mov_b32 v1, s3
	s_mov_b32 s0, exec_lo
	flat_load_b32 v0, v[0:1] offset:180
	s_waitcnt vmcnt(0) lgkmcnt(0)
	v_cmpx_ne_u32_e32 46, v0
	s_cbranch_execz .LBB118_358
; %bb.357:
	v_lshl_add_u32 v4, v0, 3, 0
	scratch_load_b64 v[0:1], v4, off offset:-8
	scratch_load_b64 v[2:3], off, off offset:360
	s_waitcnt vmcnt(1)
	scratch_store_b64 off, v[0:1], off offset:360
	s_waitcnt vmcnt(0)
	scratch_store_b64 v4, v[2:3], off offset:-8
.LBB118_358:
	s_or_b32 exec_lo, exec_lo, s0
	v_dual_mov_b32 v0, s2 :: v_dual_mov_b32 v1, s3
	s_mov_b32 s0, exec_lo
	flat_load_b32 v0, v[0:1] offset:176
	s_waitcnt vmcnt(0) lgkmcnt(0)
	v_cmpx_ne_u32_e32 45, v0
	s_cbranch_execz .LBB118_360
; %bb.359:
	v_lshl_add_u32 v4, v0, 3, 0
	scratch_load_b64 v[0:1], v4, off offset:-8
	scratch_load_b64 v[2:3], off, off offset:352
	s_waitcnt vmcnt(1)
	scratch_store_b64 off, v[0:1], off offset:352
	s_waitcnt vmcnt(0)
	scratch_store_b64 v4, v[2:3], off offset:-8
.LBB118_360:
	s_or_b32 exec_lo, exec_lo, s0
	v_dual_mov_b32 v0, s2 :: v_dual_mov_b32 v1, s3
	s_mov_b32 s0, exec_lo
	flat_load_b32 v0, v[0:1] offset:172
	s_waitcnt vmcnt(0) lgkmcnt(0)
	v_cmpx_ne_u32_e32 44, v0
	s_cbranch_execz .LBB118_362
; %bb.361:
	v_lshl_add_u32 v4, v0, 3, 0
	scratch_load_b64 v[0:1], v4, off offset:-8
	scratch_load_b64 v[2:3], off, off offset:344
	s_waitcnt vmcnt(1)
	scratch_store_b64 off, v[0:1], off offset:344
	s_waitcnt vmcnt(0)
	scratch_store_b64 v4, v[2:3], off offset:-8
.LBB118_362:
	s_or_b32 exec_lo, exec_lo, s0
	v_dual_mov_b32 v0, s2 :: v_dual_mov_b32 v1, s3
	s_mov_b32 s0, exec_lo
	flat_load_b32 v0, v[0:1] offset:168
	s_waitcnt vmcnt(0) lgkmcnt(0)
	v_cmpx_ne_u32_e32 43, v0
	s_cbranch_execz .LBB118_364
; %bb.363:
	v_lshl_add_u32 v4, v0, 3, 0
	scratch_load_b64 v[0:1], v4, off offset:-8
	scratch_load_b64 v[2:3], off, off offset:336
	s_waitcnt vmcnt(1)
	scratch_store_b64 off, v[0:1], off offset:336
	s_waitcnt vmcnt(0)
	scratch_store_b64 v4, v[2:3], off offset:-8
.LBB118_364:
	s_or_b32 exec_lo, exec_lo, s0
	v_dual_mov_b32 v0, s2 :: v_dual_mov_b32 v1, s3
	s_mov_b32 s0, exec_lo
	flat_load_b32 v0, v[0:1] offset:164
	s_waitcnt vmcnt(0) lgkmcnt(0)
	v_cmpx_ne_u32_e32 42, v0
	s_cbranch_execz .LBB118_366
; %bb.365:
	v_lshl_add_u32 v4, v0, 3, 0
	scratch_load_b64 v[0:1], v4, off offset:-8
	scratch_load_b64 v[2:3], off, off offset:328
	s_waitcnt vmcnt(1)
	scratch_store_b64 off, v[0:1], off offset:328
	s_waitcnt vmcnt(0)
	scratch_store_b64 v4, v[2:3], off offset:-8
.LBB118_366:
	s_or_b32 exec_lo, exec_lo, s0
	v_dual_mov_b32 v0, s2 :: v_dual_mov_b32 v1, s3
	s_mov_b32 s0, exec_lo
	flat_load_b32 v0, v[0:1] offset:160
	s_waitcnt vmcnt(0) lgkmcnt(0)
	v_cmpx_ne_u32_e32 41, v0
	s_cbranch_execz .LBB118_368
; %bb.367:
	v_lshl_add_u32 v4, v0, 3, 0
	scratch_load_b64 v[0:1], v4, off offset:-8
	scratch_load_b64 v[2:3], off, off offset:320
	s_waitcnt vmcnt(1)
	scratch_store_b64 off, v[0:1], off offset:320
	s_waitcnt vmcnt(0)
	scratch_store_b64 v4, v[2:3], off offset:-8
.LBB118_368:
	s_or_b32 exec_lo, exec_lo, s0
	v_dual_mov_b32 v0, s2 :: v_dual_mov_b32 v1, s3
	s_mov_b32 s0, exec_lo
	flat_load_b32 v0, v[0:1] offset:156
	s_waitcnt vmcnt(0) lgkmcnt(0)
	v_cmpx_ne_u32_e32 40, v0
	s_cbranch_execz .LBB118_370
; %bb.369:
	v_lshl_add_u32 v4, v0, 3, 0
	scratch_load_b64 v[0:1], v4, off offset:-8
	scratch_load_b64 v[2:3], off, off offset:312
	s_waitcnt vmcnt(1)
	scratch_store_b64 off, v[0:1], off offset:312
	s_waitcnt vmcnt(0)
	scratch_store_b64 v4, v[2:3], off offset:-8
.LBB118_370:
	s_or_b32 exec_lo, exec_lo, s0
	v_dual_mov_b32 v0, s2 :: v_dual_mov_b32 v1, s3
	s_mov_b32 s0, exec_lo
	flat_load_b32 v0, v[0:1] offset:152
	s_waitcnt vmcnt(0) lgkmcnt(0)
	v_cmpx_ne_u32_e32 39, v0
	s_cbranch_execz .LBB118_372
; %bb.371:
	v_lshl_add_u32 v4, v0, 3, 0
	scratch_load_b64 v[0:1], v4, off offset:-8
	scratch_load_b64 v[2:3], off, off offset:304
	s_waitcnt vmcnt(1)
	scratch_store_b64 off, v[0:1], off offset:304
	s_waitcnt vmcnt(0)
	scratch_store_b64 v4, v[2:3], off offset:-8
.LBB118_372:
	s_or_b32 exec_lo, exec_lo, s0
	v_dual_mov_b32 v0, s2 :: v_dual_mov_b32 v1, s3
	s_mov_b32 s0, exec_lo
	flat_load_b32 v0, v[0:1] offset:148
	s_waitcnt vmcnt(0) lgkmcnt(0)
	v_cmpx_ne_u32_e32 38, v0
	s_cbranch_execz .LBB118_374
; %bb.373:
	v_lshl_add_u32 v4, v0, 3, 0
	scratch_load_b64 v[0:1], v4, off offset:-8
	scratch_load_b64 v[2:3], off, off offset:296
	s_waitcnt vmcnt(1)
	scratch_store_b64 off, v[0:1], off offset:296
	s_waitcnt vmcnt(0)
	scratch_store_b64 v4, v[2:3], off offset:-8
.LBB118_374:
	s_or_b32 exec_lo, exec_lo, s0
	v_dual_mov_b32 v0, s2 :: v_dual_mov_b32 v1, s3
	s_mov_b32 s0, exec_lo
	flat_load_b32 v0, v[0:1] offset:144
	s_waitcnt vmcnt(0) lgkmcnt(0)
	v_cmpx_ne_u32_e32 37, v0
	s_cbranch_execz .LBB118_376
; %bb.375:
	v_lshl_add_u32 v4, v0, 3, 0
	scratch_load_b64 v[0:1], v4, off offset:-8
	scratch_load_b64 v[2:3], off, off offset:288
	s_waitcnt vmcnt(1)
	scratch_store_b64 off, v[0:1], off offset:288
	s_waitcnt vmcnt(0)
	scratch_store_b64 v4, v[2:3], off offset:-8
.LBB118_376:
	s_or_b32 exec_lo, exec_lo, s0
	v_dual_mov_b32 v0, s2 :: v_dual_mov_b32 v1, s3
	s_mov_b32 s0, exec_lo
	flat_load_b32 v0, v[0:1] offset:140
	s_waitcnt vmcnt(0) lgkmcnt(0)
	v_cmpx_ne_u32_e32 36, v0
	s_cbranch_execz .LBB118_378
; %bb.377:
	v_lshl_add_u32 v4, v0, 3, 0
	scratch_load_b64 v[0:1], v4, off offset:-8
	scratch_load_b64 v[2:3], off, off offset:280
	s_waitcnt vmcnt(1)
	scratch_store_b64 off, v[0:1], off offset:280
	s_waitcnt vmcnt(0)
	scratch_store_b64 v4, v[2:3], off offset:-8
.LBB118_378:
	s_or_b32 exec_lo, exec_lo, s0
	v_dual_mov_b32 v0, s2 :: v_dual_mov_b32 v1, s3
	s_mov_b32 s0, exec_lo
	flat_load_b32 v0, v[0:1] offset:136
	s_waitcnt vmcnt(0) lgkmcnt(0)
	v_cmpx_ne_u32_e32 35, v0
	s_cbranch_execz .LBB118_380
; %bb.379:
	v_lshl_add_u32 v4, v0, 3, 0
	scratch_load_b64 v[0:1], v4, off offset:-8
	scratch_load_b64 v[2:3], off, off offset:272
	s_waitcnt vmcnt(1)
	scratch_store_b64 off, v[0:1], off offset:272
	s_waitcnt vmcnt(0)
	scratch_store_b64 v4, v[2:3], off offset:-8
.LBB118_380:
	s_or_b32 exec_lo, exec_lo, s0
	v_dual_mov_b32 v0, s2 :: v_dual_mov_b32 v1, s3
	s_mov_b32 s0, exec_lo
	flat_load_b32 v0, v[0:1] offset:132
	s_waitcnt vmcnt(0) lgkmcnt(0)
	v_cmpx_ne_u32_e32 34, v0
	s_cbranch_execz .LBB118_382
; %bb.381:
	v_lshl_add_u32 v4, v0, 3, 0
	scratch_load_b64 v[0:1], v4, off offset:-8
	scratch_load_b64 v[2:3], off, off offset:264
	s_waitcnt vmcnt(1)
	scratch_store_b64 off, v[0:1], off offset:264
	s_waitcnt vmcnt(0)
	scratch_store_b64 v4, v[2:3], off offset:-8
.LBB118_382:
	s_or_b32 exec_lo, exec_lo, s0
	v_dual_mov_b32 v0, s2 :: v_dual_mov_b32 v1, s3
	s_mov_b32 s0, exec_lo
	flat_load_b32 v0, v[0:1] offset:128
	s_waitcnt vmcnt(0) lgkmcnt(0)
	v_cmpx_ne_u32_e32 33, v0
	s_cbranch_execz .LBB118_384
; %bb.383:
	v_lshl_add_u32 v4, v0, 3, 0
	scratch_load_b64 v[0:1], v4, off offset:-8
	scratch_load_b64 v[2:3], off, off offset:256
	s_waitcnt vmcnt(1)
	scratch_store_b64 off, v[0:1], off offset:256
	s_waitcnt vmcnt(0)
	scratch_store_b64 v4, v[2:3], off offset:-8
.LBB118_384:
	s_or_b32 exec_lo, exec_lo, s0
	v_dual_mov_b32 v0, s2 :: v_dual_mov_b32 v1, s3
	s_mov_b32 s0, exec_lo
	flat_load_b32 v0, v[0:1] offset:124
	s_waitcnt vmcnt(0) lgkmcnt(0)
	v_cmpx_ne_u32_e32 32, v0
	s_cbranch_execz .LBB118_386
; %bb.385:
	v_lshl_add_u32 v4, v0, 3, 0
	scratch_load_b64 v[0:1], v4, off offset:-8
	scratch_load_b64 v[2:3], off, off offset:248
	s_waitcnt vmcnt(1)
	scratch_store_b64 off, v[0:1], off offset:248
	s_waitcnt vmcnt(0)
	scratch_store_b64 v4, v[2:3], off offset:-8
.LBB118_386:
	s_or_b32 exec_lo, exec_lo, s0
	v_dual_mov_b32 v0, s2 :: v_dual_mov_b32 v1, s3
	s_mov_b32 s0, exec_lo
	flat_load_b32 v0, v[0:1] offset:120
	s_waitcnt vmcnt(0) lgkmcnt(0)
	v_cmpx_ne_u32_e32 31, v0
	s_cbranch_execz .LBB118_388
; %bb.387:
	v_lshl_add_u32 v4, v0, 3, 0
	scratch_load_b64 v[0:1], v4, off offset:-8
	scratch_load_b64 v[2:3], off, off offset:240
	s_waitcnt vmcnt(1)
	scratch_store_b64 off, v[0:1], off offset:240
	s_waitcnt vmcnt(0)
	scratch_store_b64 v4, v[2:3], off offset:-8
.LBB118_388:
	s_or_b32 exec_lo, exec_lo, s0
	v_dual_mov_b32 v0, s2 :: v_dual_mov_b32 v1, s3
	s_mov_b32 s0, exec_lo
	flat_load_b32 v0, v[0:1] offset:116
	s_waitcnt vmcnt(0) lgkmcnt(0)
	v_cmpx_ne_u32_e32 30, v0
	s_cbranch_execz .LBB118_390
; %bb.389:
	v_lshl_add_u32 v4, v0, 3, 0
	scratch_load_b64 v[0:1], v4, off offset:-8
	scratch_load_b64 v[2:3], off, off offset:232
	s_waitcnt vmcnt(1)
	scratch_store_b64 off, v[0:1], off offset:232
	s_waitcnt vmcnt(0)
	scratch_store_b64 v4, v[2:3], off offset:-8
.LBB118_390:
	s_or_b32 exec_lo, exec_lo, s0
	v_dual_mov_b32 v0, s2 :: v_dual_mov_b32 v1, s3
	s_mov_b32 s0, exec_lo
	flat_load_b32 v0, v[0:1] offset:112
	s_waitcnt vmcnt(0) lgkmcnt(0)
	v_cmpx_ne_u32_e32 29, v0
	s_cbranch_execz .LBB118_392
; %bb.391:
	v_lshl_add_u32 v4, v0, 3, 0
	scratch_load_b64 v[0:1], v4, off offset:-8
	scratch_load_b64 v[2:3], off, off offset:224
	s_waitcnt vmcnt(1)
	scratch_store_b64 off, v[0:1], off offset:224
	s_waitcnt vmcnt(0)
	scratch_store_b64 v4, v[2:3], off offset:-8
.LBB118_392:
	s_or_b32 exec_lo, exec_lo, s0
	v_dual_mov_b32 v0, s2 :: v_dual_mov_b32 v1, s3
	s_mov_b32 s0, exec_lo
	flat_load_b32 v0, v[0:1] offset:108
	s_waitcnt vmcnt(0) lgkmcnt(0)
	v_cmpx_ne_u32_e32 28, v0
	s_cbranch_execz .LBB118_394
; %bb.393:
	v_lshl_add_u32 v4, v0, 3, 0
	scratch_load_b64 v[0:1], v4, off offset:-8
	scratch_load_b64 v[2:3], off, off offset:216
	s_waitcnt vmcnt(1)
	scratch_store_b64 off, v[0:1], off offset:216
	s_waitcnt vmcnt(0)
	scratch_store_b64 v4, v[2:3], off offset:-8
.LBB118_394:
	s_or_b32 exec_lo, exec_lo, s0
	v_dual_mov_b32 v0, s2 :: v_dual_mov_b32 v1, s3
	s_mov_b32 s0, exec_lo
	flat_load_b32 v0, v[0:1] offset:104
	s_waitcnt vmcnt(0) lgkmcnt(0)
	v_cmpx_ne_u32_e32 27, v0
	s_cbranch_execz .LBB118_396
; %bb.395:
	v_lshl_add_u32 v4, v0, 3, 0
	scratch_load_b64 v[0:1], v4, off offset:-8
	scratch_load_b64 v[2:3], off, off offset:208
	s_waitcnt vmcnt(1)
	scratch_store_b64 off, v[0:1], off offset:208
	s_waitcnt vmcnt(0)
	scratch_store_b64 v4, v[2:3], off offset:-8
.LBB118_396:
	s_or_b32 exec_lo, exec_lo, s0
	v_dual_mov_b32 v0, s2 :: v_dual_mov_b32 v1, s3
	s_mov_b32 s0, exec_lo
	flat_load_b32 v0, v[0:1] offset:100
	s_waitcnt vmcnt(0) lgkmcnt(0)
	v_cmpx_ne_u32_e32 26, v0
	s_cbranch_execz .LBB118_398
; %bb.397:
	v_lshl_add_u32 v4, v0, 3, 0
	scratch_load_b64 v[0:1], v4, off offset:-8
	scratch_load_b64 v[2:3], off, off offset:200
	s_waitcnt vmcnt(1)
	scratch_store_b64 off, v[0:1], off offset:200
	s_waitcnt vmcnt(0)
	scratch_store_b64 v4, v[2:3], off offset:-8
.LBB118_398:
	s_or_b32 exec_lo, exec_lo, s0
	v_dual_mov_b32 v0, s2 :: v_dual_mov_b32 v1, s3
	s_mov_b32 s0, exec_lo
	flat_load_b32 v0, v[0:1] offset:96
	s_waitcnt vmcnt(0) lgkmcnt(0)
	v_cmpx_ne_u32_e32 25, v0
	s_cbranch_execz .LBB118_400
; %bb.399:
	v_lshl_add_u32 v4, v0, 3, 0
	scratch_load_b64 v[0:1], v4, off offset:-8
	scratch_load_b64 v[2:3], off, off offset:192
	s_waitcnt vmcnt(1)
	scratch_store_b64 off, v[0:1], off offset:192
	s_waitcnt vmcnt(0)
	scratch_store_b64 v4, v[2:3], off offset:-8
.LBB118_400:
	s_or_b32 exec_lo, exec_lo, s0
	v_dual_mov_b32 v0, s2 :: v_dual_mov_b32 v1, s3
	s_mov_b32 s0, exec_lo
	flat_load_b32 v0, v[0:1] offset:92
	s_waitcnt vmcnt(0) lgkmcnt(0)
	v_cmpx_ne_u32_e32 24, v0
	s_cbranch_execz .LBB118_402
; %bb.401:
	v_lshl_add_u32 v4, v0, 3, 0
	scratch_load_b64 v[0:1], v4, off offset:-8
	scratch_load_b64 v[2:3], off, off offset:184
	s_waitcnt vmcnt(1)
	scratch_store_b64 off, v[0:1], off offset:184
	s_waitcnt vmcnt(0)
	scratch_store_b64 v4, v[2:3], off offset:-8
.LBB118_402:
	s_or_b32 exec_lo, exec_lo, s0
	v_dual_mov_b32 v0, s2 :: v_dual_mov_b32 v1, s3
	s_mov_b32 s0, exec_lo
	flat_load_b32 v0, v[0:1] offset:88
	s_waitcnt vmcnt(0) lgkmcnt(0)
	v_cmpx_ne_u32_e32 23, v0
	s_cbranch_execz .LBB118_404
; %bb.403:
	v_lshl_add_u32 v4, v0, 3, 0
	scratch_load_b64 v[0:1], v4, off offset:-8
	scratch_load_b64 v[2:3], off, off offset:176
	s_waitcnt vmcnt(1)
	scratch_store_b64 off, v[0:1], off offset:176
	s_waitcnt vmcnt(0)
	scratch_store_b64 v4, v[2:3], off offset:-8
.LBB118_404:
	s_or_b32 exec_lo, exec_lo, s0
	v_dual_mov_b32 v0, s2 :: v_dual_mov_b32 v1, s3
	s_mov_b32 s0, exec_lo
	flat_load_b32 v0, v[0:1] offset:84
	s_waitcnt vmcnt(0) lgkmcnt(0)
	v_cmpx_ne_u32_e32 22, v0
	s_cbranch_execz .LBB118_406
; %bb.405:
	v_lshl_add_u32 v4, v0, 3, 0
	scratch_load_b64 v[0:1], v4, off offset:-8
	scratch_load_b64 v[2:3], off, off offset:168
	s_waitcnt vmcnt(1)
	scratch_store_b64 off, v[0:1], off offset:168
	s_waitcnt vmcnt(0)
	scratch_store_b64 v4, v[2:3], off offset:-8
.LBB118_406:
	s_or_b32 exec_lo, exec_lo, s0
	v_dual_mov_b32 v0, s2 :: v_dual_mov_b32 v1, s3
	s_mov_b32 s0, exec_lo
	flat_load_b32 v0, v[0:1] offset:80
	s_waitcnt vmcnt(0) lgkmcnt(0)
	v_cmpx_ne_u32_e32 21, v0
	s_cbranch_execz .LBB118_408
; %bb.407:
	v_lshl_add_u32 v4, v0, 3, 0
	scratch_load_b64 v[0:1], v4, off offset:-8
	scratch_load_b64 v[2:3], off, off offset:160
	s_waitcnt vmcnt(1)
	scratch_store_b64 off, v[0:1], off offset:160
	s_waitcnt vmcnt(0)
	scratch_store_b64 v4, v[2:3], off offset:-8
.LBB118_408:
	s_or_b32 exec_lo, exec_lo, s0
	v_dual_mov_b32 v0, s2 :: v_dual_mov_b32 v1, s3
	s_mov_b32 s0, exec_lo
	flat_load_b32 v0, v[0:1] offset:76
	s_waitcnt vmcnt(0) lgkmcnt(0)
	v_cmpx_ne_u32_e32 20, v0
	s_cbranch_execz .LBB118_410
; %bb.409:
	v_lshl_add_u32 v4, v0, 3, 0
	scratch_load_b64 v[0:1], v4, off offset:-8
	scratch_load_b64 v[2:3], off, off offset:152
	s_waitcnt vmcnt(1)
	scratch_store_b64 off, v[0:1], off offset:152
	s_waitcnt vmcnt(0)
	scratch_store_b64 v4, v[2:3], off offset:-8
.LBB118_410:
	s_or_b32 exec_lo, exec_lo, s0
	v_dual_mov_b32 v0, s2 :: v_dual_mov_b32 v1, s3
	s_mov_b32 s0, exec_lo
	flat_load_b32 v0, v[0:1] offset:72
	s_waitcnt vmcnt(0) lgkmcnt(0)
	v_cmpx_ne_u32_e32 19, v0
	s_cbranch_execz .LBB118_412
; %bb.411:
	v_lshl_add_u32 v4, v0, 3, 0
	scratch_load_b64 v[0:1], v4, off offset:-8
	scratch_load_b64 v[2:3], off, off offset:144
	s_waitcnt vmcnt(1)
	scratch_store_b64 off, v[0:1], off offset:144
	s_waitcnt vmcnt(0)
	scratch_store_b64 v4, v[2:3], off offset:-8
.LBB118_412:
	s_or_b32 exec_lo, exec_lo, s0
	v_dual_mov_b32 v0, s2 :: v_dual_mov_b32 v1, s3
	s_mov_b32 s0, exec_lo
	flat_load_b32 v0, v[0:1] offset:68
	s_waitcnt vmcnt(0) lgkmcnt(0)
	v_cmpx_ne_u32_e32 18, v0
	s_cbranch_execz .LBB118_414
; %bb.413:
	v_lshl_add_u32 v4, v0, 3, 0
	scratch_load_b64 v[0:1], v4, off offset:-8
	scratch_load_b64 v[2:3], off, off offset:136
	s_waitcnt vmcnt(1)
	scratch_store_b64 off, v[0:1], off offset:136
	s_waitcnt vmcnt(0)
	scratch_store_b64 v4, v[2:3], off offset:-8
.LBB118_414:
	s_or_b32 exec_lo, exec_lo, s0
	v_dual_mov_b32 v0, s2 :: v_dual_mov_b32 v1, s3
	s_mov_b32 s0, exec_lo
	flat_load_b32 v0, v[0:1] offset:64
	s_waitcnt vmcnt(0) lgkmcnt(0)
	v_cmpx_ne_u32_e32 17, v0
	s_cbranch_execz .LBB118_416
; %bb.415:
	v_lshl_add_u32 v4, v0, 3, 0
	scratch_load_b64 v[0:1], v4, off offset:-8
	scratch_load_b64 v[2:3], off, off offset:128
	s_waitcnt vmcnt(1)
	scratch_store_b64 off, v[0:1], off offset:128
	s_waitcnt vmcnt(0)
	scratch_store_b64 v4, v[2:3], off offset:-8
.LBB118_416:
	s_or_b32 exec_lo, exec_lo, s0
	v_dual_mov_b32 v0, s2 :: v_dual_mov_b32 v1, s3
	s_mov_b32 s0, exec_lo
	flat_load_b32 v0, v[0:1] offset:60
	s_waitcnt vmcnt(0) lgkmcnt(0)
	v_cmpx_ne_u32_e32 16, v0
	s_cbranch_execz .LBB118_418
; %bb.417:
	v_lshl_add_u32 v4, v0, 3, 0
	scratch_load_b64 v[0:1], v4, off offset:-8
	scratch_load_b64 v[2:3], off, off offset:120
	s_waitcnt vmcnt(1)
	scratch_store_b64 off, v[0:1], off offset:120
	s_waitcnt vmcnt(0)
	scratch_store_b64 v4, v[2:3], off offset:-8
.LBB118_418:
	s_or_b32 exec_lo, exec_lo, s0
	v_dual_mov_b32 v0, s2 :: v_dual_mov_b32 v1, s3
	s_mov_b32 s0, exec_lo
	flat_load_b32 v0, v[0:1] offset:56
	s_waitcnt vmcnt(0) lgkmcnt(0)
	v_cmpx_ne_u32_e32 15, v0
	s_cbranch_execz .LBB118_420
; %bb.419:
	v_lshl_add_u32 v4, v0, 3, 0
	scratch_load_b64 v[0:1], v4, off offset:-8
	scratch_load_b64 v[2:3], off, off offset:112
	s_waitcnt vmcnt(1)
	scratch_store_b64 off, v[0:1], off offset:112
	s_waitcnt vmcnt(0)
	scratch_store_b64 v4, v[2:3], off offset:-8
.LBB118_420:
	s_or_b32 exec_lo, exec_lo, s0
	v_dual_mov_b32 v0, s2 :: v_dual_mov_b32 v1, s3
	s_mov_b32 s0, exec_lo
	flat_load_b32 v0, v[0:1] offset:52
	s_waitcnt vmcnt(0) lgkmcnt(0)
	v_cmpx_ne_u32_e32 14, v0
	s_cbranch_execz .LBB118_422
; %bb.421:
	v_lshl_add_u32 v4, v0, 3, 0
	scratch_load_b64 v[0:1], v4, off offset:-8
	scratch_load_b64 v[2:3], off, off offset:104
	s_waitcnt vmcnt(1)
	scratch_store_b64 off, v[0:1], off offset:104
	s_waitcnt vmcnt(0)
	scratch_store_b64 v4, v[2:3], off offset:-8
.LBB118_422:
	s_or_b32 exec_lo, exec_lo, s0
	v_dual_mov_b32 v0, s2 :: v_dual_mov_b32 v1, s3
	s_mov_b32 s0, exec_lo
	flat_load_b32 v0, v[0:1] offset:48
	s_waitcnt vmcnt(0) lgkmcnt(0)
	v_cmpx_ne_u32_e32 13, v0
	s_cbranch_execz .LBB118_424
; %bb.423:
	v_lshl_add_u32 v4, v0, 3, 0
	scratch_load_b64 v[0:1], v4, off offset:-8
	scratch_load_b64 v[2:3], off, off offset:96
	s_waitcnt vmcnt(1)
	scratch_store_b64 off, v[0:1], off offset:96
	s_waitcnt vmcnt(0)
	scratch_store_b64 v4, v[2:3], off offset:-8
.LBB118_424:
	s_or_b32 exec_lo, exec_lo, s0
	v_dual_mov_b32 v0, s2 :: v_dual_mov_b32 v1, s3
	s_mov_b32 s0, exec_lo
	flat_load_b32 v0, v[0:1] offset:44
	s_waitcnt vmcnt(0) lgkmcnt(0)
	v_cmpx_ne_u32_e32 12, v0
	s_cbranch_execz .LBB118_426
; %bb.425:
	v_lshl_add_u32 v4, v0, 3, 0
	scratch_load_b64 v[0:1], v4, off offset:-8
	scratch_load_b64 v[2:3], off, off offset:88
	s_waitcnt vmcnt(1)
	scratch_store_b64 off, v[0:1], off offset:88
	s_waitcnt vmcnt(0)
	scratch_store_b64 v4, v[2:3], off offset:-8
.LBB118_426:
	s_or_b32 exec_lo, exec_lo, s0
	v_dual_mov_b32 v0, s2 :: v_dual_mov_b32 v1, s3
	s_mov_b32 s0, exec_lo
	flat_load_b32 v0, v[0:1] offset:40
	s_waitcnt vmcnt(0) lgkmcnt(0)
	v_cmpx_ne_u32_e32 11, v0
	s_cbranch_execz .LBB118_428
; %bb.427:
	v_lshl_add_u32 v4, v0, 3, 0
	scratch_load_b64 v[0:1], v4, off offset:-8
	scratch_load_b64 v[2:3], off, off offset:80
	s_waitcnt vmcnt(1)
	scratch_store_b64 off, v[0:1], off offset:80
	s_waitcnt vmcnt(0)
	scratch_store_b64 v4, v[2:3], off offset:-8
.LBB118_428:
	s_or_b32 exec_lo, exec_lo, s0
	v_dual_mov_b32 v0, s2 :: v_dual_mov_b32 v1, s3
	s_mov_b32 s0, exec_lo
	flat_load_b32 v0, v[0:1] offset:36
	s_waitcnt vmcnt(0) lgkmcnt(0)
	v_cmpx_ne_u32_e32 10, v0
	s_cbranch_execz .LBB118_430
; %bb.429:
	v_lshl_add_u32 v4, v0, 3, 0
	scratch_load_b64 v[0:1], v4, off offset:-8
	scratch_load_b64 v[2:3], off, off offset:72
	s_waitcnt vmcnt(1)
	scratch_store_b64 off, v[0:1], off offset:72
	s_waitcnt vmcnt(0)
	scratch_store_b64 v4, v[2:3], off offset:-8
.LBB118_430:
	s_or_b32 exec_lo, exec_lo, s0
	v_dual_mov_b32 v0, s2 :: v_dual_mov_b32 v1, s3
	s_mov_b32 s0, exec_lo
	flat_load_b32 v0, v[0:1] offset:32
	s_waitcnt vmcnt(0) lgkmcnt(0)
	v_cmpx_ne_u32_e32 9, v0
	s_cbranch_execz .LBB118_432
; %bb.431:
	v_lshl_add_u32 v4, v0, 3, 0
	scratch_load_b64 v[0:1], v4, off offset:-8
	scratch_load_b64 v[2:3], off, off offset:64
	s_waitcnt vmcnt(1)
	scratch_store_b64 off, v[0:1], off offset:64
	s_waitcnt vmcnt(0)
	scratch_store_b64 v4, v[2:3], off offset:-8
.LBB118_432:
	s_or_b32 exec_lo, exec_lo, s0
	v_dual_mov_b32 v0, s2 :: v_dual_mov_b32 v1, s3
	s_mov_b32 s0, exec_lo
	flat_load_b32 v0, v[0:1] offset:28
	s_waitcnt vmcnt(0) lgkmcnt(0)
	v_cmpx_ne_u32_e32 8, v0
	s_cbranch_execz .LBB118_434
; %bb.433:
	v_lshl_add_u32 v4, v0, 3, 0
	scratch_load_b64 v[0:1], v4, off offset:-8
	scratch_load_b64 v[2:3], off, off offset:56
	s_waitcnt vmcnt(1)
	scratch_store_b64 off, v[0:1], off offset:56
	s_waitcnt vmcnt(0)
	scratch_store_b64 v4, v[2:3], off offset:-8
.LBB118_434:
	s_or_b32 exec_lo, exec_lo, s0
	v_dual_mov_b32 v0, s2 :: v_dual_mov_b32 v1, s3
	s_mov_b32 s0, exec_lo
	flat_load_b32 v0, v[0:1] offset:24
	s_waitcnt vmcnt(0) lgkmcnt(0)
	v_cmpx_ne_u32_e32 7, v0
	s_cbranch_execz .LBB118_436
; %bb.435:
	v_lshl_add_u32 v4, v0, 3, 0
	scratch_load_b64 v[0:1], v4, off offset:-8
	scratch_load_b64 v[2:3], off, off offset:48
	s_waitcnt vmcnt(1)
	scratch_store_b64 off, v[0:1], off offset:48
	s_waitcnt vmcnt(0)
	scratch_store_b64 v4, v[2:3], off offset:-8
.LBB118_436:
	s_or_b32 exec_lo, exec_lo, s0
	v_dual_mov_b32 v0, s2 :: v_dual_mov_b32 v1, s3
	s_mov_b32 s0, exec_lo
	flat_load_b32 v0, v[0:1] offset:20
	s_waitcnt vmcnt(0) lgkmcnt(0)
	v_cmpx_ne_u32_e32 6, v0
	s_cbranch_execz .LBB118_438
; %bb.437:
	v_lshl_add_u32 v4, v0, 3, 0
	scratch_load_b64 v[0:1], v4, off offset:-8
	scratch_load_b64 v[2:3], off, off offset:40
	s_waitcnt vmcnt(1)
	scratch_store_b64 off, v[0:1], off offset:40
	s_waitcnt vmcnt(0)
	scratch_store_b64 v4, v[2:3], off offset:-8
.LBB118_438:
	s_or_b32 exec_lo, exec_lo, s0
	v_dual_mov_b32 v0, s2 :: v_dual_mov_b32 v1, s3
	s_mov_b32 s0, exec_lo
	flat_load_b32 v0, v[0:1] offset:16
	s_waitcnt vmcnt(0) lgkmcnt(0)
	v_cmpx_ne_u32_e32 5, v0
	s_cbranch_execz .LBB118_440
; %bb.439:
	v_lshl_add_u32 v4, v0, 3, 0
	scratch_load_b64 v[0:1], v4, off offset:-8
	scratch_load_b64 v[2:3], off, off offset:32
	s_waitcnt vmcnt(1)
	scratch_store_b64 off, v[0:1], off offset:32
	s_waitcnt vmcnt(0)
	scratch_store_b64 v4, v[2:3], off offset:-8
.LBB118_440:
	s_or_b32 exec_lo, exec_lo, s0
	v_dual_mov_b32 v0, s2 :: v_dual_mov_b32 v1, s3
	s_mov_b32 s0, exec_lo
	flat_load_b32 v0, v[0:1] offset:12
	s_waitcnt vmcnt(0) lgkmcnt(0)
	v_cmpx_ne_u32_e32 4, v0
	s_cbranch_execz .LBB118_442
; %bb.441:
	v_lshl_add_u32 v4, v0, 3, 0
	scratch_load_b64 v[0:1], v4, off offset:-8
	scratch_load_b64 v[2:3], off, off offset:24
	s_waitcnt vmcnt(1)
	scratch_store_b64 off, v[0:1], off offset:24
	s_waitcnt vmcnt(0)
	scratch_store_b64 v4, v[2:3], off offset:-8
.LBB118_442:
	s_or_b32 exec_lo, exec_lo, s0
	v_dual_mov_b32 v0, s2 :: v_dual_mov_b32 v1, s3
	s_mov_b32 s0, exec_lo
	flat_load_b32 v0, v[0:1] offset:8
	s_waitcnt vmcnt(0) lgkmcnt(0)
	v_cmpx_ne_u32_e32 3, v0
	s_cbranch_execz .LBB118_444
; %bb.443:
	v_lshl_add_u32 v4, v0, 3, 0
	scratch_load_b64 v[0:1], v4, off offset:-8
	scratch_load_b64 v[2:3], off, off offset:16
	s_waitcnt vmcnt(1)
	scratch_store_b64 off, v[0:1], off offset:16
	s_waitcnt vmcnt(0)
	scratch_store_b64 v4, v[2:3], off offset:-8
.LBB118_444:
	s_or_b32 exec_lo, exec_lo, s0
	v_dual_mov_b32 v0, s2 :: v_dual_mov_b32 v1, s3
	s_mov_b32 s0, exec_lo
	flat_load_b32 v0, v[0:1] offset:4
	s_waitcnt vmcnt(0) lgkmcnt(0)
	v_cmpx_ne_u32_e32 2, v0
	s_cbranch_execz .LBB118_446
; %bb.445:
	v_lshl_add_u32 v4, v0, 3, 0
	scratch_load_b64 v[0:1], v4, off offset:-8
	scratch_load_b64 v[2:3], off, off offset:8
	s_waitcnt vmcnt(1)
	scratch_store_b64 off, v[0:1], off offset:8
	s_waitcnt vmcnt(0)
	scratch_store_b64 v4, v[2:3], off offset:-8
.LBB118_446:
	s_or_b32 exec_lo, exec_lo, s0
	v_dual_mov_b32 v0, s2 :: v_dual_mov_b32 v1, s3
	s_mov_b32 s0, exec_lo
	flat_load_b32 v2, v[0:1]
	scratch_load_b64 v[0:1], off, off
	s_waitcnt vmcnt(1) lgkmcnt(0)
	v_cmpx_ne_u32_e32 1, v2
	s_cbranch_execz .LBB118_448
; %bb.447:
	v_lshl_add_u32 v4, v2, 3, 0
	scratch_load_b64 v[2:3], v4, off offset:-8
	s_waitcnt vmcnt(0)
	scratch_store_b64 off, v[2:3], off
	scratch_store_b64 v4, v[0:1], off offset:-8
	scratch_load_b64 v[0:1], off, off
.LBB118_448:
	s_or_b32 exec_lo, exec_lo, s0
.LBB118_449:
	s_clause 0x7
	scratch_load_b128 v[2:5], off, off offset:8
	scratch_load_b128 v[116:119], off, off offset:24
	;; [unrolled: 1-line block ×8, first 2 shown]
	s_waitcnt vmcnt(8)
	global_store_b64 v[16:17], v[0:1], off
	s_waitcnt vmcnt(7)
	s_clause 0x1
	global_store_b64 v[18:19], v[2:3], off
	global_store_b64 v[30:31], v[4:5], off
	s_clause 0x1
	scratch_load_b128 v[0:3], off, off offset:136
	scratch_load_b128 v[16:19], off, off offset:152
	s_waitcnt vmcnt(8)
	s_clause 0x1
	global_store_b64 v[12:13], v[116:117], off
	global_store_b64 v[14:15], v[118:119], off
	s_clause 0x1
	scratch_load_b128 v[12:15], off, off offset:168
	scratch_load_b128 v[116:119], off, off offset:184
	;; [unrolled: 7-line block ×9, first 2 shown]
	s_waitcnt vmcnt(16)
	s_clause 0x1
	global_store_b64 v[44:45], v[16:17], off
	global_store_b64 v[46:47], v[18:19], off
	scratch_load_b128 v[16:19], off, off offset:424
	s_waitcnt vmcnt(16)
	s_clause 0x1
	global_store_b64 v[48:49], v[12:13], off
	global_store_b64 v[52:53], v[14:15], off
	s_waitcnt vmcnt(15)
	s_clause 0x1
	global_store_b64 v[54:55], v[116:117], off
	global_store_b64 v[56:57], v[118:119], off
	;; [unrolled: 4-line block ×17, first 2 shown]
	s_endpgm
	.section	.rodata,"a",@progbits
	.p2align	6, 0x0
	.amdhsa_kernel _ZN9rocsolver6v33100L18getri_kernel_smallILi55EdPKPdEEvT1_iilPiilS6_bb
		.amdhsa_group_segment_fixed_size 888
		.amdhsa_private_segment_fixed_size 448
		.amdhsa_kernarg_size 60
		.amdhsa_user_sgpr_count 15
		.amdhsa_user_sgpr_dispatch_ptr 0
		.amdhsa_user_sgpr_queue_ptr 0
		.amdhsa_user_sgpr_kernarg_segment_ptr 1
		.amdhsa_user_sgpr_dispatch_id 0
		.amdhsa_user_sgpr_private_segment_size 0
		.amdhsa_wavefront_size32 1
		.amdhsa_uses_dynamic_stack 0
		.amdhsa_enable_private_segment 1
		.amdhsa_system_sgpr_workgroup_id_x 1
		.amdhsa_system_sgpr_workgroup_id_y 0
		.amdhsa_system_sgpr_workgroup_id_z 0
		.amdhsa_system_sgpr_workgroup_info 0
		.amdhsa_system_vgpr_workitem_id 0
		.amdhsa_next_free_vgpr 152
		.amdhsa_next_free_sgpr 17
		.amdhsa_reserve_vcc 1
		.amdhsa_float_round_mode_32 0
		.amdhsa_float_round_mode_16_64 0
		.amdhsa_float_denorm_mode_32 3
		.amdhsa_float_denorm_mode_16_64 3
		.amdhsa_dx10_clamp 1
		.amdhsa_ieee_mode 1
		.amdhsa_fp16_overflow 0
		.amdhsa_workgroup_processor_mode 1
		.amdhsa_memory_ordered 1
		.amdhsa_forward_progress 0
		.amdhsa_shared_vgpr_count 0
		.amdhsa_exception_fp_ieee_invalid_op 0
		.amdhsa_exception_fp_denorm_src 0
		.amdhsa_exception_fp_ieee_div_zero 0
		.amdhsa_exception_fp_ieee_overflow 0
		.amdhsa_exception_fp_ieee_underflow 0
		.amdhsa_exception_fp_ieee_inexact 0
		.amdhsa_exception_int_div_zero 0
	.end_amdhsa_kernel
	.section	.text._ZN9rocsolver6v33100L18getri_kernel_smallILi55EdPKPdEEvT1_iilPiilS6_bb,"axG",@progbits,_ZN9rocsolver6v33100L18getri_kernel_smallILi55EdPKPdEEvT1_iilPiilS6_bb,comdat
.Lfunc_end118:
	.size	_ZN9rocsolver6v33100L18getri_kernel_smallILi55EdPKPdEEvT1_iilPiilS6_bb, .Lfunc_end118-_ZN9rocsolver6v33100L18getri_kernel_smallILi55EdPKPdEEvT1_iilPiilS6_bb
                                        ; -- End function
	.section	.AMDGPU.csdata,"",@progbits
; Kernel info:
; codeLenInByte = 55556
; NumSgprs: 19
; NumVgprs: 152
; ScratchSize: 448
; MemoryBound: 0
; FloatMode: 240
; IeeeMode: 1
; LDSByteSize: 888 bytes/workgroup (compile time only)
; SGPRBlocks: 2
; VGPRBlocks: 18
; NumSGPRsForWavesPerEU: 19
; NumVGPRsForWavesPerEU: 152
; Occupancy: 9
; WaveLimiterHint : 1
; COMPUTE_PGM_RSRC2:SCRATCH_EN: 1
; COMPUTE_PGM_RSRC2:USER_SGPR: 15
; COMPUTE_PGM_RSRC2:TRAP_HANDLER: 0
; COMPUTE_PGM_RSRC2:TGID_X_EN: 1
; COMPUTE_PGM_RSRC2:TGID_Y_EN: 0
; COMPUTE_PGM_RSRC2:TGID_Z_EN: 0
; COMPUTE_PGM_RSRC2:TIDIG_COMP_CNT: 0
	.section	.text._ZN9rocsolver6v33100L18getri_kernel_smallILi56EdPKPdEEvT1_iilPiilS6_bb,"axG",@progbits,_ZN9rocsolver6v33100L18getri_kernel_smallILi56EdPKPdEEvT1_iilPiilS6_bb,comdat
	.globl	_ZN9rocsolver6v33100L18getri_kernel_smallILi56EdPKPdEEvT1_iilPiilS6_bb ; -- Begin function _ZN9rocsolver6v33100L18getri_kernel_smallILi56EdPKPdEEvT1_iilPiilS6_bb
	.p2align	8
	.type	_ZN9rocsolver6v33100L18getri_kernel_smallILi56EdPKPdEEvT1_iilPiilS6_bb,@function
_ZN9rocsolver6v33100L18getri_kernel_smallILi56EdPKPdEEvT1_iilPiilS6_bb: ; @_ZN9rocsolver6v33100L18getri_kernel_smallILi56EdPKPdEEvT1_iilPiilS6_bb
; %bb.0:
	s_mov_b32 s2, exec_lo
	v_cmpx_gt_u32_e32 56, v0
	s_cbranch_execz .LBB119_234
; %bb.1:
	s_clause 0x1
	s_load_b32 s13, s[0:1], 0x38
	s_load_b64 s[2:3], s[0:1], 0x0
	s_mov_b32 s8, s15
	s_load_b128 s[4:7], s[0:1], 0x28
	s_waitcnt lgkmcnt(0)
	s_bitcmp1_b32 s13, 8
	s_cselect_b32 s12, -1, 0
	s_ashr_i32 s9, s15, 31
	s_delay_alu instid0(SALU_CYCLE_1) | instskip(NEXT) | instid1(SALU_CYCLE_1)
	s_lshl_b64 s[10:11], s[8:9], 3
	s_add_u32 s2, s2, s10
	s_addc_u32 s3, s3, s11
	s_load_b64 s[10:11], s[2:3], 0x0
	s_bfe_u32 s2, s13, 0x10008
	s_delay_alu instid0(SALU_CYCLE_1)
	s_cmp_eq_u32 s2, 0
                                        ; implicit-def: $sgpr2_sgpr3
	s_cbranch_scc1 .LBB119_3
; %bb.2:
	s_clause 0x1
	s_load_b32 s2, s[0:1], 0x20
	s_load_b64 s[14:15], s[0:1], 0x18
	s_mul_i32 s3, s8, s5
	s_mul_hi_u32 s5, s8, s4
	s_mul_i32 s16, s9, s4
	s_add_i32 s3, s5, s3
	s_mul_i32 s4, s8, s4
	s_add_i32 s5, s3, s16
	s_delay_alu instid0(SALU_CYCLE_1)
	s_lshl_b64 s[4:5], s[4:5], 2
	s_waitcnt lgkmcnt(0)
	s_ashr_i32 s3, s2, 31
	s_add_u32 s4, s14, s4
	s_addc_u32 s5, s15, s5
	s_lshl_b64 s[2:3], s[2:3], 2
	s_delay_alu instid0(SALU_CYCLE_1)
	s_add_u32 s2, s4, s2
	s_addc_u32 s3, s5, s3
.LBB119_3:
	s_load_b64 s[0:1], s[0:1], 0x8
	v_lshlrev_b32_e32 v3, 3, v0
	s_waitcnt lgkmcnt(0)
	v_add3_u32 v1, s1, s1, v0
	s_ashr_i32 s5, s0, 31
	s_mov_b32 s4, s0
	s_mov_b32 s14, s1
	s_lshl_b64 s[4:5], s[4:5], 3
	v_add_nc_u32_e32 v4, s1, v1
	v_ashrrev_i32_e32 v2, 31, v1
	s_add_u32 s4, s10, s4
	s_addc_u32 s5, s11, s5
	v_add_co_u32 v36, s0, s4, v3
	v_ashrrev_i32_e32 v5, 31, v4
	s_ashr_i32 s15, s1, 31
	v_add_co_ci_u32_e64 v37, null, s5, 0, s0
	v_lshlrev_b64 v[1:2], 3, v[1:2]
	s_lshl_b64 s[10:11], s[14:15], 3
	v_lshlrev_b64 v[5:6], 3, v[4:5]
	v_add_co_u32 v22, vcc_lo, v36, s10
	v_add_co_ci_u32_e32 v23, vcc_lo, s11, v37, vcc_lo
	s_delay_alu instid0(VALU_DEP_4)
	v_add_co_u32 v16, vcc_lo, s4, v1
	v_add_co_ci_u32_e32 v17, vcc_lo, s5, v2, vcc_lo
	v_add_co_u32 v8, vcc_lo, s4, v5
	s_clause 0x1
	global_load_b64 v[10:11], v3, s[4:5]
	global_load_b64 v[12:13], v[22:23], off
	v_add_co_ci_u32_e32 v9, vcc_lo, s5, v6, vcc_lo
	s_clause 0x1
	global_load_b64 v[18:19], v[16:17], off
	global_load_b64 v[20:21], v[8:9], off
	v_add_nc_u32_e32 v1, s1, v4
	s_bitcmp0_b32 s13, 0
	s_delay_alu instid0(VALU_DEP_1) | instskip(SKIP_1) | instid1(VALU_DEP_2)
	v_add_nc_u32_e32 v4, s1, v1
	v_ashrrev_i32_e32 v2, 31, v1
	v_add_nc_u32_e32 v6, s1, v4
	s_delay_alu instid0(VALU_DEP_2) | instskip(SKIP_1) | instid1(VALU_DEP_3)
	v_lshlrev_b64 v[1:2], 3, v[1:2]
	v_ashrrev_i32_e32 v5, 31, v4
	v_add_nc_u32_e32 v14, s1, v6
	v_ashrrev_i32_e32 v7, 31, v6
	s_delay_alu instid0(VALU_DEP_4) | instskip(NEXT) | instid1(VALU_DEP_4)
	v_add_co_u32 v50, vcc_lo, s4, v1
	v_lshlrev_b64 v[4:5], 3, v[4:5]
	s_delay_alu instid0(VALU_DEP_4) | instskip(SKIP_3) | instid1(VALU_DEP_4)
	v_add_nc_u32_e32 v24, s1, v14
	v_ashrrev_i32_e32 v15, 31, v14
	v_add_co_ci_u32_e32 v51, vcc_lo, s5, v2, vcc_lo
	v_lshlrev_b64 v[6:7], 3, v[6:7]
	v_add_nc_u32_e32 v26, s1, v24
	v_add_co_u32 v48, vcc_lo, s4, v4
	v_add_co_ci_u32_e32 v49, vcc_lo, s5, v5, vcc_lo
	s_delay_alu instid0(VALU_DEP_3) | instskip(SKIP_3) | instid1(VALU_DEP_4)
	v_add_nc_u32_e32 v32, s1, v26
	v_lshlrev_b64 v[4:5], 3, v[14:15]
	v_ashrrev_i32_e32 v25, 31, v24
	v_add_co_u32 v42, vcc_lo, s4, v6
	v_add_nc_u32_e32 v34, s1, v32
	v_ashrrev_i32_e32 v27, 31, v26
	v_add_co_ci_u32_e32 v43, vcc_lo, s5, v7, vcc_lo
	v_lshlrev_b64 v[6:7], 3, v[24:25]
	s_delay_alu instid0(VALU_DEP_4) | instskip(SKIP_2) | instid1(VALU_DEP_3)
	v_add_nc_u32_e32 v40, s1, v34
	v_add_co_u32 v44, vcc_lo, s4, v4
	v_add_co_ci_u32_e32 v45, vcc_lo, s5, v5, vcc_lo
	v_add_nc_u32_e32 v46, s1, v40
	v_lshlrev_b64 v[4:5], 3, v[26:27]
	v_add_co_u32 v38, vcc_lo, s4, v6
	v_add_co_ci_u32_e32 v39, vcc_lo, s5, v7, vcc_lo
	s_delay_alu instid0(VALU_DEP_4) | instskip(NEXT) | instid1(VALU_DEP_4)
	v_add_nc_u32_e32 v68, s1, v46
	v_add_co_u32 v24, vcc_lo, s4, v4
	v_ashrrev_i32_e32 v33, 31, v32
	s_clause 0x1
	global_load_b64 v[28:29], v[50:51], off
	global_load_b64 v[30:31], v[48:49], off
	v_add_nc_u32_e32 v70, s1, v68
	v_add_co_ci_u32_e32 v25, vcc_lo, s5, v5, vcc_lo
	v_lshlrev_b64 v[6:7], 3, v[32:33]
	v_ashrrev_i32_e32 v35, 31, v34
	s_delay_alu instid0(VALU_DEP_4)
	v_add_nc_u32_e32 v72, s1, v70
	v_ashrrev_i32_e32 v41, 31, v40
	v_ashrrev_i32_e32 v47, 31, v46
	s_clause 0x2
	global_load_b64 v[52:53], v[42:43], off
	global_load_b64 v[54:55], v[44:45], off
	;; [unrolled: 1-line block ×3, first 2 shown]
	v_lshlrev_b64 v[14:15], 3, v[34:35]
	v_add_nc_u32_e32 v74, s1, v72
	v_add_co_u32 v34, vcc_lo, s4, v6
	v_add_co_ci_u32_e32 v35, vcc_lo, s5, v7, vcc_lo
	s_delay_alu instid0(VALU_DEP_3)
	v_add_nc_u32_e32 v76, s1, v74
	v_lshlrev_b64 v[26:27], 3, v[40:41]
	global_load_b64 v[58:59], v[24:25], off
	v_ashrrev_i32_e32 v69, 31, v68
	v_ashrrev_i32_e32 v71, 31, v70
	v_add_nc_u32_e32 v78, s1, v76
	v_ashrrev_i32_e32 v73, 31, v72
	v_ashrrev_i32_e32 v75, 31, v74
	v_ashrrev_i32_e32 v77, 31, v76
	s_delay_alu instid0(VALU_DEP_4) | instskip(SKIP_1) | instid1(VALU_DEP_2)
	v_add_nc_u32_e32 v80, s1, v78
	v_ashrrev_i32_e32 v79, 31, v78
	v_add_nc_u32_e32 v82, s1, v80
	v_ashrrev_i32_e32 v81, 31, v80
	s_delay_alu instid0(VALU_DEP_2) | instskip(SKIP_1) | instid1(VALU_DEP_2)
	v_add_nc_u32_e32 v84, s1, v82
	v_ashrrev_i32_e32 v83, 31, v82
	v_add_nc_u32_e32 v86, s1, v84
	v_ashrrev_i32_e32 v85, 31, v84
	s_delay_alu instid0(VALU_DEP_3) | instskip(NEXT) | instid1(VALU_DEP_3)
	v_lshlrev_b64 v[40:41], 3, v[82:83]
	v_add_nc_u32_e32 v88, s1, v86
	v_ashrrev_i32_e32 v87, 31, v86
	s_delay_alu instid0(VALU_DEP_2) | instskip(SKIP_1) | instid1(VALU_DEP_2)
	v_add_nc_u32_e32 v90, s1, v88
	v_ashrrev_i32_e32 v89, 31, v88
	v_add_nc_u32_e32 v92, s1, v90
	v_ashrrev_i32_e32 v91, 31, v90
	s_delay_alu instid0(VALU_DEP_2) | instskip(SKIP_1) | instid1(VALU_DEP_2)
	v_add_nc_u32_e32 v94, s1, v92
	v_ashrrev_i32_e32 v93, 31, v92
	;; [unrolled: 5-line block ×13, first 2 shown]
	v_add_nc_u32_e32 v140, s1, v1
	v_ashrrev_i32_e32 v2, 31, v1
	s_delay_alu instid0(VALU_DEP_2) | instskip(SKIP_1) | instid1(VALU_DEP_3)
	v_add_nc_u32_e32 v142, s1, v140
	v_ashrrev_i32_e32 v141, 31, v140
	v_lshlrev_b64 v[1:2], 3, v[1:2]
	s_delay_alu instid0(VALU_DEP_3) | instskip(SKIP_1) | instid1(VALU_DEP_2)
	v_add_nc_u32_e32 v144, s1, v142
	v_ashrrev_i32_e32 v143, 31, v142
	v_add_nc_u32_e32 v146, s1, v144
	v_ashrrev_i32_e32 v145, 31, v144
	s_delay_alu instid0(VALU_DEP_2) | instskip(SKIP_1) | instid1(VALU_DEP_2)
	v_add_nc_u32_e32 v148, s1, v146
	v_ashrrev_i32_e32 v147, 31, v146
	v_add_nc_u32_e32 v4, s1, v148
	v_ashrrev_i32_e32 v149, 31, v148
	s_mov_b32 s1, -1
	s_delay_alu instid0(VALU_DEP_2) | instskip(NEXT) | instid1(VALU_DEP_1)
	v_ashrrev_i32_e32 v5, 31, v4
	v_lshlrev_b64 v[4:5], 3, v[4:5]
	s_delay_alu instid0(VALU_DEP_1) | instskip(NEXT) | instid1(VALU_DEP_2)
	v_add_co_u32 v6, vcc_lo, s4, v4
	v_add_co_ci_u32_e32 v7, vcc_lo, s5, v5, vcc_lo
	v_add_co_u32 v32, vcc_lo, s4, v14
	v_lshlrev_b64 v[4:5], 3, v[46:47]
	global_load_b64 v[120:121], v[6:7], off
	v_add_co_ci_u32_e32 v33, vcc_lo, s5, v15, vcc_lo
	v_add_co_u32 v26, vcc_lo, s4, v26
	v_add_co_ci_u32_e32 v27, vcc_lo, s5, v27, vcc_lo
	v_lshlrev_b64 v[14:15], 3, v[70:71]
	s_waitcnt vmcnt(9)
	scratch_store_b128 off, v[10:13], off
	v_add_co_u32 v12, vcc_lo, s4, v4
	v_add_co_ci_u32_e32 v13, vcc_lo, s5, v5, vcc_lo
	s_clause 0x1
	global_load_b64 v[60:61], v[34:35], off
	global_load_b64 v[62:63], v[32:33], off
	s_waitcnt vmcnt(9)
	scratch_store_b128 off, v[18:21], off offset:16
	s_clause 0x1
	global_load_b64 v[64:65], v[26:27], off
	global_load_b64 v[66:67], v[12:13], off
	v_lshlrev_b64 v[4:5], 3, v[68:69]
	v_lshlrev_b64 v[20:21], 3, v[74:75]
	s_delay_alu instid0(VALU_DEP_2) | instskip(NEXT) | instid1(VALU_DEP_3)
	v_add_co_u32 v10, vcc_lo, s4, v4
	v_add_co_ci_u32_e32 v11, vcc_lo, s5, v5, vcc_lo
	v_lshlrev_b64 v[4:5], 3, v[72:73]
	v_add_co_u32 v14, vcc_lo, s4, v14
	v_add_co_ci_u32_e32 v15, vcc_lo, s5, v15, vcc_lo
	s_delay_alu instid0(VALU_DEP_3) | instskip(NEXT) | instid1(VALU_DEP_4)
	v_add_co_u32 v18, vcc_lo, s4, v4
	v_add_co_ci_u32_e32 v19, vcc_lo, s5, v5, vcc_lo
	v_lshlrev_b64 v[4:5], 3, v[76:77]
	s_waitcnt vmcnt(9)
	scratch_store_b128 off, v[28:31], off offset:32
	v_add_co_u32 v28, vcc_lo, s4, v20
	v_add_co_ci_u32_e32 v29, vcc_lo, s5, v21, vcc_lo
	v_lshlrev_b64 v[20:21], 3, v[78:79]
	v_add_co_u32 v30, vcc_lo, s4, v4
	v_add_co_ci_u32_e32 v31, vcc_lo, s5, v5, vcc_lo
	v_lshlrev_b64 v[4:5], 3, v[80:81]
	s_delay_alu instid0(VALU_DEP_4)
	v_add_co_u32 v20, vcc_lo, s4, v20
	v_add_co_ci_u32_e32 v21, vcc_lo, s5, v21, vcc_lo
	s_clause 0x1
	global_load_b64 v[68:69], v[10:11], off
	global_load_b64 v[70:71], v[14:15], off
	v_add_co_u32 v46, vcc_lo, s4, v4
	v_add_co_ci_u32_e32 v47, vcc_lo, s5, v5, vcc_lo
	v_lshlrev_b64 v[4:5], 3, v[84:85]
	s_waitcnt vmcnt(9)
	scratch_store_b128 off, v[52:55], off offset:48
	s_waitcnt vmcnt(7)
	scratch_store_b128 off, v[56:59], off offset:64
	s_clause 0x3
	global_load_b64 v[72:73], v[18:19], off
	global_load_b64 v[74:75], v[28:29], off
	global_load_b64 v[76:77], v[30:31], off
	global_load_b64 v[78:79], v[20:21], off
	v_add_co_u32 v40, vcc_lo, s4, v40
	v_lshlrev_b64 v[54:55], 3, v[86:87]
	v_add_co_ci_u32_e32 v41, vcc_lo, s5, v41, vcc_lo
	v_add_co_u32 v52, vcc_lo, s4, v4
	v_add_co_ci_u32_e32 v53, vcc_lo, s5, v5, vcc_lo
	s_delay_alu instid0(VALU_DEP_4) | instskip(SKIP_3) | instid1(VALU_DEP_2)
	v_add_co_u32 v54, vcc_lo, s4, v54
	v_add_co_ci_u32_e32 v55, vcc_lo, s5, v55, vcc_lo
	v_lshlrev_b64 v[4:5], 3, v[88:89]
	v_lshlrev_b64 v[58:59], 3, v[90:91]
	v_add_co_u32 v56, vcc_lo, s4, v4
	s_delay_alu instid0(VALU_DEP_3) | instskip(SKIP_1) | instid1(VALU_DEP_4)
	v_add_co_ci_u32_e32 v57, vcc_lo, s5, v5, vcc_lo
	v_lshlrev_b64 v[4:5], 3, v[92:93]
	v_add_co_u32 v58, vcc_lo, s4, v58
	v_add_co_ci_u32_e32 v59, vcc_lo, s5, v59, vcc_lo
	s_waitcnt vmcnt(8)
	scratch_store_b128 off, v[60:63], off offset:80
	s_clause 0x1
	global_load_b64 v[80:81], v[46:47], off
	global_load_b64 v[82:83], v[40:41], off
	s_waitcnt vmcnt(8)
	scratch_store_b128 off, v[64:67], off offset:96
	s_clause 0x1
	global_load_b64 v[84:85], v[52:53], off
	global_load_b64 v[86:87], v[54:55], off
	v_lshlrev_b64 v[62:63], 3, v[94:95]
	v_add_co_u32 v60, vcc_lo, s4, v4
	v_add_co_ci_u32_e32 v61, vcc_lo, s5, v5, vcc_lo
	v_lshlrev_b64 v[4:5], 3, v[96:97]
	s_delay_alu instid0(VALU_DEP_4) | instskip(SKIP_2) | instid1(VALU_DEP_4)
	v_add_co_u32 v62, vcc_lo, s4, v62
	v_add_co_ci_u32_e32 v63, vcc_lo, s5, v63, vcc_lo
	v_lshlrev_b64 v[66:67], 3, v[98:99]
	v_add_co_u32 v64, vcc_lo, s4, v4
	v_add_co_ci_u32_e32 v65, vcc_lo, s5, v5, vcc_lo
	v_lshlrev_b64 v[4:5], 3, v[100:101]
	s_clause 0x1
	global_load_b64 v[88:89], v[56:57], off
	global_load_b64 v[90:91], v[58:59], off
	v_add_co_u32 v66, vcc_lo, s4, v66
	v_add_co_ci_u32_e32 v67, vcc_lo, s5, v67, vcc_lo
	s_waitcnt vmcnt(10)
	scratch_store_b128 off, v[68:71], off offset:112
	v_lshlrev_b64 v[70:71], 3, v[102:103]
	v_add_co_u32 v68, vcc_lo, s4, v4
	v_add_co_ci_u32_e32 v69, vcc_lo, s5, v5, vcc_lo
	v_lshlrev_b64 v[4:5], 3, v[104:105]
	s_waitcnt vmcnt(8)
	scratch_store_b128 off, v[72:75], off offset:128
	s_waitcnt vmcnt(6)
	scratch_store_b128 off, v[76:79], off offset:144
	s_clause 0x3
	global_load_b64 v[92:93], v[60:61], off
	global_load_b64 v[94:95], v[62:63], off
	;; [unrolled: 1-line block ×4, first 2 shown]
	v_add_co_u32 v70, vcc_lo, s4, v70
	v_lshlrev_b64 v[74:75], 3, v[106:107]
	v_add_co_ci_u32_e32 v71, vcc_lo, s5, v71, vcc_lo
	v_add_co_u32 v72, vcc_lo, s4, v4
	v_add_co_ci_u32_e32 v73, vcc_lo, s5, v5, vcc_lo
	s_delay_alu instid0(VALU_DEP_4) | instskip(SKIP_3) | instid1(VALU_DEP_2)
	v_add_co_u32 v74, vcc_lo, s4, v74
	v_add_co_ci_u32_e32 v75, vcc_lo, s5, v75, vcc_lo
	v_lshlrev_b64 v[4:5], 3, v[108:109]
	v_lshlrev_b64 v[78:79], 3, v[110:111]
	v_add_co_u32 v76, vcc_lo, s4, v4
	s_delay_alu instid0(VALU_DEP_3) | instskip(SKIP_1) | instid1(VALU_DEP_4)
	v_add_co_ci_u32_e32 v77, vcc_lo, s5, v5, vcc_lo
	v_lshlrev_b64 v[4:5], 3, v[112:113]
	v_add_co_u32 v78, vcc_lo, s4, v78
	v_add_co_ci_u32_e32 v79, vcc_lo, s5, v79, vcc_lo
	s_waitcnt vmcnt(8)
	scratch_store_b128 off, v[80:83], off offset:160
	s_clause 0x1
	global_load_b64 v[100:101], v[68:69], off
	global_load_b64 v[102:103], v[70:71], off
	s_waitcnt vmcnt(8)
	scratch_store_b128 off, v[84:87], off offset:176
	s_clause 0x1
	global_load_b64 v[104:105], v[72:73], off
	global_load_b64 v[106:107], v[74:75], off
	v_lshlrev_b64 v[82:83], 3, v[114:115]
	v_add_co_u32 v80, vcc_lo, s4, v4
	v_add_co_ci_u32_e32 v81, vcc_lo, s5, v5, vcc_lo
	v_lshlrev_b64 v[4:5], 3, v[116:117]
	s_delay_alu instid0(VALU_DEP_4) | instskip(SKIP_2) | instid1(VALU_DEP_4)
	v_add_co_u32 v82, vcc_lo, s4, v82
	v_add_co_ci_u32_e32 v83, vcc_lo, s5, v83, vcc_lo
	v_lshlrev_b64 v[86:87], 3, v[118:119]
	v_add_co_u32 v84, vcc_lo, s4, v4
	v_add_co_ci_u32_e32 v85, vcc_lo, s5, v5, vcc_lo
	v_lshlrev_b64 v[4:5], 3, v[122:123]
	s_delay_alu instid0(VALU_DEP_4)
	v_add_co_u32 v86, vcc_lo, s4, v86
	v_add_co_ci_u32_e32 v87, vcc_lo, s5, v87, vcc_lo
	s_waitcnt vmcnt(8)
	scratch_store_b128 off, v[88:91], off offset:192
	v_add_co_u32 v88, vcc_lo, s4, v4
	s_clause 0x1
	global_load_b64 v[108:109], v[76:77], off
	global_load_b64 v[110:111], v[78:79], off
	v_add_co_ci_u32_e32 v89, vcc_lo, s5, v5, vcc_lo
	v_lshlrev_b64 v[4:5], 3, v[124:125]
	global_load_b64 v[112:113], v[80:81], off
	v_add_co_u32 v90, vcc_lo, s4, v4
	v_add_co_ci_u32_e32 v91, vcc_lo, s5, v5, vcc_lo
	v_lshlrev_b64 v[4:5], 3, v[128:129]
	s_waitcnt vmcnt(9)
	scratch_store_b128 off, v[92:95], off offset:208
	v_lshlrev_b64 v[92:93], 3, v[126:127]
	s_waitcnt vmcnt(7)
	scratch_store_b128 off, v[96:99], off offset:224
	s_clause 0x4
	global_load_b64 v[114:115], v[82:83], off
	global_load_b64 v[116:117], v[84:85], off
	;; [unrolled: 1-line block ×5, first 2 shown]
	v_add_co_u32 v92, vcc_lo, s4, v92
	v_add_co_ci_u32_e32 v93, vcc_lo, s5, v93, vcc_lo
	v_add_co_u32 v94, vcc_lo, s4, v4
	v_add_co_ci_u32_e32 v95, vcc_lo, s5, v5, vcc_lo
	v_lshlrev_b64 v[4:5], 3, v[130:131]
	s_delay_alu instid0(VALU_DEP_1) | instskip(NEXT) | instid1(VALU_DEP_2)
	v_add_co_u32 v96, vcc_lo, s4, v4
	v_add_co_ci_u32_e32 v97, vcc_lo, s5, v5, vcc_lo
	v_lshlrev_b64 v[4:5], 3, v[132:133]
	s_delay_alu instid0(VALU_DEP_1) | instskip(NEXT) | instid1(VALU_DEP_2)
	v_add_co_u32 v98, vcc_lo, s4, v4
	v_add_co_ci_u32_e32 v99, vcc_lo, s5, v5, vcc_lo
	v_lshlrev_b64 v[4:5], 3, v[136:137]
	s_waitcnt vmcnt(10)
	scratch_store_b128 off, v[100:103], off offset:240
	v_lshlrev_b64 v[100:101], 3, v[134:135]
	s_waitcnt vmcnt(8)
	scratch_store_b128 off, v[104:107], off offset:256
	s_clause 0x1
	global_load_b64 v[126:127], v[92:93], off
	global_load_b64 v[128:129], v[94:95], off
	v_lshlrev_b64 v[104:105], 3, v[138:139]
	global_load_b64 v[130:131], v[96:97], off
	v_add_co_u32 v100, vcc_lo, s4, v100
	v_add_co_ci_u32_e32 v101, vcc_lo, s5, v101, vcc_lo
	v_add_co_u32 v102, vcc_lo, s4, v4
	v_add_co_ci_u32_e32 v103, vcc_lo, s5, v5, vcc_lo
	v_add_co_u32 v104, vcc_lo, s4, v104
	v_lshlrev_b64 v[4:5], 3, v[140:141]
	v_add_co_ci_u32_e32 v105, vcc_lo, s5, v105, vcc_lo
	v_add_co_u32 v106, vcc_lo, s4, v1
	v_add_co_ci_u32_e32 v107, vcc_lo, s5, v2, vcc_lo
	v_lshlrev_b64 v[1:2], 3, v[142:143]
	s_waitcnt vmcnt(9)
	scratch_store_b128 off, v[108:111], off offset:272
	v_add_co_u32 v108, vcc_lo, s4, v4
	v_add_co_ci_u32_e32 v109, vcc_lo, s5, v5, vcc_lo
	v_lshlrev_b64 v[4:5], 3, v[144:145]
	v_add_co_u32 v110, vcc_lo, s4, v1
	v_add_co_ci_u32_e32 v111, vcc_lo, s5, v2, vcc_lo
	v_lshlrev_b64 v[1:2], 3, v[146:147]
	s_waitcnt vmcnt(7)
	scratch_store_b128 off, v[112:115], off offset:288
	s_waitcnt vmcnt(5)
	scratch_store_b128 off, v[116:119], off offset:304
	v_add_co_u32 v112, vcc_lo, s4, v4
	v_add_co_ci_u32_e32 v113, vcc_lo, s5, v5, vcc_lo
	v_lshlrev_b64 v[4:5], 3, v[148:149]
	v_add_co_u32 v114, vcc_lo, s4, v1
	v_add_co_ci_u32_e32 v115, vcc_lo, s5, v2, vcc_lo
	s_clause 0x3
	global_load_b64 v[132:133], v[98:99], off
	global_load_b64 v[134:135], v[100:101], off
	;; [unrolled: 1-line block ×4, first 2 shown]
	v_add_co_u32 v116, vcc_lo, s4, v4
	v_add_co_ci_u32_e32 v117, vcc_lo, s5, v5, vcc_lo
	s_waitcnt vmcnt(7)
	scratch_store_b128 off, v[122:125], off offset:320
	s_clause 0x2
	global_load_b64 v[140:141], v[106:107], off
	global_load_b64 v[122:123], v[108:109], off
	;; [unrolled: 1-line block ×3, first 2 shown]
	s_waitcnt vmcnt(8)
	scratch_store_b128 off, v[126:129], off offset:336
	s_clause 0x2
	global_load_b64 v[126:127], v[112:113], off
	global_load_b64 v[128:129], v[114:115], off
	global_load_b64 v[118:119], v[116:117], off
	s_waitcnt vmcnt(9)
	scratch_store_b128 off, v[130:133], off offset:352
	s_waitcnt vmcnt(7)
	scratch_store_b128 off, v[134:137], off offset:368
	;; [unrolled: 2-line block ×6, first 2 shown]
	s_cbranch_scc1 .LBB119_232
; %bb.4:
	v_cmp_eq_u32_e64 s0, 0, v0
	s_delay_alu instid0(VALU_DEP_1)
	s_and_saveexec_b32 s1, s0
	s_cbranch_execz .LBB119_6
; %bb.5:
	v_mov_b32_e32 v1, 0
	ds_store_b32 v1, v1 offset:896
.LBB119_6:
	s_or_b32 exec_lo, exec_lo, s1
	s_waitcnt lgkmcnt(0)
	s_waitcnt_vscnt null, 0x0
	s_barrier
	buffer_gl0_inv
	scratch_load_b64 v[1:2], v3, off
	s_mov_b32 s4, exec_lo
	s_waitcnt vmcnt(0)
	v_cmpx_eq_f64_e32 0, v[1:2]
	s_cbranch_execz .LBB119_10
; %bb.7:
	v_mov_b32_e32 v1, 0
	s_mov_b32 s5, 0
	ds_load_b32 v2, v1 offset:896
	s_waitcnt lgkmcnt(0)
	v_readfirstlane_b32 s1, v2
	v_add_nc_u32_e32 v2, 1, v0
	s_delay_alu instid0(VALU_DEP_2) | instskip(NEXT) | instid1(VALU_DEP_1)
	s_cmp_eq_u32 s1, 0
	v_cmp_gt_i32_e32 vcc_lo, s1, v2
	s_cselect_b32 s10, -1, 0
	s_delay_alu instid0(SALU_CYCLE_1) | instskip(NEXT) | instid1(SALU_CYCLE_1)
	s_or_b32 s10, s10, vcc_lo
	s_and_b32 exec_lo, exec_lo, s10
	s_cbranch_execz .LBB119_10
; %bb.8:
	v_mov_b32_e32 v4, s1
.LBB119_9:                              ; =>This Inner Loop Header: Depth=1
	ds_cmpstore_rtn_b32 v4, v1, v2, v4 offset:896
	s_waitcnt lgkmcnt(0)
	v_cmp_ne_u32_e32 vcc_lo, 0, v4
	v_cmp_le_i32_e64 s1, v4, v2
	s_delay_alu instid0(VALU_DEP_1) | instskip(NEXT) | instid1(SALU_CYCLE_1)
	s_and_b32 s1, vcc_lo, s1
	s_and_b32 s1, exec_lo, s1
	s_delay_alu instid0(SALU_CYCLE_1) | instskip(NEXT) | instid1(SALU_CYCLE_1)
	s_or_b32 s5, s1, s5
	s_and_not1_b32 exec_lo, exec_lo, s5
	s_cbranch_execnz .LBB119_9
.LBB119_10:
	s_or_b32 exec_lo, exec_lo, s4
	v_mov_b32_e32 v1, 0
	s_barrier
	buffer_gl0_inv
	ds_load_b32 v2, v1 offset:896
	s_and_saveexec_b32 s1, s0
	s_cbranch_execz .LBB119_12
; %bb.11:
	s_lshl_b64 s[4:5], s[8:9], 2
	s_delay_alu instid0(SALU_CYCLE_1)
	s_add_u32 s4, s6, s4
	s_addc_u32 s5, s7, s5
	s_waitcnt lgkmcnt(0)
	global_store_b32 v1, v2, s[4:5]
.LBB119_12:
	s_or_b32 exec_lo, exec_lo, s1
	s_waitcnt lgkmcnt(0)
	v_cmp_ne_u32_e32 vcc_lo, 0, v2
	s_mov_b32 s1, 0
	s_cbranch_vccnz .LBB119_232
; %bb.13:
	v_add_nc_u32_e32 v4, 0, v3
	v_add_nc_u32_e32 v5, 0x1c0, v3
	scratch_load_b64 v[1:2], v4, off
	s_waitcnt vmcnt(0)
	v_div_scale_f64 v[118:119], null, v[1:2], v[1:2], 1.0
	v_div_scale_f64 v[124:125], vcc_lo, 1.0, v[1:2], 1.0
	s_delay_alu instid0(VALU_DEP_2) | instskip(SKIP_2) | instid1(VALU_DEP_1)
	v_rcp_f64_e32 v[120:121], v[118:119]
	s_waitcnt_depctr 0xfff
	v_fma_f64 v[122:123], -v[118:119], v[120:121], 1.0
	v_fma_f64 v[120:121], v[120:121], v[122:123], v[120:121]
	s_delay_alu instid0(VALU_DEP_1) | instskip(NEXT) | instid1(VALU_DEP_1)
	v_fma_f64 v[122:123], -v[118:119], v[120:121], 1.0
	v_fma_f64 v[120:121], v[120:121], v[122:123], v[120:121]
	s_delay_alu instid0(VALU_DEP_1) | instskip(NEXT) | instid1(VALU_DEP_1)
	v_mul_f64 v[122:123], v[124:125], v[120:121]
	v_fma_f64 v[118:119], -v[118:119], v[122:123], v[124:125]
	s_delay_alu instid0(VALU_DEP_1) | instskip(NEXT) | instid1(VALU_DEP_1)
	v_div_fmas_f64 v[118:119], v[118:119], v[120:121], v[122:123]
	v_div_fixup_f64 v[1:2], v[118:119], v[1:2], 1.0
	scratch_store_b64 v4, v[1:2], off
	scratch_load_b64 v[118:119], off, off offset:8
	v_xor_b32_e32 v2, 0x80000000, v2
	s_waitcnt vmcnt(0)
	ds_store_2addr_b64 v3, v[1:2], v[118:119] offset1:56
	s_waitcnt lgkmcnt(0)
	s_waitcnt_vscnt null, 0x0
	s_barrier
	buffer_gl0_inv
	s_and_saveexec_b32 s1, s0
	s_cbranch_execz .LBB119_15
; %bb.14:
	scratch_load_b64 v[1:2], v4, off
	ds_load_b64 v[118:119], v5
	s_waitcnt vmcnt(0) lgkmcnt(0)
	v_fma_f64 v[1:2], v[1:2], v[118:119], 0
	v_mov_b32_e32 v118, 0
	ds_load_b64 v[118:119], v118 offset:8
	s_waitcnt lgkmcnt(0)
	v_mul_f64 v[1:2], v[1:2], v[118:119]
	scratch_store_b64 off, v[1:2], off offset:8
.LBB119_15:
	s_or_b32 exec_lo, exec_lo, s1
	s_waitcnt_vscnt null, 0x0
	s_barrier
	buffer_gl0_inv
	scratch_load_b64 v[1:2], off, off offset:16
	s_mov_b32 s1, exec_lo
	s_waitcnt vmcnt(0)
	ds_store_b64 v5, v[1:2]
	s_waitcnt lgkmcnt(0)
	s_barrier
	buffer_gl0_inv
	v_cmpx_gt_u32_e32 2, v0
	s_cbranch_execz .LBB119_19
; %bb.16:
	scratch_load_b64 v[1:2], v4, off
	ds_load_b64 v[118:119], v5
	s_waitcnt vmcnt(0) lgkmcnt(0)
	v_fma_f64 v[1:2], v[1:2], v[118:119], 0
	s_and_saveexec_b32 s4, s0
	s_cbranch_execz .LBB119_18
; %bb.17:
	scratch_load_b64 v[118:119], off, off offset:8
	v_mov_b32_e32 v120, 0
	ds_load_b64 v[120:121], v120 offset:456
	s_waitcnt vmcnt(0) lgkmcnt(0)
	v_fma_f64 v[1:2], v[118:119], v[120:121], v[1:2]
.LBB119_18:
	s_or_b32 exec_lo, exec_lo, s4
	v_mov_b32_e32 v118, 0
	ds_load_b64 v[118:119], v118 offset:16
	s_waitcnt lgkmcnt(0)
	v_mul_f64 v[1:2], v[1:2], v[118:119]
	scratch_store_b64 off, v[1:2], off offset:16
.LBB119_19:
	s_or_b32 exec_lo, exec_lo, s1
	s_waitcnt_vscnt null, 0x0
	s_barrier
	buffer_gl0_inv
	scratch_load_b64 v[1:2], off, off offset:24
	v_add_nc_u32_e32 v118, -1, v0
	s_mov_b32 s0, exec_lo
	s_waitcnt vmcnt(0)
	ds_store_b64 v5, v[1:2]
	s_waitcnt lgkmcnt(0)
	s_barrier
	buffer_gl0_inv
	v_cmpx_gt_u32_e32 3, v0
	s_cbranch_execz .LBB119_23
; %bb.20:
	v_dual_mov_b32 v1, 0 :: v_dual_add_nc_u32 v120, 0x1c0, v3
	v_dual_mov_b32 v2, 0 :: v_dual_add_nc_u32 v119, -1, v0
	v_add_nc_u32_e32 v121, 0, v3
	s_mov_b32 s1, 0
.LBB119_21:                             ; =>This Inner Loop Header: Depth=1
	scratch_load_b64 v[122:123], v121, off
	ds_load_b64 v[124:125], v120
	v_add_nc_u32_e32 v119, 1, v119
	v_add_nc_u32_e32 v120, 8, v120
	v_add_nc_u32_e32 v121, 8, v121
	s_delay_alu instid0(VALU_DEP_3)
	v_cmp_lt_u32_e32 vcc_lo, 1, v119
	s_or_b32 s1, vcc_lo, s1
	s_waitcnt vmcnt(0) lgkmcnt(0)
	v_fma_f64 v[1:2], v[122:123], v[124:125], v[1:2]
	s_and_not1_b32 exec_lo, exec_lo, s1
	s_cbranch_execnz .LBB119_21
; %bb.22:
	s_or_b32 exec_lo, exec_lo, s1
	v_mov_b32_e32 v119, 0
	ds_load_b64 v[119:120], v119 offset:24
	s_waitcnt lgkmcnt(0)
	v_mul_f64 v[1:2], v[1:2], v[119:120]
	scratch_store_b64 off, v[1:2], off offset:24
.LBB119_23:
	s_or_b32 exec_lo, exec_lo, s0
	s_waitcnt_vscnt null, 0x0
	s_barrier
	buffer_gl0_inv
	scratch_load_b64 v[1:2], off, off offset:32
	s_mov_b32 s0, exec_lo
	s_waitcnt vmcnt(0)
	ds_store_b64 v5, v[1:2]
	s_waitcnt lgkmcnt(0)
	s_barrier
	buffer_gl0_inv
	v_cmpx_gt_u32_e32 4, v0
	s_cbranch_execz .LBB119_27
; %bb.24:
	v_dual_mov_b32 v1, 0 :: v_dual_add_nc_u32 v120, 0x1c0, v3
	v_dual_mov_b32 v2, 0 :: v_dual_add_nc_u32 v119, -1, v0
	v_add_nc_u32_e32 v121, 0, v3
	s_mov_b32 s1, 0
.LBB119_25:                             ; =>This Inner Loop Header: Depth=1
	scratch_load_b64 v[122:123], v121, off
	ds_load_b64 v[124:125], v120
	v_add_nc_u32_e32 v119, 1, v119
	v_add_nc_u32_e32 v120, 8, v120
	v_add_nc_u32_e32 v121, 8, v121
	s_delay_alu instid0(VALU_DEP_3)
	v_cmp_lt_u32_e32 vcc_lo, 2, v119
	s_or_b32 s1, vcc_lo, s1
	s_waitcnt vmcnt(0) lgkmcnt(0)
	v_fma_f64 v[1:2], v[122:123], v[124:125], v[1:2]
	s_and_not1_b32 exec_lo, exec_lo, s1
	s_cbranch_execnz .LBB119_25
; %bb.26:
	s_or_b32 exec_lo, exec_lo, s1
	v_mov_b32_e32 v119, 0
	ds_load_b64 v[119:120], v119 offset:32
	s_waitcnt lgkmcnt(0)
	v_mul_f64 v[1:2], v[1:2], v[119:120]
	scratch_store_b64 off, v[1:2], off offset:32
.LBB119_27:
	s_or_b32 exec_lo, exec_lo, s0
	s_waitcnt_vscnt null, 0x0
	s_barrier
	buffer_gl0_inv
	scratch_load_b64 v[1:2], off, off offset:40
	;; [unrolled: 39-line block ×20, first 2 shown]
	s_mov_b32 s0, exec_lo
	s_waitcnt vmcnt(0)
	ds_store_b64 v5, v[1:2]
	s_waitcnt lgkmcnt(0)
	s_barrier
	buffer_gl0_inv
	v_cmpx_gt_u32_e32 23, v0
	s_cbranch_execz .LBB119_103
; %bb.100:
	v_dual_mov_b32 v1, 0 :: v_dual_add_nc_u32 v120, 0x1c0, v3
	v_dual_mov_b32 v2, 0 :: v_dual_add_nc_u32 v119, -1, v0
	v_add_nc_u32_e32 v121, 0, v3
	s_mov_b32 s1, 0
.LBB119_101:                            ; =>This Inner Loop Header: Depth=1
	scratch_load_b64 v[122:123], v121, off
	ds_load_b64 v[124:125], v120
	v_add_nc_u32_e32 v119, 1, v119
	v_add_nc_u32_e32 v120, 8, v120
	v_add_nc_u32_e32 v121, 8, v121
	s_delay_alu instid0(VALU_DEP_3)
	v_cmp_lt_u32_e32 vcc_lo, 21, v119
	s_or_b32 s1, vcc_lo, s1
	s_waitcnt vmcnt(0) lgkmcnt(0)
	v_fma_f64 v[1:2], v[122:123], v[124:125], v[1:2]
	s_and_not1_b32 exec_lo, exec_lo, s1
	s_cbranch_execnz .LBB119_101
; %bb.102:
	s_or_b32 exec_lo, exec_lo, s1
	v_mov_b32_e32 v119, 0
	ds_load_b64 v[119:120], v119 offset:184
	s_waitcnt lgkmcnt(0)
	v_mul_f64 v[1:2], v[1:2], v[119:120]
	scratch_store_b64 off, v[1:2], off offset:184
.LBB119_103:
	s_or_b32 exec_lo, exec_lo, s0
	s_waitcnt_vscnt null, 0x0
	s_barrier
	buffer_gl0_inv
	scratch_load_b64 v[1:2], off, off offset:192
	s_mov_b32 s0, exec_lo
	s_waitcnt vmcnt(0)
	ds_store_b64 v5, v[1:2]
	s_waitcnt lgkmcnt(0)
	s_barrier
	buffer_gl0_inv
	v_cmpx_gt_u32_e32 24, v0
	s_cbranch_execz .LBB119_107
; %bb.104:
	v_dual_mov_b32 v1, 0 :: v_dual_add_nc_u32 v120, 0x1c0, v3
	v_dual_mov_b32 v2, 0 :: v_dual_add_nc_u32 v119, -1, v0
	v_add_nc_u32_e32 v121, 0, v3
	s_mov_b32 s1, 0
.LBB119_105:                            ; =>This Inner Loop Header: Depth=1
	scratch_load_b64 v[122:123], v121, off
	ds_load_b64 v[124:125], v120
	v_add_nc_u32_e32 v119, 1, v119
	v_add_nc_u32_e32 v120, 8, v120
	v_add_nc_u32_e32 v121, 8, v121
	s_delay_alu instid0(VALU_DEP_3)
	v_cmp_lt_u32_e32 vcc_lo, 22, v119
	s_or_b32 s1, vcc_lo, s1
	s_waitcnt vmcnt(0) lgkmcnt(0)
	v_fma_f64 v[1:2], v[122:123], v[124:125], v[1:2]
	s_and_not1_b32 exec_lo, exec_lo, s1
	s_cbranch_execnz .LBB119_105
; %bb.106:
	s_or_b32 exec_lo, exec_lo, s1
	v_mov_b32_e32 v119, 0
	ds_load_b64 v[119:120], v119 offset:192
	s_waitcnt lgkmcnt(0)
	v_mul_f64 v[1:2], v[1:2], v[119:120]
	scratch_store_b64 off, v[1:2], off offset:192
.LBB119_107:
	s_or_b32 exec_lo, exec_lo, s0
	s_waitcnt_vscnt null, 0x0
	s_barrier
	buffer_gl0_inv
	scratch_load_b64 v[1:2], off, off offset:200
	;; [unrolled: 39-line block ×32, first 2 shown]
	s_mov_b32 s0, exec_lo
	s_waitcnt vmcnt(0)
	ds_store_b64 v5, v[1:2]
	s_waitcnt lgkmcnt(0)
	s_barrier
	buffer_gl0_inv
	v_cmpx_ne_u32_e32 55, v0
	s_cbranch_execz .LBB119_231
; %bb.228:
	v_mov_b32_e32 v1, 0
	v_mov_b32_e32 v2, 0
	s_mov_b32 s1, 0
.LBB119_229:                            ; =>This Inner Loop Header: Depth=1
	scratch_load_b64 v[119:120], v4, off
	ds_load_b64 v[121:122], v5
	v_add_nc_u32_e32 v118, 1, v118
	v_add_nc_u32_e32 v5, 8, v5
	;; [unrolled: 1-line block ×3, first 2 shown]
	s_delay_alu instid0(VALU_DEP_3)
	v_cmp_lt_u32_e32 vcc_lo, 53, v118
	s_or_b32 s1, vcc_lo, s1
	s_waitcnt vmcnt(0) lgkmcnt(0)
	v_fma_f64 v[1:2], v[119:120], v[121:122], v[1:2]
	s_and_not1_b32 exec_lo, exec_lo, s1
	s_cbranch_execnz .LBB119_229
; %bb.230:
	s_or_b32 exec_lo, exec_lo, s1
	v_mov_b32_e32 v3, 0
	ds_load_b64 v[3:4], v3 offset:440
	s_waitcnt lgkmcnt(0)
	v_mul_f64 v[1:2], v[1:2], v[3:4]
	scratch_store_b64 off, v[1:2], off offset:440
.LBB119_231:
	s_or_b32 exec_lo, exec_lo, s0
	s_mov_b32 s1, -1
	s_waitcnt_vscnt null, 0x0
	s_barrier
	buffer_gl0_inv
.LBB119_232:
	s_and_b32 vcc_lo, exec_lo, s1
	s_cbranch_vccz .LBB119_234
; %bb.233:
	s_lshl_b64 s[0:1], s[8:9], 2
	v_mov_b32_e32 v1, 0
	s_add_u32 s0, s6, s0
	s_addc_u32 s1, s7, s1
	global_load_b32 v1, v1, s[0:1]
	s_waitcnt vmcnt(0)
	v_cmp_ne_u32_e32 vcc_lo, 0, v1
	s_cbranch_vccz .LBB119_235
.LBB119_234:
	s_endpgm
.LBB119_235:
	v_lshl_add_u32 v5, v0, 3, 0x1c0
	s_mov_b32 s0, exec_lo
	v_cmpx_eq_u32_e32 55, v0
	s_cbranch_execz .LBB119_237
; %bb.236:
	scratch_load_b64 v[1:2], off, off offset:432
	v_mov_b32_e32 v3, 0
	s_delay_alu instid0(VALU_DEP_1)
	v_mov_b32_e32 v4, v3
	scratch_store_b64 off, v[3:4], off offset:432
	s_waitcnt vmcnt(0)
	ds_store_b64 v5, v[1:2]
.LBB119_237:
	s_or_b32 exec_lo, exec_lo, s0
	s_waitcnt lgkmcnt(0)
	s_waitcnt_vscnt null, 0x0
	s_barrier
	buffer_gl0_inv
	scratch_load_b128 v[118:121], off, off offset:432
	v_mov_b32_e32 v1, 0
	s_mov_b32 s0, exec_lo
	ds_load_b64 v[2:3], v1 offset:888
	s_waitcnt vmcnt(0) lgkmcnt(0)
	v_fma_f64 v[2:3], v[120:121], v[2:3], 0
	s_delay_alu instid0(VALU_DEP_1)
	v_add_f64 v[2:3], v[118:119], -v[2:3]
	scratch_store_b64 off, v[2:3], off offset:432
	v_cmpx_lt_u32_e32 53, v0
	s_cbranch_execz .LBB119_239
; %bb.238:
	scratch_load_b64 v[3:4], off, off offset:424
	v_mov_b32_e32 v2, v1
	scratch_store_b64 off, v[1:2], off offset:424
	s_waitcnt vmcnt(0)
	ds_store_b64 v5, v[3:4]
.LBB119_239:
	s_or_b32 exec_lo, exec_lo, s0
	s_waitcnt lgkmcnt(0)
	s_waitcnt_vscnt null, 0x0
	s_barrier
	buffer_gl0_inv
	s_clause 0x1
	scratch_load_b128 v[118:121], off, off offset:424
	scratch_load_b64 v[122:123], off, off offset:440
	ds_load_b128 v[1:4], v1 offset:880
	s_mov_b32 s0, exec_lo
	s_waitcnt vmcnt(1) lgkmcnt(0)
	v_fma_f64 v[1:2], v[120:121], v[1:2], 0
	s_waitcnt vmcnt(0)
	s_delay_alu instid0(VALU_DEP_1) | instskip(NEXT) | instid1(VALU_DEP_1)
	v_fma_f64 v[1:2], v[122:123], v[3:4], v[1:2]
	v_add_f64 v[1:2], v[118:119], -v[1:2]
	scratch_store_b64 off, v[1:2], off offset:424
	v_cmpx_lt_u32_e32 52, v0
	s_cbranch_execz .LBB119_241
; %bb.240:
	scratch_load_b64 v[1:2], off, off offset:416
	v_mov_b32_e32 v3, 0
	s_delay_alu instid0(VALU_DEP_1)
	v_mov_b32_e32 v4, v3
	scratch_store_b64 off, v[3:4], off offset:416
	s_waitcnt vmcnt(0)
	ds_store_b64 v5, v[1:2]
.LBB119_241:
	s_or_b32 exec_lo, exec_lo, s0
	s_waitcnt lgkmcnt(0)
	s_waitcnt_vscnt null, 0x0
	s_barrier
	buffer_gl0_inv
	s_clause 0x1
	scratch_load_b128 v[118:121], off, off offset:416
	scratch_load_b128 v[122:125], off, off offset:432
	v_mov_b32_e32 v1, 0
	ds_load_2addr_b64 v[126:129], v1 offset0:109 offset1:110
	ds_load_b64 v[2:3], v1 offset:888
	s_mov_b32 s0, exec_lo
	s_waitcnt vmcnt(1) lgkmcnt(1)
	v_fma_f64 v[120:121], v[120:121], v[126:127], 0
	s_waitcnt vmcnt(0)
	s_delay_alu instid0(VALU_DEP_1) | instskip(SKIP_1) | instid1(VALU_DEP_1)
	v_fma_f64 v[120:121], v[122:123], v[128:129], v[120:121]
	s_waitcnt lgkmcnt(0)
	v_fma_f64 v[2:3], v[124:125], v[2:3], v[120:121]
	s_delay_alu instid0(VALU_DEP_1)
	v_add_f64 v[2:3], v[118:119], -v[2:3]
	scratch_store_b64 off, v[2:3], off offset:416
	v_cmpx_lt_u32_e32 51, v0
	s_cbranch_execz .LBB119_243
; %bb.242:
	scratch_load_b64 v[3:4], off, off offset:408
	v_mov_b32_e32 v2, v1
	scratch_store_b64 off, v[1:2], off offset:408
	s_waitcnt vmcnt(0)
	ds_store_b64 v5, v[3:4]
.LBB119_243:
	s_or_b32 exec_lo, exec_lo, s0
	s_waitcnt lgkmcnt(0)
	s_waitcnt_vscnt null, 0x0
	s_barrier
	buffer_gl0_inv
	s_clause 0x2
	scratch_load_b128 v[118:121], off, off offset:408
	scratch_load_b128 v[122:125], off, off offset:424
	scratch_load_b64 v[130:131], off, off offset:440
	ds_load_b128 v[126:129], v1 offset:864
	ds_load_b128 v[1:4], v1 offset:880
	s_mov_b32 s0, exec_lo
	s_waitcnt vmcnt(2) lgkmcnt(1)
	v_fma_f64 v[120:121], v[120:121], v[126:127], 0
	s_waitcnt vmcnt(1)
	s_delay_alu instid0(VALU_DEP_1) | instskip(SKIP_1) | instid1(VALU_DEP_1)
	v_fma_f64 v[120:121], v[122:123], v[128:129], v[120:121]
	s_waitcnt lgkmcnt(0)
	v_fma_f64 v[1:2], v[124:125], v[1:2], v[120:121]
	s_waitcnt vmcnt(0)
	s_delay_alu instid0(VALU_DEP_1) | instskip(NEXT) | instid1(VALU_DEP_1)
	v_fma_f64 v[1:2], v[130:131], v[3:4], v[1:2]
	v_add_f64 v[1:2], v[118:119], -v[1:2]
	scratch_store_b64 off, v[1:2], off offset:408
	v_cmpx_lt_u32_e32 50, v0
	s_cbranch_execz .LBB119_245
; %bb.244:
	scratch_load_b64 v[1:2], off, off offset:400
	v_mov_b32_e32 v3, 0
	s_delay_alu instid0(VALU_DEP_1)
	v_mov_b32_e32 v4, v3
	scratch_store_b64 off, v[3:4], off offset:400
	s_waitcnt vmcnt(0)
	ds_store_b64 v5, v[1:2]
.LBB119_245:
	s_or_b32 exec_lo, exec_lo, s0
	s_waitcnt lgkmcnt(0)
	s_waitcnt_vscnt null, 0x0
	s_barrier
	buffer_gl0_inv
	s_clause 0x2
	scratch_load_b128 v[118:121], off, off offset:400
	scratch_load_b128 v[122:125], off, off offset:416
	;; [unrolled: 1-line block ×3, first 2 shown]
	v_mov_b32_e32 v1, 0
	ds_load_2addr_b64 v[130:133], v1 offset0:107 offset1:108
	ds_load_2addr_b64 v[134:137], v1 offset0:109 offset1:110
	s_mov_b32 s0, exec_lo
	s_waitcnt vmcnt(2) lgkmcnt(1)
	v_fma_f64 v[2:3], v[120:121], v[130:131], 0
	ds_load_b64 v[120:121], v1 offset:888
	s_waitcnt vmcnt(1)
	v_fma_f64 v[2:3], v[122:123], v[132:133], v[2:3]
	s_waitcnt lgkmcnt(1)
	s_delay_alu instid0(VALU_DEP_1) | instskip(SKIP_1) | instid1(VALU_DEP_1)
	v_fma_f64 v[2:3], v[124:125], v[134:135], v[2:3]
	s_waitcnt vmcnt(0)
	v_fma_f64 v[2:3], v[126:127], v[136:137], v[2:3]
	s_waitcnt lgkmcnt(0)
	s_delay_alu instid0(VALU_DEP_1) | instskip(NEXT) | instid1(VALU_DEP_1)
	v_fma_f64 v[2:3], v[128:129], v[120:121], v[2:3]
	v_add_f64 v[2:3], v[118:119], -v[2:3]
	scratch_store_b64 off, v[2:3], off offset:400
	v_cmpx_lt_u32_e32 49, v0
	s_cbranch_execz .LBB119_247
; %bb.246:
	scratch_load_b64 v[3:4], off, off offset:392
	v_mov_b32_e32 v2, v1
	scratch_store_b64 off, v[1:2], off offset:392
	s_waitcnt vmcnt(0)
	ds_store_b64 v5, v[3:4]
.LBB119_247:
	s_or_b32 exec_lo, exec_lo, s0
	s_waitcnt lgkmcnt(0)
	s_waitcnt_vscnt null, 0x0
	s_barrier
	buffer_gl0_inv
	s_clause 0x3
	scratch_load_b128 v[118:121], off, off offset:392
	scratch_load_b128 v[122:125], off, off offset:408
	;; [unrolled: 1-line block ×3, first 2 shown]
	scratch_load_b64 v[138:139], off, off offset:440
	ds_load_b128 v[130:133], v1 offset:848
	ds_load_b128 v[134:137], v1 offset:864
	s_mov_b32 s0, exec_lo
	s_waitcnt vmcnt(3) lgkmcnt(1)
	v_fma_f64 v[2:3], v[120:121], v[130:131], 0
	s_waitcnt vmcnt(2)
	s_delay_alu instid0(VALU_DEP_1) | instskip(SKIP_1) | instid1(VALU_DEP_1)
	v_fma_f64 v[2:3], v[122:123], v[132:133], v[2:3]
	s_waitcnt lgkmcnt(0)
	v_fma_f64 v[2:3], v[124:125], v[134:135], v[2:3]
	s_waitcnt vmcnt(1)
	s_delay_alu instid0(VALU_DEP_1) | instskip(SKIP_4) | instid1(VALU_DEP_1)
	v_fma_f64 v[120:121], v[126:127], v[136:137], v[2:3]
	ds_load_b128 v[1:4], v1 offset:880
	s_waitcnt lgkmcnt(0)
	v_fma_f64 v[1:2], v[128:129], v[1:2], v[120:121]
	s_waitcnt vmcnt(0)
	v_fma_f64 v[1:2], v[138:139], v[3:4], v[1:2]
	s_delay_alu instid0(VALU_DEP_1)
	v_add_f64 v[1:2], v[118:119], -v[1:2]
	scratch_store_b64 off, v[1:2], off offset:392
	v_cmpx_lt_u32_e32 48, v0
	s_cbranch_execz .LBB119_249
; %bb.248:
	scratch_load_b64 v[1:2], off, off offset:384
	v_mov_b32_e32 v3, 0
	s_delay_alu instid0(VALU_DEP_1)
	v_mov_b32_e32 v4, v3
	scratch_store_b64 off, v[3:4], off offset:384
	s_waitcnt vmcnt(0)
	ds_store_b64 v5, v[1:2]
.LBB119_249:
	s_or_b32 exec_lo, exec_lo, s0
	s_waitcnt lgkmcnt(0)
	s_waitcnt_vscnt null, 0x0
	s_barrier
	buffer_gl0_inv
	s_clause 0x3
	scratch_load_b128 v[118:121], off, off offset:384
	scratch_load_b128 v[122:125], off, off offset:400
	;; [unrolled: 1-line block ×4, first 2 shown]
	v_mov_b32_e32 v1, 0
	ds_load_2addr_b64 v[134:137], v1 offset0:105 offset1:106
	ds_load_2addr_b64 v[138:141], v1 offset0:107 offset1:108
	s_mov_b32 s0, exec_lo
	s_waitcnt vmcnt(3) lgkmcnt(1)
	v_fma_f64 v[2:3], v[120:121], v[134:135], 0
	s_waitcnt vmcnt(2)
	s_delay_alu instid0(VALU_DEP_1) | instskip(SKIP_1) | instid1(VALU_DEP_1)
	v_fma_f64 v[2:3], v[122:123], v[136:137], v[2:3]
	s_waitcnt lgkmcnt(0)
	v_fma_f64 v[2:3], v[124:125], v[138:139], v[2:3]
	ds_load_2addr_b64 v[120:123], v1 offset0:109 offset1:110
	ds_load_b64 v[124:125], v1 offset:888
	s_waitcnt vmcnt(1)
	v_fma_f64 v[2:3], v[126:127], v[140:141], v[2:3]
	s_waitcnt lgkmcnt(1)
	s_delay_alu instid0(VALU_DEP_1) | instskip(SKIP_1) | instid1(VALU_DEP_1)
	v_fma_f64 v[2:3], v[128:129], v[120:121], v[2:3]
	s_waitcnt vmcnt(0)
	v_fma_f64 v[2:3], v[130:131], v[122:123], v[2:3]
	s_waitcnt lgkmcnt(0)
	s_delay_alu instid0(VALU_DEP_1) | instskip(NEXT) | instid1(VALU_DEP_1)
	v_fma_f64 v[2:3], v[132:133], v[124:125], v[2:3]
	v_add_f64 v[2:3], v[118:119], -v[2:3]
	scratch_store_b64 off, v[2:3], off offset:384
	v_cmpx_lt_u32_e32 47, v0
	s_cbranch_execz .LBB119_251
; %bb.250:
	scratch_load_b64 v[3:4], off, off offset:376
	v_mov_b32_e32 v2, v1
	scratch_store_b64 off, v[1:2], off offset:376
	s_waitcnt vmcnt(0)
	ds_store_b64 v5, v[3:4]
.LBB119_251:
	s_or_b32 exec_lo, exec_lo, s0
	s_waitcnt lgkmcnt(0)
	s_waitcnt_vscnt null, 0x0
	s_barrier
	buffer_gl0_inv
	s_clause 0x4
	scratch_load_b128 v[118:121], off, off offset:376
	scratch_load_b128 v[122:125], off, off offset:392
	;; [unrolled: 1-line block ×4, first 2 shown]
	scratch_load_b64 v[142:143], off, off offset:440
	ds_load_b128 v[134:137], v1 offset:832
	ds_load_b128 v[138:141], v1 offset:848
	s_mov_b32 s0, exec_lo
	s_waitcnt vmcnt(4) lgkmcnt(1)
	v_fma_f64 v[2:3], v[120:121], v[134:135], 0
	s_waitcnt vmcnt(3)
	s_delay_alu instid0(VALU_DEP_1) | instskip(SKIP_1) | instid1(VALU_DEP_1)
	v_fma_f64 v[2:3], v[122:123], v[136:137], v[2:3]
	s_waitcnt lgkmcnt(0)
	v_fma_f64 v[2:3], v[124:125], v[138:139], v[2:3]
	s_waitcnt vmcnt(2)
	s_delay_alu instid0(VALU_DEP_1)
	v_fma_f64 v[124:125], v[126:127], v[140:141], v[2:3]
	ds_load_b128 v[120:123], v1 offset:864
	ds_load_b128 v[1:4], v1 offset:880
	s_waitcnt lgkmcnt(1)
	v_fma_f64 v[120:121], v[128:129], v[120:121], v[124:125]
	s_waitcnt vmcnt(1)
	s_delay_alu instid0(VALU_DEP_1) | instskip(SKIP_1) | instid1(VALU_DEP_1)
	v_fma_f64 v[120:121], v[130:131], v[122:123], v[120:121]
	s_waitcnt lgkmcnt(0)
	v_fma_f64 v[1:2], v[132:133], v[1:2], v[120:121]
	s_waitcnt vmcnt(0)
	s_delay_alu instid0(VALU_DEP_1) | instskip(NEXT) | instid1(VALU_DEP_1)
	v_fma_f64 v[1:2], v[142:143], v[3:4], v[1:2]
	v_add_f64 v[1:2], v[118:119], -v[1:2]
	scratch_store_b64 off, v[1:2], off offset:376
	v_cmpx_lt_u32_e32 46, v0
	s_cbranch_execz .LBB119_253
; %bb.252:
	scratch_load_b64 v[1:2], off, off offset:368
	v_mov_b32_e32 v3, 0
	s_delay_alu instid0(VALU_DEP_1)
	v_mov_b32_e32 v4, v3
	scratch_store_b64 off, v[3:4], off offset:368
	s_waitcnt vmcnt(0)
	ds_store_b64 v5, v[1:2]
.LBB119_253:
	s_or_b32 exec_lo, exec_lo, s0
	s_waitcnt lgkmcnt(0)
	s_waitcnt_vscnt null, 0x0
	s_barrier
	buffer_gl0_inv
	s_clause 0x4
	scratch_load_b128 v[118:121], off, off offset:368
	scratch_load_b128 v[122:125], off, off offset:384
	;; [unrolled: 1-line block ×5, first 2 shown]
	v_mov_b32_e32 v1, 0
	s_mov_b32 s0, exec_lo
	ds_load_2addr_b64 v[138:141], v1 offset0:103 offset1:104
	s_waitcnt vmcnt(4) lgkmcnt(0)
	v_fma_f64 v[2:3], v[120:121], v[138:139], 0
	s_waitcnt vmcnt(3)
	s_delay_alu instid0(VALU_DEP_1) | instskip(SKIP_4) | instid1(VALU_DEP_1)
	v_fma_f64 v[2:3], v[122:123], v[140:141], v[2:3]
	ds_load_2addr_b64 v[120:123], v1 offset0:105 offset1:106
	s_waitcnt lgkmcnt(0)
	v_fma_f64 v[2:3], v[124:125], v[120:121], v[2:3]
	s_waitcnt vmcnt(2)
	v_fma_f64 v[2:3], v[126:127], v[122:123], v[2:3]
	ds_load_2addr_b64 v[120:123], v1 offset0:107 offset1:108
	s_waitcnt lgkmcnt(0)
	v_fma_f64 v[2:3], v[128:129], v[120:121], v[2:3]
	s_waitcnt vmcnt(1)
	s_delay_alu instid0(VALU_DEP_1)
	v_fma_f64 v[2:3], v[130:131], v[122:123], v[2:3]
	ds_load_2addr_b64 v[120:123], v1 offset0:109 offset1:110
	s_waitcnt lgkmcnt(0)
	v_fma_f64 v[2:3], v[132:133], v[120:121], v[2:3]
	ds_load_b64 v[120:121], v1 offset:888
	s_waitcnt vmcnt(0)
	v_fma_f64 v[2:3], v[134:135], v[122:123], v[2:3]
	s_waitcnt lgkmcnt(0)
	s_delay_alu instid0(VALU_DEP_1) | instskip(NEXT) | instid1(VALU_DEP_1)
	v_fma_f64 v[2:3], v[136:137], v[120:121], v[2:3]
	v_add_f64 v[2:3], v[118:119], -v[2:3]
	scratch_store_b64 off, v[2:3], off offset:368
	v_cmpx_lt_u32_e32 45, v0
	s_cbranch_execz .LBB119_255
; %bb.254:
	scratch_load_b64 v[3:4], off, off offset:360
	v_mov_b32_e32 v2, v1
	scratch_store_b64 off, v[1:2], off offset:360
	s_waitcnt vmcnt(0)
	ds_store_b64 v5, v[3:4]
.LBB119_255:
	s_or_b32 exec_lo, exec_lo, s0
	s_waitcnt lgkmcnt(0)
	s_waitcnt_vscnt null, 0x0
	s_barrier
	buffer_gl0_inv
	s_clause 0x4
	scratch_load_b128 v[118:121], off, off offset:360
	scratch_load_b128 v[122:125], off, off offset:376
	;; [unrolled: 1-line block ×5, first 2 shown]
	ds_load_b128 v[138:141], v1 offset:816
	s_mov_b32 s0, exec_lo
	s_waitcnt vmcnt(4) lgkmcnt(0)
	v_fma_f64 v[2:3], v[120:121], v[138:139], 0
	scratch_load_b64 v[138:139], off, off offset:440
	s_waitcnt vmcnt(4)
	v_fma_f64 v[2:3], v[122:123], v[140:141], v[2:3]
	ds_load_b128 v[120:123], v1 offset:832
	s_waitcnt lgkmcnt(0)
	v_fma_f64 v[2:3], v[124:125], v[120:121], v[2:3]
	s_waitcnt vmcnt(3)
	s_delay_alu instid0(VALU_DEP_1) | instskip(SKIP_4) | instid1(VALU_DEP_1)
	v_fma_f64 v[2:3], v[126:127], v[122:123], v[2:3]
	ds_load_b128 v[120:123], v1 offset:848
	s_waitcnt lgkmcnt(0)
	v_fma_f64 v[2:3], v[128:129], v[120:121], v[2:3]
	s_waitcnt vmcnt(2)
	v_fma_f64 v[2:3], v[130:131], v[122:123], v[2:3]
	ds_load_b128 v[120:123], v1 offset:864
	s_waitcnt lgkmcnt(0)
	v_fma_f64 v[2:3], v[132:133], v[120:121], v[2:3]
	s_waitcnt vmcnt(1)
	s_delay_alu instid0(VALU_DEP_1) | instskip(SKIP_4) | instid1(VALU_DEP_1)
	v_fma_f64 v[120:121], v[134:135], v[122:123], v[2:3]
	ds_load_b128 v[1:4], v1 offset:880
	s_waitcnt lgkmcnt(0)
	v_fma_f64 v[1:2], v[136:137], v[1:2], v[120:121]
	s_waitcnt vmcnt(0)
	v_fma_f64 v[1:2], v[138:139], v[3:4], v[1:2]
	s_delay_alu instid0(VALU_DEP_1)
	v_add_f64 v[1:2], v[118:119], -v[1:2]
	scratch_store_b64 off, v[1:2], off offset:360
	v_cmpx_lt_u32_e32 44, v0
	s_cbranch_execz .LBB119_257
; %bb.256:
	scratch_load_b64 v[1:2], off, off offset:352
	v_mov_b32_e32 v3, 0
	s_delay_alu instid0(VALU_DEP_1)
	v_mov_b32_e32 v4, v3
	scratch_store_b64 off, v[3:4], off offset:352
	s_waitcnt vmcnt(0)
	ds_store_b64 v5, v[1:2]
.LBB119_257:
	s_or_b32 exec_lo, exec_lo, s0
	s_waitcnt lgkmcnt(0)
	s_waitcnt_vscnt null, 0x0
	s_barrier
	buffer_gl0_inv
	s_clause 0x4
	scratch_load_b128 v[118:121], off, off offset:352
	scratch_load_b128 v[122:125], off, off offset:368
	;; [unrolled: 1-line block ×5, first 2 shown]
	v_mov_b32_e32 v1, 0
	scratch_load_b128 v[142:145], off, off offset:432
	s_mov_b32 s0, exec_lo
	ds_load_2addr_b64 v[138:141], v1 offset0:101 offset1:102
	s_waitcnt vmcnt(5) lgkmcnt(0)
	v_fma_f64 v[2:3], v[120:121], v[138:139], 0
	s_waitcnt vmcnt(4)
	s_delay_alu instid0(VALU_DEP_1) | instskip(SKIP_4) | instid1(VALU_DEP_1)
	v_fma_f64 v[2:3], v[122:123], v[140:141], v[2:3]
	ds_load_2addr_b64 v[120:123], v1 offset0:103 offset1:104
	s_waitcnt lgkmcnt(0)
	v_fma_f64 v[2:3], v[124:125], v[120:121], v[2:3]
	s_waitcnt vmcnt(3)
	v_fma_f64 v[2:3], v[126:127], v[122:123], v[2:3]
	ds_load_2addr_b64 v[120:123], v1 offset0:105 offset1:106
	s_waitcnt lgkmcnt(0)
	v_fma_f64 v[2:3], v[128:129], v[120:121], v[2:3]
	s_waitcnt vmcnt(2)
	s_delay_alu instid0(VALU_DEP_1) | instskip(SKIP_4) | instid1(VALU_DEP_1)
	v_fma_f64 v[2:3], v[130:131], v[122:123], v[2:3]
	ds_load_2addr_b64 v[120:123], v1 offset0:107 offset1:108
	s_waitcnt lgkmcnt(0)
	v_fma_f64 v[2:3], v[132:133], v[120:121], v[2:3]
	s_waitcnt vmcnt(1)
	v_fma_f64 v[2:3], v[134:135], v[122:123], v[2:3]
	ds_load_2addr_b64 v[120:123], v1 offset0:109 offset1:110
	s_waitcnt lgkmcnt(0)
	v_fma_f64 v[2:3], v[136:137], v[120:121], v[2:3]
	ds_load_b64 v[120:121], v1 offset:888
	s_waitcnt vmcnt(0)
	v_fma_f64 v[2:3], v[142:143], v[122:123], v[2:3]
	s_waitcnt lgkmcnt(0)
	s_delay_alu instid0(VALU_DEP_1) | instskip(NEXT) | instid1(VALU_DEP_1)
	v_fma_f64 v[2:3], v[144:145], v[120:121], v[2:3]
	v_add_f64 v[2:3], v[118:119], -v[2:3]
	scratch_store_b64 off, v[2:3], off offset:352
	v_cmpx_lt_u32_e32 43, v0
	s_cbranch_execz .LBB119_259
; %bb.258:
	scratch_load_b64 v[3:4], off, off offset:344
	v_mov_b32_e32 v2, v1
	scratch_store_b64 off, v[1:2], off offset:344
	s_waitcnt vmcnt(0)
	ds_store_b64 v5, v[3:4]
.LBB119_259:
	s_or_b32 exec_lo, exec_lo, s0
	s_waitcnt lgkmcnt(0)
	s_waitcnt_vscnt null, 0x0
	s_barrier
	buffer_gl0_inv
	s_clause 0x4
	scratch_load_b128 v[118:121], off, off offset:344
	scratch_load_b128 v[122:125], off, off offset:360
	scratch_load_b128 v[126:129], off, off offset:376
	scratch_load_b128 v[130:133], off, off offset:392
	scratch_load_b128 v[134:137], off, off offset:408
	ds_load_b128 v[138:141], v1 offset:800
	scratch_load_b128 v[142:145], off, off offset:424
	s_mov_b32 s0, exec_lo
	s_waitcnt vmcnt(5) lgkmcnt(0)
	v_fma_f64 v[2:3], v[120:121], v[138:139], 0
	s_waitcnt vmcnt(4)
	s_delay_alu instid0(VALU_DEP_1)
	v_fma_f64 v[2:3], v[122:123], v[140:141], v[2:3]
	ds_load_b128 v[120:123], v1 offset:816
	s_waitcnt lgkmcnt(0)
	v_fma_f64 v[2:3], v[124:125], v[120:121], v[2:3]
	scratch_load_b64 v[124:125], off, off offset:440
	s_waitcnt vmcnt(4)
	v_fma_f64 v[2:3], v[126:127], v[122:123], v[2:3]
	ds_load_b128 v[120:123], v1 offset:832
	s_waitcnt lgkmcnt(0)
	v_fma_f64 v[2:3], v[128:129], v[120:121], v[2:3]
	s_waitcnt vmcnt(3)
	s_delay_alu instid0(VALU_DEP_1) | instskip(SKIP_4) | instid1(VALU_DEP_1)
	v_fma_f64 v[2:3], v[130:131], v[122:123], v[2:3]
	ds_load_b128 v[120:123], v1 offset:848
	s_waitcnt lgkmcnt(0)
	v_fma_f64 v[2:3], v[132:133], v[120:121], v[2:3]
	s_waitcnt vmcnt(2)
	v_fma_f64 v[2:3], v[134:135], v[122:123], v[2:3]
	ds_load_b128 v[120:123], v1 offset:864
	s_waitcnt lgkmcnt(0)
	v_fma_f64 v[2:3], v[136:137], v[120:121], v[2:3]
	s_waitcnt vmcnt(1)
	s_delay_alu instid0(VALU_DEP_1) | instskip(SKIP_4) | instid1(VALU_DEP_1)
	v_fma_f64 v[120:121], v[142:143], v[122:123], v[2:3]
	ds_load_b128 v[1:4], v1 offset:880
	s_waitcnt lgkmcnt(0)
	v_fma_f64 v[1:2], v[144:145], v[1:2], v[120:121]
	s_waitcnt vmcnt(0)
	v_fma_f64 v[1:2], v[124:125], v[3:4], v[1:2]
	s_delay_alu instid0(VALU_DEP_1)
	v_add_f64 v[1:2], v[118:119], -v[1:2]
	scratch_store_b64 off, v[1:2], off offset:344
	v_cmpx_lt_u32_e32 42, v0
	s_cbranch_execz .LBB119_261
; %bb.260:
	scratch_load_b64 v[1:2], off, off offset:336
	v_mov_b32_e32 v3, 0
	s_delay_alu instid0(VALU_DEP_1)
	v_mov_b32_e32 v4, v3
	scratch_store_b64 off, v[3:4], off offset:336
	s_waitcnt vmcnt(0)
	ds_store_b64 v5, v[1:2]
.LBB119_261:
	s_or_b32 exec_lo, exec_lo, s0
	s_waitcnt lgkmcnt(0)
	s_waitcnt_vscnt null, 0x0
	s_barrier
	buffer_gl0_inv
	s_clause 0x4
	scratch_load_b128 v[118:121], off, off offset:336
	scratch_load_b128 v[122:125], off, off offset:352
	;; [unrolled: 1-line block ×5, first 2 shown]
	v_mov_b32_e32 v1, 0
	scratch_load_b128 v[142:145], off, off offset:416
	s_mov_b32 s0, exec_lo
	ds_load_2addr_b64 v[138:141], v1 offset0:99 offset1:100
	s_waitcnt vmcnt(5) lgkmcnt(0)
	v_fma_f64 v[2:3], v[120:121], v[138:139], 0
	s_waitcnt vmcnt(4)
	s_delay_alu instid0(VALU_DEP_1)
	v_fma_f64 v[2:3], v[122:123], v[140:141], v[2:3]
	scratch_load_b128 v[138:141], off, off offset:432
	ds_load_2addr_b64 v[120:123], v1 offset0:101 offset1:102
	s_waitcnt lgkmcnt(0)
	v_fma_f64 v[2:3], v[124:125], v[120:121], v[2:3]
	s_waitcnt vmcnt(4)
	s_delay_alu instid0(VALU_DEP_1) | instskip(SKIP_4) | instid1(VALU_DEP_1)
	v_fma_f64 v[2:3], v[126:127], v[122:123], v[2:3]
	ds_load_2addr_b64 v[120:123], v1 offset0:103 offset1:104
	s_waitcnt lgkmcnt(0)
	v_fma_f64 v[2:3], v[128:129], v[120:121], v[2:3]
	s_waitcnt vmcnt(3)
	v_fma_f64 v[2:3], v[130:131], v[122:123], v[2:3]
	ds_load_2addr_b64 v[120:123], v1 offset0:105 offset1:106
	s_waitcnt lgkmcnt(0)
	v_fma_f64 v[2:3], v[132:133], v[120:121], v[2:3]
	s_waitcnt vmcnt(2)
	s_delay_alu instid0(VALU_DEP_1) | instskip(SKIP_4) | instid1(VALU_DEP_1)
	v_fma_f64 v[2:3], v[134:135], v[122:123], v[2:3]
	ds_load_2addr_b64 v[120:123], v1 offset0:107 offset1:108
	s_waitcnt lgkmcnt(0)
	v_fma_f64 v[2:3], v[136:137], v[120:121], v[2:3]
	s_waitcnt vmcnt(1)
	v_fma_f64 v[2:3], v[142:143], v[122:123], v[2:3]
	ds_load_2addr_b64 v[120:123], v1 offset0:109 offset1:110
	s_waitcnt lgkmcnt(0)
	v_fma_f64 v[2:3], v[144:145], v[120:121], v[2:3]
	ds_load_b64 v[120:121], v1 offset:888
	s_waitcnt vmcnt(0)
	v_fma_f64 v[2:3], v[138:139], v[122:123], v[2:3]
	s_waitcnt lgkmcnt(0)
	s_delay_alu instid0(VALU_DEP_1) | instskip(NEXT) | instid1(VALU_DEP_1)
	v_fma_f64 v[2:3], v[140:141], v[120:121], v[2:3]
	v_add_f64 v[2:3], v[118:119], -v[2:3]
	scratch_store_b64 off, v[2:3], off offset:336
	v_cmpx_lt_u32_e32 41, v0
	s_cbranch_execz .LBB119_263
; %bb.262:
	scratch_load_b64 v[3:4], off, off offset:328
	v_mov_b32_e32 v2, v1
	scratch_store_b64 off, v[1:2], off offset:328
	s_waitcnt vmcnt(0)
	ds_store_b64 v5, v[3:4]
.LBB119_263:
	s_or_b32 exec_lo, exec_lo, s0
	s_waitcnt lgkmcnt(0)
	s_waitcnt_vscnt null, 0x0
	s_barrier
	buffer_gl0_inv
	s_clause 0x4
	scratch_load_b128 v[118:121], off, off offset:328
	scratch_load_b128 v[122:125], off, off offset:344
	;; [unrolled: 1-line block ×5, first 2 shown]
	ds_load_b128 v[138:141], v1 offset:784
	scratch_load_b128 v[142:145], off, off offset:408
	s_mov_b32 s0, exec_lo
	s_waitcnt vmcnt(5) lgkmcnt(0)
	v_fma_f64 v[2:3], v[120:121], v[138:139], 0
	s_waitcnt vmcnt(4)
	s_delay_alu instid0(VALU_DEP_1)
	v_fma_f64 v[2:3], v[122:123], v[140:141], v[2:3]
	scratch_load_b128 v[138:141], off, off offset:424
	ds_load_b128 v[120:123], v1 offset:800
	s_waitcnt lgkmcnt(0)
	v_fma_f64 v[2:3], v[124:125], v[120:121], v[2:3]
	scratch_load_b64 v[124:125], off, off offset:440
	s_waitcnt vmcnt(5)
	v_fma_f64 v[2:3], v[126:127], v[122:123], v[2:3]
	ds_load_b128 v[120:123], v1 offset:816
	s_waitcnt lgkmcnt(0)
	v_fma_f64 v[2:3], v[128:129], v[120:121], v[2:3]
	s_waitcnt vmcnt(4)
	s_delay_alu instid0(VALU_DEP_1) | instskip(SKIP_4) | instid1(VALU_DEP_1)
	v_fma_f64 v[2:3], v[130:131], v[122:123], v[2:3]
	ds_load_b128 v[120:123], v1 offset:832
	s_waitcnt lgkmcnt(0)
	v_fma_f64 v[2:3], v[132:133], v[120:121], v[2:3]
	s_waitcnt vmcnt(3)
	v_fma_f64 v[2:3], v[134:135], v[122:123], v[2:3]
	ds_load_b128 v[120:123], v1 offset:848
	s_waitcnt lgkmcnt(0)
	v_fma_f64 v[2:3], v[136:137], v[120:121], v[2:3]
	s_waitcnt vmcnt(2)
	s_delay_alu instid0(VALU_DEP_1) | instskip(SKIP_4) | instid1(VALU_DEP_1)
	v_fma_f64 v[2:3], v[142:143], v[122:123], v[2:3]
	ds_load_b128 v[120:123], v1 offset:864
	s_waitcnt lgkmcnt(0)
	v_fma_f64 v[2:3], v[144:145], v[120:121], v[2:3]
	s_waitcnt vmcnt(1)
	v_fma_f64 v[120:121], v[138:139], v[122:123], v[2:3]
	ds_load_b128 v[1:4], v1 offset:880
	s_waitcnt lgkmcnt(0)
	v_fma_f64 v[1:2], v[140:141], v[1:2], v[120:121]
	s_waitcnt vmcnt(0)
	s_delay_alu instid0(VALU_DEP_1) | instskip(NEXT) | instid1(VALU_DEP_1)
	v_fma_f64 v[1:2], v[124:125], v[3:4], v[1:2]
	v_add_f64 v[1:2], v[118:119], -v[1:2]
	scratch_store_b64 off, v[1:2], off offset:328
	v_cmpx_lt_u32_e32 40, v0
	s_cbranch_execz .LBB119_265
; %bb.264:
	scratch_load_b64 v[1:2], off, off offset:320
	v_mov_b32_e32 v3, 0
	s_delay_alu instid0(VALU_DEP_1)
	v_mov_b32_e32 v4, v3
	scratch_store_b64 off, v[3:4], off offset:320
	s_waitcnt vmcnt(0)
	ds_store_b64 v5, v[1:2]
.LBB119_265:
	s_or_b32 exec_lo, exec_lo, s0
	s_waitcnt lgkmcnt(0)
	s_waitcnt_vscnt null, 0x0
	s_barrier
	buffer_gl0_inv
	s_clause 0x4
	scratch_load_b128 v[118:121], off, off offset:320
	scratch_load_b128 v[122:125], off, off offset:336
	;; [unrolled: 1-line block ×5, first 2 shown]
	v_mov_b32_e32 v1, 0
	scratch_load_b128 v[142:145], off, off offset:400
	s_mov_b32 s0, exec_lo
	ds_load_2addr_b64 v[138:141], v1 offset0:97 offset1:98
	s_waitcnt vmcnt(5) lgkmcnt(0)
	v_fma_f64 v[2:3], v[120:121], v[138:139], 0
	s_waitcnt vmcnt(4)
	s_delay_alu instid0(VALU_DEP_1)
	v_fma_f64 v[2:3], v[122:123], v[140:141], v[2:3]
	scratch_load_b128 v[138:141], off, off offset:416
	ds_load_2addr_b64 v[120:123], v1 offset0:99 offset1:100
	s_waitcnt lgkmcnt(0)
	v_fma_f64 v[2:3], v[124:125], v[120:121], v[2:3]
	s_waitcnt vmcnt(4)
	s_delay_alu instid0(VALU_DEP_1)
	v_fma_f64 v[2:3], v[126:127], v[122:123], v[2:3]
	ds_load_2addr_b64 v[120:123], v1 offset0:101 offset1:102
	scratch_load_b128 v[124:127], off, off offset:432
	s_waitcnt lgkmcnt(0)
	v_fma_f64 v[2:3], v[128:129], v[120:121], v[2:3]
	s_waitcnt vmcnt(4)
	s_delay_alu instid0(VALU_DEP_1) | instskip(SKIP_4) | instid1(VALU_DEP_1)
	v_fma_f64 v[2:3], v[130:131], v[122:123], v[2:3]
	ds_load_2addr_b64 v[120:123], v1 offset0:103 offset1:104
	s_waitcnt lgkmcnt(0)
	v_fma_f64 v[2:3], v[132:133], v[120:121], v[2:3]
	s_waitcnt vmcnt(3)
	v_fma_f64 v[2:3], v[134:135], v[122:123], v[2:3]
	ds_load_2addr_b64 v[120:123], v1 offset0:105 offset1:106
	s_waitcnt lgkmcnt(0)
	v_fma_f64 v[2:3], v[136:137], v[120:121], v[2:3]
	s_waitcnt vmcnt(2)
	s_delay_alu instid0(VALU_DEP_1) | instskip(SKIP_4) | instid1(VALU_DEP_1)
	v_fma_f64 v[2:3], v[142:143], v[122:123], v[2:3]
	ds_load_2addr_b64 v[120:123], v1 offset0:107 offset1:108
	s_waitcnt lgkmcnt(0)
	v_fma_f64 v[2:3], v[144:145], v[120:121], v[2:3]
	s_waitcnt vmcnt(1)
	v_fma_f64 v[2:3], v[138:139], v[122:123], v[2:3]
	ds_load_2addr_b64 v[120:123], v1 offset0:109 offset1:110
	s_waitcnt lgkmcnt(0)
	v_fma_f64 v[2:3], v[140:141], v[120:121], v[2:3]
	ds_load_b64 v[120:121], v1 offset:888
	s_waitcnt vmcnt(0)
	v_fma_f64 v[2:3], v[124:125], v[122:123], v[2:3]
	s_waitcnt lgkmcnt(0)
	s_delay_alu instid0(VALU_DEP_1) | instskip(NEXT) | instid1(VALU_DEP_1)
	v_fma_f64 v[2:3], v[126:127], v[120:121], v[2:3]
	v_add_f64 v[2:3], v[118:119], -v[2:3]
	scratch_store_b64 off, v[2:3], off offset:320
	v_cmpx_lt_u32_e32 39, v0
	s_cbranch_execz .LBB119_267
; %bb.266:
	scratch_load_b64 v[3:4], off, off offset:312
	v_mov_b32_e32 v2, v1
	scratch_store_b64 off, v[1:2], off offset:312
	s_waitcnt vmcnt(0)
	ds_store_b64 v5, v[3:4]
.LBB119_267:
	s_or_b32 exec_lo, exec_lo, s0
	s_waitcnt lgkmcnt(0)
	s_waitcnt_vscnt null, 0x0
	s_barrier
	buffer_gl0_inv
	s_clause 0x4
	scratch_load_b128 v[118:121], off, off offset:312
	scratch_load_b128 v[122:125], off, off offset:328
	;; [unrolled: 1-line block ×5, first 2 shown]
	ds_load_b128 v[138:141], v1 offset:768
	scratch_load_b128 v[142:145], off, off offset:392
	s_mov_b32 s0, exec_lo
	s_waitcnt vmcnt(5) lgkmcnt(0)
	v_fma_f64 v[2:3], v[120:121], v[138:139], 0
	s_waitcnt vmcnt(4)
	s_delay_alu instid0(VALU_DEP_1)
	v_fma_f64 v[2:3], v[122:123], v[140:141], v[2:3]
	scratch_load_b128 v[138:141], off, off offset:408
	ds_load_b128 v[120:123], v1 offset:784
	s_waitcnt lgkmcnt(0)
	v_fma_f64 v[2:3], v[124:125], v[120:121], v[2:3]
	s_waitcnt vmcnt(4)
	s_delay_alu instid0(VALU_DEP_1)
	v_fma_f64 v[2:3], v[126:127], v[122:123], v[2:3]
	ds_load_b128 v[120:123], v1 offset:800
	scratch_load_b128 v[124:127], off, off offset:424
	s_waitcnt lgkmcnt(0)
	v_fma_f64 v[2:3], v[128:129], v[120:121], v[2:3]
	scratch_load_b64 v[128:129], off, off offset:440
	s_waitcnt vmcnt(5)
	v_fma_f64 v[2:3], v[130:131], v[122:123], v[2:3]
	ds_load_b128 v[120:123], v1 offset:816
	s_waitcnt lgkmcnt(0)
	v_fma_f64 v[2:3], v[132:133], v[120:121], v[2:3]
	s_waitcnt vmcnt(4)
	s_delay_alu instid0(VALU_DEP_1) | instskip(SKIP_4) | instid1(VALU_DEP_1)
	v_fma_f64 v[2:3], v[134:135], v[122:123], v[2:3]
	ds_load_b128 v[120:123], v1 offset:832
	s_waitcnt lgkmcnt(0)
	v_fma_f64 v[2:3], v[136:137], v[120:121], v[2:3]
	s_waitcnt vmcnt(3)
	v_fma_f64 v[2:3], v[142:143], v[122:123], v[2:3]
	ds_load_b128 v[120:123], v1 offset:848
	s_waitcnt lgkmcnt(0)
	v_fma_f64 v[2:3], v[144:145], v[120:121], v[2:3]
	s_waitcnt vmcnt(2)
	s_delay_alu instid0(VALU_DEP_1) | instskip(SKIP_4) | instid1(VALU_DEP_1)
	v_fma_f64 v[2:3], v[138:139], v[122:123], v[2:3]
	ds_load_b128 v[120:123], v1 offset:864
	s_waitcnt lgkmcnt(0)
	v_fma_f64 v[2:3], v[140:141], v[120:121], v[2:3]
	s_waitcnt vmcnt(1)
	v_fma_f64 v[120:121], v[124:125], v[122:123], v[2:3]
	ds_load_b128 v[1:4], v1 offset:880
	s_waitcnt lgkmcnt(0)
	v_fma_f64 v[1:2], v[126:127], v[1:2], v[120:121]
	s_waitcnt vmcnt(0)
	s_delay_alu instid0(VALU_DEP_1) | instskip(NEXT) | instid1(VALU_DEP_1)
	v_fma_f64 v[1:2], v[128:129], v[3:4], v[1:2]
	v_add_f64 v[1:2], v[118:119], -v[1:2]
	scratch_store_b64 off, v[1:2], off offset:312
	v_cmpx_lt_u32_e32 38, v0
	s_cbranch_execz .LBB119_269
; %bb.268:
	scratch_load_b64 v[1:2], off, off offset:304
	v_mov_b32_e32 v3, 0
	s_delay_alu instid0(VALU_DEP_1)
	v_mov_b32_e32 v4, v3
	scratch_store_b64 off, v[3:4], off offset:304
	s_waitcnt vmcnt(0)
	ds_store_b64 v5, v[1:2]
.LBB119_269:
	s_or_b32 exec_lo, exec_lo, s0
	s_waitcnt lgkmcnt(0)
	s_waitcnt_vscnt null, 0x0
	s_barrier
	buffer_gl0_inv
	s_clause 0x4
	scratch_load_b128 v[118:121], off, off offset:304
	scratch_load_b128 v[122:125], off, off offset:320
	;; [unrolled: 1-line block ×5, first 2 shown]
	v_mov_b32_e32 v1, 0
	scratch_load_b128 v[142:145], off, off offset:384
	s_mov_b32 s0, exec_lo
	ds_load_2addr_b64 v[138:141], v1 offset0:95 offset1:96
	s_waitcnt vmcnt(5) lgkmcnt(0)
	v_fma_f64 v[2:3], v[120:121], v[138:139], 0
	s_waitcnt vmcnt(4)
	s_delay_alu instid0(VALU_DEP_1)
	v_fma_f64 v[2:3], v[122:123], v[140:141], v[2:3]
	scratch_load_b128 v[138:141], off, off offset:400
	ds_load_2addr_b64 v[120:123], v1 offset0:97 offset1:98
	s_waitcnt lgkmcnt(0)
	v_fma_f64 v[2:3], v[124:125], v[120:121], v[2:3]
	s_waitcnt vmcnt(4)
	s_delay_alu instid0(VALU_DEP_1)
	v_fma_f64 v[2:3], v[126:127], v[122:123], v[2:3]
	ds_load_2addr_b64 v[120:123], v1 offset0:99 offset1:100
	scratch_load_b128 v[124:127], off, off offset:416
	s_waitcnt lgkmcnt(0)
	v_fma_f64 v[2:3], v[128:129], v[120:121], v[2:3]
	s_waitcnt vmcnt(4)
	s_delay_alu instid0(VALU_DEP_1)
	v_fma_f64 v[2:3], v[130:131], v[122:123], v[2:3]
	scratch_load_b128 v[128:131], off, off offset:432
	ds_load_2addr_b64 v[120:123], v1 offset0:101 offset1:102
	s_waitcnt lgkmcnt(0)
	v_fma_f64 v[2:3], v[132:133], v[120:121], v[2:3]
	s_waitcnt vmcnt(4)
	s_delay_alu instid0(VALU_DEP_1) | instskip(SKIP_4) | instid1(VALU_DEP_1)
	v_fma_f64 v[2:3], v[134:135], v[122:123], v[2:3]
	ds_load_2addr_b64 v[120:123], v1 offset0:103 offset1:104
	s_waitcnt lgkmcnt(0)
	v_fma_f64 v[2:3], v[136:137], v[120:121], v[2:3]
	s_waitcnt vmcnt(3)
	v_fma_f64 v[2:3], v[142:143], v[122:123], v[2:3]
	ds_load_2addr_b64 v[120:123], v1 offset0:105 offset1:106
	s_waitcnt lgkmcnt(0)
	v_fma_f64 v[2:3], v[144:145], v[120:121], v[2:3]
	s_waitcnt vmcnt(2)
	s_delay_alu instid0(VALU_DEP_1) | instskip(SKIP_4) | instid1(VALU_DEP_1)
	v_fma_f64 v[2:3], v[138:139], v[122:123], v[2:3]
	ds_load_2addr_b64 v[120:123], v1 offset0:107 offset1:108
	s_waitcnt lgkmcnt(0)
	v_fma_f64 v[2:3], v[140:141], v[120:121], v[2:3]
	s_waitcnt vmcnt(1)
	v_fma_f64 v[2:3], v[124:125], v[122:123], v[2:3]
	ds_load_2addr_b64 v[120:123], v1 offset0:109 offset1:110
	s_waitcnt lgkmcnt(0)
	v_fma_f64 v[2:3], v[126:127], v[120:121], v[2:3]
	ds_load_b64 v[120:121], v1 offset:888
	s_waitcnt vmcnt(0)
	v_fma_f64 v[2:3], v[128:129], v[122:123], v[2:3]
	s_waitcnt lgkmcnt(0)
	s_delay_alu instid0(VALU_DEP_1) | instskip(NEXT) | instid1(VALU_DEP_1)
	v_fma_f64 v[2:3], v[130:131], v[120:121], v[2:3]
	v_add_f64 v[2:3], v[118:119], -v[2:3]
	scratch_store_b64 off, v[2:3], off offset:304
	v_cmpx_lt_u32_e32 37, v0
	s_cbranch_execz .LBB119_271
; %bb.270:
	scratch_load_b64 v[3:4], off, off offset:296
	v_mov_b32_e32 v2, v1
	scratch_store_b64 off, v[1:2], off offset:296
	s_waitcnt vmcnt(0)
	ds_store_b64 v5, v[3:4]
.LBB119_271:
	s_or_b32 exec_lo, exec_lo, s0
	s_waitcnt lgkmcnt(0)
	s_waitcnt_vscnt null, 0x0
	s_barrier
	buffer_gl0_inv
	s_clause 0x4
	scratch_load_b128 v[118:121], off, off offset:296
	scratch_load_b128 v[122:125], off, off offset:312
	scratch_load_b128 v[126:129], off, off offset:328
	scratch_load_b128 v[130:133], off, off offset:344
	scratch_load_b128 v[134:137], off, off offset:360
	ds_load_b128 v[138:141], v1 offset:752
	scratch_load_b128 v[142:145], off, off offset:376
	s_mov_b32 s0, exec_lo
	s_waitcnt vmcnt(5) lgkmcnt(0)
	v_fma_f64 v[2:3], v[120:121], v[138:139], 0
	s_waitcnt vmcnt(4)
	s_delay_alu instid0(VALU_DEP_1)
	v_fma_f64 v[2:3], v[122:123], v[140:141], v[2:3]
	scratch_load_b128 v[138:141], off, off offset:392
	ds_load_b128 v[120:123], v1 offset:768
	s_waitcnt lgkmcnt(0)
	v_fma_f64 v[2:3], v[124:125], v[120:121], v[2:3]
	s_waitcnt vmcnt(4)
	s_delay_alu instid0(VALU_DEP_1)
	v_fma_f64 v[2:3], v[126:127], v[122:123], v[2:3]
	ds_load_b128 v[120:123], v1 offset:784
	scratch_load_b128 v[124:127], off, off offset:408
	s_waitcnt lgkmcnt(0)
	v_fma_f64 v[2:3], v[128:129], v[120:121], v[2:3]
	s_waitcnt vmcnt(4)
	s_delay_alu instid0(VALU_DEP_1)
	v_fma_f64 v[2:3], v[130:131], v[122:123], v[2:3]
	scratch_load_b128 v[128:131], off, off offset:424
	ds_load_b128 v[120:123], v1 offset:800
	s_waitcnt lgkmcnt(0)
	v_fma_f64 v[2:3], v[132:133], v[120:121], v[2:3]
	scratch_load_b64 v[132:133], off, off offset:440
	s_waitcnt vmcnt(5)
	v_fma_f64 v[2:3], v[134:135], v[122:123], v[2:3]
	ds_load_b128 v[120:123], v1 offset:816
	s_waitcnt lgkmcnt(0)
	v_fma_f64 v[2:3], v[136:137], v[120:121], v[2:3]
	s_waitcnt vmcnt(4)
	s_delay_alu instid0(VALU_DEP_1) | instskip(SKIP_4) | instid1(VALU_DEP_1)
	v_fma_f64 v[2:3], v[142:143], v[122:123], v[2:3]
	ds_load_b128 v[120:123], v1 offset:832
	s_waitcnt lgkmcnt(0)
	v_fma_f64 v[2:3], v[144:145], v[120:121], v[2:3]
	s_waitcnt vmcnt(3)
	v_fma_f64 v[2:3], v[138:139], v[122:123], v[2:3]
	ds_load_b128 v[120:123], v1 offset:848
	s_waitcnt lgkmcnt(0)
	v_fma_f64 v[2:3], v[140:141], v[120:121], v[2:3]
	s_waitcnt vmcnt(2)
	s_delay_alu instid0(VALU_DEP_1) | instskip(SKIP_4) | instid1(VALU_DEP_1)
	v_fma_f64 v[2:3], v[124:125], v[122:123], v[2:3]
	ds_load_b128 v[120:123], v1 offset:864
	s_waitcnt lgkmcnt(0)
	v_fma_f64 v[2:3], v[126:127], v[120:121], v[2:3]
	s_waitcnt vmcnt(1)
	v_fma_f64 v[120:121], v[128:129], v[122:123], v[2:3]
	ds_load_b128 v[1:4], v1 offset:880
	s_waitcnt lgkmcnt(0)
	v_fma_f64 v[1:2], v[130:131], v[1:2], v[120:121]
	s_waitcnt vmcnt(0)
	s_delay_alu instid0(VALU_DEP_1) | instskip(NEXT) | instid1(VALU_DEP_1)
	v_fma_f64 v[1:2], v[132:133], v[3:4], v[1:2]
	v_add_f64 v[1:2], v[118:119], -v[1:2]
	scratch_store_b64 off, v[1:2], off offset:296
	v_cmpx_lt_u32_e32 36, v0
	s_cbranch_execz .LBB119_273
; %bb.272:
	scratch_load_b64 v[1:2], off, off offset:288
	v_mov_b32_e32 v3, 0
	s_delay_alu instid0(VALU_DEP_1)
	v_mov_b32_e32 v4, v3
	scratch_store_b64 off, v[3:4], off offset:288
	s_waitcnt vmcnt(0)
	ds_store_b64 v5, v[1:2]
.LBB119_273:
	s_or_b32 exec_lo, exec_lo, s0
	s_waitcnt lgkmcnt(0)
	s_waitcnt_vscnt null, 0x0
	s_barrier
	buffer_gl0_inv
	s_clause 0x4
	scratch_load_b128 v[118:121], off, off offset:288
	scratch_load_b128 v[122:125], off, off offset:304
	;; [unrolled: 1-line block ×5, first 2 shown]
	v_mov_b32_e32 v1, 0
	scratch_load_b128 v[142:145], off, off offset:368
	s_mov_b32 s0, exec_lo
	ds_load_2addr_b64 v[138:141], v1 offset0:93 offset1:94
	s_waitcnt vmcnt(5) lgkmcnt(0)
	v_fma_f64 v[2:3], v[120:121], v[138:139], 0
	s_waitcnt vmcnt(4)
	s_delay_alu instid0(VALU_DEP_1)
	v_fma_f64 v[2:3], v[122:123], v[140:141], v[2:3]
	scratch_load_b128 v[138:141], off, off offset:384
	ds_load_2addr_b64 v[120:123], v1 offset0:95 offset1:96
	s_waitcnt lgkmcnt(0)
	v_fma_f64 v[2:3], v[124:125], v[120:121], v[2:3]
	s_waitcnt vmcnt(4)
	s_delay_alu instid0(VALU_DEP_1)
	v_fma_f64 v[2:3], v[126:127], v[122:123], v[2:3]
	ds_load_2addr_b64 v[120:123], v1 offset0:97 offset1:98
	scratch_load_b128 v[124:127], off, off offset:400
	s_waitcnt lgkmcnt(0)
	v_fma_f64 v[2:3], v[128:129], v[120:121], v[2:3]
	s_waitcnt vmcnt(4)
	s_delay_alu instid0(VALU_DEP_1)
	v_fma_f64 v[2:3], v[130:131], v[122:123], v[2:3]
	scratch_load_b128 v[128:131], off, off offset:416
	ds_load_2addr_b64 v[120:123], v1 offset0:99 offset1:100
	s_waitcnt lgkmcnt(0)
	v_fma_f64 v[2:3], v[132:133], v[120:121], v[2:3]
	s_waitcnt vmcnt(4)
	s_delay_alu instid0(VALU_DEP_1)
	v_fma_f64 v[2:3], v[134:135], v[122:123], v[2:3]
	ds_load_2addr_b64 v[120:123], v1 offset0:101 offset1:102
	scratch_load_b128 v[132:135], off, off offset:432
	s_waitcnt lgkmcnt(0)
	v_fma_f64 v[2:3], v[136:137], v[120:121], v[2:3]
	s_waitcnt vmcnt(4)
	s_delay_alu instid0(VALU_DEP_1) | instskip(SKIP_4) | instid1(VALU_DEP_1)
	v_fma_f64 v[2:3], v[142:143], v[122:123], v[2:3]
	ds_load_2addr_b64 v[120:123], v1 offset0:103 offset1:104
	s_waitcnt lgkmcnt(0)
	v_fma_f64 v[2:3], v[144:145], v[120:121], v[2:3]
	s_waitcnt vmcnt(3)
	v_fma_f64 v[2:3], v[138:139], v[122:123], v[2:3]
	ds_load_2addr_b64 v[120:123], v1 offset0:105 offset1:106
	s_waitcnt lgkmcnt(0)
	v_fma_f64 v[2:3], v[140:141], v[120:121], v[2:3]
	s_waitcnt vmcnt(2)
	s_delay_alu instid0(VALU_DEP_1) | instskip(SKIP_4) | instid1(VALU_DEP_1)
	v_fma_f64 v[2:3], v[124:125], v[122:123], v[2:3]
	ds_load_2addr_b64 v[120:123], v1 offset0:107 offset1:108
	s_waitcnt lgkmcnt(0)
	v_fma_f64 v[2:3], v[126:127], v[120:121], v[2:3]
	s_waitcnt vmcnt(1)
	v_fma_f64 v[2:3], v[128:129], v[122:123], v[2:3]
	ds_load_2addr_b64 v[120:123], v1 offset0:109 offset1:110
	s_waitcnt lgkmcnt(0)
	v_fma_f64 v[2:3], v[130:131], v[120:121], v[2:3]
	ds_load_b64 v[120:121], v1 offset:888
	s_waitcnt vmcnt(0)
	v_fma_f64 v[2:3], v[132:133], v[122:123], v[2:3]
	s_waitcnt lgkmcnt(0)
	s_delay_alu instid0(VALU_DEP_1) | instskip(NEXT) | instid1(VALU_DEP_1)
	v_fma_f64 v[2:3], v[134:135], v[120:121], v[2:3]
	v_add_f64 v[2:3], v[118:119], -v[2:3]
	scratch_store_b64 off, v[2:3], off offset:288
	v_cmpx_lt_u32_e32 35, v0
	s_cbranch_execz .LBB119_275
; %bb.274:
	scratch_load_b64 v[3:4], off, off offset:280
	v_mov_b32_e32 v2, v1
	scratch_store_b64 off, v[1:2], off offset:280
	s_waitcnt vmcnt(0)
	ds_store_b64 v5, v[3:4]
.LBB119_275:
	s_or_b32 exec_lo, exec_lo, s0
	s_waitcnt lgkmcnt(0)
	s_waitcnt_vscnt null, 0x0
	s_barrier
	buffer_gl0_inv
	s_clause 0x4
	scratch_load_b128 v[118:121], off, off offset:280
	scratch_load_b128 v[122:125], off, off offset:296
	;; [unrolled: 1-line block ×5, first 2 shown]
	ds_load_b128 v[138:141], v1 offset:736
	scratch_load_b128 v[142:145], off, off offset:360
	s_mov_b32 s0, exec_lo
	s_waitcnt vmcnt(5) lgkmcnt(0)
	v_fma_f64 v[2:3], v[120:121], v[138:139], 0
	s_waitcnt vmcnt(4)
	s_delay_alu instid0(VALU_DEP_1)
	v_fma_f64 v[2:3], v[122:123], v[140:141], v[2:3]
	scratch_load_b128 v[138:141], off, off offset:376
	ds_load_b128 v[120:123], v1 offset:752
	s_waitcnt lgkmcnt(0)
	v_fma_f64 v[2:3], v[124:125], v[120:121], v[2:3]
	s_waitcnt vmcnt(4)
	s_delay_alu instid0(VALU_DEP_1)
	v_fma_f64 v[2:3], v[126:127], v[122:123], v[2:3]
	ds_load_b128 v[120:123], v1 offset:768
	scratch_load_b128 v[124:127], off, off offset:392
	s_waitcnt lgkmcnt(0)
	v_fma_f64 v[2:3], v[128:129], v[120:121], v[2:3]
	s_waitcnt vmcnt(4)
	s_delay_alu instid0(VALU_DEP_1)
	v_fma_f64 v[2:3], v[130:131], v[122:123], v[2:3]
	scratch_load_b128 v[128:131], off, off offset:408
	ds_load_b128 v[120:123], v1 offset:784
	s_waitcnt lgkmcnt(0)
	v_fma_f64 v[2:3], v[132:133], v[120:121], v[2:3]
	s_waitcnt vmcnt(4)
	s_delay_alu instid0(VALU_DEP_1)
	v_fma_f64 v[2:3], v[134:135], v[122:123], v[2:3]
	ds_load_b128 v[120:123], v1 offset:800
	scratch_load_b128 v[132:135], off, off offset:424
	s_waitcnt lgkmcnt(0)
	v_fma_f64 v[2:3], v[136:137], v[120:121], v[2:3]
	scratch_load_b64 v[136:137], off, off offset:440
	s_waitcnt vmcnt(5)
	v_fma_f64 v[2:3], v[142:143], v[122:123], v[2:3]
	ds_load_b128 v[120:123], v1 offset:816
	s_waitcnt lgkmcnt(0)
	v_fma_f64 v[2:3], v[144:145], v[120:121], v[2:3]
	s_waitcnt vmcnt(4)
	s_delay_alu instid0(VALU_DEP_1) | instskip(SKIP_4) | instid1(VALU_DEP_1)
	v_fma_f64 v[2:3], v[138:139], v[122:123], v[2:3]
	ds_load_b128 v[120:123], v1 offset:832
	s_waitcnt lgkmcnt(0)
	v_fma_f64 v[2:3], v[140:141], v[120:121], v[2:3]
	s_waitcnt vmcnt(3)
	v_fma_f64 v[2:3], v[124:125], v[122:123], v[2:3]
	ds_load_b128 v[120:123], v1 offset:848
	s_waitcnt lgkmcnt(0)
	v_fma_f64 v[2:3], v[126:127], v[120:121], v[2:3]
	s_waitcnt vmcnt(2)
	s_delay_alu instid0(VALU_DEP_1) | instskip(SKIP_4) | instid1(VALU_DEP_1)
	v_fma_f64 v[2:3], v[128:129], v[122:123], v[2:3]
	ds_load_b128 v[120:123], v1 offset:864
	s_waitcnt lgkmcnt(0)
	v_fma_f64 v[2:3], v[130:131], v[120:121], v[2:3]
	s_waitcnt vmcnt(1)
	v_fma_f64 v[120:121], v[132:133], v[122:123], v[2:3]
	ds_load_b128 v[1:4], v1 offset:880
	s_waitcnt lgkmcnt(0)
	v_fma_f64 v[1:2], v[134:135], v[1:2], v[120:121]
	s_waitcnt vmcnt(0)
	s_delay_alu instid0(VALU_DEP_1) | instskip(NEXT) | instid1(VALU_DEP_1)
	v_fma_f64 v[1:2], v[136:137], v[3:4], v[1:2]
	v_add_f64 v[1:2], v[118:119], -v[1:2]
	scratch_store_b64 off, v[1:2], off offset:280
	v_cmpx_lt_u32_e32 34, v0
	s_cbranch_execz .LBB119_277
; %bb.276:
	scratch_load_b64 v[1:2], off, off offset:272
	v_mov_b32_e32 v3, 0
	s_delay_alu instid0(VALU_DEP_1)
	v_mov_b32_e32 v4, v3
	scratch_store_b64 off, v[3:4], off offset:272
	s_waitcnt vmcnt(0)
	ds_store_b64 v5, v[1:2]
.LBB119_277:
	s_or_b32 exec_lo, exec_lo, s0
	s_waitcnt lgkmcnt(0)
	s_waitcnt_vscnt null, 0x0
	s_barrier
	buffer_gl0_inv
	s_clause 0x4
	scratch_load_b128 v[118:121], off, off offset:272
	scratch_load_b128 v[122:125], off, off offset:288
	;; [unrolled: 1-line block ×5, first 2 shown]
	v_mov_b32_e32 v1, 0
	scratch_load_b128 v[142:145], off, off offset:352
	s_mov_b32 s0, exec_lo
	ds_load_2addr_b64 v[138:141], v1 offset0:91 offset1:92
	s_waitcnt vmcnt(5) lgkmcnt(0)
	v_fma_f64 v[2:3], v[120:121], v[138:139], 0
	s_waitcnt vmcnt(4)
	s_delay_alu instid0(VALU_DEP_1)
	v_fma_f64 v[2:3], v[122:123], v[140:141], v[2:3]
	scratch_load_b128 v[138:141], off, off offset:368
	ds_load_2addr_b64 v[120:123], v1 offset0:93 offset1:94
	s_waitcnt lgkmcnt(0)
	v_fma_f64 v[2:3], v[124:125], v[120:121], v[2:3]
	s_waitcnt vmcnt(4)
	s_delay_alu instid0(VALU_DEP_1)
	v_fma_f64 v[2:3], v[126:127], v[122:123], v[2:3]
	ds_load_2addr_b64 v[120:123], v1 offset0:95 offset1:96
	scratch_load_b128 v[124:127], off, off offset:384
	s_waitcnt lgkmcnt(0)
	v_fma_f64 v[2:3], v[128:129], v[120:121], v[2:3]
	s_waitcnt vmcnt(4)
	s_delay_alu instid0(VALU_DEP_1)
	v_fma_f64 v[2:3], v[130:131], v[122:123], v[2:3]
	scratch_load_b128 v[128:131], off, off offset:400
	ds_load_2addr_b64 v[120:123], v1 offset0:97 offset1:98
	s_waitcnt lgkmcnt(0)
	v_fma_f64 v[2:3], v[132:133], v[120:121], v[2:3]
	s_waitcnt vmcnt(4)
	s_delay_alu instid0(VALU_DEP_1)
	v_fma_f64 v[2:3], v[134:135], v[122:123], v[2:3]
	ds_load_2addr_b64 v[120:123], v1 offset0:99 offset1:100
	scratch_load_b128 v[132:135], off, off offset:416
	s_waitcnt lgkmcnt(0)
	v_fma_f64 v[2:3], v[136:137], v[120:121], v[2:3]
	s_waitcnt vmcnt(4)
	s_delay_alu instid0(VALU_DEP_1)
	v_fma_f64 v[2:3], v[142:143], v[122:123], v[2:3]
	ds_load_2addr_b64 v[120:123], v1 offset0:101 offset1:102
	s_waitcnt lgkmcnt(0)
	v_fma_f64 v[2:3], v[144:145], v[120:121], v[2:3]
	scratch_load_b128 v[142:145], off, off offset:432
	s_waitcnt vmcnt(4)
	v_fma_f64 v[2:3], v[138:139], v[122:123], v[2:3]
	ds_load_2addr_b64 v[120:123], v1 offset0:103 offset1:104
	s_waitcnt lgkmcnt(0)
	v_fma_f64 v[2:3], v[140:141], v[120:121], v[2:3]
	s_waitcnt vmcnt(3)
	s_delay_alu instid0(VALU_DEP_1) | instskip(SKIP_4) | instid1(VALU_DEP_1)
	v_fma_f64 v[2:3], v[124:125], v[122:123], v[2:3]
	ds_load_2addr_b64 v[120:123], v1 offset0:105 offset1:106
	s_waitcnt lgkmcnt(0)
	v_fma_f64 v[2:3], v[126:127], v[120:121], v[2:3]
	s_waitcnt vmcnt(2)
	v_fma_f64 v[2:3], v[128:129], v[122:123], v[2:3]
	ds_load_2addr_b64 v[120:123], v1 offset0:107 offset1:108
	s_waitcnt lgkmcnt(0)
	v_fma_f64 v[2:3], v[130:131], v[120:121], v[2:3]
	s_waitcnt vmcnt(1)
	s_delay_alu instid0(VALU_DEP_1)
	v_fma_f64 v[2:3], v[132:133], v[122:123], v[2:3]
	ds_load_2addr_b64 v[120:123], v1 offset0:109 offset1:110
	s_waitcnt lgkmcnt(0)
	v_fma_f64 v[2:3], v[134:135], v[120:121], v[2:3]
	ds_load_b64 v[120:121], v1 offset:888
	s_waitcnt vmcnt(0)
	v_fma_f64 v[2:3], v[142:143], v[122:123], v[2:3]
	s_waitcnt lgkmcnt(0)
	s_delay_alu instid0(VALU_DEP_1) | instskip(NEXT) | instid1(VALU_DEP_1)
	v_fma_f64 v[2:3], v[144:145], v[120:121], v[2:3]
	v_add_f64 v[2:3], v[118:119], -v[2:3]
	scratch_store_b64 off, v[2:3], off offset:272
	v_cmpx_lt_u32_e32 33, v0
	s_cbranch_execz .LBB119_279
; %bb.278:
	scratch_load_b64 v[3:4], off, off offset:264
	v_mov_b32_e32 v2, v1
	scratch_store_b64 off, v[1:2], off offset:264
	s_waitcnt vmcnt(0)
	ds_store_b64 v5, v[3:4]
.LBB119_279:
	s_or_b32 exec_lo, exec_lo, s0
	s_waitcnt lgkmcnt(0)
	s_waitcnt_vscnt null, 0x0
	s_barrier
	buffer_gl0_inv
	s_clause 0x4
	scratch_load_b128 v[118:121], off, off offset:264
	scratch_load_b128 v[122:125], off, off offset:280
	;; [unrolled: 1-line block ×5, first 2 shown]
	ds_load_b128 v[138:141], v1 offset:720
	scratch_load_b128 v[142:145], off, off offset:344
	s_mov_b32 s0, exec_lo
	s_waitcnt vmcnt(5) lgkmcnt(0)
	v_fma_f64 v[2:3], v[120:121], v[138:139], 0
	s_waitcnt vmcnt(4)
	s_delay_alu instid0(VALU_DEP_1)
	v_fma_f64 v[2:3], v[122:123], v[140:141], v[2:3]
	scratch_load_b128 v[138:141], off, off offset:360
	ds_load_b128 v[120:123], v1 offset:736
	s_waitcnt lgkmcnt(0)
	v_fma_f64 v[2:3], v[124:125], v[120:121], v[2:3]
	s_waitcnt vmcnt(4)
	s_delay_alu instid0(VALU_DEP_1)
	v_fma_f64 v[2:3], v[126:127], v[122:123], v[2:3]
	ds_load_b128 v[120:123], v1 offset:752
	scratch_load_b128 v[124:127], off, off offset:376
	s_waitcnt lgkmcnt(0)
	v_fma_f64 v[2:3], v[128:129], v[120:121], v[2:3]
	s_waitcnt vmcnt(4)
	s_delay_alu instid0(VALU_DEP_1)
	v_fma_f64 v[2:3], v[130:131], v[122:123], v[2:3]
	scratch_load_b128 v[128:131], off, off offset:392
	ds_load_b128 v[120:123], v1 offset:768
	s_waitcnt lgkmcnt(0)
	v_fma_f64 v[2:3], v[132:133], v[120:121], v[2:3]
	s_waitcnt vmcnt(4)
	s_delay_alu instid0(VALU_DEP_1)
	v_fma_f64 v[2:3], v[134:135], v[122:123], v[2:3]
	ds_load_b128 v[120:123], v1 offset:784
	scratch_load_b128 v[132:135], off, off offset:408
	s_waitcnt lgkmcnt(0)
	v_fma_f64 v[2:3], v[136:137], v[120:121], v[2:3]
	scratch_load_b64 v[136:137], off, off offset:440
	s_waitcnt vmcnt(5)
	v_fma_f64 v[2:3], v[142:143], v[122:123], v[2:3]
	ds_load_b128 v[120:123], v1 offset:800
	s_waitcnt lgkmcnt(0)
	v_fma_f64 v[2:3], v[144:145], v[120:121], v[2:3]
	scratch_load_b128 v[142:145], off, off offset:424
	s_waitcnt vmcnt(5)
	v_fma_f64 v[2:3], v[138:139], v[122:123], v[2:3]
	ds_load_b128 v[120:123], v1 offset:816
	s_waitcnt lgkmcnt(0)
	v_fma_f64 v[2:3], v[140:141], v[120:121], v[2:3]
	s_waitcnt vmcnt(4)
	s_delay_alu instid0(VALU_DEP_1) | instskip(SKIP_4) | instid1(VALU_DEP_1)
	v_fma_f64 v[2:3], v[124:125], v[122:123], v[2:3]
	ds_load_b128 v[120:123], v1 offset:832
	s_waitcnt lgkmcnt(0)
	v_fma_f64 v[2:3], v[126:127], v[120:121], v[2:3]
	s_waitcnt vmcnt(3)
	v_fma_f64 v[2:3], v[128:129], v[122:123], v[2:3]
	ds_load_b128 v[120:123], v1 offset:848
	s_waitcnt lgkmcnt(0)
	v_fma_f64 v[2:3], v[130:131], v[120:121], v[2:3]
	s_waitcnt vmcnt(2)
	s_delay_alu instid0(VALU_DEP_1) | instskip(SKIP_4) | instid1(VALU_DEP_1)
	v_fma_f64 v[2:3], v[132:133], v[122:123], v[2:3]
	ds_load_b128 v[120:123], v1 offset:864
	s_waitcnt lgkmcnt(0)
	v_fma_f64 v[2:3], v[134:135], v[120:121], v[2:3]
	s_waitcnt vmcnt(0)
	v_fma_f64 v[120:121], v[142:143], v[122:123], v[2:3]
	ds_load_b128 v[1:4], v1 offset:880
	s_waitcnt lgkmcnt(0)
	v_fma_f64 v[1:2], v[144:145], v[1:2], v[120:121]
	s_delay_alu instid0(VALU_DEP_1) | instskip(NEXT) | instid1(VALU_DEP_1)
	v_fma_f64 v[1:2], v[136:137], v[3:4], v[1:2]
	v_add_f64 v[1:2], v[118:119], -v[1:2]
	scratch_store_b64 off, v[1:2], off offset:264
	v_cmpx_lt_u32_e32 32, v0
	s_cbranch_execz .LBB119_281
; %bb.280:
	scratch_load_b64 v[1:2], off, off offset:256
	v_mov_b32_e32 v3, 0
	s_delay_alu instid0(VALU_DEP_1)
	v_mov_b32_e32 v4, v3
	scratch_store_b64 off, v[3:4], off offset:256
	s_waitcnt vmcnt(0)
	ds_store_b64 v5, v[1:2]
.LBB119_281:
	s_or_b32 exec_lo, exec_lo, s0
	s_waitcnt lgkmcnt(0)
	s_waitcnt_vscnt null, 0x0
	s_barrier
	buffer_gl0_inv
	s_clause 0x4
	scratch_load_b128 v[118:121], off, off offset:256
	scratch_load_b128 v[122:125], off, off offset:272
	;; [unrolled: 1-line block ×5, first 2 shown]
	v_mov_b32_e32 v1, 0
	scratch_load_b128 v[142:145], off, off offset:336
	s_mov_b32 s0, exec_lo
	ds_load_2addr_b64 v[138:141], v1 offset0:89 offset1:90
	s_waitcnt vmcnt(5) lgkmcnt(0)
	v_fma_f64 v[2:3], v[120:121], v[138:139], 0
	s_waitcnt vmcnt(4)
	s_delay_alu instid0(VALU_DEP_1)
	v_fma_f64 v[2:3], v[122:123], v[140:141], v[2:3]
	scratch_load_b128 v[138:141], off, off offset:352
	ds_load_2addr_b64 v[120:123], v1 offset0:91 offset1:92
	s_waitcnt lgkmcnt(0)
	v_fma_f64 v[2:3], v[124:125], v[120:121], v[2:3]
	s_waitcnt vmcnt(4)
	s_delay_alu instid0(VALU_DEP_1)
	v_fma_f64 v[2:3], v[126:127], v[122:123], v[2:3]
	ds_load_2addr_b64 v[120:123], v1 offset0:93 offset1:94
	scratch_load_b128 v[124:127], off, off offset:368
	s_waitcnt lgkmcnt(0)
	v_fma_f64 v[2:3], v[128:129], v[120:121], v[2:3]
	s_waitcnt vmcnt(4)
	s_delay_alu instid0(VALU_DEP_1)
	v_fma_f64 v[2:3], v[130:131], v[122:123], v[2:3]
	scratch_load_b128 v[128:131], off, off offset:384
	ds_load_2addr_b64 v[120:123], v1 offset0:95 offset1:96
	s_waitcnt lgkmcnt(0)
	v_fma_f64 v[2:3], v[132:133], v[120:121], v[2:3]
	s_waitcnt vmcnt(4)
	s_delay_alu instid0(VALU_DEP_1)
	v_fma_f64 v[2:3], v[134:135], v[122:123], v[2:3]
	ds_load_2addr_b64 v[120:123], v1 offset0:97 offset1:98
	scratch_load_b128 v[132:135], off, off offset:400
	s_waitcnt lgkmcnt(0)
	v_fma_f64 v[2:3], v[136:137], v[120:121], v[2:3]
	s_waitcnt vmcnt(4)
	s_delay_alu instid0(VALU_DEP_1)
	v_fma_f64 v[2:3], v[142:143], v[122:123], v[2:3]
	ds_load_2addr_b64 v[120:123], v1 offset0:99 offset1:100
	s_waitcnt lgkmcnt(0)
	v_fma_f64 v[2:3], v[144:145], v[120:121], v[2:3]
	scratch_load_b128 v[142:145], off, off offset:416
	s_waitcnt vmcnt(4)
	v_fma_f64 v[2:3], v[138:139], v[122:123], v[2:3]
	ds_load_2addr_b64 v[120:123], v1 offset0:101 offset1:102
	scratch_load_b128 v[136:139], off, off offset:432
	s_waitcnt lgkmcnt(0)
	v_fma_f64 v[2:3], v[140:141], v[120:121], v[2:3]
	s_waitcnt vmcnt(4)
	s_delay_alu instid0(VALU_DEP_1) | instskip(SKIP_4) | instid1(VALU_DEP_1)
	v_fma_f64 v[2:3], v[124:125], v[122:123], v[2:3]
	ds_load_2addr_b64 v[120:123], v1 offset0:103 offset1:104
	s_waitcnt lgkmcnt(0)
	v_fma_f64 v[2:3], v[126:127], v[120:121], v[2:3]
	s_waitcnt vmcnt(3)
	v_fma_f64 v[2:3], v[128:129], v[122:123], v[2:3]
	ds_load_2addr_b64 v[120:123], v1 offset0:105 offset1:106
	s_waitcnt lgkmcnt(0)
	v_fma_f64 v[2:3], v[130:131], v[120:121], v[2:3]
	s_waitcnt vmcnt(2)
	s_delay_alu instid0(VALU_DEP_1) | instskip(SKIP_4) | instid1(VALU_DEP_1)
	v_fma_f64 v[2:3], v[132:133], v[122:123], v[2:3]
	ds_load_2addr_b64 v[120:123], v1 offset0:107 offset1:108
	s_waitcnt lgkmcnt(0)
	v_fma_f64 v[2:3], v[134:135], v[120:121], v[2:3]
	s_waitcnt vmcnt(1)
	v_fma_f64 v[2:3], v[142:143], v[122:123], v[2:3]
	ds_load_2addr_b64 v[120:123], v1 offset0:109 offset1:110
	s_waitcnt lgkmcnt(0)
	v_fma_f64 v[2:3], v[144:145], v[120:121], v[2:3]
	ds_load_b64 v[120:121], v1 offset:888
	s_waitcnt vmcnt(0)
	v_fma_f64 v[2:3], v[136:137], v[122:123], v[2:3]
	s_waitcnt lgkmcnt(0)
	s_delay_alu instid0(VALU_DEP_1) | instskip(NEXT) | instid1(VALU_DEP_1)
	v_fma_f64 v[2:3], v[138:139], v[120:121], v[2:3]
	v_add_f64 v[2:3], v[118:119], -v[2:3]
	scratch_store_b64 off, v[2:3], off offset:256
	v_cmpx_lt_u32_e32 31, v0
	s_cbranch_execz .LBB119_283
; %bb.282:
	scratch_load_b64 v[3:4], off, off offset:248
	v_mov_b32_e32 v2, v1
	scratch_store_b64 off, v[1:2], off offset:248
	s_waitcnt vmcnt(0)
	ds_store_b64 v5, v[3:4]
.LBB119_283:
	s_or_b32 exec_lo, exec_lo, s0
	s_waitcnt lgkmcnt(0)
	s_waitcnt_vscnt null, 0x0
	s_barrier
	buffer_gl0_inv
	s_clause 0x4
	scratch_load_b128 v[118:121], off, off offset:248
	scratch_load_b128 v[122:125], off, off offset:264
	;; [unrolled: 1-line block ×5, first 2 shown]
	ds_load_b128 v[138:141], v1 offset:704
	scratch_load_b128 v[142:145], off, off offset:328
	s_mov_b32 s0, exec_lo
	s_waitcnt vmcnt(5) lgkmcnt(0)
	v_fma_f64 v[2:3], v[120:121], v[138:139], 0
	s_waitcnt vmcnt(4)
	s_delay_alu instid0(VALU_DEP_1)
	v_fma_f64 v[2:3], v[122:123], v[140:141], v[2:3]
	scratch_load_b128 v[138:141], off, off offset:344
	ds_load_b128 v[120:123], v1 offset:720
	s_waitcnt lgkmcnt(0)
	v_fma_f64 v[2:3], v[124:125], v[120:121], v[2:3]
	s_waitcnt vmcnt(4)
	s_delay_alu instid0(VALU_DEP_1)
	v_fma_f64 v[2:3], v[126:127], v[122:123], v[2:3]
	ds_load_b128 v[120:123], v1 offset:736
	scratch_load_b128 v[124:127], off, off offset:360
	s_waitcnt lgkmcnt(0)
	v_fma_f64 v[2:3], v[128:129], v[120:121], v[2:3]
	s_waitcnt vmcnt(4)
	s_delay_alu instid0(VALU_DEP_1)
	v_fma_f64 v[2:3], v[130:131], v[122:123], v[2:3]
	scratch_load_b128 v[128:131], off, off offset:376
	ds_load_b128 v[120:123], v1 offset:752
	s_waitcnt lgkmcnt(0)
	v_fma_f64 v[2:3], v[132:133], v[120:121], v[2:3]
	s_waitcnt vmcnt(4)
	s_delay_alu instid0(VALU_DEP_1)
	v_fma_f64 v[2:3], v[134:135], v[122:123], v[2:3]
	ds_load_b128 v[120:123], v1 offset:768
	scratch_load_b128 v[132:135], off, off offset:392
	s_waitcnt lgkmcnt(0)
	v_fma_f64 v[2:3], v[136:137], v[120:121], v[2:3]
	s_waitcnt vmcnt(4)
	s_delay_alu instid0(VALU_DEP_1)
	v_fma_f64 v[2:3], v[142:143], v[122:123], v[2:3]
	ds_load_b128 v[120:123], v1 offset:784
	s_waitcnt lgkmcnt(0)
	v_fma_f64 v[2:3], v[144:145], v[120:121], v[2:3]
	scratch_load_b128 v[142:145], off, off offset:408
	s_waitcnt vmcnt(4)
	v_fma_f64 v[2:3], v[138:139], v[122:123], v[2:3]
	ds_load_b128 v[120:123], v1 offset:800
	scratch_load_b128 v[136:139], off, off offset:424
	s_waitcnt lgkmcnt(0)
	v_fma_f64 v[2:3], v[140:141], v[120:121], v[2:3]
	s_waitcnt vmcnt(4)
	s_delay_alu instid0(VALU_DEP_1)
	v_fma_f64 v[2:3], v[124:125], v[122:123], v[2:3]
	scratch_load_b64 v[124:125], off, off offset:440
	ds_load_b128 v[120:123], v1 offset:816
	s_waitcnt lgkmcnt(0)
	v_fma_f64 v[2:3], v[126:127], v[120:121], v[2:3]
	s_waitcnt vmcnt(4)
	s_delay_alu instid0(VALU_DEP_1) | instskip(SKIP_4) | instid1(VALU_DEP_1)
	v_fma_f64 v[2:3], v[128:129], v[122:123], v[2:3]
	ds_load_b128 v[120:123], v1 offset:832
	s_waitcnt lgkmcnt(0)
	v_fma_f64 v[2:3], v[130:131], v[120:121], v[2:3]
	s_waitcnt vmcnt(3)
	v_fma_f64 v[2:3], v[132:133], v[122:123], v[2:3]
	ds_load_b128 v[120:123], v1 offset:848
	s_waitcnt lgkmcnt(0)
	v_fma_f64 v[2:3], v[134:135], v[120:121], v[2:3]
	s_waitcnt vmcnt(2)
	s_delay_alu instid0(VALU_DEP_1) | instskip(SKIP_4) | instid1(VALU_DEP_1)
	v_fma_f64 v[2:3], v[142:143], v[122:123], v[2:3]
	ds_load_b128 v[120:123], v1 offset:864
	s_waitcnt lgkmcnt(0)
	v_fma_f64 v[2:3], v[144:145], v[120:121], v[2:3]
	s_waitcnt vmcnt(1)
	v_fma_f64 v[120:121], v[136:137], v[122:123], v[2:3]
	ds_load_b128 v[1:4], v1 offset:880
	s_waitcnt lgkmcnt(0)
	v_fma_f64 v[1:2], v[138:139], v[1:2], v[120:121]
	s_waitcnt vmcnt(0)
	s_delay_alu instid0(VALU_DEP_1) | instskip(NEXT) | instid1(VALU_DEP_1)
	v_fma_f64 v[1:2], v[124:125], v[3:4], v[1:2]
	v_add_f64 v[1:2], v[118:119], -v[1:2]
	scratch_store_b64 off, v[1:2], off offset:248
	v_cmpx_lt_u32_e32 30, v0
	s_cbranch_execz .LBB119_285
; %bb.284:
	scratch_load_b64 v[1:2], off, off offset:240
	v_mov_b32_e32 v3, 0
	s_delay_alu instid0(VALU_DEP_1)
	v_mov_b32_e32 v4, v3
	scratch_store_b64 off, v[3:4], off offset:240
	s_waitcnt vmcnt(0)
	ds_store_b64 v5, v[1:2]
.LBB119_285:
	s_or_b32 exec_lo, exec_lo, s0
	s_waitcnt lgkmcnt(0)
	s_waitcnt_vscnt null, 0x0
	s_barrier
	buffer_gl0_inv
	s_clause 0x4
	scratch_load_b128 v[118:121], off, off offset:240
	scratch_load_b128 v[122:125], off, off offset:256
	;; [unrolled: 1-line block ×5, first 2 shown]
	v_mov_b32_e32 v1, 0
	scratch_load_b128 v[142:145], off, off offset:320
	s_mov_b32 s0, exec_lo
	ds_load_2addr_b64 v[138:141], v1 offset0:87 offset1:88
	s_waitcnt vmcnt(5) lgkmcnt(0)
	v_fma_f64 v[2:3], v[120:121], v[138:139], 0
	s_waitcnt vmcnt(4)
	s_delay_alu instid0(VALU_DEP_1)
	v_fma_f64 v[2:3], v[122:123], v[140:141], v[2:3]
	scratch_load_b128 v[138:141], off, off offset:336
	ds_load_2addr_b64 v[120:123], v1 offset0:89 offset1:90
	s_waitcnt lgkmcnt(0)
	v_fma_f64 v[2:3], v[124:125], v[120:121], v[2:3]
	s_waitcnt vmcnt(4)
	s_delay_alu instid0(VALU_DEP_1)
	v_fma_f64 v[2:3], v[126:127], v[122:123], v[2:3]
	ds_load_2addr_b64 v[120:123], v1 offset0:91 offset1:92
	scratch_load_b128 v[124:127], off, off offset:352
	s_waitcnt lgkmcnt(0)
	v_fma_f64 v[2:3], v[128:129], v[120:121], v[2:3]
	s_waitcnt vmcnt(4)
	s_delay_alu instid0(VALU_DEP_1)
	v_fma_f64 v[2:3], v[130:131], v[122:123], v[2:3]
	scratch_load_b128 v[128:131], off, off offset:368
	ds_load_2addr_b64 v[120:123], v1 offset0:93 offset1:94
	s_waitcnt lgkmcnt(0)
	v_fma_f64 v[2:3], v[132:133], v[120:121], v[2:3]
	s_waitcnt vmcnt(4)
	s_delay_alu instid0(VALU_DEP_1)
	v_fma_f64 v[2:3], v[134:135], v[122:123], v[2:3]
	ds_load_2addr_b64 v[120:123], v1 offset0:95 offset1:96
	scratch_load_b128 v[132:135], off, off offset:384
	s_waitcnt lgkmcnt(0)
	v_fma_f64 v[2:3], v[136:137], v[120:121], v[2:3]
	s_waitcnt vmcnt(4)
	s_delay_alu instid0(VALU_DEP_1)
	v_fma_f64 v[2:3], v[142:143], v[122:123], v[2:3]
	ds_load_2addr_b64 v[120:123], v1 offset0:97 offset1:98
	s_waitcnt lgkmcnt(0)
	v_fma_f64 v[2:3], v[144:145], v[120:121], v[2:3]
	scratch_load_b128 v[142:145], off, off offset:400
	s_waitcnt vmcnt(4)
	v_fma_f64 v[2:3], v[138:139], v[122:123], v[2:3]
	ds_load_2addr_b64 v[120:123], v1 offset0:99 offset1:100
	scratch_load_b128 v[136:139], off, off offset:416
	s_waitcnt lgkmcnt(0)
	v_fma_f64 v[2:3], v[140:141], v[120:121], v[2:3]
	s_waitcnt vmcnt(4)
	s_delay_alu instid0(VALU_DEP_1)
	v_fma_f64 v[2:3], v[124:125], v[122:123], v[2:3]
	ds_load_2addr_b64 v[120:123], v1 offset0:101 offset1:102
	s_waitcnt lgkmcnt(0)
	v_fma_f64 v[2:3], v[126:127], v[120:121], v[2:3]
	scratch_load_b128 v[124:127], off, off offset:432
	s_waitcnt vmcnt(4)
	v_fma_f64 v[2:3], v[128:129], v[122:123], v[2:3]
	ds_load_2addr_b64 v[120:123], v1 offset0:103 offset1:104
	s_waitcnt lgkmcnt(0)
	v_fma_f64 v[2:3], v[130:131], v[120:121], v[2:3]
	s_waitcnt vmcnt(3)
	s_delay_alu instid0(VALU_DEP_1) | instskip(SKIP_4) | instid1(VALU_DEP_1)
	v_fma_f64 v[2:3], v[132:133], v[122:123], v[2:3]
	ds_load_2addr_b64 v[120:123], v1 offset0:105 offset1:106
	s_waitcnt lgkmcnt(0)
	v_fma_f64 v[2:3], v[134:135], v[120:121], v[2:3]
	s_waitcnt vmcnt(2)
	v_fma_f64 v[2:3], v[142:143], v[122:123], v[2:3]
	ds_load_2addr_b64 v[120:123], v1 offset0:107 offset1:108
	s_waitcnt lgkmcnt(0)
	v_fma_f64 v[2:3], v[144:145], v[120:121], v[2:3]
	s_waitcnt vmcnt(1)
	s_delay_alu instid0(VALU_DEP_1)
	v_fma_f64 v[2:3], v[136:137], v[122:123], v[2:3]
	ds_load_2addr_b64 v[120:123], v1 offset0:109 offset1:110
	s_waitcnt lgkmcnt(0)
	v_fma_f64 v[2:3], v[138:139], v[120:121], v[2:3]
	ds_load_b64 v[120:121], v1 offset:888
	s_waitcnt vmcnt(0)
	v_fma_f64 v[2:3], v[124:125], v[122:123], v[2:3]
	s_waitcnt lgkmcnt(0)
	s_delay_alu instid0(VALU_DEP_1) | instskip(NEXT) | instid1(VALU_DEP_1)
	v_fma_f64 v[2:3], v[126:127], v[120:121], v[2:3]
	v_add_f64 v[2:3], v[118:119], -v[2:3]
	scratch_store_b64 off, v[2:3], off offset:240
	v_cmpx_lt_u32_e32 29, v0
	s_cbranch_execz .LBB119_287
; %bb.286:
	scratch_load_b64 v[3:4], off, off offset:232
	v_mov_b32_e32 v2, v1
	scratch_store_b64 off, v[1:2], off offset:232
	s_waitcnt vmcnt(0)
	ds_store_b64 v5, v[3:4]
.LBB119_287:
	s_or_b32 exec_lo, exec_lo, s0
	s_waitcnt lgkmcnt(0)
	s_waitcnt_vscnt null, 0x0
	s_barrier
	buffer_gl0_inv
	s_clause 0x4
	scratch_load_b128 v[118:121], off, off offset:232
	scratch_load_b128 v[122:125], off, off offset:248
	;; [unrolled: 1-line block ×5, first 2 shown]
	ds_load_b128 v[138:141], v1 offset:688
	scratch_load_b128 v[142:145], off, off offset:312
	s_mov_b32 s0, exec_lo
	s_waitcnt vmcnt(5) lgkmcnt(0)
	v_fma_f64 v[2:3], v[120:121], v[138:139], 0
	s_waitcnt vmcnt(4)
	s_delay_alu instid0(VALU_DEP_1)
	v_fma_f64 v[2:3], v[122:123], v[140:141], v[2:3]
	scratch_load_b128 v[138:141], off, off offset:328
	ds_load_b128 v[120:123], v1 offset:704
	s_waitcnt lgkmcnt(0)
	v_fma_f64 v[2:3], v[124:125], v[120:121], v[2:3]
	s_waitcnt vmcnt(4)
	s_delay_alu instid0(VALU_DEP_1)
	v_fma_f64 v[2:3], v[126:127], v[122:123], v[2:3]
	ds_load_b128 v[120:123], v1 offset:720
	scratch_load_b128 v[124:127], off, off offset:344
	s_waitcnt lgkmcnt(0)
	v_fma_f64 v[2:3], v[128:129], v[120:121], v[2:3]
	s_waitcnt vmcnt(4)
	s_delay_alu instid0(VALU_DEP_1)
	v_fma_f64 v[2:3], v[130:131], v[122:123], v[2:3]
	scratch_load_b128 v[128:131], off, off offset:360
	ds_load_b128 v[120:123], v1 offset:736
	s_waitcnt lgkmcnt(0)
	v_fma_f64 v[2:3], v[132:133], v[120:121], v[2:3]
	s_waitcnt vmcnt(4)
	s_delay_alu instid0(VALU_DEP_1)
	v_fma_f64 v[2:3], v[134:135], v[122:123], v[2:3]
	ds_load_b128 v[120:123], v1 offset:752
	scratch_load_b128 v[132:135], off, off offset:376
	s_waitcnt lgkmcnt(0)
	v_fma_f64 v[2:3], v[136:137], v[120:121], v[2:3]
	s_waitcnt vmcnt(4)
	s_delay_alu instid0(VALU_DEP_1)
	v_fma_f64 v[2:3], v[142:143], v[122:123], v[2:3]
	ds_load_b128 v[120:123], v1 offset:768
	s_waitcnt lgkmcnt(0)
	v_fma_f64 v[2:3], v[144:145], v[120:121], v[2:3]
	scratch_load_b128 v[142:145], off, off offset:392
	s_waitcnt vmcnt(4)
	v_fma_f64 v[2:3], v[138:139], v[122:123], v[2:3]
	ds_load_b128 v[120:123], v1 offset:784
	scratch_load_b128 v[136:139], off, off offset:408
	s_waitcnt lgkmcnt(0)
	v_fma_f64 v[2:3], v[140:141], v[120:121], v[2:3]
	s_waitcnt vmcnt(4)
	s_delay_alu instid0(VALU_DEP_1)
	v_fma_f64 v[2:3], v[124:125], v[122:123], v[2:3]
	ds_load_b128 v[120:123], v1 offset:800
	s_waitcnt lgkmcnt(0)
	v_fma_f64 v[2:3], v[126:127], v[120:121], v[2:3]
	scratch_load_b128 v[124:127], off, off offset:424
	s_waitcnt vmcnt(4)
	v_fma_f64 v[2:3], v[128:129], v[122:123], v[2:3]
	ds_load_b128 v[120:123], v1 offset:816
	scratch_load_b64 v[128:129], off, off offset:440
	s_waitcnt lgkmcnt(0)
	v_fma_f64 v[2:3], v[130:131], v[120:121], v[2:3]
	s_waitcnt vmcnt(4)
	s_delay_alu instid0(VALU_DEP_1) | instskip(SKIP_4) | instid1(VALU_DEP_1)
	v_fma_f64 v[2:3], v[132:133], v[122:123], v[2:3]
	ds_load_b128 v[120:123], v1 offset:832
	s_waitcnt lgkmcnt(0)
	v_fma_f64 v[2:3], v[134:135], v[120:121], v[2:3]
	s_waitcnt vmcnt(3)
	v_fma_f64 v[2:3], v[142:143], v[122:123], v[2:3]
	ds_load_b128 v[120:123], v1 offset:848
	s_waitcnt lgkmcnt(0)
	v_fma_f64 v[2:3], v[144:145], v[120:121], v[2:3]
	s_waitcnt vmcnt(2)
	s_delay_alu instid0(VALU_DEP_1) | instskip(SKIP_4) | instid1(VALU_DEP_1)
	v_fma_f64 v[2:3], v[136:137], v[122:123], v[2:3]
	ds_load_b128 v[120:123], v1 offset:864
	s_waitcnt lgkmcnt(0)
	v_fma_f64 v[2:3], v[138:139], v[120:121], v[2:3]
	s_waitcnt vmcnt(1)
	v_fma_f64 v[120:121], v[124:125], v[122:123], v[2:3]
	ds_load_b128 v[1:4], v1 offset:880
	s_waitcnt lgkmcnt(0)
	v_fma_f64 v[1:2], v[126:127], v[1:2], v[120:121]
	s_waitcnt vmcnt(0)
	s_delay_alu instid0(VALU_DEP_1) | instskip(NEXT) | instid1(VALU_DEP_1)
	v_fma_f64 v[1:2], v[128:129], v[3:4], v[1:2]
	v_add_f64 v[1:2], v[118:119], -v[1:2]
	scratch_store_b64 off, v[1:2], off offset:232
	v_cmpx_lt_u32_e32 28, v0
	s_cbranch_execz .LBB119_289
; %bb.288:
	scratch_load_b64 v[1:2], off, off offset:224
	v_mov_b32_e32 v3, 0
	s_delay_alu instid0(VALU_DEP_1)
	v_mov_b32_e32 v4, v3
	scratch_store_b64 off, v[3:4], off offset:224
	s_waitcnt vmcnt(0)
	ds_store_b64 v5, v[1:2]
.LBB119_289:
	s_or_b32 exec_lo, exec_lo, s0
	s_waitcnt lgkmcnt(0)
	s_waitcnt_vscnt null, 0x0
	s_barrier
	buffer_gl0_inv
	s_clause 0x4
	scratch_load_b128 v[118:121], off, off offset:224
	scratch_load_b128 v[122:125], off, off offset:240
	;; [unrolled: 1-line block ×5, first 2 shown]
	v_mov_b32_e32 v1, 0
	scratch_load_b128 v[142:145], off, off offset:304
	s_mov_b32 s0, exec_lo
	ds_load_2addr_b64 v[138:141], v1 offset0:85 offset1:86
	s_waitcnt vmcnt(5) lgkmcnt(0)
	v_fma_f64 v[2:3], v[120:121], v[138:139], 0
	s_waitcnt vmcnt(4)
	s_delay_alu instid0(VALU_DEP_1)
	v_fma_f64 v[2:3], v[122:123], v[140:141], v[2:3]
	scratch_load_b128 v[138:141], off, off offset:320
	ds_load_2addr_b64 v[120:123], v1 offset0:87 offset1:88
	s_waitcnt lgkmcnt(0)
	v_fma_f64 v[2:3], v[124:125], v[120:121], v[2:3]
	s_waitcnt vmcnt(4)
	s_delay_alu instid0(VALU_DEP_1)
	v_fma_f64 v[2:3], v[126:127], v[122:123], v[2:3]
	ds_load_2addr_b64 v[120:123], v1 offset0:89 offset1:90
	scratch_load_b128 v[124:127], off, off offset:336
	s_waitcnt lgkmcnt(0)
	v_fma_f64 v[2:3], v[128:129], v[120:121], v[2:3]
	s_waitcnt vmcnt(4)
	s_delay_alu instid0(VALU_DEP_1)
	v_fma_f64 v[2:3], v[130:131], v[122:123], v[2:3]
	scratch_load_b128 v[128:131], off, off offset:352
	ds_load_2addr_b64 v[120:123], v1 offset0:91 offset1:92
	s_waitcnt lgkmcnt(0)
	v_fma_f64 v[2:3], v[132:133], v[120:121], v[2:3]
	s_waitcnt vmcnt(4)
	s_delay_alu instid0(VALU_DEP_1)
	v_fma_f64 v[2:3], v[134:135], v[122:123], v[2:3]
	ds_load_2addr_b64 v[120:123], v1 offset0:93 offset1:94
	scratch_load_b128 v[132:135], off, off offset:368
	s_waitcnt lgkmcnt(0)
	v_fma_f64 v[2:3], v[136:137], v[120:121], v[2:3]
	s_waitcnt vmcnt(4)
	s_delay_alu instid0(VALU_DEP_1)
	v_fma_f64 v[2:3], v[142:143], v[122:123], v[2:3]
	ds_load_2addr_b64 v[120:123], v1 offset0:95 offset1:96
	s_waitcnt lgkmcnt(0)
	v_fma_f64 v[2:3], v[144:145], v[120:121], v[2:3]
	scratch_load_b128 v[142:145], off, off offset:384
	s_waitcnt vmcnt(4)
	v_fma_f64 v[2:3], v[138:139], v[122:123], v[2:3]
	ds_load_2addr_b64 v[120:123], v1 offset0:97 offset1:98
	scratch_load_b128 v[136:139], off, off offset:400
	s_waitcnt lgkmcnt(0)
	v_fma_f64 v[2:3], v[140:141], v[120:121], v[2:3]
	s_waitcnt vmcnt(4)
	s_delay_alu instid0(VALU_DEP_1)
	v_fma_f64 v[2:3], v[124:125], v[122:123], v[2:3]
	ds_load_2addr_b64 v[120:123], v1 offset0:99 offset1:100
	s_waitcnt lgkmcnt(0)
	v_fma_f64 v[2:3], v[126:127], v[120:121], v[2:3]
	scratch_load_b128 v[124:127], off, off offset:416
	s_waitcnt vmcnt(4)
	v_fma_f64 v[2:3], v[128:129], v[122:123], v[2:3]
	ds_load_2addr_b64 v[120:123], v1 offset0:101 offset1:102
	s_waitcnt lgkmcnt(0)
	v_fma_f64 v[2:3], v[130:131], v[120:121], v[2:3]
	scratch_load_b128 v[128:131], off, off offset:432
	s_waitcnt vmcnt(4)
	v_fma_f64 v[2:3], v[132:133], v[122:123], v[2:3]
	ds_load_2addr_b64 v[120:123], v1 offset0:103 offset1:104
	s_waitcnt lgkmcnt(0)
	v_fma_f64 v[2:3], v[134:135], v[120:121], v[2:3]
	s_waitcnt vmcnt(3)
	s_delay_alu instid0(VALU_DEP_1) | instskip(SKIP_4) | instid1(VALU_DEP_1)
	v_fma_f64 v[2:3], v[142:143], v[122:123], v[2:3]
	ds_load_2addr_b64 v[120:123], v1 offset0:105 offset1:106
	s_waitcnt lgkmcnt(0)
	v_fma_f64 v[2:3], v[144:145], v[120:121], v[2:3]
	s_waitcnt vmcnt(2)
	v_fma_f64 v[2:3], v[136:137], v[122:123], v[2:3]
	ds_load_2addr_b64 v[120:123], v1 offset0:107 offset1:108
	s_waitcnt lgkmcnt(0)
	v_fma_f64 v[2:3], v[138:139], v[120:121], v[2:3]
	s_waitcnt vmcnt(1)
	s_delay_alu instid0(VALU_DEP_1)
	v_fma_f64 v[2:3], v[124:125], v[122:123], v[2:3]
	ds_load_2addr_b64 v[120:123], v1 offset0:109 offset1:110
	s_waitcnt lgkmcnt(0)
	v_fma_f64 v[2:3], v[126:127], v[120:121], v[2:3]
	ds_load_b64 v[120:121], v1 offset:888
	s_waitcnt vmcnt(0)
	v_fma_f64 v[2:3], v[128:129], v[122:123], v[2:3]
	s_waitcnt lgkmcnt(0)
	s_delay_alu instid0(VALU_DEP_1) | instskip(NEXT) | instid1(VALU_DEP_1)
	v_fma_f64 v[2:3], v[130:131], v[120:121], v[2:3]
	v_add_f64 v[2:3], v[118:119], -v[2:3]
	scratch_store_b64 off, v[2:3], off offset:224
	v_cmpx_lt_u32_e32 27, v0
	s_cbranch_execz .LBB119_291
; %bb.290:
	scratch_load_b64 v[3:4], off, off offset:216
	v_mov_b32_e32 v2, v1
	scratch_store_b64 off, v[1:2], off offset:216
	s_waitcnt vmcnt(0)
	ds_store_b64 v5, v[3:4]
.LBB119_291:
	s_or_b32 exec_lo, exec_lo, s0
	s_waitcnt lgkmcnt(0)
	s_waitcnt_vscnt null, 0x0
	s_barrier
	buffer_gl0_inv
	s_clause 0x4
	scratch_load_b128 v[118:121], off, off offset:216
	scratch_load_b128 v[122:125], off, off offset:232
	;; [unrolled: 1-line block ×5, first 2 shown]
	ds_load_b128 v[138:141], v1 offset:672
	scratch_load_b128 v[142:145], off, off offset:296
	s_mov_b32 s0, exec_lo
	s_waitcnt vmcnt(5) lgkmcnt(0)
	v_fma_f64 v[2:3], v[120:121], v[138:139], 0
	s_waitcnt vmcnt(4)
	s_delay_alu instid0(VALU_DEP_1)
	v_fma_f64 v[2:3], v[122:123], v[140:141], v[2:3]
	scratch_load_b128 v[138:141], off, off offset:312
	ds_load_b128 v[120:123], v1 offset:688
	s_waitcnt lgkmcnt(0)
	v_fma_f64 v[2:3], v[124:125], v[120:121], v[2:3]
	s_waitcnt vmcnt(4)
	s_delay_alu instid0(VALU_DEP_1)
	v_fma_f64 v[2:3], v[126:127], v[122:123], v[2:3]
	ds_load_b128 v[120:123], v1 offset:704
	scratch_load_b128 v[124:127], off, off offset:328
	s_waitcnt lgkmcnt(0)
	v_fma_f64 v[2:3], v[128:129], v[120:121], v[2:3]
	s_waitcnt vmcnt(4)
	s_delay_alu instid0(VALU_DEP_1)
	v_fma_f64 v[2:3], v[130:131], v[122:123], v[2:3]
	scratch_load_b128 v[128:131], off, off offset:344
	ds_load_b128 v[120:123], v1 offset:720
	s_waitcnt lgkmcnt(0)
	v_fma_f64 v[2:3], v[132:133], v[120:121], v[2:3]
	s_waitcnt vmcnt(4)
	s_delay_alu instid0(VALU_DEP_1)
	v_fma_f64 v[2:3], v[134:135], v[122:123], v[2:3]
	ds_load_b128 v[120:123], v1 offset:736
	scratch_load_b128 v[132:135], off, off offset:360
	s_waitcnt lgkmcnt(0)
	v_fma_f64 v[2:3], v[136:137], v[120:121], v[2:3]
	s_waitcnt vmcnt(4)
	s_delay_alu instid0(VALU_DEP_1)
	v_fma_f64 v[2:3], v[142:143], v[122:123], v[2:3]
	ds_load_b128 v[120:123], v1 offset:752
	s_waitcnt lgkmcnt(0)
	v_fma_f64 v[2:3], v[144:145], v[120:121], v[2:3]
	scratch_load_b128 v[142:145], off, off offset:376
	s_waitcnt vmcnt(4)
	v_fma_f64 v[2:3], v[138:139], v[122:123], v[2:3]
	ds_load_b128 v[120:123], v1 offset:768
	scratch_load_b128 v[136:139], off, off offset:392
	s_waitcnt lgkmcnt(0)
	v_fma_f64 v[2:3], v[140:141], v[120:121], v[2:3]
	s_waitcnt vmcnt(4)
	s_delay_alu instid0(VALU_DEP_1)
	v_fma_f64 v[2:3], v[124:125], v[122:123], v[2:3]
	ds_load_b128 v[120:123], v1 offset:784
	s_waitcnt lgkmcnt(0)
	v_fma_f64 v[2:3], v[126:127], v[120:121], v[2:3]
	scratch_load_b128 v[124:127], off, off offset:408
	s_waitcnt vmcnt(4)
	v_fma_f64 v[2:3], v[128:129], v[122:123], v[2:3]
	ds_load_b128 v[120:123], v1 offset:800
	s_waitcnt lgkmcnt(0)
	v_fma_f64 v[2:3], v[130:131], v[120:121], v[2:3]
	scratch_load_b128 v[128:131], off, off offset:424
	s_waitcnt vmcnt(4)
	v_fma_f64 v[2:3], v[132:133], v[122:123], v[2:3]
	scratch_load_b64 v[132:133], off, off offset:440
	ds_load_b128 v[120:123], v1 offset:816
	s_waitcnt lgkmcnt(0)
	v_fma_f64 v[2:3], v[134:135], v[120:121], v[2:3]
	s_waitcnt vmcnt(4)
	s_delay_alu instid0(VALU_DEP_1) | instskip(SKIP_4) | instid1(VALU_DEP_1)
	v_fma_f64 v[2:3], v[142:143], v[122:123], v[2:3]
	ds_load_b128 v[120:123], v1 offset:832
	s_waitcnt lgkmcnt(0)
	v_fma_f64 v[2:3], v[144:145], v[120:121], v[2:3]
	s_waitcnt vmcnt(3)
	v_fma_f64 v[2:3], v[136:137], v[122:123], v[2:3]
	ds_load_b128 v[120:123], v1 offset:848
	s_waitcnt lgkmcnt(0)
	v_fma_f64 v[2:3], v[138:139], v[120:121], v[2:3]
	s_waitcnt vmcnt(2)
	s_delay_alu instid0(VALU_DEP_1) | instskip(SKIP_4) | instid1(VALU_DEP_1)
	v_fma_f64 v[2:3], v[124:125], v[122:123], v[2:3]
	ds_load_b128 v[120:123], v1 offset:864
	s_waitcnt lgkmcnt(0)
	v_fma_f64 v[2:3], v[126:127], v[120:121], v[2:3]
	s_waitcnt vmcnt(1)
	v_fma_f64 v[120:121], v[128:129], v[122:123], v[2:3]
	ds_load_b128 v[1:4], v1 offset:880
	s_waitcnt lgkmcnt(0)
	v_fma_f64 v[1:2], v[130:131], v[1:2], v[120:121]
	s_waitcnt vmcnt(0)
	s_delay_alu instid0(VALU_DEP_1) | instskip(NEXT) | instid1(VALU_DEP_1)
	v_fma_f64 v[1:2], v[132:133], v[3:4], v[1:2]
	v_add_f64 v[1:2], v[118:119], -v[1:2]
	scratch_store_b64 off, v[1:2], off offset:216
	v_cmpx_lt_u32_e32 26, v0
	s_cbranch_execz .LBB119_293
; %bb.292:
	scratch_load_b64 v[1:2], off, off offset:208
	v_mov_b32_e32 v3, 0
	s_delay_alu instid0(VALU_DEP_1)
	v_mov_b32_e32 v4, v3
	scratch_store_b64 off, v[3:4], off offset:208
	s_waitcnt vmcnt(0)
	ds_store_b64 v5, v[1:2]
.LBB119_293:
	s_or_b32 exec_lo, exec_lo, s0
	s_waitcnt lgkmcnt(0)
	s_waitcnt_vscnt null, 0x0
	s_barrier
	buffer_gl0_inv
	s_clause 0x4
	scratch_load_b128 v[118:121], off, off offset:208
	scratch_load_b128 v[122:125], off, off offset:224
	;; [unrolled: 1-line block ×5, first 2 shown]
	v_mov_b32_e32 v1, 0
	scratch_load_b128 v[142:145], off, off offset:288
	s_mov_b32 s0, exec_lo
	ds_load_2addr_b64 v[138:141], v1 offset0:83 offset1:84
	s_waitcnt vmcnt(5) lgkmcnt(0)
	v_fma_f64 v[2:3], v[120:121], v[138:139], 0
	s_waitcnt vmcnt(4)
	s_delay_alu instid0(VALU_DEP_1)
	v_fma_f64 v[2:3], v[122:123], v[140:141], v[2:3]
	scratch_load_b128 v[138:141], off, off offset:304
	ds_load_2addr_b64 v[120:123], v1 offset0:85 offset1:86
	s_waitcnt lgkmcnt(0)
	v_fma_f64 v[2:3], v[124:125], v[120:121], v[2:3]
	s_waitcnt vmcnt(4)
	s_delay_alu instid0(VALU_DEP_1)
	v_fma_f64 v[2:3], v[126:127], v[122:123], v[2:3]
	ds_load_2addr_b64 v[120:123], v1 offset0:87 offset1:88
	scratch_load_b128 v[124:127], off, off offset:320
	s_waitcnt lgkmcnt(0)
	v_fma_f64 v[2:3], v[128:129], v[120:121], v[2:3]
	s_waitcnt vmcnt(4)
	s_delay_alu instid0(VALU_DEP_1)
	v_fma_f64 v[2:3], v[130:131], v[122:123], v[2:3]
	scratch_load_b128 v[128:131], off, off offset:336
	ds_load_2addr_b64 v[120:123], v1 offset0:89 offset1:90
	s_waitcnt lgkmcnt(0)
	v_fma_f64 v[2:3], v[132:133], v[120:121], v[2:3]
	s_waitcnt vmcnt(4)
	s_delay_alu instid0(VALU_DEP_1)
	v_fma_f64 v[2:3], v[134:135], v[122:123], v[2:3]
	ds_load_2addr_b64 v[120:123], v1 offset0:91 offset1:92
	scratch_load_b128 v[132:135], off, off offset:352
	s_waitcnt lgkmcnt(0)
	v_fma_f64 v[2:3], v[136:137], v[120:121], v[2:3]
	s_waitcnt vmcnt(4)
	s_delay_alu instid0(VALU_DEP_1)
	v_fma_f64 v[2:3], v[142:143], v[122:123], v[2:3]
	ds_load_2addr_b64 v[120:123], v1 offset0:93 offset1:94
	s_waitcnt lgkmcnt(0)
	v_fma_f64 v[2:3], v[144:145], v[120:121], v[2:3]
	scratch_load_b128 v[142:145], off, off offset:368
	s_waitcnt vmcnt(4)
	v_fma_f64 v[2:3], v[138:139], v[122:123], v[2:3]
	ds_load_2addr_b64 v[120:123], v1 offset0:95 offset1:96
	scratch_load_b128 v[136:139], off, off offset:384
	s_waitcnt lgkmcnt(0)
	v_fma_f64 v[2:3], v[140:141], v[120:121], v[2:3]
	s_waitcnt vmcnt(4)
	s_delay_alu instid0(VALU_DEP_1)
	v_fma_f64 v[2:3], v[124:125], v[122:123], v[2:3]
	ds_load_2addr_b64 v[120:123], v1 offset0:97 offset1:98
	s_waitcnt lgkmcnt(0)
	v_fma_f64 v[2:3], v[126:127], v[120:121], v[2:3]
	scratch_load_b128 v[124:127], off, off offset:400
	s_waitcnt vmcnt(4)
	v_fma_f64 v[2:3], v[128:129], v[122:123], v[2:3]
	ds_load_2addr_b64 v[120:123], v1 offset0:99 offset1:100
	s_waitcnt lgkmcnt(0)
	v_fma_f64 v[2:3], v[130:131], v[120:121], v[2:3]
	scratch_load_b128 v[128:131], off, off offset:416
	s_waitcnt vmcnt(4)
	;; [unrolled: 6-line block ×3, first 2 shown]
	v_fma_f64 v[2:3], v[142:143], v[122:123], v[2:3]
	ds_load_2addr_b64 v[120:123], v1 offset0:103 offset1:104
	s_waitcnt lgkmcnt(0)
	v_fma_f64 v[2:3], v[144:145], v[120:121], v[2:3]
	s_waitcnt vmcnt(3)
	s_delay_alu instid0(VALU_DEP_1) | instskip(SKIP_4) | instid1(VALU_DEP_1)
	v_fma_f64 v[2:3], v[136:137], v[122:123], v[2:3]
	ds_load_2addr_b64 v[120:123], v1 offset0:105 offset1:106
	s_waitcnt lgkmcnt(0)
	v_fma_f64 v[2:3], v[138:139], v[120:121], v[2:3]
	s_waitcnt vmcnt(2)
	v_fma_f64 v[2:3], v[124:125], v[122:123], v[2:3]
	ds_load_2addr_b64 v[120:123], v1 offset0:107 offset1:108
	s_waitcnt lgkmcnt(0)
	v_fma_f64 v[2:3], v[126:127], v[120:121], v[2:3]
	s_waitcnt vmcnt(1)
	s_delay_alu instid0(VALU_DEP_1)
	v_fma_f64 v[2:3], v[128:129], v[122:123], v[2:3]
	ds_load_2addr_b64 v[120:123], v1 offset0:109 offset1:110
	s_waitcnt lgkmcnt(0)
	v_fma_f64 v[2:3], v[130:131], v[120:121], v[2:3]
	ds_load_b64 v[120:121], v1 offset:888
	s_waitcnt vmcnt(0)
	v_fma_f64 v[2:3], v[132:133], v[122:123], v[2:3]
	s_waitcnt lgkmcnt(0)
	s_delay_alu instid0(VALU_DEP_1) | instskip(NEXT) | instid1(VALU_DEP_1)
	v_fma_f64 v[2:3], v[134:135], v[120:121], v[2:3]
	v_add_f64 v[2:3], v[118:119], -v[2:3]
	scratch_store_b64 off, v[2:3], off offset:208
	v_cmpx_lt_u32_e32 25, v0
	s_cbranch_execz .LBB119_295
; %bb.294:
	scratch_load_b64 v[3:4], off, off offset:200
	v_mov_b32_e32 v2, v1
	scratch_store_b64 off, v[1:2], off offset:200
	s_waitcnt vmcnt(0)
	ds_store_b64 v5, v[3:4]
.LBB119_295:
	s_or_b32 exec_lo, exec_lo, s0
	s_waitcnt lgkmcnt(0)
	s_waitcnt_vscnt null, 0x0
	s_barrier
	buffer_gl0_inv
	s_clause 0x4
	scratch_load_b128 v[118:121], off, off offset:200
	scratch_load_b128 v[122:125], off, off offset:216
	;; [unrolled: 1-line block ×5, first 2 shown]
	ds_load_b128 v[138:141], v1 offset:656
	scratch_load_b128 v[142:145], off, off offset:280
	s_mov_b32 s0, exec_lo
	s_waitcnt vmcnt(5) lgkmcnt(0)
	v_fma_f64 v[2:3], v[120:121], v[138:139], 0
	s_waitcnt vmcnt(4)
	s_delay_alu instid0(VALU_DEP_1)
	v_fma_f64 v[2:3], v[122:123], v[140:141], v[2:3]
	scratch_load_b128 v[138:141], off, off offset:296
	ds_load_b128 v[120:123], v1 offset:672
	s_waitcnt lgkmcnt(0)
	v_fma_f64 v[2:3], v[124:125], v[120:121], v[2:3]
	s_waitcnt vmcnt(4)
	s_delay_alu instid0(VALU_DEP_1)
	v_fma_f64 v[2:3], v[126:127], v[122:123], v[2:3]
	ds_load_b128 v[120:123], v1 offset:688
	scratch_load_b128 v[124:127], off, off offset:312
	s_waitcnt lgkmcnt(0)
	v_fma_f64 v[2:3], v[128:129], v[120:121], v[2:3]
	s_waitcnt vmcnt(4)
	s_delay_alu instid0(VALU_DEP_1)
	v_fma_f64 v[2:3], v[130:131], v[122:123], v[2:3]
	scratch_load_b128 v[128:131], off, off offset:328
	ds_load_b128 v[120:123], v1 offset:704
	s_waitcnt lgkmcnt(0)
	v_fma_f64 v[2:3], v[132:133], v[120:121], v[2:3]
	s_waitcnt vmcnt(4)
	s_delay_alu instid0(VALU_DEP_1)
	v_fma_f64 v[2:3], v[134:135], v[122:123], v[2:3]
	ds_load_b128 v[120:123], v1 offset:720
	scratch_load_b128 v[132:135], off, off offset:344
	s_waitcnt lgkmcnt(0)
	v_fma_f64 v[2:3], v[136:137], v[120:121], v[2:3]
	s_waitcnt vmcnt(4)
	s_delay_alu instid0(VALU_DEP_1)
	v_fma_f64 v[2:3], v[142:143], v[122:123], v[2:3]
	ds_load_b128 v[120:123], v1 offset:736
	s_waitcnt lgkmcnt(0)
	v_fma_f64 v[2:3], v[144:145], v[120:121], v[2:3]
	scratch_load_b128 v[142:145], off, off offset:360
	s_waitcnt vmcnt(4)
	v_fma_f64 v[2:3], v[138:139], v[122:123], v[2:3]
	ds_load_b128 v[120:123], v1 offset:752
	scratch_load_b128 v[136:139], off, off offset:376
	s_waitcnt lgkmcnt(0)
	v_fma_f64 v[2:3], v[140:141], v[120:121], v[2:3]
	scratch_load_b64 v[140:141], off, off offset:440
	s_waitcnt vmcnt(5)
	v_fma_f64 v[2:3], v[124:125], v[122:123], v[2:3]
	ds_load_b128 v[120:123], v1 offset:768
	s_waitcnt lgkmcnt(0)
	v_fma_f64 v[2:3], v[126:127], v[120:121], v[2:3]
	scratch_load_b128 v[124:127], off, off offset:392
	s_waitcnt vmcnt(5)
	v_fma_f64 v[2:3], v[128:129], v[122:123], v[2:3]
	ds_load_b128 v[120:123], v1 offset:784
	s_waitcnt lgkmcnt(0)
	v_fma_f64 v[2:3], v[130:131], v[120:121], v[2:3]
	scratch_load_b128 v[128:131], off, off offset:408
	;; [unrolled: 6-line block ×3, first 2 shown]
	s_waitcnt vmcnt(5)
	v_fma_f64 v[2:3], v[142:143], v[122:123], v[2:3]
	ds_load_b128 v[120:123], v1 offset:816
	s_waitcnt lgkmcnt(0)
	v_fma_f64 v[2:3], v[144:145], v[120:121], v[2:3]
	s_waitcnt vmcnt(4)
	s_delay_alu instid0(VALU_DEP_1) | instskip(SKIP_4) | instid1(VALU_DEP_1)
	v_fma_f64 v[2:3], v[136:137], v[122:123], v[2:3]
	ds_load_b128 v[120:123], v1 offset:832
	s_waitcnt lgkmcnt(0)
	v_fma_f64 v[2:3], v[138:139], v[120:121], v[2:3]
	s_waitcnt vmcnt(2)
	v_fma_f64 v[2:3], v[124:125], v[122:123], v[2:3]
	ds_load_b128 v[120:123], v1 offset:848
	s_waitcnt lgkmcnt(0)
	v_fma_f64 v[2:3], v[126:127], v[120:121], v[2:3]
	s_waitcnt vmcnt(1)
	s_delay_alu instid0(VALU_DEP_1) | instskip(SKIP_4) | instid1(VALU_DEP_1)
	v_fma_f64 v[2:3], v[128:129], v[122:123], v[2:3]
	ds_load_b128 v[120:123], v1 offset:864
	s_waitcnt lgkmcnt(0)
	v_fma_f64 v[2:3], v[130:131], v[120:121], v[2:3]
	s_waitcnt vmcnt(0)
	v_fma_f64 v[120:121], v[132:133], v[122:123], v[2:3]
	ds_load_b128 v[1:4], v1 offset:880
	s_waitcnt lgkmcnt(0)
	v_fma_f64 v[1:2], v[134:135], v[1:2], v[120:121]
	s_delay_alu instid0(VALU_DEP_1) | instskip(NEXT) | instid1(VALU_DEP_1)
	v_fma_f64 v[1:2], v[140:141], v[3:4], v[1:2]
	v_add_f64 v[1:2], v[118:119], -v[1:2]
	scratch_store_b64 off, v[1:2], off offset:200
	v_cmpx_lt_u32_e32 24, v0
	s_cbranch_execz .LBB119_297
; %bb.296:
	scratch_load_b64 v[1:2], off, off offset:192
	v_mov_b32_e32 v3, 0
	s_delay_alu instid0(VALU_DEP_1)
	v_mov_b32_e32 v4, v3
	scratch_store_b64 off, v[3:4], off offset:192
	s_waitcnt vmcnt(0)
	ds_store_b64 v5, v[1:2]
.LBB119_297:
	s_or_b32 exec_lo, exec_lo, s0
	s_waitcnt lgkmcnt(0)
	s_waitcnt_vscnt null, 0x0
	s_barrier
	buffer_gl0_inv
	s_clause 0x4
	scratch_load_b128 v[118:121], off, off offset:192
	scratch_load_b128 v[122:125], off, off offset:208
	scratch_load_b128 v[126:129], off, off offset:224
	scratch_load_b128 v[130:133], off, off offset:240
	scratch_load_b128 v[134:137], off, off offset:256
	v_mov_b32_e32 v1, 0
	scratch_load_b128 v[142:145], off, off offset:272
	s_mov_b32 s0, exec_lo
	ds_load_2addr_b64 v[138:141], v1 offset0:81 offset1:82
	s_waitcnt vmcnt(5) lgkmcnt(0)
	v_fma_f64 v[2:3], v[120:121], v[138:139], 0
	s_waitcnt vmcnt(4)
	s_delay_alu instid0(VALU_DEP_1)
	v_fma_f64 v[2:3], v[122:123], v[140:141], v[2:3]
	scratch_load_b128 v[138:141], off, off offset:288
	ds_load_2addr_b64 v[120:123], v1 offset0:83 offset1:84
	s_waitcnt lgkmcnt(0)
	v_fma_f64 v[2:3], v[124:125], v[120:121], v[2:3]
	s_waitcnt vmcnt(4)
	s_delay_alu instid0(VALU_DEP_1)
	v_fma_f64 v[2:3], v[126:127], v[122:123], v[2:3]
	ds_load_2addr_b64 v[120:123], v1 offset0:85 offset1:86
	scratch_load_b128 v[124:127], off, off offset:304
	s_waitcnt lgkmcnt(0)
	v_fma_f64 v[2:3], v[128:129], v[120:121], v[2:3]
	s_waitcnt vmcnt(4)
	s_delay_alu instid0(VALU_DEP_1)
	v_fma_f64 v[2:3], v[130:131], v[122:123], v[2:3]
	scratch_load_b128 v[128:131], off, off offset:320
	ds_load_2addr_b64 v[120:123], v1 offset0:87 offset1:88
	s_waitcnt lgkmcnt(0)
	v_fma_f64 v[2:3], v[132:133], v[120:121], v[2:3]
	s_waitcnt vmcnt(4)
	s_delay_alu instid0(VALU_DEP_1)
	v_fma_f64 v[2:3], v[134:135], v[122:123], v[2:3]
	ds_load_2addr_b64 v[120:123], v1 offset0:89 offset1:90
	scratch_load_b128 v[132:135], off, off offset:336
	s_waitcnt lgkmcnt(0)
	v_fma_f64 v[2:3], v[136:137], v[120:121], v[2:3]
	s_waitcnt vmcnt(4)
	s_delay_alu instid0(VALU_DEP_1)
	v_fma_f64 v[2:3], v[142:143], v[122:123], v[2:3]
	ds_load_2addr_b64 v[120:123], v1 offset0:91 offset1:92
	s_waitcnt lgkmcnt(0)
	v_fma_f64 v[2:3], v[144:145], v[120:121], v[2:3]
	scratch_load_b128 v[142:145], off, off offset:352
	s_waitcnt vmcnt(4)
	v_fma_f64 v[2:3], v[138:139], v[122:123], v[2:3]
	ds_load_2addr_b64 v[120:123], v1 offset0:93 offset1:94
	scratch_load_b128 v[136:139], off, off offset:368
	s_waitcnt lgkmcnt(0)
	v_fma_f64 v[2:3], v[140:141], v[120:121], v[2:3]
	s_waitcnt vmcnt(4)
	s_delay_alu instid0(VALU_DEP_1)
	v_fma_f64 v[2:3], v[124:125], v[122:123], v[2:3]
	ds_load_2addr_b64 v[120:123], v1 offset0:95 offset1:96
	s_waitcnt lgkmcnt(0)
	v_fma_f64 v[2:3], v[126:127], v[120:121], v[2:3]
	scratch_load_b128 v[124:127], off, off offset:384
	s_waitcnt vmcnt(4)
	v_fma_f64 v[2:3], v[128:129], v[122:123], v[2:3]
	ds_load_2addr_b64 v[120:123], v1 offset0:97 offset1:98
	s_waitcnt lgkmcnt(0)
	v_fma_f64 v[2:3], v[130:131], v[120:121], v[2:3]
	scratch_load_b128 v[128:131], off, off offset:400
	s_waitcnt vmcnt(4)
	;; [unrolled: 6-line block ×3, first 2 shown]
	v_fma_f64 v[2:3], v[142:143], v[122:123], v[2:3]
	ds_load_2addr_b64 v[120:123], v1 offset0:101 offset1:102
	scratch_load_b128 v[140:143], off, off offset:432
	s_waitcnt lgkmcnt(0)
	v_fma_f64 v[2:3], v[144:145], v[120:121], v[2:3]
	s_waitcnt vmcnt(4)
	s_delay_alu instid0(VALU_DEP_1) | instskip(SKIP_4) | instid1(VALU_DEP_1)
	v_fma_f64 v[2:3], v[136:137], v[122:123], v[2:3]
	ds_load_2addr_b64 v[120:123], v1 offset0:103 offset1:104
	s_waitcnt lgkmcnt(0)
	v_fma_f64 v[2:3], v[138:139], v[120:121], v[2:3]
	s_waitcnt vmcnt(3)
	v_fma_f64 v[2:3], v[124:125], v[122:123], v[2:3]
	ds_load_2addr_b64 v[120:123], v1 offset0:105 offset1:106
	s_waitcnt lgkmcnt(0)
	v_fma_f64 v[2:3], v[126:127], v[120:121], v[2:3]
	s_waitcnt vmcnt(2)
	s_delay_alu instid0(VALU_DEP_1) | instskip(SKIP_4) | instid1(VALU_DEP_1)
	v_fma_f64 v[2:3], v[128:129], v[122:123], v[2:3]
	ds_load_2addr_b64 v[120:123], v1 offset0:107 offset1:108
	s_waitcnt lgkmcnt(0)
	v_fma_f64 v[2:3], v[130:131], v[120:121], v[2:3]
	s_waitcnt vmcnt(1)
	v_fma_f64 v[2:3], v[132:133], v[122:123], v[2:3]
	ds_load_2addr_b64 v[120:123], v1 offset0:109 offset1:110
	s_waitcnt lgkmcnt(0)
	v_fma_f64 v[2:3], v[134:135], v[120:121], v[2:3]
	ds_load_b64 v[120:121], v1 offset:888
	s_waitcnt vmcnt(0)
	v_fma_f64 v[2:3], v[140:141], v[122:123], v[2:3]
	s_waitcnt lgkmcnt(0)
	s_delay_alu instid0(VALU_DEP_1) | instskip(NEXT) | instid1(VALU_DEP_1)
	v_fma_f64 v[2:3], v[142:143], v[120:121], v[2:3]
	v_add_f64 v[2:3], v[118:119], -v[2:3]
	scratch_store_b64 off, v[2:3], off offset:192
	v_cmpx_lt_u32_e32 23, v0
	s_cbranch_execz .LBB119_299
; %bb.298:
	scratch_load_b64 v[3:4], off, off offset:184
	v_mov_b32_e32 v2, v1
	scratch_store_b64 off, v[1:2], off offset:184
	s_waitcnt vmcnt(0)
	ds_store_b64 v5, v[3:4]
.LBB119_299:
	s_or_b32 exec_lo, exec_lo, s0
	s_waitcnt lgkmcnt(0)
	s_waitcnt_vscnt null, 0x0
	s_barrier
	buffer_gl0_inv
	s_clause 0x4
	scratch_load_b128 v[118:121], off, off offset:184
	scratch_load_b128 v[122:125], off, off offset:200
	;; [unrolled: 1-line block ×5, first 2 shown]
	ds_load_b128 v[138:141], v1 offset:640
	scratch_load_b128 v[142:145], off, off offset:264
	s_mov_b32 s0, exec_lo
	s_waitcnt vmcnt(5) lgkmcnt(0)
	v_fma_f64 v[2:3], v[120:121], v[138:139], 0
	s_waitcnt vmcnt(4)
	s_delay_alu instid0(VALU_DEP_1)
	v_fma_f64 v[2:3], v[122:123], v[140:141], v[2:3]
	scratch_load_b128 v[138:141], off, off offset:280
	ds_load_b128 v[120:123], v1 offset:656
	s_waitcnt lgkmcnt(0)
	v_fma_f64 v[2:3], v[124:125], v[120:121], v[2:3]
	s_waitcnt vmcnt(4)
	s_delay_alu instid0(VALU_DEP_1)
	v_fma_f64 v[2:3], v[126:127], v[122:123], v[2:3]
	ds_load_b128 v[120:123], v1 offset:672
	scratch_load_b128 v[124:127], off, off offset:296
	s_waitcnt lgkmcnt(0)
	v_fma_f64 v[2:3], v[128:129], v[120:121], v[2:3]
	s_waitcnt vmcnt(4)
	s_delay_alu instid0(VALU_DEP_1)
	v_fma_f64 v[2:3], v[130:131], v[122:123], v[2:3]
	scratch_load_b128 v[128:131], off, off offset:312
	ds_load_b128 v[120:123], v1 offset:688
	s_waitcnt lgkmcnt(0)
	v_fma_f64 v[2:3], v[132:133], v[120:121], v[2:3]
	s_waitcnt vmcnt(4)
	s_delay_alu instid0(VALU_DEP_1)
	v_fma_f64 v[2:3], v[134:135], v[122:123], v[2:3]
	ds_load_b128 v[120:123], v1 offset:704
	scratch_load_b128 v[132:135], off, off offset:328
	s_waitcnt lgkmcnt(0)
	v_fma_f64 v[2:3], v[136:137], v[120:121], v[2:3]
	s_waitcnt vmcnt(4)
	s_delay_alu instid0(VALU_DEP_1)
	v_fma_f64 v[2:3], v[142:143], v[122:123], v[2:3]
	ds_load_b128 v[120:123], v1 offset:720
	s_waitcnt lgkmcnt(0)
	v_fma_f64 v[2:3], v[144:145], v[120:121], v[2:3]
	scratch_load_b128 v[142:145], off, off offset:344
	s_waitcnt vmcnt(4)
	v_fma_f64 v[2:3], v[138:139], v[122:123], v[2:3]
	ds_load_b128 v[120:123], v1 offset:736
	scratch_load_b128 v[136:139], off, off offset:360
	s_waitcnt lgkmcnt(0)
	v_fma_f64 v[2:3], v[140:141], v[120:121], v[2:3]
	s_waitcnt vmcnt(4)
	s_delay_alu instid0(VALU_DEP_1)
	v_fma_f64 v[2:3], v[124:125], v[122:123], v[2:3]
	ds_load_b128 v[120:123], v1 offset:752
	s_waitcnt lgkmcnt(0)
	v_fma_f64 v[2:3], v[126:127], v[120:121], v[2:3]
	scratch_load_b128 v[124:127], off, off offset:376
	s_waitcnt vmcnt(4)
	v_fma_f64 v[2:3], v[128:129], v[122:123], v[2:3]
	ds_load_b128 v[120:123], v1 offset:768
	s_waitcnt lgkmcnt(0)
	v_fma_f64 v[2:3], v[130:131], v[120:121], v[2:3]
	scratch_load_b128 v[128:131], off, off offset:392
	s_waitcnt vmcnt(4)
	;; [unrolled: 6-line block ×3, first 2 shown]
	v_fma_f64 v[2:3], v[142:143], v[122:123], v[2:3]
	ds_load_b128 v[120:123], v1 offset:800
	scratch_load_b128 v[140:143], off, off offset:424
	s_waitcnt lgkmcnt(0)
	v_fma_f64 v[2:3], v[144:145], v[120:121], v[2:3]
	s_waitcnt vmcnt(4)
	s_delay_alu instid0(VALU_DEP_1)
	v_fma_f64 v[2:3], v[136:137], v[122:123], v[2:3]
	scratch_load_b64 v[136:137], off, off offset:440
	ds_load_b128 v[120:123], v1 offset:816
	s_waitcnt lgkmcnt(0)
	v_fma_f64 v[2:3], v[138:139], v[120:121], v[2:3]
	s_waitcnt vmcnt(4)
	s_delay_alu instid0(VALU_DEP_1) | instskip(SKIP_4) | instid1(VALU_DEP_1)
	v_fma_f64 v[2:3], v[124:125], v[122:123], v[2:3]
	ds_load_b128 v[120:123], v1 offset:832
	s_waitcnt lgkmcnt(0)
	v_fma_f64 v[2:3], v[126:127], v[120:121], v[2:3]
	s_waitcnt vmcnt(3)
	v_fma_f64 v[2:3], v[128:129], v[122:123], v[2:3]
	ds_load_b128 v[120:123], v1 offset:848
	s_waitcnt lgkmcnt(0)
	v_fma_f64 v[2:3], v[130:131], v[120:121], v[2:3]
	s_waitcnt vmcnt(2)
	s_delay_alu instid0(VALU_DEP_1) | instskip(SKIP_4) | instid1(VALU_DEP_1)
	v_fma_f64 v[2:3], v[132:133], v[122:123], v[2:3]
	ds_load_b128 v[120:123], v1 offset:864
	s_waitcnt lgkmcnt(0)
	v_fma_f64 v[2:3], v[134:135], v[120:121], v[2:3]
	s_waitcnt vmcnt(1)
	v_fma_f64 v[120:121], v[140:141], v[122:123], v[2:3]
	ds_load_b128 v[1:4], v1 offset:880
	s_waitcnt lgkmcnt(0)
	v_fma_f64 v[1:2], v[142:143], v[1:2], v[120:121]
	s_waitcnt vmcnt(0)
	s_delay_alu instid0(VALU_DEP_1) | instskip(NEXT) | instid1(VALU_DEP_1)
	v_fma_f64 v[1:2], v[136:137], v[3:4], v[1:2]
	v_add_f64 v[1:2], v[118:119], -v[1:2]
	scratch_store_b64 off, v[1:2], off offset:184
	v_cmpx_lt_u32_e32 22, v0
	s_cbranch_execz .LBB119_301
; %bb.300:
	scratch_load_b64 v[1:2], off, off offset:176
	v_mov_b32_e32 v3, 0
	s_delay_alu instid0(VALU_DEP_1)
	v_mov_b32_e32 v4, v3
	scratch_store_b64 off, v[3:4], off offset:176
	s_waitcnt vmcnt(0)
	ds_store_b64 v5, v[1:2]
.LBB119_301:
	s_or_b32 exec_lo, exec_lo, s0
	s_waitcnt lgkmcnt(0)
	s_waitcnt_vscnt null, 0x0
	s_barrier
	buffer_gl0_inv
	s_clause 0x4
	scratch_load_b128 v[118:121], off, off offset:176
	scratch_load_b128 v[122:125], off, off offset:192
	;; [unrolled: 1-line block ×5, first 2 shown]
	v_mov_b32_e32 v1, 0
	scratch_load_b128 v[142:145], off, off offset:256
	s_mov_b32 s0, exec_lo
	ds_load_2addr_b64 v[138:141], v1 offset0:79 offset1:80
	s_waitcnt vmcnt(5) lgkmcnt(0)
	v_fma_f64 v[2:3], v[120:121], v[138:139], 0
	s_waitcnt vmcnt(4)
	s_delay_alu instid0(VALU_DEP_1)
	v_fma_f64 v[2:3], v[122:123], v[140:141], v[2:3]
	scratch_load_b128 v[138:141], off, off offset:272
	ds_load_2addr_b64 v[120:123], v1 offset0:81 offset1:82
	s_waitcnt lgkmcnt(0)
	v_fma_f64 v[2:3], v[124:125], v[120:121], v[2:3]
	s_waitcnt vmcnt(4)
	s_delay_alu instid0(VALU_DEP_1)
	v_fma_f64 v[2:3], v[126:127], v[122:123], v[2:3]
	ds_load_2addr_b64 v[120:123], v1 offset0:83 offset1:84
	scratch_load_b128 v[124:127], off, off offset:288
	s_waitcnt lgkmcnt(0)
	v_fma_f64 v[2:3], v[128:129], v[120:121], v[2:3]
	s_waitcnt vmcnt(4)
	s_delay_alu instid0(VALU_DEP_1)
	v_fma_f64 v[2:3], v[130:131], v[122:123], v[2:3]
	scratch_load_b128 v[128:131], off, off offset:304
	ds_load_2addr_b64 v[120:123], v1 offset0:85 offset1:86
	s_waitcnt lgkmcnt(0)
	v_fma_f64 v[2:3], v[132:133], v[120:121], v[2:3]
	s_waitcnt vmcnt(4)
	s_delay_alu instid0(VALU_DEP_1)
	v_fma_f64 v[2:3], v[134:135], v[122:123], v[2:3]
	ds_load_2addr_b64 v[120:123], v1 offset0:87 offset1:88
	scratch_load_b128 v[132:135], off, off offset:320
	s_waitcnt lgkmcnt(0)
	v_fma_f64 v[2:3], v[136:137], v[120:121], v[2:3]
	s_waitcnt vmcnt(4)
	s_delay_alu instid0(VALU_DEP_1)
	v_fma_f64 v[2:3], v[142:143], v[122:123], v[2:3]
	ds_load_2addr_b64 v[120:123], v1 offset0:89 offset1:90
	s_waitcnt lgkmcnt(0)
	v_fma_f64 v[2:3], v[144:145], v[120:121], v[2:3]
	scratch_load_b128 v[142:145], off, off offset:336
	s_waitcnt vmcnt(4)
	v_fma_f64 v[2:3], v[138:139], v[122:123], v[2:3]
	ds_load_2addr_b64 v[120:123], v1 offset0:91 offset1:92
	scratch_load_b128 v[136:139], off, off offset:352
	s_waitcnt lgkmcnt(0)
	v_fma_f64 v[2:3], v[140:141], v[120:121], v[2:3]
	s_waitcnt vmcnt(4)
	s_delay_alu instid0(VALU_DEP_1)
	v_fma_f64 v[2:3], v[124:125], v[122:123], v[2:3]
	ds_load_2addr_b64 v[120:123], v1 offset0:93 offset1:94
	s_waitcnt lgkmcnt(0)
	v_fma_f64 v[2:3], v[126:127], v[120:121], v[2:3]
	scratch_load_b128 v[124:127], off, off offset:368
	s_waitcnt vmcnt(4)
	v_fma_f64 v[2:3], v[128:129], v[122:123], v[2:3]
	ds_load_2addr_b64 v[120:123], v1 offset0:95 offset1:96
	s_waitcnt lgkmcnt(0)
	v_fma_f64 v[2:3], v[130:131], v[120:121], v[2:3]
	scratch_load_b128 v[128:131], off, off offset:384
	s_waitcnt vmcnt(4)
	v_fma_f64 v[2:3], v[132:133], v[122:123], v[2:3]
	ds_load_2addr_b64 v[120:123], v1 offset0:97 offset1:98
	s_waitcnt lgkmcnt(0)
	v_fma_f64 v[2:3], v[134:135], v[120:121], v[2:3]
	scratch_load_b128 v[132:135], off, off offset:400
	s_waitcnt vmcnt(4)
	v_fma_f64 v[2:3], v[142:143], v[122:123], v[2:3]
	ds_load_2addr_b64 v[120:123], v1 offset0:99 offset1:100
	scratch_load_b128 v[140:143], off, off offset:416
	s_waitcnt lgkmcnt(0)
	v_fma_f64 v[2:3], v[144:145], v[120:121], v[2:3]
	s_waitcnt vmcnt(4)
	s_delay_alu instid0(VALU_DEP_1)
	v_fma_f64 v[2:3], v[136:137], v[122:123], v[2:3]
	ds_load_2addr_b64 v[120:123], v1 offset0:101 offset1:102
	s_waitcnt lgkmcnt(0)
	v_fma_f64 v[2:3], v[138:139], v[120:121], v[2:3]
	scratch_load_b128 v[136:139], off, off offset:432
	s_waitcnt vmcnt(4)
	v_fma_f64 v[2:3], v[124:125], v[122:123], v[2:3]
	ds_load_2addr_b64 v[120:123], v1 offset0:103 offset1:104
	s_waitcnt lgkmcnt(0)
	v_fma_f64 v[2:3], v[126:127], v[120:121], v[2:3]
	s_waitcnt vmcnt(3)
	s_delay_alu instid0(VALU_DEP_1) | instskip(SKIP_4) | instid1(VALU_DEP_1)
	v_fma_f64 v[2:3], v[128:129], v[122:123], v[2:3]
	ds_load_2addr_b64 v[120:123], v1 offset0:105 offset1:106
	s_waitcnt lgkmcnt(0)
	v_fma_f64 v[2:3], v[130:131], v[120:121], v[2:3]
	s_waitcnt vmcnt(2)
	v_fma_f64 v[2:3], v[132:133], v[122:123], v[2:3]
	ds_load_2addr_b64 v[120:123], v1 offset0:107 offset1:108
	s_waitcnt lgkmcnt(0)
	v_fma_f64 v[2:3], v[134:135], v[120:121], v[2:3]
	s_waitcnt vmcnt(1)
	s_delay_alu instid0(VALU_DEP_1)
	v_fma_f64 v[2:3], v[140:141], v[122:123], v[2:3]
	ds_load_2addr_b64 v[120:123], v1 offset0:109 offset1:110
	s_waitcnt lgkmcnt(0)
	v_fma_f64 v[2:3], v[142:143], v[120:121], v[2:3]
	ds_load_b64 v[120:121], v1 offset:888
	s_waitcnt vmcnt(0)
	v_fma_f64 v[2:3], v[136:137], v[122:123], v[2:3]
	s_waitcnt lgkmcnt(0)
	s_delay_alu instid0(VALU_DEP_1) | instskip(NEXT) | instid1(VALU_DEP_1)
	v_fma_f64 v[2:3], v[138:139], v[120:121], v[2:3]
	v_add_f64 v[2:3], v[118:119], -v[2:3]
	scratch_store_b64 off, v[2:3], off offset:176
	v_cmpx_lt_u32_e32 21, v0
	s_cbranch_execz .LBB119_303
; %bb.302:
	scratch_load_b64 v[3:4], off, off offset:168
	v_mov_b32_e32 v2, v1
	scratch_store_b64 off, v[1:2], off offset:168
	s_waitcnt vmcnt(0)
	ds_store_b64 v5, v[3:4]
.LBB119_303:
	s_or_b32 exec_lo, exec_lo, s0
	s_waitcnt lgkmcnt(0)
	s_waitcnt_vscnt null, 0x0
	s_barrier
	buffer_gl0_inv
	s_clause 0x4
	scratch_load_b128 v[118:121], off, off offset:168
	scratch_load_b128 v[122:125], off, off offset:184
	;; [unrolled: 1-line block ×5, first 2 shown]
	ds_load_b128 v[138:141], v1 offset:624
	scratch_load_b128 v[142:145], off, off offset:248
	s_mov_b32 s0, exec_lo
	s_waitcnt vmcnt(5) lgkmcnt(0)
	v_fma_f64 v[2:3], v[120:121], v[138:139], 0
	s_waitcnt vmcnt(4)
	s_delay_alu instid0(VALU_DEP_1)
	v_fma_f64 v[2:3], v[122:123], v[140:141], v[2:3]
	scratch_load_b128 v[138:141], off, off offset:264
	ds_load_b128 v[120:123], v1 offset:640
	s_waitcnt lgkmcnt(0)
	v_fma_f64 v[2:3], v[124:125], v[120:121], v[2:3]
	s_waitcnt vmcnt(4)
	s_delay_alu instid0(VALU_DEP_1)
	v_fma_f64 v[2:3], v[126:127], v[122:123], v[2:3]
	ds_load_b128 v[120:123], v1 offset:656
	scratch_load_b128 v[124:127], off, off offset:280
	s_waitcnt lgkmcnt(0)
	v_fma_f64 v[2:3], v[128:129], v[120:121], v[2:3]
	s_waitcnt vmcnt(4)
	s_delay_alu instid0(VALU_DEP_1)
	v_fma_f64 v[2:3], v[130:131], v[122:123], v[2:3]
	scratch_load_b128 v[128:131], off, off offset:296
	ds_load_b128 v[120:123], v1 offset:672
	s_waitcnt lgkmcnt(0)
	v_fma_f64 v[2:3], v[132:133], v[120:121], v[2:3]
	s_waitcnt vmcnt(4)
	s_delay_alu instid0(VALU_DEP_1)
	v_fma_f64 v[2:3], v[134:135], v[122:123], v[2:3]
	ds_load_b128 v[120:123], v1 offset:688
	scratch_load_b128 v[132:135], off, off offset:312
	s_waitcnt lgkmcnt(0)
	v_fma_f64 v[2:3], v[136:137], v[120:121], v[2:3]
	s_waitcnt vmcnt(4)
	s_delay_alu instid0(VALU_DEP_1)
	v_fma_f64 v[2:3], v[142:143], v[122:123], v[2:3]
	ds_load_b128 v[120:123], v1 offset:704
	s_waitcnt lgkmcnt(0)
	v_fma_f64 v[2:3], v[144:145], v[120:121], v[2:3]
	scratch_load_b128 v[142:145], off, off offset:328
	s_waitcnt vmcnt(4)
	v_fma_f64 v[2:3], v[138:139], v[122:123], v[2:3]
	ds_load_b128 v[120:123], v1 offset:720
	scratch_load_b128 v[136:139], off, off offset:344
	s_waitcnt lgkmcnt(0)
	v_fma_f64 v[2:3], v[140:141], v[120:121], v[2:3]
	s_waitcnt vmcnt(4)
	s_delay_alu instid0(VALU_DEP_1)
	v_fma_f64 v[2:3], v[124:125], v[122:123], v[2:3]
	ds_load_b128 v[120:123], v1 offset:736
	s_waitcnt lgkmcnt(0)
	v_fma_f64 v[2:3], v[126:127], v[120:121], v[2:3]
	scratch_load_b128 v[124:127], off, off offset:360
	s_waitcnt vmcnt(4)
	v_fma_f64 v[2:3], v[128:129], v[122:123], v[2:3]
	ds_load_b128 v[120:123], v1 offset:752
	s_waitcnt lgkmcnt(0)
	v_fma_f64 v[2:3], v[130:131], v[120:121], v[2:3]
	scratch_load_b128 v[128:131], off, off offset:376
	s_waitcnt vmcnt(4)
	;; [unrolled: 6-line block ×3, first 2 shown]
	v_fma_f64 v[2:3], v[142:143], v[122:123], v[2:3]
	ds_load_b128 v[120:123], v1 offset:784
	scratch_load_b128 v[140:143], off, off offset:408
	s_waitcnt lgkmcnt(0)
	v_fma_f64 v[2:3], v[144:145], v[120:121], v[2:3]
	s_waitcnt vmcnt(4)
	s_delay_alu instid0(VALU_DEP_1)
	v_fma_f64 v[2:3], v[136:137], v[122:123], v[2:3]
	ds_load_b128 v[120:123], v1 offset:800
	s_waitcnt lgkmcnt(0)
	v_fma_f64 v[2:3], v[138:139], v[120:121], v[2:3]
	scratch_load_b128 v[136:139], off, off offset:424
	s_waitcnt vmcnt(4)
	v_fma_f64 v[2:3], v[124:125], v[122:123], v[2:3]
	ds_load_b128 v[120:123], v1 offset:816
	scratch_load_b64 v[124:125], off, off offset:440
	s_waitcnt lgkmcnt(0)
	v_fma_f64 v[2:3], v[126:127], v[120:121], v[2:3]
	s_waitcnt vmcnt(4)
	s_delay_alu instid0(VALU_DEP_1) | instskip(SKIP_4) | instid1(VALU_DEP_1)
	v_fma_f64 v[2:3], v[128:129], v[122:123], v[2:3]
	ds_load_b128 v[120:123], v1 offset:832
	s_waitcnt lgkmcnt(0)
	v_fma_f64 v[2:3], v[130:131], v[120:121], v[2:3]
	s_waitcnt vmcnt(3)
	v_fma_f64 v[2:3], v[132:133], v[122:123], v[2:3]
	ds_load_b128 v[120:123], v1 offset:848
	s_waitcnt lgkmcnt(0)
	v_fma_f64 v[2:3], v[134:135], v[120:121], v[2:3]
	s_waitcnt vmcnt(2)
	s_delay_alu instid0(VALU_DEP_1) | instskip(SKIP_4) | instid1(VALU_DEP_1)
	v_fma_f64 v[2:3], v[140:141], v[122:123], v[2:3]
	ds_load_b128 v[120:123], v1 offset:864
	s_waitcnt lgkmcnt(0)
	v_fma_f64 v[2:3], v[142:143], v[120:121], v[2:3]
	s_waitcnt vmcnt(1)
	v_fma_f64 v[120:121], v[136:137], v[122:123], v[2:3]
	ds_load_b128 v[1:4], v1 offset:880
	s_waitcnt lgkmcnt(0)
	v_fma_f64 v[1:2], v[138:139], v[1:2], v[120:121]
	s_waitcnt vmcnt(0)
	s_delay_alu instid0(VALU_DEP_1) | instskip(NEXT) | instid1(VALU_DEP_1)
	v_fma_f64 v[1:2], v[124:125], v[3:4], v[1:2]
	v_add_f64 v[1:2], v[118:119], -v[1:2]
	scratch_store_b64 off, v[1:2], off offset:168
	v_cmpx_lt_u32_e32 20, v0
	s_cbranch_execz .LBB119_305
; %bb.304:
	scratch_load_b64 v[1:2], off, off offset:160
	v_mov_b32_e32 v3, 0
	s_delay_alu instid0(VALU_DEP_1)
	v_mov_b32_e32 v4, v3
	scratch_store_b64 off, v[3:4], off offset:160
	s_waitcnt vmcnt(0)
	ds_store_b64 v5, v[1:2]
.LBB119_305:
	s_or_b32 exec_lo, exec_lo, s0
	s_waitcnt lgkmcnt(0)
	s_waitcnt_vscnt null, 0x0
	s_barrier
	buffer_gl0_inv
	s_clause 0x4
	scratch_load_b128 v[118:121], off, off offset:160
	scratch_load_b128 v[122:125], off, off offset:176
	scratch_load_b128 v[126:129], off, off offset:192
	scratch_load_b128 v[130:133], off, off offset:208
	scratch_load_b128 v[134:137], off, off offset:224
	v_mov_b32_e32 v1, 0
	scratch_load_b128 v[142:145], off, off offset:240
	s_mov_b32 s0, exec_lo
	ds_load_2addr_b64 v[138:141], v1 offset0:77 offset1:78
	s_waitcnt vmcnt(5) lgkmcnt(0)
	v_fma_f64 v[2:3], v[120:121], v[138:139], 0
	s_waitcnt vmcnt(4)
	s_delay_alu instid0(VALU_DEP_1)
	v_fma_f64 v[2:3], v[122:123], v[140:141], v[2:3]
	scratch_load_b128 v[138:141], off, off offset:256
	ds_load_2addr_b64 v[120:123], v1 offset0:79 offset1:80
	s_waitcnt lgkmcnt(0)
	v_fma_f64 v[2:3], v[124:125], v[120:121], v[2:3]
	s_waitcnt vmcnt(4)
	s_delay_alu instid0(VALU_DEP_1)
	v_fma_f64 v[2:3], v[126:127], v[122:123], v[2:3]
	ds_load_2addr_b64 v[120:123], v1 offset0:81 offset1:82
	scratch_load_b128 v[124:127], off, off offset:272
	s_waitcnt lgkmcnt(0)
	v_fma_f64 v[2:3], v[128:129], v[120:121], v[2:3]
	s_waitcnt vmcnt(4)
	s_delay_alu instid0(VALU_DEP_1)
	v_fma_f64 v[2:3], v[130:131], v[122:123], v[2:3]
	scratch_load_b128 v[128:131], off, off offset:288
	ds_load_2addr_b64 v[120:123], v1 offset0:83 offset1:84
	s_waitcnt lgkmcnt(0)
	v_fma_f64 v[2:3], v[132:133], v[120:121], v[2:3]
	s_waitcnt vmcnt(4)
	s_delay_alu instid0(VALU_DEP_1)
	v_fma_f64 v[2:3], v[134:135], v[122:123], v[2:3]
	ds_load_2addr_b64 v[120:123], v1 offset0:85 offset1:86
	scratch_load_b128 v[132:135], off, off offset:304
	s_waitcnt lgkmcnt(0)
	v_fma_f64 v[2:3], v[136:137], v[120:121], v[2:3]
	s_waitcnt vmcnt(4)
	s_delay_alu instid0(VALU_DEP_1)
	v_fma_f64 v[2:3], v[142:143], v[122:123], v[2:3]
	ds_load_2addr_b64 v[120:123], v1 offset0:87 offset1:88
	s_waitcnt lgkmcnt(0)
	v_fma_f64 v[2:3], v[144:145], v[120:121], v[2:3]
	scratch_load_b128 v[142:145], off, off offset:320
	s_waitcnt vmcnt(4)
	v_fma_f64 v[2:3], v[138:139], v[122:123], v[2:3]
	ds_load_2addr_b64 v[120:123], v1 offset0:89 offset1:90
	scratch_load_b128 v[136:139], off, off offset:336
	s_waitcnt lgkmcnt(0)
	v_fma_f64 v[2:3], v[140:141], v[120:121], v[2:3]
	s_waitcnt vmcnt(4)
	s_delay_alu instid0(VALU_DEP_1)
	v_fma_f64 v[2:3], v[124:125], v[122:123], v[2:3]
	ds_load_2addr_b64 v[120:123], v1 offset0:91 offset1:92
	s_waitcnt lgkmcnt(0)
	v_fma_f64 v[2:3], v[126:127], v[120:121], v[2:3]
	scratch_load_b128 v[124:127], off, off offset:352
	s_waitcnt vmcnt(4)
	v_fma_f64 v[2:3], v[128:129], v[122:123], v[2:3]
	ds_load_2addr_b64 v[120:123], v1 offset0:93 offset1:94
	s_waitcnt lgkmcnt(0)
	v_fma_f64 v[2:3], v[130:131], v[120:121], v[2:3]
	scratch_load_b128 v[128:131], off, off offset:368
	s_waitcnt vmcnt(4)
	;; [unrolled: 6-line block ×3, first 2 shown]
	v_fma_f64 v[2:3], v[142:143], v[122:123], v[2:3]
	ds_load_2addr_b64 v[120:123], v1 offset0:97 offset1:98
	scratch_load_b128 v[140:143], off, off offset:400
	s_waitcnt lgkmcnt(0)
	v_fma_f64 v[2:3], v[144:145], v[120:121], v[2:3]
	s_waitcnt vmcnt(4)
	s_delay_alu instid0(VALU_DEP_1)
	v_fma_f64 v[2:3], v[136:137], v[122:123], v[2:3]
	ds_load_2addr_b64 v[120:123], v1 offset0:99 offset1:100
	s_waitcnt lgkmcnt(0)
	v_fma_f64 v[2:3], v[138:139], v[120:121], v[2:3]
	scratch_load_b128 v[136:139], off, off offset:416
	s_waitcnt vmcnt(4)
	v_fma_f64 v[2:3], v[124:125], v[122:123], v[2:3]
	ds_load_2addr_b64 v[120:123], v1 offset0:101 offset1:102
	s_waitcnt lgkmcnt(0)
	v_fma_f64 v[2:3], v[126:127], v[120:121], v[2:3]
	scratch_load_b128 v[124:127], off, off offset:432
	s_waitcnt vmcnt(4)
	v_fma_f64 v[2:3], v[128:129], v[122:123], v[2:3]
	ds_load_2addr_b64 v[120:123], v1 offset0:103 offset1:104
	s_waitcnt lgkmcnt(0)
	v_fma_f64 v[2:3], v[130:131], v[120:121], v[2:3]
	s_waitcnt vmcnt(3)
	s_delay_alu instid0(VALU_DEP_1) | instskip(SKIP_4) | instid1(VALU_DEP_1)
	v_fma_f64 v[2:3], v[132:133], v[122:123], v[2:3]
	ds_load_2addr_b64 v[120:123], v1 offset0:105 offset1:106
	s_waitcnt lgkmcnt(0)
	v_fma_f64 v[2:3], v[134:135], v[120:121], v[2:3]
	s_waitcnt vmcnt(2)
	v_fma_f64 v[2:3], v[140:141], v[122:123], v[2:3]
	ds_load_2addr_b64 v[120:123], v1 offset0:107 offset1:108
	s_waitcnt lgkmcnt(0)
	v_fma_f64 v[2:3], v[142:143], v[120:121], v[2:3]
	s_waitcnt vmcnt(1)
	s_delay_alu instid0(VALU_DEP_1)
	v_fma_f64 v[2:3], v[136:137], v[122:123], v[2:3]
	ds_load_2addr_b64 v[120:123], v1 offset0:109 offset1:110
	s_waitcnt lgkmcnt(0)
	v_fma_f64 v[2:3], v[138:139], v[120:121], v[2:3]
	ds_load_b64 v[120:121], v1 offset:888
	s_waitcnt vmcnt(0)
	v_fma_f64 v[2:3], v[124:125], v[122:123], v[2:3]
	s_waitcnt lgkmcnt(0)
	s_delay_alu instid0(VALU_DEP_1) | instskip(NEXT) | instid1(VALU_DEP_1)
	v_fma_f64 v[2:3], v[126:127], v[120:121], v[2:3]
	v_add_f64 v[2:3], v[118:119], -v[2:3]
	scratch_store_b64 off, v[2:3], off offset:160
	v_cmpx_lt_u32_e32 19, v0
	s_cbranch_execz .LBB119_307
; %bb.306:
	scratch_load_b64 v[3:4], off, off offset:152
	v_mov_b32_e32 v2, v1
	scratch_store_b64 off, v[1:2], off offset:152
	s_waitcnt vmcnt(0)
	ds_store_b64 v5, v[3:4]
.LBB119_307:
	s_or_b32 exec_lo, exec_lo, s0
	s_waitcnt lgkmcnt(0)
	s_waitcnt_vscnt null, 0x0
	s_barrier
	buffer_gl0_inv
	s_clause 0x4
	scratch_load_b128 v[118:121], off, off offset:152
	scratch_load_b128 v[122:125], off, off offset:168
	;; [unrolled: 1-line block ×5, first 2 shown]
	ds_load_b128 v[138:141], v1 offset:608
	scratch_load_b128 v[142:145], off, off offset:232
	s_mov_b32 s0, exec_lo
	s_waitcnt vmcnt(5) lgkmcnt(0)
	v_fma_f64 v[2:3], v[120:121], v[138:139], 0
	s_waitcnt vmcnt(4)
	s_delay_alu instid0(VALU_DEP_1)
	v_fma_f64 v[2:3], v[122:123], v[140:141], v[2:3]
	scratch_load_b128 v[138:141], off, off offset:248
	ds_load_b128 v[120:123], v1 offset:624
	s_waitcnt lgkmcnt(0)
	v_fma_f64 v[2:3], v[124:125], v[120:121], v[2:3]
	s_waitcnt vmcnt(4)
	s_delay_alu instid0(VALU_DEP_1)
	v_fma_f64 v[2:3], v[126:127], v[122:123], v[2:3]
	ds_load_b128 v[120:123], v1 offset:640
	scratch_load_b128 v[124:127], off, off offset:264
	s_waitcnt lgkmcnt(0)
	v_fma_f64 v[2:3], v[128:129], v[120:121], v[2:3]
	s_waitcnt vmcnt(4)
	s_delay_alu instid0(VALU_DEP_1)
	v_fma_f64 v[2:3], v[130:131], v[122:123], v[2:3]
	scratch_load_b128 v[128:131], off, off offset:280
	ds_load_b128 v[120:123], v1 offset:656
	s_waitcnt lgkmcnt(0)
	v_fma_f64 v[2:3], v[132:133], v[120:121], v[2:3]
	s_waitcnt vmcnt(4)
	s_delay_alu instid0(VALU_DEP_1)
	v_fma_f64 v[2:3], v[134:135], v[122:123], v[2:3]
	ds_load_b128 v[120:123], v1 offset:672
	scratch_load_b128 v[132:135], off, off offset:296
	s_waitcnt lgkmcnt(0)
	v_fma_f64 v[2:3], v[136:137], v[120:121], v[2:3]
	s_waitcnt vmcnt(4)
	s_delay_alu instid0(VALU_DEP_1)
	v_fma_f64 v[2:3], v[142:143], v[122:123], v[2:3]
	ds_load_b128 v[120:123], v1 offset:688
	s_waitcnt lgkmcnt(0)
	v_fma_f64 v[2:3], v[144:145], v[120:121], v[2:3]
	scratch_load_b128 v[142:145], off, off offset:312
	s_waitcnt vmcnt(4)
	v_fma_f64 v[2:3], v[138:139], v[122:123], v[2:3]
	ds_load_b128 v[120:123], v1 offset:704
	scratch_load_b128 v[136:139], off, off offset:328
	s_waitcnt lgkmcnt(0)
	v_fma_f64 v[2:3], v[140:141], v[120:121], v[2:3]
	s_waitcnt vmcnt(4)
	s_delay_alu instid0(VALU_DEP_1)
	v_fma_f64 v[2:3], v[124:125], v[122:123], v[2:3]
	ds_load_b128 v[120:123], v1 offset:720
	s_waitcnt lgkmcnt(0)
	v_fma_f64 v[2:3], v[126:127], v[120:121], v[2:3]
	scratch_load_b128 v[124:127], off, off offset:344
	s_waitcnt vmcnt(4)
	v_fma_f64 v[2:3], v[128:129], v[122:123], v[2:3]
	ds_load_b128 v[120:123], v1 offset:736
	s_waitcnt lgkmcnt(0)
	v_fma_f64 v[2:3], v[130:131], v[120:121], v[2:3]
	scratch_load_b128 v[128:131], off, off offset:360
	s_waitcnt vmcnt(4)
	v_fma_f64 v[2:3], v[132:133], v[122:123], v[2:3]
	ds_load_b128 v[120:123], v1 offset:752
	s_waitcnt lgkmcnt(0)
	v_fma_f64 v[2:3], v[134:135], v[120:121], v[2:3]
	scratch_load_b128 v[132:135], off, off offset:376
	s_waitcnt vmcnt(4)
	v_fma_f64 v[2:3], v[142:143], v[122:123], v[2:3]
	ds_load_b128 v[120:123], v1 offset:768
	scratch_load_b128 v[140:143], off, off offset:392
	s_waitcnt lgkmcnt(0)
	v_fma_f64 v[2:3], v[144:145], v[120:121], v[2:3]
	s_waitcnt vmcnt(4)
	s_delay_alu instid0(VALU_DEP_1)
	v_fma_f64 v[2:3], v[136:137], v[122:123], v[2:3]
	ds_load_b128 v[120:123], v1 offset:784
	s_waitcnt lgkmcnt(0)
	v_fma_f64 v[2:3], v[138:139], v[120:121], v[2:3]
	scratch_load_b128 v[136:139], off, off offset:408
	s_waitcnt vmcnt(4)
	v_fma_f64 v[2:3], v[124:125], v[122:123], v[2:3]
	ds_load_b128 v[120:123], v1 offset:800
	s_waitcnt lgkmcnt(0)
	v_fma_f64 v[2:3], v[126:127], v[120:121], v[2:3]
	scratch_load_b128 v[124:127], off, off offset:424
	s_waitcnt vmcnt(4)
	v_fma_f64 v[2:3], v[128:129], v[122:123], v[2:3]
	scratch_load_b64 v[128:129], off, off offset:440
	ds_load_b128 v[120:123], v1 offset:816
	s_waitcnt lgkmcnt(0)
	v_fma_f64 v[2:3], v[130:131], v[120:121], v[2:3]
	s_waitcnt vmcnt(4)
	s_delay_alu instid0(VALU_DEP_1) | instskip(SKIP_4) | instid1(VALU_DEP_1)
	v_fma_f64 v[2:3], v[132:133], v[122:123], v[2:3]
	ds_load_b128 v[120:123], v1 offset:832
	s_waitcnt lgkmcnt(0)
	v_fma_f64 v[2:3], v[134:135], v[120:121], v[2:3]
	s_waitcnt vmcnt(3)
	v_fma_f64 v[2:3], v[140:141], v[122:123], v[2:3]
	ds_load_b128 v[120:123], v1 offset:848
	s_waitcnt lgkmcnt(0)
	v_fma_f64 v[2:3], v[142:143], v[120:121], v[2:3]
	s_waitcnt vmcnt(2)
	s_delay_alu instid0(VALU_DEP_1) | instskip(SKIP_4) | instid1(VALU_DEP_1)
	v_fma_f64 v[2:3], v[136:137], v[122:123], v[2:3]
	ds_load_b128 v[120:123], v1 offset:864
	s_waitcnt lgkmcnt(0)
	v_fma_f64 v[2:3], v[138:139], v[120:121], v[2:3]
	s_waitcnt vmcnt(1)
	v_fma_f64 v[120:121], v[124:125], v[122:123], v[2:3]
	ds_load_b128 v[1:4], v1 offset:880
	s_waitcnt lgkmcnt(0)
	v_fma_f64 v[1:2], v[126:127], v[1:2], v[120:121]
	s_waitcnt vmcnt(0)
	s_delay_alu instid0(VALU_DEP_1) | instskip(NEXT) | instid1(VALU_DEP_1)
	v_fma_f64 v[1:2], v[128:129], v[3:4], v[1:2]
	v_add_f64 v[1:2], v[118:119], -v[1:2]
	scratch_store_b64 off, v[1:2], off offset:152
	v_cmpx_lt_u32_e32 18, v0
	s_cbranch_execz .LBB119_309
; %bb.308:
	scratch_load_b64 v[1:2], off, off offset:144
	v_mov_b32_e32 v3, 0
	s_delay_alu instid0(VALU_DEP_1)
	v_mov_b32_e32 v4, v3
	scratch_store_b64 off, v[3:4], off offset:144
	s_waitcnt vmcnt(0)
	ds_store_b64 v5, v[1:2]
.LBB119_309:
	s_or_b32 exec_lo, exec_lo, s0
	s_waitcnt lgkmcnt(0)
	s_waitcnt_vscnt null, 0x0
	s_barrier
	buffer_gl0_inv
	s_clause 0x4
	scratch_load_b128 v[118:121], off, off offset:144
	scratch_load_b128 v[122:125], off, off offset:160
	;; [unrolled: 1-line block ×5, first 2 shown]
	v_mov_b32_e32 v1, 0
	scratch_load_b128 v[142:145], off, off offset:224
	s_mov_b32 s0, exec_lo
	ds_load_2addr_b64 v[138:141], v1 offset0:75 offset1:76
	s_waitcnt vmcnt(5) lgkmcnt(0)
	v_fma_f64 v[2:3], v[120:121], v[138:139], 0
	s_waitcnt vmcnt(4)
	s_delay_alu instid0(VALU_DEP_1)
	v_fma_f64 v[2:3], v[122:123], v[140:141], v[2:3]
	scratch_load_b128 v[138:141], off, off offset:240
	ds_load_2addr_b64 v[120:123], v1 offset0:77 offset1:78
	s_waitcnt lgkmcnt(0)
	v_fma_f64 v[2:3], v[124:125], v[120:121], v[2:3]
	s_waitcnt vmcnt(4)
	s_delay_alu instid0(VALU_DEP_1)
	v_fma_f64 v[2:3], v[126:127], v[122:123], v[2:3]
	ds_load_2addr_b64 v[120:123], v1 offset0:79 offset1:80
	scratch_load_b128 v[124:127], off, off offset:256
	s_waitcnt lgkmcnt(0)
	v_fma_f64 v[2:3], v[128:129], v[120:121], v[2:3]
	s_waitcnt vmcnt(4)
	s_delay_alu instid0(VALU_DEP_1)
	v_fma_f64 v[2:3], v[130:131], v[122:123], v[2:3]
	scratch_load_b128 v[128:131], off, off offset:272
	ds_load_2addr_b64 v[120:123], v1 offset0:81 offset1:82
	s_waitcnt lgkmcnt(0)
	v_fma_f64 v[2:3], v[132:133], v[120:121], v[2:3]
	s_waitcnt vmcnt(4)
	s_delay_alu instid0(VALU_DEP_1)
	v_fma_f64 v[2:3], v[134:135], v[122:123], v[2:3]
	ds_load_2addr_b64 v[120:123], v1 offset0:83 offset1:84
	scratch_load_b128 v[132:135], off, off offset:288
	s_waitcnt lgkmcnt(0)
	v_fma_f64 v[2:3], v[136:137], v[120:121], v[2:3]
	s_waitcnt vmcnt(4)
	s_delay_alu instid0(VALU_DEP_1)
	v_fma_f64 v[2:3], v[142:143], v[122:123], v[2:3]
	ds_load_2addr_b64 v[120:123], v1 offset0:85 offset1:86
	s_waitcnt lgkmcnt(0)
	v_fma_f64 v[2:3], v[144:145], v[120:121], v[2:3]
	scratch_load_b128 v[142:145], off, off offset:304
	s_waitcnt vmcnt(4)
	v_fma_f64 v[2:3], v[138:139], v[122:123], v[2:3]
	ds_load_2addr_b64 v[120:123], v1 offset0:87 offset1:88
	scratch_load_b128 v[136:139], off, off offset:320
	s_waitcnt lgkmcnt(0)
	v_fma_f64 v[2:3], v[140:141], v[120:121], v[2:3]
	s_waitcnt vmcnt(4)
	s_delay_alu instid0(VALU_DEP_1)
	v_fma_f64 v[2:3], v[124:125], v[122:123], v[2:3]
	ds_load_2addr_b64 v[120:123], v1 offset0:89 offset1:90
	s_waitcnt lgkmcnt(0)
	v_fma_f64 v[2:3], v[126:127], v[120:121], v[2:3]
	scratch_load_b128 v[124:127], off, off offset:336
	s_waitcnt vmcnt(4)
	v_fma_f64 v[2:3], v[128:129], v[122:123], v[2:3]
	ds_load_2addr_b64 v[120:123], v1 offset0:91 offset1:92
	s_waitcnt lgkmcnt(0)
	v_fma_f64 v[2:3], v[130:131], v[120:121], v[2:3]
	scratch_load_b128 v[128:131], off, off offset:352
	s_waitcnt vmcnt(4)
	;; [unrolled: 6-line block ×3, first 2 shown]
	v_fma_f64 v[2:3], v[142:143], v[122:123], v[2:3]
	ds_load_2addr_b64 v[120:123], v1 offset0:95 offset1:96
	scratch_load_b128 v[140:143], off, off offset:384
	s_waitcnt lgkmcnt(0)
	v_fma_f64 v[2:3], v[144:145], v[120:121], v[2:3]
	s_waitcnt vmcnt(4)
	s_delay_alu instid0(VALU_DEP_1)
	v_fma_f64 v[2:3], v[136:137], v[122:123], v[2:3]
	ds_load_2addr_b64 v[120:123], v1 offset0:97 offset1:98
	s_waitcnt lgkmcnt(0)
	v_fma_f64 v[2:3], v[138:139], v[120:121], v[2:3]
	scratch_load_b128 v[136:139], off, off offset:400
	s_waitcnt vmcnt(4)
	v_fma_f64 v[2:3], v[124:125], v[122:123], v[2:3]
	ds_load_2addr_b64 v[120:123], v1 offset0:99 offset1:100
	s_waitcnt lgkmcnt(0)
	v_fma_f64 v[2:3], v[126:127], v[120:121], v[2:3]
	scratch_load_b128 v[124:127], off, off offset:416
	s_waitcnt vmcnt(4)
	;; [unrolled: 6-line block ×3, first 2 shown]
	v_fma_f64 v[2:3], v[132:133], v[122:123], v[2:3]
	ds_load_2addr_b64 v[120:123], v1 offset0:103 offset1:104
	s_waitcnt lgkmcnt(0)
	v_fma_f64 v[2:3], v[134:135], v[120:121], v[2:3]
	s_waitcnt vmcnt(3)
	s_delay_alu instid0(VALU_DEP_1) | instskip(SKIP_4) | instid1(VALU_DEP_1)
	v_fma_f64 v[2:3], v[140:141], v[122:123], v[2:3]
	ds_load_2addr_b64 v[120:123], v1 offset0:105 offset1:106
	s_waitcnt lgkmcnt(0)
	v_fma_f64 v[2:3], v[142:143], v[120:121], v[2:3]
	s_waitcnt vmcnt(2)
	v_fma_f64 v[2:3], v[136:137], v[122:123], v[2:3]
	ds_load_2addr_b64 v[120:123], v1 offset0:107 offset1:108
	s_waitcnt lgkmcnt(0)
	v_fma_f64 v[2:3], v[138:139], v[120:121], v[2:3]
	s_waitcnt vmcnt(1)
	s_delay_alu instid0(VALU_DEP_1)
	v_fma_f64 v[2:3], v[124:125], v[122:123], v[2:3]
	ds_load_2addr_b64 v[120:123], v1 offset0:109 offset1:110
	s_waitcnt lgkmcnt(0)
	v_fma_f64 v[2:3], v[126:127], v[120:121], v[2:3]
	ds_load_b64 v[120:121], v1 offset:888
	s_waitcnt vmcnt(0)
	v_fma_f64 v[2:3], v[128:129], v[122:123], v[2:3]
	s_waitcnt lgkmcnt(0)
	s_delay_alu instid0(VALU_DEP_1) | instskip(NEXT) | instid1(VALU_DEP_1)
	v_fma_f64 v[2:3], v[130:131], v[120:121], v[2:3]
	v_add_f64 v[2:3], v[118:119], -v[2:3]
	scratch_store_b64 off, v[2:3], off offset:144
	v_cmpx_lt_u32_e32 17, v0
	s_cbranch_execz .LBB119_311
; %bb.310:
	scratch_load_b64 v[3:4], off, off offset:136
	v_mov_b32_e32 v2, v1
	scratch_store_b64 off, v[1:2], off offset:136
	s_waitcnt vmcnt(0)
	ds_store_b64 v5, v[3:4]
.LBB119_311:
	s_or_b32 exec_lo, exec_lo, s0
	s_waitcnt lgkmcnt(0)
	s_waitcnt_vscnt null, 0x0
	s_barrier
	buffer_gl0_inv
	s_clause 0x4
	scratch_load_b128 v[118:121], off, off offset:136
	scratch_load_b128 v[122:125], off, off offset:152
	;; [unrolled: 1-line block ×5, first 2 shown]
	ds_load_b128 v[138:141], v1 offset:592
	scratch_load_b128 v[142:145], off, off offset:216
	s_mov_b32 s0, exec_lo
	s_waitcnt vmcnt(5) lgkmcnt(0)
	v_fma_f64 v[2:3], v[120:121], v[138:139], 0
	s_waitcnt vmcnt(4)
	s_delay_alu instid0(VALU_DEP_1)
	v_fma_f64 v[2:3], v[122:123], v[140:141], v[2:3]
	scratch_load_b128 v[138:141], off, off offset:232
	ds_load_b128 v[120:123], v1 offset:608
	s_waitcnt lgkmcnt(0)
	v_fma_f64 v[2:3], v[124:125], v[120:121], v[2:3]
	s_waitcnt vmcnt(4)
	s_delay_alu instid0(VALU_DEP_1)
	v_fma_f64 v[2:3], v[126:127], v[122:123], v[2:3]
	ds_load_b128 v[120:123], v1 offset:624
	scratch_load_b128 v[124:127], off, off offset:248
	s_waitcnt lgkmcnt(0)
	v_fma_f64 v[2:3], v[128:129], v[120:121], v[2:3]
	s_waitcnt vmcnt(4)
	s_delay_alu instid0(VALU_DEP_1)
	v_fma_f64 v[2:3], v[130:131], v[122:123], v[2:3]
	scratch_load_b128 v[128:131], off, off offset:264
	ds_load_b128 v[120:123], v1 offset:640
	s_waitcnt lgkmcnt(0)
	v_fma_f64 v[2:3], v[132:133], v[120:121], v[2:3]
	s_waitcnt vmcnt(4)
	s_delay_alu instid0(VALU_DEP_1)
	v_fma_f64 v[2:3], v[134:135], v[122:123], v[2:3]
	ds_load_b128 v[120:123], v1 offset:656
	scratch_load_b128 v[132:135], off, off offset:280
	s_waitcnt lgkmcnt(0)
	v_fma_f64 v[2:3], v[136:137], v[120:121], v[2:3]
	s_waitcnt vmcnt(4)
	s_delay_alu instid0(VALU_DEP_1)
	v_fma_f64 v[2:3], v[142:143], v[122:123], v[2:3]
	ds_load_b128 v[120:123], v1 offset:672
	s_waitcnt lgkmcnt(0)
	v_fma_f64 v[2:3], v[144:145], v[120:121], v[2:3]
	scratch_load_b128 v[142:145], off, off offset:296
	s_waitcnt vmcnt(4)
	v_fma_f64 v[2:3], v[138:139], v[122:123], v[2:3]
	ds_load_b128 v[120:123], v1 offset:688
	scratch_load_b128 v[136:139], off, off offset:312
	s_waitcnt lgkmcnt(0)
	v_fma_f64 v[2:3], v[140:141], v[120:121], v[2:3]
	s_waitcnt vmcnt(4)
	s_delay_alu instid0(VALU_DEP_1)
	v_fma_f64 v[2:3], v[124:125], v[122:123], v[2:3]
	ds_load_b128 v[120:123], v1 offset:704
	s_waitcnt lgkmcnt(0)
	v_fma_f64 v[2:3], v[126:127], v[120:121], v[2:3]
	scratch_load_b128 v[124:127], off, off offset:328
	s_waitcnt vmcnt(4)
	v_fma_f64 v[2:3], v[128:129], v[122:123], v[2:3]
	ds_load_b128 v[120:123], v1 offset:720
	s_waitcnt lgkmcnt(0)
	v_fma_f64 v[2:3], v[130:131], v[120:121], v[2:3]
	scratch_load_b128 v[128:131], off, off offset:344
	s_waitcnt vmcnt(4)
	;; [unrolled: 6-line block ×3, first 2 shown]
	v_fma_f64 v[2:3], v[142:143], v[122:123], v[2:3]
	ds_load_b128 v[120:123], v1 offset:752
	scratch_load_b128 v[140:143], off, off offset:376
	s_waitcnt lgkmcnt(0)
	v_fma_f64 v[2:3], v[144:145], v[120:121], v[2:3]
	s_waitcnt vmcnt(4)
	s_delay_alu instid0(VALU_DEP_1)
	v_fma_f64 v[2:3], v[136:137], v[122:123], v[2:3]
	ds_load_b128 v[120:123], v1 offset:768
	s_waitcnt lgkmcnt(0)
	v_fma_f64 v[2:3], v[138:139], v[120:121], v[2:3]
	scratch_load_b128 v[136:139], off, off offset:392
	s_waitcnt vmcnt(4)
	v_fma_f64 v[2:3], v[124:125], v[122:123], v[2:3]
	ds_load_b128 v[120:123], v1 offset:784
	s_waitcnt lgkmcnt(0)
	v_fma_f64 v[2:3], v[126:127], v[120:121], v[2:3]
	scratch_load_b128 v[124:127], off, off offset:408
	s_waitcnt vmcnt(4)
	;; [unrolled: 6-line block ×3, first 2 shown]
	v_fma_f64 v[2:3], v[132:133], v[122:123], v[2:3]
	ds_load_b128 v[120:123], v1 offset:816
	scratch_load_b64 v[132:133], off, off offset:440
	s_waitcnt lgkmcnt(0)
	v_fma_f64 v[2:3], v[134:135], v[120:121], v[2:3]
	s_waitcnt vmcnt(4)
	s_delay_alu instid0(VALU_DEP_1) | instskip(SKIP_4) | instid1(VALU_DEP_1)
	v_fma_f64 v[2:3], v[140:141], v[122:123], v[2:3]
	ds_load_b128 v[120:123], v1 offset:832
	s_waitcnt lgkmcnt(0)
	v_fma_f64 v[2:3], v[142:143], v[120:121], v[2:3]
	s_waitcnt vmcnt(3)
	v_fma_f64 v[2:3], v[136:137], v[122:123], v[2:3]
	ds_load_b128 v[120:123], v1 offset:848
	s_waitcnt lgkmcnt(0)
	v_fma_f64 v[2:3], v[138:139], v[120:121], v[2:3]
	s_waitcnt vmcnt(2)
	s_delay_alu instid0(VALU_DEP_1) | instskip(SKIP_4) | instid1(VALU_DEP_1)
	v_fma_f64 v[2:3], v[124:125], v[122:123], v[2:3]
	ds_load_b128 v[120:123], v1 offset:864
	s_waitcnt lgkmcnt(0)
	v_fma_f64 v[2:3], v[126:127], v[120:121], v[2:3]
	s_waitcnt vmcnt(1)
	v_fma_f64 v[120:121], v[128:129], v[122:123], v[2:3]
	ds_load_b128 v[1:4], v1 offset:880
	s_waitcnt lgkmcnt(0)
	v_fma_f64 v[1:2], v[130:131], v[1:2], v[120:121]
	s_waitcnt vmcnt(0)
	s_delay_alu instid0(VALU_DEP_1) | instskip(NEXT) | instid1(VALU_DEP_1)
	v_fma_f64 v[1:2], v[132:133], v[3:4], v[1:2]
	v_add_f64 v[1:2], v[118:119], -v[1:2]
	scratch_store_b64 off, v[1:2], off offset:136
	v_cmpx_lt_u32_e32 16, v0
	s_cbranch_execz .LBB119_313
; %bb.312:
	scratch_load_b64 v[1:2], off, off offset:128
	v_mov_b32_e32 v3, 0
	s_delay_alu instid0(VALU_DEP_1)
	v_mov_b32_e32 v4, v3
	scratch_store_b64 off, v[3:4], off offset:128
	s_waitcnt vmcnt(0)
	ds_store_b64 v5, v[1:2]
.LBB119_313:
	s_or_b32 exec_lo, exec_lo, s0
	s_waitcnt lgkmcnt(0)
	s_waitcnt_vscnt null, 0x0
	s_barrier
	buffer_gl0_inv
	s_clause 0x4
	scratch_load_b128 v[118:121], off, off offset:128
	scratch_load_b128 v[122:125], off, off offset:144
	;; [unrolled: 1-line block ×5, first 2 shown]
	v_mov_b32_e32 v1, 0
	scratch_load_b128 v[142:145], off, off offset:208
	s_mov_b32 s0, exec_lo
	ds_load_2addr_b64 v[138:141], v1 offset0:73 offset1:74
	s_waitcnt vmcnt(5) lgkmcnt(0)
	v_fma_f64 v[2:3], v[120:121], v[138:139], 0
	s_waitcnt vmcnt(4)
	s_delay_alu instid0(VALU_DEP_1)
	v_fma_f64 v[2:3], v[122:123], v[140:141], v[2:3]
	scratch_load_b128 v[138:141], off, off offset:224
	ds_load_2addr_b64 v[120:123], v1 offset0:75 offset1:76
	s_waitcnt lgkmcnt(0)
	v_fma_f64 v[2:3], v[124:125], v[120:121], v[2:3]
	s_waitcnt vmcnt(4)
	s_delay_alu instid0(VALU_DEP_1)
	v_fma_f64 v[2:3], v[126:127], v[122:123], v[2:3]
	ds_load_2addr_b64 v[120:123], v1 offset0:77 offset1:78
	scratch_load_b128 v[124:127], off, off offset:240
	s_waitcnt lgkmcnt(0)
	v_fma_f64 v[2:3], v[128:129], v[120:121], v[2:3]
	s_waitcnt vmcnt(4)
	s_delay_alu instid0(VALU_DEP_1)
	v_fma_f64 v[2:3], v[130:131], v[122:123], v[2:3]
	scratch_load_b128 v[128:131], off, off offset:256
	ds_load_2addr_b64 v[120:123], v1 offset0:79 offset1:80
	s_waitcnt lgkmcnt(0)
	v_fma_f64 v[2:3], v[132:133], v[120:121], v[2:3]
	s_waitcnt vmcnt(4)
	s_delay_alu instid0(VALU_DEP_1)
	v_fma_f64 v[2:3], v[134:135], v[122:123], v[2:3]
	ds_load_2addr_b64 v[120:123], v1 offset0:81 offset1:82
	scratch_load_b128 v[132:135], off, off offset:272
	s_waitcnt lgkmcnt(0)
	v_fma_f64 v[2:3], v[136:137], v[120:121], v[2:3]
	s_waitcnt vmcnt(4)
	s_delay_alu instid0(VALU_DEP_1)
	v_fma_f64 v[2:3], v[142:143], v[122:123], v[2:3]
	ds_load_2addr_b64 v[120:123], v1 offset0:83 offset1:84
	s_waitcnt lgkmcnt(0)
	v_fma_f64 v[2:3], v[144:145], v[120:121], v[2:3]
	scratch_load_b128 v[142:145], off, off offset:288
	s_waitcnt vmcnt(4)
	v_fma_f64 v[2:3], v[138:139], v[122:123], v[2:3]
	ds_load_2addr_b64 v[120:123], v1 offset0:85 offset1:86
	scratch_load_b128 v[136:139], off, off offset:304
	s_waitcnt lgkmcnt(0)
	v_fma_f64 v[2:3], v[140:141], v[120:121], v[2:3]
	s_waitcnt vmcnt(4)
	s_delay_alu instid0(VALU_DEP_1)
	v_fma_f64 v[2:3], v[124:125], v[122:123], v[2:3]
	ds_load_2addr_b64 v[120:123], v1 offset0:87 offset1:88
	s_waitcnt lgkmcnt(0)
	v_fma_f64 v[2:3], v[126:127], v[120:121], v[2:3]
	scratch_load_b128 v[124:127], off, off offset:320
	s_waitcnt vmcnt(4)
	v_fma_f64 v[2:3], v[128:129], v[122:123], v[2:3]
	ds_load_2addr_b64 v[120:123], v1 offset0:89 offset1:90
	s_waitcnt lgkmcnt(0)
	v_fma_f64 v[2:3], v[130:131], v[120:121], v[2:3]
	scratch_load_b128 v[128:131], off, off offset:336
	s_waitcnt vmcnt(4)
	;; [unrolled: 6-line block ×3, first 2 shown]
	v_fma_f64 v[2:3], v[142:143], v[122:123], v[2:3]
	ds_load_2addr_b64 v[120:123], v1 offset0:93 offset1:94
	scratch_load_b128 v[140:143], off, off offset:368
	s_waitcnt lgkmcnt(0)
	v_fma_f64 v[2:3], v[144:145], v[120:121], v[2:3]
	s_waitcnt vmcnt(4)
	s_delay_alu instid0(VALU_DEP_1)
	v_fma_f64 v[2:3], v[136:137], v[122:123], v[2:3]
	ds_load_2addr_b64 v[120:123], v1 offset0:95 offset1:96
	s_waitcnt lgkmcnt(0)
	v_fma_f64 v[2:3], v[138:139], v[120:121], v[2:3]
	scratch_load_b128 v[136:139], off, off offset:384
	s_waitcnt vmcnt(4)
	v_fma_f64 v[2:3], v[124:125], v[122:123], v[2:3]
	ds_load_2addr_b64 v[120:123], v1 offset0:97 offset1:98
	s_waitcnt lgkmcnt(0)
	v_fma_f64 v[2:3], v[126:127], v[120:121], v[2:3]
	scratch_load_b128 v[124:127], off, off offset:400
	s_waitcnt vmcnt(4)
	;; [unrolled: 6-line block ×4, first 2 shown]
	v_fma_f64 v[2:3], v[140:141], v[122:123], v[2:3]
	ds_load_2addr_b64 v[120:123], v1 offset0:103 offset1:104
	s_waitcnt lgkmcnt(0)
	v_fma_f64 v[2:3], v[142:143], v[120:121], v[2:3]
	s_waitcnt vmcnt(3)
	s_delay_alu instid0(VALU_DEP_1) | instskip(SKIP_4) | instid1(VALU_DEP_1)
	v_fma_f64 v[2:3], v[136:137], v[122:123], v[2:3]
	ds_load_2addr_b64 v[120:123], v1 offset0:105 offset1:106
	s_waitcnt lgkmcnt(0)
	v_fma_f64 v[2:3], v[138:139], v[120:121], v[2:3]
	s_waitcnt vmcnt(2)
	v_fma_f64 v[2:3], v[124:125], v[122:123], v[2:3]
	ds_load_2addr_b64 v[120:123], v1 offset0:107 offset1:108
	s_waitcnt lgkmcnt(0)
	v_fma_f64 v[2:3], v[126:127], v[120:121], v[2:3]
	s_waitcnt vmcnt(1)
	s_delay_alu instid0(VALU_DEP_1)
	v_fma_f64 v[2:3], v[128:129], v[122:123], v[2:3]
	ds_load_2addr_b64 v[120:123], v1 offset0:109 offset1:110
	s_waitcnt lgkmcnt(0)
	v_fma_f64 v[2:3], v[130:131], v[120:121], v[2:3]
	ds_load_b64 v[120:121], v1 offset:888
	s_waitcnt vmcnt(0)
	v_fma_f64 v[2:3], v[132:133], v[122:123], v[2:3]
	s_waitcnt lgkmcnt(0)
	s_delay_alu instid0(VALU_DEP_1) | instskip(NEXT) | instid1(VALU_DEP_1)
	v_fma_f64 v[2:3], v[134:135], v[120:121], v[2:3]
	v_add_f64 v[2:3], v[118:119], -v[2:3]
	scratch_store_b64 off, v[2:3], off offset:128
	v_cmpx_lt_u32_e32 15, v0
	s_cbranch_execz .LBB119_315
; %bb.314:
	scratch_load_b64 v[3:4], off, off offset:120
	v_mov_b32_e32 v2, v1
	scratch_store_b64 off, v[1:2], off offset:120
	s_waitcnt vmcnt(0)
	ds_store_b64 v5, v[3:4]
.LBB119_315:
	s_or_b32 exec_lo, exec_lo, s0
	s_waitcnt lgkmcnt(0)
	s_waitcnt_vscnt null, 0x0
	s_barrier
	buffer_gl0_inv
	s_clause 0x4
	scratch_load_b128 v[118:121], off, off offset:120
	scratch_load_b128 v[122:125], off, off offset:136
	;; [unrolled: 1-line block ×5, first 2 shown]
	ds_load_b128 v[138:141], v1 offset:576
	scratch_load_b128 v[142:145], off, off offset:200
	s_mov_b32 s0, exec_lo
	s_waitcnt vmcnt(5) lgkmcnt(0)
	v_fma_f64 v[2:3], v[120:121], v[138:139], 0
	s_waitcnt vmcnt(4)
	s_delay_alu instid0(VALU_DEP_1)
	v_fma_f64 v[2:3], v[122:123], v[140:141], v[2:3]
	scratch_load_b128 v[138:141], off, off offset:216
	ds_load_b128 v[120:123], v1 offset:592
	s_waitcnt lgkmcnt(0)
	v_fma_f64 v[2:3], v[124:125], v[120:121], v[2:3]
	s_waitcnt vmcnt(4)
	s_delay_alu instid0(VALU_DEP_1)
	v_fma_f64 v[2:3], v[126:127], v[122:123], v[2:3]
	ds_load_b128 v[120:123], v1 offset:608
	scratch_load_b128 v[124:127], off, off offset:232
	s_waitcnt lgkmcnt(0)
	v_fma_f64 v[2:3], v[128:129], v[120:121], v[2:3]
	s_waitcnt vmcnt(4)
	s_delay_alu instid0(VALU_DEP_1)
	v_fma_f64 v[2:3], v[130:131], v[122:123], v[2:3]
	scratch_load_b128 v[128:131], off, off offset:248
	ds_load_b128 v[120:123], v1 offset:624
	s_waitcnt lgkmcnt(0)
	v_fma_f64 v[2:3], v[132:133], v[120:121], v[2:3]
	s_waitcnt vmcnt(4)
	s_delay_alu instid0(VALU_DEP_1)
	v_fma_f64 v[2:3], v[134:135], v[122:123], v[2:3]
	ds_load_b128 v[120:123], v1 offset:640
	scratch_load_b128 v[132:135], off, off offset:264
	s_waitcnt lgkmcnt(0)
	v_fma_f64 v[2:3], v[136:137], v[120:121], v[2:3]
	s_waitcnt vmcnt(4)
	s_delay_alu instid0(VALU_DEP_1)
	v_fma_f64 v[2:3], v[142:143], v[122:123], v[2:3]
	ds_load_b128 v[120:123], v1 offset:656
	s_waitcnt lgkmcnt(0)
	v_fma_f64 v[2:3], v[144:145], v[120:121], v[2:3]
	scratch_load_b128 v[142:145], off, off offset:280
	s_waitcnt vmcnt(4)
	v_fma_f64 v[2:3], v[138:139], v[122:123], v[2:3]
	ds_load_b128 v[120:123], v1 offset:672
	scratch_load_b128 v[136:139], off, off offset:296
	s_waitcnt lgkmcnt(0)
	v_fma_f64 v[2:3], v[140:141], v[120:121], v[2:3]
	s_waitcnt vmcnt(4)
	s_delay_alu instid0(VALU_DEP_1)
	v_fma_f64 v[2:3], v[124:125], v[122:123], v[2:3]
	ds_load_b128 v[120:123], v1 offset:688
	s_waitcnt lgkmcnt(0)
	v_fma_f64 v[2:3], v[126:127], v[120:121], v[2:3]
	scratch_load_b128 v[124:127], off, off offset:312
	s_waitcnt vmcnt(4)
	v_fma_f64 v[2:3], v[128:129], v[122:123], v[2:3]
	ds_load_b128 v[120:123], v1 offset:704
	s_waitcnt lgkmcnt(0)
	v_fma_f64 v[2:3], v[130:131], v[120:121], v[2:3]
	scratch_load_b128 v[128:131], off, off offset:328
	s_waitcnt vmcnt(4)
	;; [unrolled: 6-line block ×3, first 2 shown]
	v_fma_f64 v[2:3], v[142:143], v[122:123], v[2:3]
	ds_load_b128 v[120:123], v1 offset:736
	scratch_load_b128 v[140:143], off, off offset:360
	s_waitcnt lgkmcnt(0)
	v_fma_f64 v[2:3], v[144:145], v[120:121], v[2:3]
	s_waitcnt vmcnt(4)
	s_delay_alu instid0(VALU_DEP_1)
	v_fma_f64 v[2:3], v[136:137], v[122:123], v[2:3]
	ds_load_b128 v[120:123], v1 offset:752
	s_waitcnt lgkmcnt(0)
	v_fma_f64 v[2:3], v[138:139], v[120:121], v[2:3]
	scratch_load_b128 v[136:139], off, off offset:376
	s_waitcnt vmcnt(4)
	v_fma_f64 v[2:3], v[124:125], v[122:123], v[2:3]
	ds_load_b128 v[120:123], v1 offset:768
	s_waitcnt lgkmcnt(0)
	v_fma_f64 v[2:3], v[126:127], v[120:121], v[2:3]
	scratch_load_b128 v[124:127], off, off offset:392
	s_waitcnt vmcnt(4)
	;; [unrolled: 6-line block ×4, first 2 shown]
	v_fma_f64 v[2:3], v[140:141], v[122:123], v[2:3]
	scratch_load_b64 v[140:141], off, off offset:440
	ds_load_b128 v[120:123], v1 offset:816
	s_waitcnt lgkmcnt(0)
	v_fma_f64 v[2:3], v[142:143], v[120:121], v[2:3]
	s_waitcnt vmcnt(4)
	s_delay_alu instid0(VALU_DEP_1) | instskip(SKIP_4) | instid1(VALU_DEP_1)
	v_fma_f64 v[2:3], v[136:137], v[122:123], v[2:3]
	ds_load_b128 v[120:123], v1 offset:832
	s_waitcnt lgkmcnt(0)
	v_fma_f64 v[2:3], v[138:139], v[120:121], v[2:3]
	s_waitcnt vmcnt(3)
	v_fma_f64 v[2:3], v[124:125], v[122:123], v[2:3]
	ds_load_b128 v[120:123], v1 offset:848
	s_waitcnt lgkmcnt(0)
	v_fma_f64 v[2:3], v[126:127], v[120:121], v[2:3]
	s_waitcnt vmcnt(2)
	s_delay_alu instid0(VALU_DEP_1) | instskip(SKIP_4) | instid1(VALU_DEP_1)
	v_fma_f64 v[2:3], v[128:129], v[122:123], v[2:3]
	ds_load_b128 v[120:123], v1 offset:864
	s_waitcnt lgkmcnt(0)
	v_fma_f64 v[2:3], v[130:131], v[120:121], v[2:3]
	s_waitcnt vmcnt(1)
	v_fma_f64 v[120:121], v[132:133], v[122:123], v[2:3]
	ds_load_b128 v[1:4], v1 offset:880
	s_waitcnt lgkmcnt(0)
	v_fma_f64 v[1:2], v[134:135], v[1:2], v[120:121]
	s_waitcnt vmcnt(0)
	s_delay_alu instid0(VALU_DEP_1) | instskip(NEXT) | instid1(VALU_DEP_1)
	v_fma_f64 v[1:2], v[140:141], v[3:4], v[1:2]
	v_add_f64 v[1:2], v[118:119], -v[1:2]
	scratch_store_b64 off, v[1:2], off offset:120
	v_cmpx_lt_u32_e32 14, v0
	s_cbranch_execz .LBB119_317
; %bb.316:
	scratch_load_b64 v[1:2], off, off offset:112
	v_mov_b32_e32 v3, 0
	s_delay_alu instid0(VALU_DEP_1)
	v_mov_b32_e32 v4, v3
	scratch_store_b64 off, v[3:4], off offset:112
	s_waitcnt vmcnt(0)
	ds_store_b64 v5, v[1:2]
.LBB119_317:
	s_or_b32 exec_lo, exec_lo, s0
	s_waitcnt lgkmcnt(0)
	s_waitcnt_vscnt null, 0x0
	s_barrier
	buffer_gl0_inv
	s_clause 0x4
	scratch_load_b128 v[118:121], off, off offset:112
	scratch_load_b128 v[122:125], off, off offset:128
	;; [unrolled: 1-line block ×5, first 2 shown]
	v_mov_b32_e32 v1, 0
	scratch_load_b128 v[142:145], off, off offset:192
	s_mov_b32 s0, exec_lo
	ds_load_2addr_b64 v[138:141], v1 offset0:71 offset1:72
	s_waitcnt vmcnt(5) lgkmcnt(0)
	v_fma_f64 v[2:3], v[120:121], v[138:139], 0
	s_waitcnt vmcnt(4)
	s_delay_alu instid0(VALU_DEP_1)
	v_fma_f64 v[2:3], v[122:123], v[140:141], v[2:3]
	scratch_load_b128 v[138:141], off, off offset:208
	ds_load_2addr_b64 v[120:123], v1 offset0:73 offset1:74
	s_waitcnt lgkmcnt(0)
	v_fma_f64 v[2:3], v[124:125], v[120:121], v[2:3]
	s_waitcnt vmcnt(4)
	s_delay_alu instid0(VALU_DEP_1)
	v_fma_f64 v[2:3], v[126:127], v[122:123], v[2:3]
	ds_load_2addr_b64 v[120:123], v1 offset0:75 offset1:76
	scratch_load_b128 v[124:127], off, off offset:224
	s_waitcnt lgkmcnt(0)
	v_fma_f64 v[2:3], v[128:129], v[120:121], v[2:3]
	s_waitcnt vmcnt(4)
	s_delay_alu instid0(VALU_DEP_1)
	v_fma_f64 v[2:3], v[130:131], v[122:123], v[2:3]
	scratch_load_b128 v[128:131], off, off offset:240
	ds_load_2addr_b64 v[120:123], v1 offset0:77 offset1:78
	s_waitcnt lgkmcnt(0)
	v_fma_f64 v[2:3], v[132:133], v[120:121], v[2:3]
	s_waitcnt vmcnt(4)
	s_delay_alu instid0(VALU_DEP_1)
	v_fma_f64 v[2:3], v[134:135], v[122:123], v[2:3]
	ds_load_2addr_b64 v[120:123], v1 offset0:79 offset1:80
	scratch_load_b128 v[132:135], off, off offset:256
	s_waitcnt lgkmcnt(0)
	v_fma_f64 v[2:3], v[136:137], v[120:121], v[2:3]
	s_waitcnt vmcnt(4)
	s_delay_alu instid0(VALU_DEP_1)
	v_fma_f64 v[2:3], v[142:143], v[122:123], v[2:3]
	ds_load_2addr_b64 v[120:123], v1 offset0:81 offset1:82
	s_waitcnt lgkmcnt(0)
	v_fma_f64 v[2:3], v[144:145], v[120:121], v[2:3]
	scratch_load_b128 v[142:145], off, off offset:272
	s_waitcnt vmcnt(4)
	v_fma_f64 v[2:3], v[138:139], v[122:123], v[2:3]
	ds_load_2addr_b64 v[120:123], v1 offset0:83 offset1:84
	scratch_load_b128 v[136:139], off, off offset:288
	s_waitcnt lgkmcnt(0)
	v_fma_f64 v[2:3], v[140:141], v[120:121], v[2:3]
	s_waitcnt vmcnt(4)
	s_delay_alu instid0(VALU_DEP_1)
	v_fma_f64 v[2:3], v[124:125], v[122:123], v[2:3]
	ds_load_2addr_b64 v[120:123], v1 offset0:85 offset1:86
	s_waitcnt lgkmcnt(0)
	v_fma_f64 v[2:3], v[126:127], v[120:121], v[2:3]
	scratch_load_b128 v[124:127], off, off offset:304
	s_waitcnt vmcnt(4)
	v_fma_f64 v[2:3], v[128:129], v[122:123], v[2:3]
	ds_load_2addr_b64 v[120:123], v1 offset0:87 offset1:88
	s_waitcnt lgkmcnt(0)
	v_fma_f64 v[2:3], v[130:131], v[120:121], v[2:3]
	scratch_load_b128 v[128:131], off, off offset:320
	s_waitcnt vmcnt(4)
	;; [unrolled: 6-line block ×3, first 2 shown]
	v_fma_f64 v[2:3], v[142:143], v[122:123], v[2:3]
	ds_load_2addr_b64 v[120:123], v1 offset0:91 offset1:92
	scratch_load_b128 v[140:143], off, off offset:352
	s_waitcnt lgkmcnt(0)
	v_fma_f64 v[2:3], v[144:145], v[120:121], v[2:3]
	s_waitcnt vmcnt(4)
	s_delay_alu instid0(VALU_DEP_1)
	v_fma_f64 v[2:3], v[136:137], v[122:123], v[2:3]
	ds_load_2addr_b64 v[120:123], v1 offset0:93 offset1:94
	s_waitcnt lgkmcnt(0)
	v_fma_f64 v[2:3], v[138:139], v[120:121], v[2:3]
	scratch_load_b128 v[136:139], off, off offset:368
	s_waitcnt vmcnt(4)
	v_fma_f64 v[2:3], v[124:125], v[122:123], v[2:3]
	ds_load_2addr_b64 v[120:123], v1 offset0:95 offset1:96
	s_waitcnt lgkmcnt(0)
	v_fma_f64 v[2:3], v[126:127], v[120:121], v[2:3]
	scratch_load_b128 v[124:127], off, off offset:384
	s_waitcnt vmcnt(4)
	;; [unrolled: 6-line block ×5, first 2 shown]
	v_fma_f64 v[2:3], v[136:137], v[122:123], v[2:3]
	ds_load_2addr_b64 v[120:123], v1 offset0:103 offset1:104
	s_waitcnt lgkmcnt(0)
	v_fma_f64 v[2:3], v[138:139], v[120:121], v[2:3]
	s_waitcnt vmcnt(3)
	s_delay_alu instid0(VALU_DEP_1) | instskip(SKIP_4) | instid1(VALU_DEP_1)
	v_fma_f64 v[2:3], v[124:125], v[122:123], v[2:3]
	ds_load_2addr_b64 v[120:123], v1 offset0:105 offset1:106
	s_waitcnt lgkmcnt(0)
	v_fma_f64 v[2:3], v[126:127], v[120:121], v[2:3]
	s_waitcnt vmcnt(2)
	v_fma_f64 v[2:3], v[128:129], v[122:123], v[2:3]
	ds_load_2addr_b64 v[120:123], v1 offset0:107 offset1:108
	s_waitcnt lgkmcnt(0)
	v_fma_f64 v[2:3], v[130:131], v[120:121], v[2:3]
	s_waitcnt vmcnt(1)
	s_delay_alu instid0(VALU_DEP_1)
	v_fma_f64 v[2:3], v[132:133], v[122:123], v[2:3]
	ds_load_2addr_b64 v[120:123], v1 offset0:109 offset1:110
	s_waitcnt lgkmcnt(0)
	v_fma_f64 v[2:3], v[134:135], v[120:121], v[2:3]
	ds_load_b64 v[120:121], v1 offset:888
	s_waitcnt vmcnt(0)
	v_fma_f64 v[2:3], v[140:141], v[122:123], v[2:3]
	s_waitcnt lgkmcnt(0)
	s_delay_alu instid0(VALU_DEP_1) | instskip(NEXT) | instid1(VALU_DEP_1)
	v_fma_f64 v[2:3], v[142:143], v[120:121], v[2:3]
	v_add_f64 v[2:3], v[118:119], -v[2:3]
	scratch_store_b64 off, v[2:3], off offset:112
	v_cmpx_lt_u32_e32 13, v0
	s_cbranch_execz .LBB119_319
; %bb.318:
	scratch_load_b64 v[3:4], off, off offset:104
	v_mov_b32_e32 v2, v1
	scratch_store_b64 off, v[1:2], off offset:104
	s_waitcnt vmcnt(0)
	ds_store_b64 v5, v[3:4]
.LBB119_319:
	s_or_b32 exec_lo, exec_lo, s0
	s_waitcnt lgkmcnt(0)
	s_waitcnt_vscnt null, 0x0
	s_barrier
	buffer_gl0_inv
	s_clause 0x4
	scratch_load_b128 v[118:121], off, off offset:104
	scratch_load_b128 v[122:125], off, off offset:120
	;; [unrolled: 1-line block ×5, first 2 shown]
	ds_load_b128 v[138:141], v1 offset:560
	scratch_load_b128 v[142:145], off, off offset:184
	s_mov_b32 s0, exec_lo
	s_waitcnt vmcnt(5) lgkmcnt(0)
	v_fma_f64 v[2:3], v[120:121], v[138:139], 0
	s_waitcnt vmcnt(4)
	s_delay_alu instid0(VALU_DEP_1)
	v_fma_f64 v[2:3], v[122:123], v[140:141], v[2:3]
	scratch_load_b128 v[138:141], off, off offset:200
	ds_load_b128 v[120:123], v1 offset:576
	s_waitcnt lgkmcnt(0)
	v_fma_f64 v[2:3], v[124:125], v[120:121], v[2:3]
	s_waitcnt vmcnt(4)
	s_delay_alu instid0(VALU_DEP_1)
	v_fma_f64 v[2:3], v[126:127], v[122:123], v[2:3]
	ds_load_b128 v[120:123], v1 offset:592
	scratch_load_b128 v[124:127], off, off offset:216
	s_waitcnt lgkmcnt(0)
	v_fma_f64 v[2:3], v[128:129], v[120:121], v[2:3]
	s_waitcnt vmcnt(4)
	s_delay_alu instid0(VALU_DEP_1)
	v_fma_f64 v[2:3], v[130:131], v[122:123], v[2:3]
	scratch_load_b128 v[128:131], off, off offset:232
	ds_load_b128 v[120:123], v1 offset:608
	s_waitcnt lgkmcnt(0)
	v_fma_f64 v[2:3], v[132:133], v[120:121], v[2:3]
	s_waitcnt vmcnt(4)
	s_delay_alu instid0(VALU_DEP_1)
	v_fma_f64 v[2:3], v[134:135], v[122:123], v[2:3]
	ds_load_b128 v[120:123], v1 offset:624
	scratch_load_b128 v[132:135], off, off offset:248
	s_waitcnt lgkmcnt(0)
	v_fma_f64 v[2:3], v[136:137], v[120:121], v[2:3]
	s_waitcnt vmcnt(4)
	s_delay_alu instid0(VALU_DEP_1)
	v_fma_f64 v[2:3], v[142:143], v[122:123], v[2:3]
	ds_load_b128 v[120:123], v1 offset:640
	s_waitcnt lgkmcnt(0)
	v_fma_f64 v[2:3], v[144:145], v[120:121], v[2:3]
	scratch_load_b128 v[142:145], off, off offset:264
	s_waitcnt vmcnt(4)
	v_fma_f64 v[2:3], v[138:139], v[122:123], v[2:3]
	ds_load_b128 v[120:123], v1 offset:656
	scratch_load_b128 v[136:139], off, off offset:280
	s_waitcnt lgkmcnt(0)
	v_fma_f64 v[2:3], v[140:141], v[120:121], v[2:3]
	s_waitcnt vmcnt(4)
	s_delay_alu instid0(VALU_DEP_1)
	v_fma_f64 v[2:3], v[124:125], v[122:123], v[2:3]
	ds_load_b128 v[120:123], v1 offset:672
	s_waitcnt lgkmcnt(0)
	v_fma_f64 v[2:3], v[126:127], v[120:121], v[2:3]
	scratch_load_b128 v[124:127], off, off offset:296
	s_waitcnt vmcnt(4)
	v_fma_f64 v[2:3], v[128:129], v[122:123], v[2:3]
	ds_load_b128 v[120:123], v1 offset:688
	s_waitcnt lgkmcnt(0)
	v_fma_f64 v[2:3], v[130:131], v[120:121], v[2:3]
	scratch_load_b128 v[128:131], off, off offset:312
	s_waitcnt vmcnt(4)
	;; [unrolled: 6-line block ×3, first 2 shown]
	v_fma_f64 v[2:3], v[142:143], v[122:123], v[2:3]
	ds_load_b128 v[120:123], v1 offset:720
	scratch_load_b128 v[140:143], off, off offset:344
	s_waitcnt lgkmcnt(0)
	v_fma_f64 v[2:3], v[144:145], v[120:121], v[2:3]
	s_waitcnt vmcnt(4)
	s_delay_alu instid0(VALU_DEP_1)
	v_fma_f64 v[2:3], v[136:137], v[122:123], v[2:3]
	ds_load_b128 v[120:123], v1 offset:736
	s_waitcnt lgkmcnt(0)
	v_fma_f64 v[2:3], v[138:139], v[120:121], v[2:3]
	scratch_load_b128 v[136:139], off, off offset:360
	s_waitcnt vmcnt(4)
	v_fma_f64 v[2:3], v[124:125], v[122:123], v[2:3]
	ds_load_b128 v[120:123], v1 offset:752
	s_waitcnt lgkmcnt(0)
	v_fma_f64 v[2:3], v[126:127], v[120:121], v[2:3]
	scratch_load_b128 v[124:127], off, off offset:376
	s_waitcnt vmcnt(4)
	;; [unrolled: 6-line block ×5, first 2 shown]
	v_fma_f64 v[2:3], v[136:137], v[122:123], v[2:3]
	ds_load_b128 v[120:123], v1 offset:816
	scratch_load_b64 v[136:137], off, off offset:440
	s_waitcnt lgkmcnt(0)
	v_fma_f64 v[2:3], v[138:139], v[120:121], v[2:3]
	s_waitcnt vmcnt(4)
	s_delay_alu instid0(VALU_DEP_1) | instskip(SKIP_4) | instid1(VALU_DEP_1)
	v_fma_f64 v[2:3], v[124:125], v[122:123], v[2:3]
	ds_load_b128 v[120:123], v1 offset:832
	s_waitcnt lgkmcnt(0)
	v_fma_f64 v[2:3], v[126:127], v[120:121], v[2:3]
	s_waitcnt vmcnt(3)
	v_fma_f64 v[2:3], v[128:129], v[122:123], v[2:3]
	ds_load_b128 v[120:123], v1 offset:848
	s_waitcnt lgkmcnt(0)
	v_fma_f64 v[2:3], v[130:131], v[120:121], v[2:3]
	s_waitcnt vmcnt(2)
	s_delay_alu instid0(VALU_DEP_1) | instskip(SKIP_4) | instid1(VALU_DEP_1)
	v_fma_f64 v[2:3], v[132:133], v[122:123], v[2:3]
	ds_load_b128 v[120:123], v1 offset:864
	s_waitcnt lgkmcnt(0)
	v_fma_f64 v[2:3], v[134:135], v[120:121], v[2:3]
	s_waitcnt vmcnt(1)
	v_fma_f64 v[120:121], v[140:141], v[122:123], v[2:3]
	ds_load_b128 v[1:4], v1 offset:880
	s_waitcnt lgkmcnt(0)
	v_fma_f64 v[1:2], v[142:143], v[1:2], v[120:121]
	s_waitcnt vmcnt(0)
	s_delay_alu instid0(VALU_DEP_1) | instskip(NEXT) | instid1(VALU_DEP_1)
	v_fma_f64 v[1:2], v[136:137], v[3:4], v[1:2]
	v_add_f64 v[1:2], v[118:119], -v[1:2]
	scratch_store_b64 off, v[1:2], off offset:104
	v_cmpx_lt_u32_e32 12, v0
	s_cbranch_execz .LBB119_321
; %bb.320:
	scratch_load_b64 v[1:2], off, off offset:96
	v_mov_b32_e32 v3, 0
	s_delay_alu instid0(VALU_DEP_1)
	v_mov_b32_e32 v4, v3
	scratch_store_b64 off, v[3:4], off offset:96
	s_waitcnt vmcnt(0)
	ds_store_b64 v5, v[1:2]
.LBB119_321:
	s_or_b32 exec_lo, exec_lo, s0
	s_waitcnt lgkmcnt(0)
	s_waitcnt_vscnt null, 0x0
	s_barrier
	buffer_gl0_inv
	s_clause 0x4
	scratch_load_b128 v[1:4], off, off offset:96
	scratch_load_b128 v[119:122], off, off offset:112
	;; [unrolled: 1-line block ×5, first 2 shown]
	v_mov_b32_e32 v118, 0
	scratch_load_b128 v[139:142], off, off offset:176
	s_mov_b32 s0, exec_lo
	ds_load_2addr_b64 v[135:138], v118 offset0:69 offset1:70
	s_waitcnt vmcnt(5) lgkmcnt(0)
	v_fma_f64 v[3:4], v[3:4], v[135:136], 0
	s_waitcnt vmcnt(4)
	s_delay_alu instid0(VALU_DEP_1)
	v_fma_f64 v[3:4], v[119:120], v[137:138], v[3:4]
	ds_load_2addr_b64 v[135:138], v118 offset0:71 offset1:72
	s_waitcnt lgkmcnt(0)
	v_fma_f64 v[3:4], v[121:122], v[135:136], v[3:4]
	scratch_load_b128 v[119:122], off, off offset:192
	s_waitcnt vmcnt(4)
	v_fma_f64 v[3:4], v[123:124], v[137:138], v[3:4]
	ds_load_2addr_b64 v[135:138], v118 offset0:73 offset1:74
	s_waitcnt lgkmcnt(0)
	v_fma_f64 v[3:4], v[125:126], v[135:136], v[3:4]
	scratch_load_b128 v[123:126], off, off offset:208
	s_waitcnt vmcnt(4)
	;; [unrolled: 6-line block ×16, first 2 shown]
	v_fma_f64 v[3:4], v[123:124], v[137:138], v[3:4]
	ds_load_2addr_b64 v[135:138], v118 offset0:103 offset1:104
	s_waitcnt lgkmcnt(0)
	v_fma_f64 v[3:4], v[125:126], v[135:136], v[3:4]
	ds_load_2addr_b64 v[123:126], v118 offset0:105 offset1:106
	s_waitcnt vmcnt(3)
	v_fma_f64 v[3:4], v[127:128], v[137:138], v[3:4]
	s_waitcnt lgkmcnt(0)
	s_delay_alu instid0(VALU_DEP_1) | instskip(SKIP_1) | instid1(VALU_DEP_1)
	v_fma_f64 v[3:4], v[129:130], v[123:124], v[3:4]
	s_waitcnt vmcnt(2)
	v_fma_f64 v[3:4], v[131:132], v[125:126], v[3:4]
	ds_load_2addr_b64 v[123:126], v118 offset0:107 offset1:108
	s_waitcnt lgkmcnt(0)
	v_fma_f64 v[3:4], v[133:134], v[123:124], v[3:4]
	s_waitcnt vmcnt(1)
	s_delay_alu instid0(VALU_DEP_1) | instskip(SKIP_4) | instid1(VALU_DEP_1)
	v_fma_f64 v[3:4], v[139:140], v[125:126], v[3:4]
	ds_load_2addr_b64 v[123:126], v118 offset0:109 offset1:110
	s_waitcnt lgkmcnt(0)
	v_fma_f64 v[3:4], v[141:142], v[123:124], v[3:4]
	s_waitcnt vmcnt(0)
	v_fma_f64 v[3:4], v[119:120], v[125:126], v[3:4]
	ds_load_b64 v[119:120], v118 offset:888
	s_waitcnt lgkmcnt(0)
	v_fma_f64 v[3:4], v[121:122], v[119:120], v[3:4]
	s_delay_alu instid0(VALU_DEP_1)
	v_add_f64 v[1:2], v[1:2], -v[3:4]
	scratch_store_b64 off, v[1:2], off offset:96
	v_cmpx_lt_u32_e32 11, v0
	s_cbranch_execz .LBB119_323
; %bb.322:
	scratch_load_b64 v[1:2], off, off offset:88
	v_mov_b32_e32 v119, v118
	scratch_store_b64 off, v[118:119], off offset:88
	s_waitcnt vmcnt(0)
	ds_store_b64 v5, v[1:2]
.LBB119_323:
	s_or_b32 exec_lo, exec_lo, s0
	s_waitcnt lgkmcnt(0)
	s_waitcnt_vscnt null, 0x0
	s_barrier
	buffer_gl0_inv
	s_clause 0x4
	scratch_load_b128 v[1:4], off, off offset:88
	scratch_load_b128 v[119:122], off, off offset:104
	;; [unrolled: 1-line block ×5, first 2 shown]
	ds_load_b128 v[135:138], v118 offset:544
	scratch_load_b128 v[139:142], off, off offset:168
	s_mov_b32 s0, exec_lo
	s_waitcnt vmcnt(5) lgkmcnt(0)
	v_fma_f64 v[3:4], v[3:4], v[135:136], 0
	s_waitcnt vmcnt(4)
	s_delay_alu instid0(VALU_DEP_1)
	v_fma_f64 v[3:4], v[119:120], v[137:138], v[3:4]
	ds_load_b128 v[135:138], v118 offset:560
	s_waitcnt lgkmcnt(0)
	v_fma_f64 v[3:4], v[121:122], v[135:136], v[3:4]
	scratch_load_b128 v[119:122], off, off offset:184
	s_waitcnt vmcnt(4)
	v_fma_f64 v[3:4], v[123:124], v[137:138], v[3:4]
	ds_load_b128 v[135:138], v118 offset:576
	s_waitcnt lgkmcnt(0)
	v_fma_f64 v[3:4], v[125:126], v[135:136], v[3:4]
	scratch_load_b128 v[123:126], off, off offset:200
	s_waitcnt vmcnt(4)
	v_fma_f64 v[3:4], v[127:128], v[137:138], v[3:4]
	ds_load_b128 v[135:138], v118 offset:592
	s_waitcnt lgkmcnt(0)
	v_fma_f64 v[3:4], v[129:130], v[135:136], v[3:4]
	scratch_load_b128 v[127:130], off, off offset:216
	s_waitcnt vmcnt(4)
	v_fma_f64 v[3:4], v[131:132], v[137:138], v[3:4]
	ds_load_b128 v[135:138], v118 offset:608
	s_waitcnt lgkmcnt(0)
	v_fma_f64 v[3:4], v[133:134], v[135:136], v[3:4]
	scratch_load_b128 v[131:134], off, off offset:232
	s_waitcnt vmcnt(4)
	v_fma_f64 v[3:4], v[139:140], v[137:138], v[3:4]
	ds_load_b128 v[135:138], v118 offset:624
	s_waitcnt lgkmcnt(0)
	v_fma_f64 v[3:4], v[141:142], v[135:136], v[3:4]
	scratch_load_b128 v[139:142], off, off offset:248
	s_waitcnt vmcnt(4)
	v_fma_f64 v[3:4], v[119:120], v[137:138], v[3:4]
	ds_load_b128 v[135:138], v118 offset:640
	s_waitcnt lgkmcnt(0)
	v_fma_f64 v[3:4], v[121:122], v[135:136], v[3:4]
	scratch_load_b128 v[119:122], off, off offset:264
	s_waitcnt vmcnt(4)
	v_fma_f64 v[3:4], v[123:124], v[137:138], v[3:4]
	ds_load_b128 v[135:138], v118 offset:656
	s_waitcnt lgkmcnt(0)
	v_fma_f64 v[3:4], v[125:126], v[135:136], v[3:4]
	scratch_load_b128 v[123:126], off, off offset:280
	s_waitcnt vmcnt(4)
	v_fma_f64 v[3:4], v[127:128], v[137:138], v[3:4]
	ds_load_b128 v[135:138], v118 offset:672
	s_waitcnt lgkmcnt(0)
	v_fma_f64 v[3:4], v[129:130], v[135:136], v[3:4]
	scratch_load_b128 v[127:130], off, off offset:296
	s_waitcnt vmcnt(4)
	v_fma_f64 v[3:4], v[131:132], v[137:138], v[3:4]
	ds_load_b128 v[135:138], v118 offset:688
	s_waitcnt lgkmcnt(0)
	v_fma_f64 v[3:4], v[133:134], v[135:136], v[3:4]
	scratch_load_b128 v[131:134], off, off offset:312
	s_waitcnt vmcnt(4)
	v_fma_f64 v[3:4], v[139:140], v[137:138], v[3:4]
	ds_load_b128 v[135:138], v118 offset:704
	s_waitcnt lgkmcnt(0)
	v_fma_f64 v[3:4], v[141:142], v[135:136], v[3:4]
	scratch_load_b128 v[139:142], off, off offset:328
	s_waitcnt vmcnt(4)
	v_fma_f64 v[3:4], v[119:120], v[137:138], v[3:4]
	ds_load_b128 v[135:138], v118 offset:720
	s_waitcnt lgkmcnt(0)
	v_fma_f64 v[3:4], v[121:122], v[135:136], v[3:4]
	scratch_load_b128 v[119:122], off, off offset:344
	s_waitcnt vmcnt(4)
	v_fma_f64 v[3:4], v[123:124], v[137:138], v[3:4]
	ds_load_b128 v[135:138], v118 offset:736
	s_waitcnt lgkmcnt(0)
	v_fma_f64 v[3:4], v[125:126], v[135:136], v[3:4]
	scratch_load_b128 v[123:126], off, off offset:360
	s_waitcnt vmcnt(4)
	v_fma_f64 v[3:4], v[127:128], v[137:138], v[3:4]
	ds_load_b128 v[135:138], v118 offset:752
	s_waitcnt lgkmcnt(0)
	v_fma_f64 v[3:4], v[129:130], v[135:136], v[3:4]
	scratch_load_b128 v[127:130], off, off offset:376
	s_waitcnt vmcnt(4)
	v_fma_f64 v[3:4], v[131:132], v[137:138], v[3:4]
	ds_load_b128 v[135:138], v118 offset:768
	s_waitcnt lgkmcnt(0)
	v_fma_f64 v[3:4], v[133:134], v[135:136], v[3:4]
	scratch_load_b128 v[131:134], off, off offset:392
	s_waitcnt vmcnt(4)
	v_fma_f64 v[3:4], v[139:140], v[137:138], v[3:4]
	ds_load_b128 v[135:138], v118 offset:784
	s_waitcnt lgkmcnt(0)
	v_fma_f64 v[3:4], v[141:142], v[135:136], v[3:4]
	scratch_load_b128 v[139:142], off, off offset:408
	s_waitcnt vmcnt(4)
	v_fma_f64 v[3:4], v[119:120], v[137:138], v[3:4]
	ds_load_b128 v[135:138], v118 offset:800
	s_waitcnt lgkmcnt(0)
	v_fma_f64 v[3:4], v[121:122], v[135:136], v[3:4]
	scratch_load_b128 v[119:122], off, off offset:424
	s_waitcnt vmcnt(4)
	v_fma_f64 v[3:4], v[123:124], v[137:138], v[3:4]
	ds_load_b128 v[135:138], v118 offset:816
	s_waitcnt lgkmcnt(0)
	v_fma_f64 v[3:4], v[125:126], v[135:136], v[3:4]
	scratch_load_b64 v[135:136], off, off offset:440
	ds_load_b128 v[123:126], v118 offset:832
	s_waitcnt vmcnt(4)
	v_fma_f64 v[3:4], v[127:128], v[137:138], v[3:4]
	s_waitcnt lgkmcnt(0)
	s_delay_alu instid0(VALU_DEP_1) | instskip(SKIP_1) | instid1(VALU_DEP_1)
	v_fma_f64 v[3:4], v[129:130], v[123:124], v[3:4]
	s_waitcnt vmcnt(3)
	v_fma_f64 v[3:4], v[131:132], v[125:126], v[3:4]
	ds_load_b128 v[123:126], v118 offset:848
	s_waitcnt lgkmcnt(0)
	v_fma_f64 v[3:4], v[133:134], v[123:124], v[3:4]
	s_waitcnt vmcnt(2)
	s_delay_alu instid0(VALU_DEP_1) | instskip(SKIP_4) | instid1(VALU_DEP_1)
	v_fma_f64 v[3:4], v[139:140], v[125:126], v[3:4]
	ds_load_b128 v[123:126], v118 offset:864
	s_waitcnt lgkmcnt(0)
	v_fma_f64 v[3:4], v[141:142], v[123:124], v[3:4]
	s_waitcnt vmcnt(1)
	v_fma_f64 v[3:4], v[119:120], v[125:126], v[3:4]
	ds_load_b128 v[123:126], v118 offset:880
	s_waitcnt lgkmcnt(0)
	v_fma_f64 v[3:4], v[121:122], v[123:124], v[3:4]
	s_waitcnt vmcnt(0)
	s_delay_alu instid0(VALU_DEP_1) | instskip(NEXT) | instid1(VALU_DEP_1)
	v_fma_f64 v[3:4], v[135:136], v[125:126], v[3:4]
	v_add_f64 v[1:2], v[1:2], -v[3:4]
	scratch_store_b64 off, v[1:2], off offset:88
	v_cmpx_lt_u32_e32 10, v0
	s_cbranch_execz .LBB119_325
; %bb.324:
	scratch_load_b64 v[1:2], off, off offset:80
	v_mov_b32_e32 v3, 0
	s_delay_alu instid0(VALU_DEP_1)
	v_mov_b32_e32 v4, v3
	scratch_store_b64 off, v[3:4], off offset:80
	s_waitcnt vmcnt(0)
	ds_store_b64 v5, v[1:2]
.LBB119_325:
	s_or_b32 exec_lo, exec_lo, s0
	s_waitcnt lgkmcnt(0)
	s_waitcnt_vscnt null, 0x0
	s_barrier
	buffer_gl0_inv
	s_clause 0x4
	scratch_load_b128 v[1:4], off, off offset:80
	scratch_load_b128 v[119:122], off, off offset:96
	;; [unrolled: 1-line block ×5, first 2 shown]
	v_mov_b32_e32 v118, 0
	scratch_load_b128 v[139:142], off, off offset:160
	s_mov_b32 s0, exec_lo
	ds_load_2addr_b64 v[135:138], v118 offset0:67 offset1:68
	s_waitcnt vmcnt(5) lgkmcnt(0)
	v_fma_f64 v[3:4], v[3:4], v[135:136], 0
	s_waitcnt vmcnt(4)
	s_delay_alu instid0(VALU_DEP_1)
	v_fma_f64 v[3:4], v[119:120], v[137:138], v[3:4]
	ds_load_2addr_b64 v[135:138], v118 offset0:69 offset1:70
	s_waitcnt lgkmcnt(0)
	v_fma_f64 v[3:4], v[121:122], v[135:136], v[3:4]
	scratch_load_b128 v[119:122], off, off offset:176
	s_waitcnt vmcnt(4)
	v_fma_f64 v[3:4], v[123:124], v[137:138], v[3:4]
	ds_load_2addr_b64 v[135:138], v118 offset0:71 offset1:72
	s_waitcnt lgkmcnt(0)
	v_fma_f64 v[3:4], v[125:126], v[135:136], v[3:4]
	scratch_load_b128 v[123:126], off, off offset:192
	s_waitcnt vmcnt(4)
	;; [unrolled: 6-line block ×17, first 2 shown]
	v_fma_f64 v[3:4], v[127:128], v[137:138], v[3:4]
	ds_load_2addr_b64 v[135:138], v118 offset0:103 offset1:104
	s_waitcnt lgkmcnt(0)
	v_fma_f64 v[3:4], v[129:130], v[135:136], v[3:4]
	ds_load_2addr_b64 v[127:130], v118 offset0:105 offset1:106
	s_waitcnt vmcnt(3)
	v_fma_f64 v[3:4], v[131:132], v[137:138], v[3:4]
	s_waitcnt lgkmcnt(0)
	s_delay_alu instid0(VALU_DEP_1) | instskip(SKIP_1) | instid1(VALU_DEP_1)
	v_fma_f64 v[3:4], v[133:134], v[127:128], v[3:4]
	s_waitcnt vmcnt(2)
	v_fma_f64 v[3:4], v[139:140], v[129:130], v[3:4]
	ds_load_2addr_b64 v[127:130], v118 offset0:107 offset1:108
	s_waitcnt lgkmcnt(0)
	v_fma_f64 v[3:4], v[141:142], v[127:128], v[3:4]
	s_waitcnt vmcnt(1)
	s_delay_alu instid0(VALU_DEP_1)
	v_fma_f64 v[3:4], v[119:120], v[129:130], v[3:4]
	ds_load_2addr_b64 v[127:130], v118 offset0:109 offset1:110
	ds_load_b64 v[119:120], v118 offset:888
	s_waitcnt lgkmcnt(1)
	v_fma_f64 v[3:4], v[121:122], v[127:128], v[3:4]
	s_waitcnt vmcnt(0)
	s_delay_alu instid0(VALU_DEP_1) | instskip(SKIP_1) | instid1(VALU_DEP_1)
	v_fma_f64 v[3:4], v[123:124], v[129:130], v[3:4]
	s_waitcnt lgkmcnt(0)
	v_fma_f64 v[3:4], v[125:126], v[119:120], v[3:4]
	s_delay_alu instid0(VALU_DEP_1)
	v_add_f64 v[1:2], v[1:2], -v[3:4]
	scratch_store_b64 off, v[1:2], off offset:80
	v_cmpx_lt_u32_e32 9, v0
	s_cbranch_execz .LBB119_327
; %bb.326:
	scratch_load_b64 v[1:2], off, off offset:72
	v_mov_b32_e32 v119, v118
	scratch_store_b64 off, v[118:119], off offset:72
	s_waitcnt vmcnt(0)
	ds_store_b64 v5, v[1:2]
.LBB119_327:
	s_or_b32 exec_lo, exec_lo, s0
	s_waitcnt lgkmcnt(0)
	s_waitcnt_vscnt null, 0x0
	s_barrier
	buffer_gl0_inv
	s_clause 0x4
	scratch_load_b128 v[1:4], off, off offset:72
	scratch_load_b128 v[119:122], off, off offset:88
	;; [unrolled: 1-line block ×5, first 2 shown]
	ds_load_b128 v[135:138], v118 offset:528
	scratch_load_b128 v[139:142], off, off offset:152
	s_mov_b32 s0, exec_lo
	s_waitcnt vmcnt(5) lgkmcnt(0)
	v_fma_f64 v[3:4], v[3:4], v[135:136], 0
	s_waitcnt vmcnt(4)
	s_delay_alu instid0(VALU_DEP_1)
	v_fma_f64 v[3:4], v[119:120], v[137:138], v[3:4]
	ds_load_b128 v[135:138], v118 offset:544
	s_waitcnt lgkmcnt(0)
	v_fma_f64 v[3:4], v[121:122], v[135:136], v[3:4]
	scratch_load_b128 v[119:122], off, off offset:168
	s_waitcnt vmcnt(4)
	v_fma_f64 v[3:4], v[123:124], v[137:138], v[3:4]
	ds_load_b128 v[135:138], v118 offset:560
	s_waitcnt lgkmcnt(0)
	v_fma_f64 v[3:4], v[125:126], v[135:136], v[3:4]
	scratch_load_b128 v[123:126], off, off offset:184
	s_waitcnt vmcnt(4)
	;; [unrolled: 6-line block ×17, first 2 shown]
	v_fma_f64 v[3:4], v[127:128], v[137:138], v[3:4]
	ds_load_b128 v[135:138], v118 offset:816
	s_waitcnt lgkmcnt(0)
	v_fma_f64 v[3:4], v[129:130], v[135:136], v[3:4]
	scratch_load_b64 v[135:136], off, off offset:440
	ds_load_b128 v[127:130], v118 offset:832
	s_waitcnt vmcnt(4)
	v_fma_f64 v[3:4], v[131:132], v[137:138], v[3:4]
	s_waitcnt lgkmcnt(0)
	s_delay_alu instid0(VALU_DEP_1) | instskip(SKIP_1) | instid1(VALU_DEP_1)
	v_fma_f64 v[3:4], v[133:134], v[127:128], v[3:4]
	s_waitcnt vmcnt(3)
	v_fma_f64 v[3:4], v[139:140], v[129:130], v[3:4]
	ds_load_b128 v[127:130], v118 offset:848
	s_waitcnt lgkmcnt(0)
	v_fma_f64 v[3:4], v[141:142], v[127:128], v[3:4]
	s_waitcnt vmcnt(2)
	s_delay_alu instid0(VALU_DEP_1)
	v_fma_f64 v[3:4], v[119:120], v[129:130], v[3:4]
	ds_load_b128 v[127:130], v118 offset:864
	s_waitcnt lgkmcnt(0)
	v_fma_f64 v[3:4], v[121:122], v[127:128], v[3:4]
	ds_load_b128 v[118:121], v118 offset:880
	s_waitcnt vmcnt(1)
	v_fma_f64 v[3:4], v[123:124], v[129:130], v[3:4]
	s_waitcnt lgkmcnt(0)
	s_delay_alu instid0(VALU_DEP_1) | instskip(SKIP_1) | instid1(VALU_DEP_1)
	v_fma_f64 v[3:4], v[125:126], v[118:119], v[3:4]
	s_waitcnt vmcnt(0)
	v_fma_f64 v[3:4], v[135:136], v[120:121], v[3:4]
	s_delay_alu instid0(VALU_DEP_1)
	v_add_f64 v[1:2], v[1:2], -v[3:4]
	scratch_store_b64 off, v[1:2], off offset:72
	v_cmpx_lt_u32_e32 8, v0
	s_cbranch_execz .LBB119_329
; %bb.328:
	scratch_load_b64 v[1:2], off, off offset:64
	v_mov_b32_e32 v3, 0
	s_delay_alu instid0(VALU_DEP_1)
	v_mov_b32_e32 v4, v3
	scratch_store_b64 off, v[3:4], off offset:64
	s_waitcnt vmcnt(0)
	ds_store_b64 v5, v[1:2]
.LBB119_329:
	s_or_b32 exec_lo, exec_lo, s0
	s_waitcnt lgkmcnt(0)
	s_waitcnt_vscnt null, 0x0
	s_barrier
	buffer_gl0_inv
	s_clause 0x4
	scratch_load_b128 v[1:4], off, off offset:64
	scratch_load_b128 v[119:122], off, off offset:80
	;; [unrolled: 1-line block ×5, first 2 shown]
	v_mov_b32_e32 v118, 0
	scratch_load_b128 v[139:142], off, off offset:144
	s_mov_b32 s0, exec_lo
	ds_load_2addr_b64 v[135:138], v118 offset0:65 offset1:66
	s_waitcnt vmcnt(5) lgkmcnt(0)
	v_fma_f64 v[3:4], v[3:4], v[135:136], 0
	s_waitcnt vmcnt(4)
	s_delay_alu instid0(VALU_DEP_1)
	v_fma_f64 v[3:4], v[119:120], v[137:138], v[3:4]
	ds_load_2addr_b64 v[135:138], v118 offset0:67 offset1:68
	s_waitcnt lgkmcnt(0)
	v_fma_f64 v[3:4], v[121:122], v[135:136], v[3:4]
	scratch_load_b128 v[119:122], off, off offset:160
	s_waitcnt vmcnt(4)
	v_fma_f64 v[3:4], v[123:124], v[137:138], v[3:4]
	ds_load_2addr_b64 v[135:138], v118 offset0:69 offset1:70
	s_waitcnt lgkmcnt(0)
	v_fma_f64 v[3:4], v[125:126], v[135:136], v[3:4]
	scratch_load_b128 v[123:126], off, off offset:176
	s_waitcnt vmcnt(4)
	;; [unrolled: 6-line block ×18, first 2 shown]
	v_fma_f64 v[3:4], v[131:132], v[137:138], v[3:4]
	ds_load_2addr_b64 v[135:138], v118 offset0:103 offset1:104
	s_waitcnt lgkmcnt(0)
	v_fma_f64 v[3:4], v[133:134], v[135:136], v[3:4]
	ds_load_2addr_b64 v[131:134], v118 offset0:105 offset1:106
	s_waitcnt vmcnt(3)
	v_fma_f64 v[3:4], v[139:140], v[137:138], v[3:4]
	s_waitcnt lgkmcnt(0)
	s_delay_alu instid0(VALU_DEP_1) | instskip(SKIP_1) | instid1(VALU_DEP_1)
	v_fma_f64 v[3:4], v[141:142], v[131:132], v[3:4]
	s_waitcnt vmcnt(2)
	v_fma_f64 v[3:4], v[119:120], v[133:134], v[3:4]
	ds_load_2addr_b64 v[131:134], v118 offset0:107 offset1:108
	s_waitcnt lgkmcnt(0)
	v_fma_f64 v[3:4], v[121:122], v[131:132], v[3:4]
	ds_load_2addr_b64 v[119:122], v118 offset0:109 offset1:110
	s_waitcnt vmcnt(1)
	v_fma_f64 v[3:4], v[123:124], v[133:134], v[3:4]
	s_waitcnt lgkmcnt(0)
	s_delay_alu instid0(VALU_DEP_1) | instskip(SKIP_4) | instid1(VALU_DEP_1)
	v_fma_f64 v[3:4], v[125:126], v[119:120], v[3:4]
	ds_load_b64 v[119:120], v118 offset:888
	s_waitcnt vmcnt(0)
	v_fma_f64 v[3:4], v[127:128], v[121:122], v[3:4]
	s_waitcnt lgkmcnt(0)
	v_fma_f64 v[3:4], v[129:130], v[119:120], v[3:4]
	s_delay_alu instid0(VALU_DEP_1)
	v_add_f64 v[1:2], v[1:2], -v[3:4]
	scratch_store_b64 off, v[1:2], off offset:64
	v_cmpx_lt_u32_e32 7, v0
	s_cbranch_execz .LBB119_331
; %bb.330:
	scratch_load_b64 v[1:2], off, off offset:56
	v_mov_b32_e32 v119, v118
	scratch_store_b64 off, v[118:119], off offset:56
	s_waitcnt vmcnt(0)
	ds_store_b64 v5, v[1:2]
.LBB119_331:
	s_or_b32 exec_lo, exec_lo, s0
	s_waitcnt lgkmcnt(0)
	s_waitcnt_vscnt null, 0x0
	s_barrier
	buffer_gl0_inv
	s_clause 0x4
	scratch_load_b128 v[1:4], off, off offset:56
	scratch_load_b128 v[119:122], off, off offset:72
	;; [unrolled: 1-line block ×5, first 2 shown]
	ds_load_b128 v[135:138], v118 offset:512
	scratch_load_b128 v[139:142], off, off offset:136
	s_mov_b32 s0, exec_lo
	s_waitcnt vmcnt(5) lgkmcnt(0)
	v_fma_f64 v[3:4], v[3:4], v[135:136], 0
	s_waitcnt vmcnt(4)
	s_delay_alu instid0(VALU_DEP_1)
	v_fma_f64 v[3:4], v[119:120], v[137:138], v[3:4]
	ds_load_b128 v[135:138], v118 offset:528
	s_waitcnt lgkmcnt(0)
	v_fma_f64 v[3:4], v[121:122], v[135:136], v[3:4]
	scratch_load_b128 v[119:122], off, off offset:152
	s_waitcnt vmcnt(4)
	v_fma_f64 v[3:4], v[123:124], v[137:138], v[3:4]
	ds_load_b128 v[135:138], v118 offset:544
	s_waitcnt lgkmcnt(0)
	v_fma_f64 v[3:4], v[125:126], v[135:136], v[3:4]
	scratch_load_b128 v[123:126], off, off offset:168
	s_waitcnt vmcnt(4)
	;; [unrolled: 6-line block ×18, first 2 shown]
	v_fma_f64 v[3:4], v[131:132], v[137:138], v[3:4]
	ds_load_b128 v[135:138], v118 offset:816
	s_waitcnt lgkmcnt(0)
	v_fma_f64 v[3:4], v[133:134], v[135:136], v[3:4]
	scratch_load_b64 v[135:136], off, off offset:440
	ds_load_b128 v[131:134], v118 offset:832
	s_waitcnt vmcnt(4)
	v_fma_f64 v[3:4], v[139:140], v[137:138], v[3:4]
	s_waitcnt lgkmcnt(0)
	s_delay_alu instid0(VALU_DEP_1) | instskip(SKIP_1) | instid1(VALU_DEP_1)
	v_fma_f64 v[3:4], v[141:142], v[131:132], v[3:4]
	s_waitcnt vmcnt(3)
	v_fma_f64 v[3:4], v[119:120], v[133:134], v[3:4]
	ds_load_b128 v[131:134], v118 offset:848
	s_waitcnt lgkmcnt(0)
	v_fma_f64 v[3:4], v[121:122], v[131:132], v[3:4]
	ds_load_b128 v[119:122], v118 offset:864
	s_waitcnt vmcnt(2)
	v_fma_f64 v[3:4], v[123:124], v[133:134], v[3:4]
	s_waitcnt lgkmcnt(0)
	s_delay_alu instid0(VALU_DEP_1) | instskip(SKIP_1) | instid1(VALU_DEP_1)
	v_fma_f64 v[3:4], v[125:126], v[119:120], v[3:4]
	s_waitcnt vmcnt(1)
	v_fma_f64 v[3:4], v[127:128], v[121:122], v[3:4]
	ds_load_b128 v[118:121], v118 offset:880
	s_waitcnt lgkmcnt(0)
	v_fma_f64 v[3:4], v[129:130], v[118:119], v[3:4]
	s_waitcnt vmcnt(0)
	s_delay_alu instid0(VALU_DEP_1) | instskip(NEXT) | instid1(VALU_DEP_1)
	v_fma_f64 v[3:4], v[135:136], v[120:121], v[3:4]
	v_add_f64 v[1:2], v[1:2], -v[3:4]
	scratch_store_b64 off, v[1:2], off offset:56
	v_cmpx_lt_u32_e32 6, v0
	s_cbranch_execz .LBB119_333
; %bb.332:
	scratch_load_b64 v[1:2], off, off offset:48
	v_mov_b32_e32 v3, 0
	s_delay_alu instid0(VALU_DEP_1)
	v_mov_b32_e32 v4, v3
	scratch_store_b64 off, v[3:4], off offset:48
	s_waitcnt vmcnt(0)
	ds_store_b64 v5, v[1:2]
.LBB119_333:
	s_or_b32 exec_lo, exec_lo, s0
	s_waitcnt lgkmcnt(0)
	s_waitcnt_vscnt null, 0x0
	s_barrier
	buffer_gl0_inv
	s_clause 0x4
	scratch_load_b128 v[1:4], off, off offset:48
	scratch_load_b128 v[119:122], off, off offset:64
	;; [unrolled: 1-line block ×5, first 2 shown]
	v_mov_b32_e32 v118, 0
	scratch_load_b128 v[139:142], off, off offset:128
	s_mov_b32 s0, exec_lo
	ds_load_2addr_b64 v[135:138], v118 offset0:63 offset1:64
	s_waitcnt vmcnt(5) lgkmcnt(0)
	v_fma_f64 v[3:4], v[3:4], v[135:136], 0
	s_waitcnt vmcnt(4)
	s_delay_alu instid0(VALU_DEP_1)
	v_fma_f64 v[3:4], v[119:120], v[137:138], v[3:4]
	ds_load_2addr_b64 v[135:138], v118 offset0:65 offset1:66
	s_waitcnt lgkmcnt(0)
	v_fma_f64 v[3:4], v[121:122], v[135:136], v[3:4]
	scratch_load_b128 v[119:122], off, off offset:144
	s_waitcnt vmcnt(4)
	v_fma_f64 v[3:4], v[123:124], v[137:138], v[3:4]
	ds_load_2addr_b64 v[135:138], v118 offset0:67 offset1:68
	s_waitcnt lgkmcnt(0)
	v_fma_f64 v[3:4], v[125:126], v[135:136], v[3:4]
	scratch_load_b128 v[123:126], off, off offset:160
	s_waitcnt vmcnt(4)
	;; [unrolled: 6-line block ×19, first 2 shown]
	v_fma_f64 v[3:4], v[139:140], v[137:138], v[3:4]
	ds_load_2addr_b64 v[135:138], v118 offset0:103 offset1:104
	s_waitcnt lgkmcnt(0)
	v_fma_f64 v[3:4], v[141:142], v[135:136], v[3:4]
	s_waitcnt vmcnt(3)
	s_delay_alu instid0(VALU_DEP_1)
	v_fma_f64 v[3:4], v[119:120], v[137:138], v[3:4]
	ds_load_2addr_b64 v[135:138], v118 offset0:105 offset1:106
	s_waitcnt lgkmcnt(0)
	v_fma_f64 v[3:4], v[121:122], v[135:136], v[3:4]
	ds_load_2addr_b64 v[119:122], v118 offset0:107 offset1:108
	s_waitcnt vmcnt(2)
	v_fma_f64 v[3:4], v[123:124], v[137:138], v[3:4]
	s_waitcnt lgkmcnt(0)
	s_delay_alu instid0(VALU_DEP_1) | instskip(SKIP_1) | instid1(VALU_DEP_1)
	v_fma_f64 v[3:4], v[125:126], v[119:120], v[3:4]
	s_waitcnt vmcnt(1)
	v_fma_f64 v[3:4], v[127:128], v[121:122], v[3:4]
	ds_load_2addr_b64 v[119:122], v118 offset0:109 offset1:110
	s_waitcnt lgkmcnt(0)
	v_fma_f64 v[3:4], v[129:130], v[119:120], v[3:4]
	ds_load_b64 v[119:120], v118 offset:888
	s_waitcnt vmcnt(0)
	v_fma_f64 v[3:4], v[131:132], v[121:122], v[3:4]
	s_waitcnt lgkmcnt(0)
	s_delay_alu instid0(VALU_DEP_1) | instskip(NEXT) | instid1(VALU_DEP_1)
	v_fma_f64 v[3:4], v[133:134], v[119:120], v[3:4]
	v_add_f64 v[1:2], v[1:2], -v[3:4]
	scratch_store_b64 off, v[1:2], off offset:48
	v_cmpx_lt_u32_e32 5, v0
	s_cbranch_execz .LBB119_335
; %bb.334:
	scratch_load_b64 v[1:2], off, off offset:40
	v_mov_b32_e32 v119, v118
	scratch_store_b64 off, v[118:119], off offset:40
	s_waitcnt vmcnt(0)
	ds_store_b64 v5, v[1:2]
.LBB119_335:
	s_or_b32 exec_lo, exec_lo, s0
	s_waitcnt lgkmcnt(0)
	s_waitcnt_vscnt null, 0x0
	s_barrier
	buffer_gl0_inv
	s_clause 0x4
	scratch_load_b128 v[1:4], off, off offset:40
	scratch_load_b128 v[119:122], off, off offset:56
	scratch_load_b128 v[123:126], off, off offset:72
	scratch_load_b128 v[127:130], off, off offset:88
	scratch_load_b128 v[131:134], off, off offset:104
	ds_load_b128 v[135:138], v118 offset:496
	scratch_load_b128 v[139:142], off, off offset:120
	s_mov_b32 s0, exec_lo
	s_waitcnt vmcnt(5) lgkmcnt(0)
	v_fma_f64 v[3:4], v[3:4], v[135:136], 0
	s_waitcnt vmcnt(4)
	s_delay_alu instid0(VALU_DEP_1)
	v_fma_f64 v[3:4], v[119:120], v[137:138], v[3:4]
	ds_load_b128 v[135:138], v118 offset:512
	s_waitcnt lgkmcnt(0)
	v_fma_f64 v[3:4], v[121:122], v[135:136], v[3:4]
	scratch_load_b128 v[119:122], off, off offset:136
	s_waitcnt vmcnt(4)
	v_fma_f64 v[3:4], v[123:124], v[137:138], v[3:4]
	ds_load_b128 v[135:138], v118 offset:528
	s_waitcnt lgkmcnt(0)
	v_fma_f64 v[3:4], v[125:126], v[135:136], v[3:4]
	scratch_load_b128 v[123:126], off, off offset:152
	s_waitcnt vmcnt(4)
	;; [unrolled: 6-line block ×19, first 2 shown]
	v_fma_f64 v[3:4], v[139:140], v[137:138], v[3:4]
	ds_load_b128 v[135:138], v118 offset:816
	scratch_load_b64 v[139:140], off, off offset:440
	s_waitcnt lgkmcnt(0)
	v_fma_f64 v[3:4], v[141:142], v[135:136], v[3:4]
	s_waitcnt vmcnt(4)
	s_delay_alu instid0(VALU_DEP_1)
	v_fma_f64 v[3:4], v[119:120], v[137:138], v[3:4]
	ds_load_b128 v[135:138], v118 offset:832
	s_waitcnt lgkmcnt(0)
	v_fma_f64 v[3:4], v[121:122], v[135:136], v[3:4]
	ds_load_b128 v[119:122], v118 offset:848
	s_waitcnt vmcnt(3)
	v_fma_f64 v[3:4], v[123:124], v[137:138], v[3:4]
	s_waitcnt lgkmcnt(0)
	s_delay_alu instid0(VALU_DEP_1) | instskip(SKIP_1) | instid1(VALU_DEP_1)
	v_fma_f64 v[3:4], v[125:126], v[119:120], v[3:4]
	s_waitcnt vmcnt(2)
	v_fma_f64 v[3:4], v[127:128], v[121:122], v[3:4]
	ds_load_b128 v[119:122], v118 offset:864
	s_waitcnt lgkmcnt(0)
	v_fma_f64 v[3:4], v[129:130], v[119:120], v[3:4]
	s_waitcnt vmcnt(1)
	s_delay_alu instid0(VALU_DEP_1) | instskip(SKIP_4) | instid1(VALU_DEP_1)
	v_fma_f64 v[3:4], v[131:132], v[121:122], v[3:4]
	ds_load_b128 v[118:121], v118 offset:880
	s_waitcnt lgkmcnt(0)
	v_fma_f64 v[3:4], v[133:134], v[118:119], v[3:4]
	s_waitcnt vmcnt(0)
	v_fma_f64 v[3:4], v[139:140], v[120:121], v[3:4]
	s_delay_alu instid0(VALU_DEP_1)
	v_add_f64 v[1:2], v[1:2], -v[3:4]
	scratch_store_b64 off, v[1:2], off offset:40
	v_cmpx_lt_u32_e32 4, v0
	s_cbranch_execz .LBB119_337
; %bb.336:
	scratch_load_b64 v[1:2], off, off offset:32
	v_mov_b32_e32 v3, 0
	s_delay_alu instid0(VALU_DEP_1)
	v_mov_b32_e32 v4, v3
	scratch_store_b64 off, v[3:4], off offset:32
	s_waitcnt vmcnt(0)
	ds_store_b64 v5, v[1:2]
.LBB119_337:
	s_or_b32 exec_lo, exec_lo, s0
	s_waitcnt lgkmcnt(0)
	s_waitcnt_vscnt null, 0x0
	s_barrier
	buffer_gl0_inv
	s_clause 0x4
	scratch_load_b128 v[1:4], off, off offset:32
	scratch_load_b128 v[119:122], off, off offset:48
	;; [unrolled: 1-line block ×5, first 2 shown]
	v_mov_b32_e32 v118, 0
	scratch_load_b128 v[139:142], off, off offset:112
	s_mov_b32 s0, exec_lo
	ds_load_2addr_b64 v[135:138], v118 offset0:61 offset1:62
	s_waitcnt vmcnt(5) lgkmcnt(0)
	v_fma_f64 v[3:4], v[3:4], v[135:136], 0
	s_waitcnt vmcnt(4)
	s_delay_alu instid0(VALU_DEP_1)
	v_fma_f64 v[3:4], v[119:120], v[137:138], v[3:4]
	ds_load_2addr_b64 v[135:138], v118 offset0:63 offset1:64
	s_waitcnt lgkmcnt(0)
	v_fma_f64 v[3:4], v[121:122], v[135:136], v[3:4]
	scratch_load_b128 v[119:122], off, off offset:128
	s_waitcnt vmcnt(4)
	v_fma_f64 v[3:4], v[123:124], v[137:138], v[3:4]
	ds_load_2addr_b64 v[135:138], v118 offset0:65 offset1:66
	s_waitcnt lgkmcnt(0)
	v_fma_f64 v[3:4], v[125:126], v[135:136], v[3:4]
	scratch_load_b128 v[123:126], off, off offset:144
	s_waitcnt vmcnt(4)
	;; [unrolled: 6-line block ×20, first 2 shown]
	v_fma_f64 v[3:4], v[119:120], v[137:138], v[3:4]
	ds_load_2addr_b64 v[135:138], v118 offset0:103 offset1:104
	s_waitcnt lgkmcnt(0)
	v_fma_f64 v[3:4], v[121:122], v[135:136], v[3:4]
	ds_load_2addr_b64 v[119:122], v118 offset0:105 offset1:106
	s_waitcnt vmcnt(3)
	v_fma_f64 v[3:4], v[123:124], v[137:138], v[3:4]
	s_waitcnt lgkmcnt(0)
	s_delay_alu instid0(VALU_DEP_1) | instskip(SKIP_1) | instid1(VALU_DEP_1)
	v_fma_f64 v[3:4], v[125:126], v[119:120], v[3:4]
	s_waitcnt vmcnt(2)
	v_fma_f64 v[3:4], v[127:128], v[121:122], v[3:4]
	ds_load_2addr_b64 v[119:122], v118 offset0:107 offset1:108
	s_waitcnt lgkmcnt(0)
	v_fma_f64 v[3:4], v[129:130], v[119:120], v[3:4]
	s_waitcnt vmcnt(1)
	s_delay_alu instid0(VALU_DEP_1)
	v_fma_f64 v[3:4], v[131:132], v[121:122], v[3:4]
	ds_load_2addr_b64 v[119:122], v118 offset0:109 offset1:110
	s_waitcnt lgkmcnt(0)
	v_fma_f64 v[3:4], v[133:134], v[119:120], v[3:4]
	ds_load_b64 v[119:120], v118 offset:888
	s_waitcnt vmcnt(0)
	v_fma_f64 v[3:4], v[139:140], v[121:122], v[3:4]
	s_waitcnt lgkmcnt(0)
	s_delay_alu instid0(VALU_DEP_1) | instskip(NEXT) | instid1(VALU_DEP_1)
	v_fma_f64 v[3:4], v[141:142], v[119:120], v[3:4]
	v_add_f64 v[1:2], v[1:2], -v[3:4]
	scratch_store_b64 off, v[1:2], off offset:32
	v_cmpx_lt_u32_e32 3, v0
	s_cbranch_execz .LBB119_339
; %bb.338:
	scratch_load_b64 v[1:2], off, off offset:24
	v_mov_b32_e32 v119, v118
	scratch_store_b64 off, v[118:119], off offset:24
	s_waitcnt vmcnt(0)
	ds_store_b64 v5, v[1:2]
.LBB119_339:
	s_or_b32 exec_lo, exec_lo, s0
	s_waitcnt lgkmcnt(0)
	s_waitcnt_vscnt null, 0x0
	s_barrier
	buffer_gl0_inv
	s_clause 0x4
	scratch_load_b128 v[1:4], off, off offset:24
	scratch_load_b128 v[119:122], off, off offset:40
	;; [unrolled: 1-line block ×5, first 2 shown]
	ds_load_b128 v[135:138], v118 offset:480
	scratch_load_b128 v[139:142], off, off offset:104
	s_mov_b32 s0, exec_lo
	s_waitcnt vmcnt(5) lgkmcnt(0)
	v_fma_f64 v[3:4], v[3:4], v[135:136], 0
	s_waitcnt vmcnt(4)
	s_delay_alu instid0(VALU_DEP_1)
	v_fma_f64 v[3:4], v[119:120], v[137:138], v[3:4]
	ds_load_b128 v[135:138], v118 offset:496
	s_waitcnt lgkmcnt(0)
	v_fma_f64 v[3:4], v[121:122], v[135:136], v[3:4]
	scratch_load_b128 v[119:122], off, off offset:120
	s_waitcnt vmcnt(4)
	v_fma_f64 v[3:4], v[123:124], v[137:138], v[3:4]
	ds_load_b128 v[135:138], v118 offset:512
	s_waitcnt lgkmcnt(0)
	v_fma_f64 v[3:4], v[125:126], v[135:136], v[3:4]
	scratch_load_b128 v[123:126], off, off offset:136
	s_waitcnt vmcnt(4)
	;; [unrolled: 6-line block ×20, first 2 shown]
	v_fma_f64 v[3:4], v[119:120], v[137:138], v[3:4]
	ds_load_b128 v[135:138], v118 offset:816
	s_waitcnt lgkmcnt(0)
	v_fma_f64 v[3:4], v[121:122], v[135:136], v[3:4]
	scratch_load_b64 v[135:136], off, off offset:440
	ds_load_b128 v[119:122], v118 offset:832
	s_waitcnt vmcnt(4)
	v_fma_f64 v[3:4], v[123:124], v[137:138], v[3:4]
	s_waitcnt lgkmcnt(0)
	s_delay_alu instid0(VALU_DEP_1) | instskip(SKIP_1) | instid1(VALU_DEP_1)
	v_fma_f64 v[3:4], v[125:126], v[119:120], v[3:4]
	s_waitcnt vmcnt(3)
	v_fma_f64 v[3:4], v[127:128], v[121:122], v[3:4]
	ds_load_b128 v[119:122], v118 offset:848
	s_waitcnt lgkmcnt(0)
	v_fma_f64 v[3:4], v[129:130], v[119:120], v[3:4]
	s_waitcnt vmcnt(2)
	s_delay_alu instid0(VALU_DEP_1) | instskip(SKIP_4) | instid1(VALU_DEP_1)
	v_fma_f64 v[3:4], v[131:132], v[121:122], v[3:4]
	ds_load_b128 v[119:122], v118 offset:864
	s_waitcnt lgkmcnt(0)
	v_fma_f64 v[3:4], v[133:134], v[119:120], v[3:4]
	s_waitcnt vmcnt(1)
	v_fma_f64 v[3:4], v[139:140], v[121:122], v[3:4]
	ds_load_b128 v[118:121], v118 offset:880
	s_waitcnt lgkmcnt(0)
	v_fma_f64 v[3:4], v[141:142], v[118:119], v[3:4]
	s_waitcnt vmcnt(0)
	s_delay_alu instid0(VALU_DEP_1) | instskip(NEXT) | instid1(VALU_DEP_1)
	v_fma_f64 v[3:4], v[135:136], v[120:121], v[3:4]
	v_add_f64 v[1:2], v[1:2], -v[3:4]
	scratch_store_b64 off, v[1:2], off offset:24
	v_cmpx_lt_u32_e32 2, v0
	s_cbranch_execz .LBB119_341
; %bb.340:
	scratch_load_b64 v[1:2], off, off offset:16
	v_mov_b32_e32 v3, 0
	s_delay_alu instid0(VALU_DEP_1)
	v_mov_b32_e32 v4, v3
	scratch_store_b64 off, v[3:4], off offset:16
	s_waitcnt vmcnt(0)
	ds_store_b64 v5, v[1:2]
.LBB119_341:
	s_or_b32 exec_lo, exec_lo, s0
	s_waitcnt lgkmcnt(0)
	s_waitcnt_vscnt null, 0x0
	s_barrier
	buffer_gl0_inv
	s_clause 0x4
	scratch_load_b128 v[1:4], off, off offset:16
	scratch_load_b128 v[119:122], off, off offset:32
	scratch_load_b128 v[123:126], off, off offset:48
	scratch_load_b128 v[127:130], off, off offset:64
	scratch_load_b128 v[131:134], off, off offset:80
	v_mov_b32_e32 v118, 0
	scratch_load_b128 v[139:142], off, off offset:96
	s_mov_b32 s0, exec_lo
	ds_load_2addr_b64 v[135:138], v118 offset0:59 offset1:60
	s_waitcnt vmcnt(5) lgkmcnt(0)
	v_fma_f64 v[3:4], v[3:4], v[135:136], 0
	s_waitcnt vmcnt(4)
	s_delay_alu instid0(VALU_DEP_1)
	v_fma_f64 v[3:4], v[119:120], v[137:138], v[3:4]
	ds_load_2addr_b64 v[135:138], v118 offset0:61 offset1:62
	s_waitcnt lgkmcnt(0)
	v_fma_f64 v[3:4], v[121:122], v[135:136], v[3:4]
	scratch_load_b128 v[119:122], off, off offset:112
	s_waitcnt vmcnt(4)
	v_fma_f64 v[3:4], v[123:124], v[137:138], v[3:4]
	ds_load_2addr_b64 v[135:138], v118 offset0:63 offset1:64
	s_waitcnt lgkmcnt(0)
	v_fma_f64 v[3:4], v[125:126], v[135:136], v[3:4]
	scratch_load_b128 v[123:126], off, off offset:128
	s_waitcnt vmcnt(4)
	;; [unrolled: 6-line block ×21, first 2 shown]
	v_fma_f64 v[3:4], v[123:124], v[137:138], v[3:4]
	ds_load_2addr_b64 v[135:138], v118 offset0:103 offset1:104
	s_waitcnt lgkmcnt(0)
	v_fma_f64 v[3:4], v[125:126], v[135:136], v[3:4]
	ds_load_2addr_b64 v[123:126], v118 offset0:105 offset1:106
	s_waitcnt vmcnt(3)
	v_fma_f64 v[3:4], v[127:128], v[137:138], v[3:4]
	s_waitcnt lgkmcnt(0)
	s_delay_alu instid0(VALU_DEP_1) | instskip(SKIP_1) | instid1(VALU_DEP_1)
	v_fma_f64 v[3:4], v[129:130], v[123:124], v[3:4]
	s_waitcnt vmcnt(2)
	v_fma_f64 v[3:4], v[131:132], v[125:126], v[3:4]
	ds_load_2addr_b64 v[123:126], v118 offset0:107 offset1:108
	s_waitcnt lgkmcnt(0)
	v_fma_f64 v[3:4], v[133:134], v[123:124], v[3:4]
	s_waitcnt vmcnt(1)
	s_delay_alu instid0(VALU_DEP_1) | instskip(SKIP_4) | instid1(VALU_DEP_1)
	v_fma_f64 v[3:4], v[139:140], v[125:126], v[3:4]
	ds_load_2addr_b64 v[123:126], v118 offset0:109 offset1:110
	s_waitcnt lgkmcnt(0)
	v_fma_f64 v[3:4], v[141:142], v[123:124], v[3:4]
	s_waitcnt vmcnt(0)
	v_fma_f64 v[3:4], v[119:120], v[125:126], v[3:4]
	ds_load_b64 v[119:120], v118 offset:888
	s_waitcnt lgkmcnt(0)
	v_fma_f64 v[3:4], v[121:122], v[119:120], v[3:4]
	s_delay_alu instid0(VALU_DEP_1)
	v_add_f64 v[1:2], v[1:2], -v[3:4]
	scratch_store_b64 off, v[1:2], off offset:16
	v_cmpx_lt_u32_e32 1, v0
	s_cbranch_execz .LBB119_343
; %bb.342:
	scratch_load_b64 v[1:2], off, off offset:8
	v_mov_b32_e32 v119, v118
	scratch_store_b64 off, v[118:119], off offset:8
	s_waitcnt vmcnt(0)
	ds_store_b64 v5, v[1:2]
.LBB119_343:
	s_or_b32 exec_lo, exec_lo, s0
	s_waitcnt lgkmcnt(0)
	s_waitcnt_vscnt null, 0x0
	s_barrier
	buffer_gl0_inv
	s_clause 0x4
	scratch_load_b128 v[1:4], off, off offset:8
	scratch_load_b128 v[119:122], off, off offset:24
	;; [unrolled: 1-line block ×5, first 2 shown]
	ds_load_b128 v[135:138], v118 offset:464
	scratch_load_b128 v[139:142], off, off offset:88
	s_mov_b32 s0, exec_lo
	s_waitcnt vmcnt(5) lgkmcnt(0)
	v_fma_f64 v[3:4], v[3:4], v[135:136], 0
	s_waitcnt vmcnt(4)
	s_delay_alu instid0(VALU_DEP_1)
	v_fma_f64 v[3:4], v[119:120], v[137:138], v[3:4]
	ds_load_b128 v[135:138], v118 offset:480
	s_waitcnt lgkmcnt(0)
	v_fma_f64 v[3:4], v[121:122], v[135:136], v[3:4]
	scratch_load_b128 v[119:122], off, off offset:104
	s_waitcnt vmcnt(4)
	v_fma_f64 v[3:4], v[123:124], v[137:138], v[3:4]
	ds_load_b128 v[135:138], v118 offset:496
	s_waitcnt lgkmcnt(0)
	v_fma_f64 v[3:4], v[125:126], v[135:136], v[3:4]
	scratch_load_b128 v[123:126], off, off offset:120
	s_waitcnt vmcnt(4)
	;; [unrolled: 6-line block ×21, first 2 shown]
	v_fma_f64 v[3:4], v[123:124], v[137:138], v[3:4]
	ds_load_b128 v[135:138], v118 offset:816
	s_waitcnt lgkmcnt(0)
	v_fma_f64 v[3:4], v[125:126], v[135:136], v[3:4]
	scratch_load_b64 v[135:136], off, off offset:440
	ds_load_b128 v[123:126], v118 offset:832
	s_waitcnt vmcnt(4)
	v_fma_f64 v[3:4], v[127:128], v[137:138], v[3:4]
	s_waitcnt lgkmcnt(0)
	s_delay_alu instid0(VALU_DEP_1) | instskip(SKIP_1) | instid1(VALU_DEP_1)
	v_fma_f64 v[3:4], v[129:130], v[123:124], v[3:4]
	s_waitcnt vmcnt(3)
	v_fma_f64 v[3:4], v[131:132], v[125:126], v[3:4]
	ds_load_b128 v[123:126], v118 offset:848
	s_waitcnt lgkmcnt(0)
	v_fma_f64 v[3:4], v[133:134], v[123:124], v[3:4]
	s_waitcnt vmcnt(2)
	s_delay_alu instid0(VALU_DEP_1) | instskip(SKIP_4) | instid1(VALU_DEP_1)
	v_fma_f64 v[3:4], v[139:140], v[125:126], v[3:4]
	ds_load_b128 v[123:126], v118 offset:864
	s_waitcnt lgkmcnt(0)
	v_fma_f64 v[3:4], v[141:142], v[123:124], v[3:4]
	s_waitcnt vmcnt(1)
	v_fma_f64 v[3:4], v[119:120], v[125:126], v[3:4]
	ds_load_b128 v[123:126], v118 offset:880
	s_waitcnt lgkmcnt(0)
	v_fma_f64 v[3:4], v[121:122], v[123:124], v[3:4]
	s_waitcnt vmcnt(0)
	s_delay_alu instid0(VALU_DEP_1) | instskip(NEXT) | instid1(VALU_DEP_1)
	v_fma_f64 v[3:4], v[135:136], v[125:126], v[3:4]
	v_add_f64 v[1:2], v[1:2], -v[3:4]
	scratch_store_b64 off, v[1:2], off offset:8
	v_cmpx_ne_u32_e32 0, v0
	s_cbranch_execz .LBB119_345
; %bb.344:
	scratch_load_b64 v[0:1], off, off
	v_mov_b32_e32 v2, 0
	s_delay_alu instid0(VALU_DEP_1)
	v_mov_b32_e32 v3, v2
	scratch_store_b64 off, v[2:3], off
	s_waitcnt vmcnt(0)
	ds_store_b64 v5, v[0:1]
.LBB119_345:
	s_or_b32 exec_lo, exec_lo, s0
	s_waitcnt lgkmcnt(0)
	s_waitcnt_vscnt null, 0x0
	s_barrier
	buffer_gl0_inv
	s_clause 0x4
	scratch_load_b128 v[0:3], off, off
	scratch_load_b128 v[119:122], off, off offset:16
	scratch_load_b128 v[123:126], off, off offset:32
	scratch_load_b128 v[127:130], off, off offset:48
	scratch_load_b128 v[131:134], off, off offset:64
	v_mov_b32_e32 v118, 0
	scratch_load_b128 v[139:142], off, off offset:400
	s_and_b32 vcc_lo, exec_lo, s12
	ds_load_2addr_b64 v[135:138], v118 offset0:57 offset1:58
	s_waitcnt vmcnt(5) lgkmcnt(0)
	v_fma_f64 v[135:136], v[2:3], v[135:136], 0
	scratch_load_b128 v[2:5], off, off offset:80
	s_waitcnt vmcnt(5)
	v_fma_f64 v[119:120], v[119:120], v[137:138], v[135:136]
	ds_load_2addr_b64 v[135:138], v118 offset0:59 offset1:60
	s_waitcnt lgkmcnt(0)
	v_fma_f64 v[135:136], v[121:122], v[135:136], v[119:120]
	scratch_load_b128 v[119:122], off, off offset:96
	s_waitcnt vmcnt(5)
	v_fma_f64 v[123:124], v[123:124], v[137:138], v[135:136]
	ds_load_2addr_b64 v[135:138], v118 offset0:61 offset1:62
	s_waitcnt lgkmcnt(0)
	;; [unrolled: 6-line block ×20, first 2 shown]
	v_fma_f64 v[2:3], v[4:5], v[135:136], v[2:3]
	s_waitcnt vmcnt(3)
	s_delay_alu instid0(VALU_DEP_1)
	v_fma_f64 v[119:120], v[119:120], v[137:138], v[2:3]
	ds_load_2addr_b64 v[2:5], v118 offset0:99 offset1:100
	ds_load_2addr_b64 v[135:138], v118 offset0:101 offset1:102
	s_waitcnt lgkmcnt(1)
	v_fma_f64 v[2:3], v[121:122], v[2:3], v[119:120]
	scratch_load_b128 v[119:122], off, off offset:416
	s_waitcnt vmcnt(3)
	v_fma_f64 v[2:3], v[123:124], v[4:5], v[2:3]
	s_waitcnt lgkmcnt(0)
	s_delay_alu instid0(VALU_DEP_1)
	v_fma_f64 v[123:124], v[125:126], v[135:136], v[2:3]
	scratch_load_b128 v[2:5], off, off offset:432
	s_waitcnt vmcnt(3)
	v_fma_f64 v[127:128], v[127:128], v[137:138], v[123:124]
	ds_load_2addr_b64 v[123:126], v118 offset0:103 offset1:104
	s_waitcnt lgkmcnt(0)
	v_fma_f64 v[123:124], v[129:130], v[123:124], v[127:128]
	s_waitcnt vmcnt(2)
	s_delay_alu instid0(VALU_DEP_1) | instskip(SKIP_3) | instid1(VALU_DEP_1)
	v_fma_f64 v[127:128], v[131:132], v[125:126], v[123:124]
	ds_load_2addr_b64 v[123:126], v118 offset0:105 offset1:106
	s_waitcnt lgkmcnt(0)
	v_fma_f64 v[123:124], v[133:134], v[123:124], v[127:128]
	v_fma_f64 v[127:128], v[139:140], v[125:126], v[123:124]
	ds_load_2addr_b64 v[123:126], v118 offset0:107 offset1:108
	s_waitcnt lgkmcnt(0)
	v_fma_f64 v[123:124], v[141:142], v[123:124], v[127:128]
	s_waitcnt vmcnt(1)
	s_delay_alu instid0(VALU_DEP_1)
	v_fma_f64 v[119:120], v[119:120], v[125:126], v[123:124]
	ds_load_2addr_b64 v[123:126], v118 offset0:109 offset1:110
	s_waitcnt lgkmcnt(0)
	v_fma_f64 v[119:120], v[121:122], v[123:124], v[119:120]
	ds_load_b64 v[121:122], v118 offset:888
	s_waitcnt vmcnt(0)
	v_fma_f64 v[119:120], v[2:3], v[125:126], v[119:120]
	s_waitcnt lgkmcnt(0)
	s_delay_alu instid0(VALU_DEP_1) | instskip(NEXT) | instid1(VALU_DEP_1)
	v_fma_f64 v[4:5], v[4:5], v[121:122], v[119:120]
	v_add_f64 v[0:1], v[0:1], -v[4:5]
	scratch_store_b64 off, v[0:1], off
	s_cbranch_vccz .LBB119_457
; %bb.346:
	v_dual_mov_b32 v0, s2 :: v_dual_mov_b32 v1, s3
	s_mov_b32 s0, exec_lo
	flat_load_b32 v0, v[0:1] offset:216
	s_waitcnt vmcnt(0) lgkmcnt(0)
	v_cmpx_ne_u32_e32 55, v0
	s_cbranch_execz .LBB119_348
; %bb.347:
	v_lshl_add_u32 v4, v0, 3, 0
	scratch_load_b64 v[0:1], v4, off offset:-8
	s_waitcnt vmcnt(0)
	scratch_store_b64 off, v[0:1], off offset:432
	scratch_store_b64 v4, v[2:3], off offset:-8
.LBB119_348:
	s_or_b32 exec_lo, exec_lo, s0
	v_dual_mov_b32 v0, s2 :: v_dual_mov_b32 v1, s3
	s_mov_b32 s0, exec_lo
	flat_load_b32 v0, v[0:1] offset:212
	s_waitcnt vmcnt(0) lgkmcnt(0)
	v_cmpx_ne_u32_e32 54, v0
	s_cbranch_execz .LBB119_350
; %bb.349:
	v_lshl_add_u32 v4, v0, 3, 0
	scratch_load_b64 v[0:1], v4, off offset:-8
	scratch_load_b64 v[2:3], off, off offset:424
	s_waitcnt vmcnt(1)
	scratch_store_b64 off, v[0:1], off offset:424
	s_waitcnt vmcnt(0)
	scratch_store_b64 v4, v[2:3], off offset:-8
.LBB119_350:
	s_or_b32 exec_lo, exec_lo, s0
	v_dual_mov_b32 v0, s2 :: v_dual_mov_b32 v1, s3
	s_mov_b32 s0, exec_lo
	flat_load_b32 v0, v[0:1] offset:208
	s_waitcnt vmcnt(0) lgkmcnt(0)
	v_cmpx_ne_u32_e32 53, v0
	s_cbranch_execz .LBB119_352
; %bb.351:
	v_lshl_add_u32 v4, v0, 3, 0
	scratch_load_b64 v[0:1], v4, off offset:-8
	scratch_load_b64 v[2:3], off, off offset:416
	s_waitcnt vmcnt(1)
	scratch_store_b64 off, v[0:1], off offset:416
	s_waitcnt vmcnt(0)
	scratch_store_b64 v4, v[2:3], off offset:-8
.LBB119_352:
	;; [unrolled: 16-line block ×53, first 2 shown]
	s_or_b32 exec_lo, exec_lo, s0
	v_dual_mov_b32 v0, s2 :: v_dual_mov_b32 v1, s3
	s_mov_b32 s0, exec_lo
	flat_load_b32 v2, v[0:1]
	scratch_load_b64 v[0:1], off, off
	s_waitcnt vmcnt(1) lgkmcnt(0)
	v_cmpx_ne_u32_e32 1, v2
	s_cbranch_execz .LBB119_456
; %bb.455:
	v_lshl_add_u32 v4, v2, 3, 0
	scratch_load_b64 v[2:3], v4, off offset:-8
	s_waitcnt vmcnt(0)
	scratch_store_b64 off, v[2:3], off
	scratch_store_b64 v4, v[0:1], off offset:-8
	scratch_load_b64 v[0:1], off, off
.LBB119_456:
	s_or_b32 exec_lo, exec_lo, s0
.LBB119_457:
	s_clause 0x5
	scratch_load_b128 v[2:5], off, off offset:8
	scratch_load_b128 v[118:121], off, off offset:24
	scratch_load_b128 v[122:125], off, off offset:40
	scratch_load_b128 v[126:129], off, off offset:56
	scratch_load_b128 v[130:133], off, off offset:72
	scratch_load_b128 v[134:137], off, off offset:88
	s_waitcnt vmcnt(6)
	global_store_b64 v[36:37], v[0:1], off
	s_clause 0x2
	scratch_load_b128 v[138:141], off, off offset:104
	scratch_load_b128 v[142:145], off, off offset:136
	;; [unrolled: 1-line block ×3, first 2 shown]
	s_waitcnt vmcnt(8)
	global_store_b64 v[22:23], v[2:3], off
	scratch_load_b128 v[0:3], off, off offset:120
	global_store_b64 v[16:17], v[4:5], off
	s_waitcnt vmcnt(8)
	s_clause 0x1
	global_store_b64 v[8:9], v[118:119], off
	global_store_b64 v[50:51], v[120:121], off
	s_waitcnt vmcnt(7)
	s_clause 0x1
	global_store_b64 v[48:49], v[122:123], off
	;; [unrolled: 4-line block ×6, first 2 shown]
	global_store_b64 v[10:11], v[140:141], off
	s_clause 0xb
	scratch_load_b128 v[118:121], off, off offset:168
	scratch_load_b128 v[48:51], off, off offset:184
	;; [unrolled: 1-line block ×12, first 2 shown]
	s_waitcnt vmcnt(12)
	global_store_b64 v[14:15], v[0:1], off
	scratch_load_b128 v[12:15], off, off offset:344
	s_clause 0x4
	global_store_b64 v[18:19], v[2:3], off
	global_store_b64 v[28:29], v[142:143], off
	;; [unrolled: 1-line block ×5, first 2 shown]
	s_clause 0x4
	scratch_load_b128 v[0:3], off, off offset:360
	scratch_load_b128 v[16:19], off, off offset:376
	;; [unrolled: 1-line block ×4, first 2 shown]
	scratch_load_b64 v[4:5], off, off offset:440
	s_waitcnt vmcnt(17)
	s_clause 0x1
	global_store_b64 v[40:41], v[118:119], off
	global_store_b64 v[52:53], v[120:121], off
	s_waitcnt vmcnt(16)
	s_clause 0x1
	global_store_b64 v[54:55], v[48:49], off
	global_store_b64 v[56:57], v[50:51], off
	;; [unrolled: 4-line block ×15, first 2 shown]
	global_store_b64 v[110:111], v[138:139], off
	global_store_b64 v[112:113], v[140:141], off
	s_waitcnt vmcnt(1)
	s_clause 0x1
	global_store_b64 v[114:115], v[142:143], off
	global_store_b64 v[116:117], v[144:145], off
	s_waitcnt vmcnt(0)
	global_store_b64 v[6:7], v[4:5], off
	s_endpgm
	.section	.rodata,"a",@progbits
	.p2align	6, 0x0
	.amdhsa_kernel _ZN9rocsolver6v33100L18getri_kernel_smallILi56EdPKPdEEvT1_iilPiilS6_bb
		.amdhsa_group_segment_fixed_size 904
		.amdhsa_private_segment_fixed_size 464
		.amdhsa_kernarg_size 60
		.amdhsa_user_sgpr_count 15
		.amdhsa_user_sgpr_dispatch_ptr 0
		.amdhsa_user_sgpr_queue_ptr 0
		.amdhsa_user_sgpr_kernarg_segment_ptr 1
		.amdhsa_user_sgpr_dispatch_id 0
		.amdhsa_user_sgpr_private_segment_size 0
		.amdhsa_wavefront_size32 1
		.amdhsa_uses_dynamic_stack 0
		.amdhsa_enable_private_segment 1
		.amdhsa_system_sgpr_workgroup_id_x 1
		.amdhsa_system_sgpr_workgroup_id_y 0
		.amdhsa_system_sgpr_workgroup_id_z 0
		.amdhsa_system_sgpr_workgroup_info 0
		.amdhsa_system_vgpr_workitem_id 0
		.amdhsa_next_free_vgpr 150
		.amdhsa_next_free_sgpr 17
		.amdhsa_reserve_vcc 1
		.amdhsa_float_round_mode_32 0
		.amdhsa_float_round_mode_16_64 0
		.amdhsa_float_denorm_mode_32 3
		.amdhsa_float_denorm_mode_16_64 3
		.amdhsa_dx10_clamp 1
		.amdhsa_ieee_mode 1
		.amdhsa_fp16_overflow 0
		.amdhsa_workgroup_processor_mode 1
		.amdhsa_memory_ordered 1
		.amdhsa_forward_progress 0
		.amdhsa_shared_vgpr_count 0
		.amdhsa_exception_fp_ieee_invalid_op 0
		.amdhsa_exception_fp_denorm_src 0
		.amdhsa_exception_fp_ieee_div_zero 0
		.amdhsa_exception_fp_ieee_overflow 0
		.amdhsa_exception_fp_ieee_underflow 0
		.amdhsa_exception_fp_ieee_inexact 0
		.amdhsa_exception_int_div_zero 0
	.end_amdhsa_kernel
	.section	.text._ZN9rocsolver6v33100L18getri_kernel_smallILi56EdPKPdEEvT1_iilPiilS6_bb,"axG",@progbits,_ZN9rocsolver6v33100L18getri_kernel_smallILi56EdPKPdEEvT1_iilPiilS6_bb,comdat
.Lfunc_end119:
	.size	_ZN9rocsolver6v33100L18getri_kernel_smallILi56EdPKPdEEvT1_iilPiilS6_bb, .Lfunc_end119-_ZN9rocsolver6v33100L18getri_kernel_smallILi56EdPKPdEEvT1_iilPiilS6_bb
                                        ; -- End function
	.section	.AMDGPU.csdata,"",@progbits
; Kernel info:
; codeLenInByte = 57028
; NumSgprs: 19
; NumVgprs: 150
; ScratchSize: 464
; MemoryBound: 0
; FloatMode: 240
; IeeeMode: 1
; LDSByteSize: 904 bytes/workgroup (compile time only)
; SGPRBlocks: 2
; VGPRBlocks: 18
; NumSGPRsForWavesPerEU: 19
; NumVGPRsForWavesPerEU: 150
; Occupancy: 9
; WaveLimiterHint : 1
; COMPUTE_PGM_RSRC2:SCRATCH_EN: 1
; COMPUTE_PGM_RSRC2:USER_SGPR: 15
; COMPUTE_PGM_RSRC2:TRAP_HANDLER: 0
; COMPUTE_PGM_RSRC2:TGID_X_EN: 1
; COMPUTE_PGM_RSRC2:TGID_Y_EN: 0
; COMPUTE_PGM_RSRC2:TGID_Z_EN: 0
; COMPUTE_PGM_RSRC2:TIDIG_COMP_CNT: 0
	.section	.text._ZN9rocsolver6v33100L18getri_kernel_smallILi57EdPKPdEEvT1_iilPiilS6_bb,"axG",@progbits,_ZN9rocsolver6v33100L18getri_kernel_smallILi57EdPKPdEEvT1_iilPiilS6_bb,comdat
	.globl	_ZN9rocsolver6v33100L18getri_kernel_smallILi57EdPKPdEEvT1_iilPiilS6_bb ; -- Begin function _ZN9rocsolver6v33100L18getri_kernel_smallILi57EdPKPdEEvT1_iilPiilS6_bb
	.p2align	8
	.type	_ZN9rocsolver6v33100L18getri_kernel_smallILi57EdPKPdEEvT1_iilPiilS6_bb,@function
_ZN9rocsolver6v33100L18getri_kernel_smallILi57EdPKPdEEvT1_iilPiilS6_bb: ; @_ZN9rocsolver6v33100L18getri_kernel_smallILi57EdPKPdEEvT1_iilPiilS6_bb
; %bb.0:
	s_mov_b32 s2, exec_lo
	v_cmpx_gt_u32_e32 57, v0
	s_cbranch_execz .LBB120_238
; %bb.1:
	s_clause 0x1
	s_load_b32 s13, s[0:1], 0x38
	s_load_b64 s[2:3], s[0:1], 0x0
	s_mov_b32 s8, s15
	s_load_b128 s[4:7], s[0:1], 0x28
	s_waitcnt lgkmcnt(0)
	s_bitcmp1_b32 s13, 8
	s_cselect_b32 s12, -1, 0
	s_ashr_i32 s9, s15, 31
	s_delay_alu instid0(SALU_CYCLE_1) | instskip(NEXT) | instid1(SALU_CYCLE_1)
	s_lshl_b64 s[10:11], s[8:9], 3
	s_add_u32 s2, s2, s10
	s_addc_u32 s3, s3, s11
	s_load_b64 s[10:11], s[2:3], 0x0
	s_bfe_u32 s2, s13, 0x10008
	s_delay_alu instid0(SALU_CYCLE_1)
	s_cmp_eq_u32 s2, 0
                                        ; implicit-def: $sgpr2_sgpr3
	s_cbranch_scc1 .LBB120_3
; %bb.2:
	s_clause 0x1
	s_load_b32 s2, s[0:1], 0x20
	s_load_b64 s[14:15], s[0:1], 0x18
	s_mul_i32 s3, s8, s5
	s_mul_hi_u32 s5, s8, s4
	s_mul_i32 s16, s9, s4
	s_add_i32 s3, s5, s3
	s_mul_i32 s4, s8, s4
	s_add_i32 s5, s3, s16
	s_delay_alu instid0(SALU_CYCLE_1)
	s_lshl_b64 s[4:5], s[4:5], 2
	s_waitcnt lgkmcnt(0)
	s_ashr_i32 s3, s2, 31
	s_add_u32 s4, s14, s4
	s_addc_u32 s5, s15, s5
	s_lshl_b64 s[2:3], s[2:3], 2
	s_delay_alu instid0(SALU_CYCLE_1)
	s_add_u32 s2, s4, s2
	s_addc_u32 s3, s5, s3
.LBB120_3:
	s_load_b64 s[0:1], s[0:1], 0x8
	v_lshlrev_b32_e32 v145, 3, v0
	s_waitcnt lgkmcnt(0)
	v_add3_u32 v3, s1, s1, v0
	s_ashr_i32 s5, s0, 31
	s_mov_b32 s4, s0
	s_mov_b32 s14, s1
	s_lshl_b64 s[4:5], s[4:5], 3
	v_add_nc_u32_e32 v5, s1, v3
	v_ashrrev_i32_e32 v4, 31, v3
	s_add_u32 s4, s10, s4
	s_addc_u32 s5, s11, s5
	v_add_co_u32 v37, s0, s4, v145
	v_add_nc_u32_e32 v7, s1, v5
	s_ashr_i32 s15, s1, 31
	v_add_co_ci_u32_e64 v38, null, s5, 0, s0
	v_lshlrev_b64 v[3:4], 3, v[3:4]
	s_lshl_b64 s[10:11], s[14:15], 3
	v_add_nc_u32_e32 v9, s1, v7
	v_add_co_u32 v39, vcc_lo, v37, s10
	v_ashrrev_i32_e32 v6, 31, v5
	v_add_co_ci_u32_e32 v40, vcc_lo, s11, v38, vcc_lo
	v_add_co_u32 v41, vcc_lo, s4, v3
	v_add_nc_u32_e32 v3, s1, v9
	v_ashrrev_i32_e32 v8, 31, v7
	v_lshlrev_b64 v[5:6], 3, v[5:6]
	v_ashrrev_i32_e32 v10, 31, v9
	v_add_co_ci_u32_e32 v42, vcc_lo, s5, v4, vcc_lo
	v_add_nc_u32_e32 v13, s1, v3
	v_lshlrev_b64 v[7:8], 3, v[7:8]
	v_add_co_u32 v43, vcc_lo, s4, v5
	v_ashrrev_i32_e32 v4, 31, v3
	s_delay_alu instid0(VALU_DEP_4)
	v_add_nc_u32_e32 v15, s1, v13
	v_add_co_ci_u32_e32 v44, vcc_lo, s5, v6, vcc_lo
	v_lshlrev_b64 v[5:6], 3, v[9:10]
	v_add_co_u32 v45, vcc_lo, s4, v7
	v_ashrrev_i32_e32 v14, 31, v13
	v_add_co_ci_u32_e32 v46, vcc_lo, s5, v8, vcc_lo
	v_lshlrev_b64 v[7:8], 3, v[3:4]
	v_add_nc_u32_e32 v17, s1, v15
	v_add_co_u32 v47, vcc_lo, s4, v5
	v_lshlrev_b64 v[13:14], 3, v[13:14]
	v_ashrrev_i32_e32 v16, 31, v15
	v_add_co_ci_u32_e32 v48, vcc_lo, s5, v6, vcc_lo
	v_add_co_u32 v49, vcc_lo, s4, v7
	v_ashrrev_i32_e32 v18, 31, v17
	v_add_co_ci_u32_e32 v50, vcc_lo, s5, v8, vcc_lo
	v_lshlrev_b64 v[7:8], 3, v[15:16]
	v_add_co_u32 v51, vcc_lo, s4, v13
	global_load_b64 v[1:2], v145, s[4:5]
	v_add_co_ci_u32_e32 v52, vcc_lo, s5, v14, vcc_lo
	v_lshlrev_b64 v[13:14], 3, v[17:18]
	s_clause 0x3
	global_load_b64 v[3:4], v[39:40], off
	global_load_b64 v[9:10], v[41:42], off
	;; [unrolled: 1-line block ×4, first 2 shown]
	v_add_co_u32 v53, vcc_lo, s4, v7
	v_add_co_ci_u32_e32 v54, vcc_lo, s5, v8, vcc_lo
	v_add_co_u32 v55, vcc_lo, s4, v13
	v_add_co_ci_u32_e32 v56, vcc_lo, s5, v14, vcc_lo
	s_clause 0x4
	global_load_b64 v[7:8], v[47:48], off
	global_load_b64 v[133:134], v[49:50], off
	;; [unrolled: 1-line block ×5, first 2 shown]
	v_add_nc_u32_e32 v15, s1, v17
	s_bitcmp0_b32 s13, 0
	s_delay_alu instid0(VALU_DEP_1) | instskip(SKIP_1) | instid1(VALU_DEP_2)
	v_add_nc_u32_e32 v13, s1, v15
	v_ashrrev_i32_e32 v16, 31, v15
	v_add_nc_u32_e32 v17, s1, v13
	v_ashrrev_i32_e32 v14, 31, v13
	s_delay_alu instid0(VALU_DEP_3) | instskip(NEXT) | instid1(VALU_DEP_3)
	v_lshlrev_b64 v[15:16], 3, v[15:16]
	v_ashrrev_i32_e32 v18, 31, v17
	v_add_nc_u32_e32 v19, s1, v17
	s_delay_alu instid0(VALU_DEP_4) | instskip(NEXT) | instid1(VALU_DEP_4)
	v_lshlrev_b64 v[13:14], 3, v[13:14]
	v_add_co_u32 v85, vcc_lo, s4, v15
	v_add_co_ci_u32_e32 v86, vcc_lo, s5, v16, vcc_lo
	v_lshlrev_b64 v[15:16], 3, v[17:18]
	v_ashrrev_i32_e32 v20, 31, v19
	v_add_nc_u32_e32 v17, s1, v19
	v_add_co_u32 v81, vcc_lo, s4, v13
	v_add_co_ci_u32_e32 v82, vcc_lo, s5, v14, vcc_lo
	s_delay_alu instid0(VALU_DEP_4) | instskip(NEXT) | instid1(VALU_DEP_4)
	v_lshlrev_b64 v[13:14], 3, v[19:20]
	v_add_nc_u32_e32 v19, s1, v17
	v_ashrrev_i32_e32 v18, 31, v17
	v_add_co_u32 v75, vcc_lo, s4, v15
	v_add_co_ci_u32_e32 v76, vcc_lo, s5, v16, vcc_lo
	s_delay_alu instid0(VALU_DEP_4) | instskip(NEXT) | instid1(VALU_DEP_4)
	v_add_nc_u32_e32 v23, s1, v19
	v_lshlrev_b64 v[21:22], 3, v[17:18]
	v_add_co_u32 v73, vcc_lo, s4, v13
	v_ashrrev_i32_e32 v20, 31, v19
	s_delay_alu instid0(VALU_DEP_4)
	v_ashrrev_i32_e32 v24, 31, v23
	v_add_nc_u32_e32 v25, s1, v23
	v_add_co_ci_u32_e32 v74, vcc_lo, s5, v14, vcc_lo
	v_add_co_u32 v69, vcc_lo, s4, v21
	v_add_co_ci_u32_e32 v70, vcc_lo, s5, v22, vcc_lo
	v_lshlrev_b64 v[21:22], 3, v[23:24]
	v_add_nc_u32_e32 v23, s1, v25
	v_lshlrev_b64 v[19:20], 3, v[19:20]
	v_ashrrev_i32_e32 v26, 31, v25
	s_clause 0x2
	global_load_b64 v[13:14], v[85:86], off
	global_load_b64 v[15:16], v[81:82], off
	;; [unrolled: 1-line block ×3, first 2 shown]
	v_add_nc_u32_e32 v27, s1, v23
	v_ashrrev_i32_e32 v24, 31, v23
	v_add_co_u32 v63, vcc_lo, s4, v19
	v_add_co_ci_u32_e32 v64, vcc_lo, s5, v20, vcc_lo
	v_lshlrev_b64 v[19:20], 3, v[25:26]
	v_add_nc_u32_e32 v31, s1, v27
	v_add_co_u32 v59, vcc_lo, s4, v21
	v_lshlrev_b64 v[29:30], 3, v[23:24]
	v_add_co_ci_u32_e32 v60, vcc_lo, s5, v22, vcc_lo
	v_add_co_u32 v57, vcc_lo, s4, v19
	v_ashrrev_i32_e32 v32, 31, v31
	v_add_nc_u32_e32 v33, s1, v31
	v_add_co_ci_u32_e32 v58, vcc_lo, s5, v20, vcc_lo
	v_add_co_u32 v61, vcc_lo, s4, v29
	v_add_co_ci_u32_e32 v62, vcc_lo, s5, v30, vcc_lo
	v_lshlrev_b64 v[29:30], 3, v[31:32]
	v_add_nc_u32_e32 v31, s1, v33
	v_ashrrev_i32_e32 v28, 31, v27
	v_ashrrev_i32_e32 v34, 31, v33
	s_clause 0x3
	global_load_b64 v[19:20], v[73:74], off
	global_load_b64 v[21:22], v[69:70], off
	;; [unrolled: 1-line block ×4, first 2 shown]
	v_add_nc_u32_e32 v35, s1, v31
	v_lshlrev_b64 v[27:28], 3, v[27:28]
	v_ashrrev_i32_e32 v32, 31, v31
	s_delay_alu instid0(VALU_DEP_3) | instskip(SKIP_1) | instid1(VALU_DEP_4)
	v_add_nc_u32_e32 v79, s1, v35
	v_ashrrev_i32_e32 v36, 31, v35
	v_add_co_u32 v65, vcc_lo, s4, v27
	v_add_co_ci_u32_e32 v66, vcc_lo, s5, v28, vcc_lo
	s_delay_alu instid0(VALU_DEP_4) | instskip(SKIP_3) | instid1(VALU_DEP_4)
	v_add_nc_u32_e32 v83, s1, v79
	v_lshlrev_b64 v[27:28], 3, v[33:34]
	v_add_co_u32 v67, vcc_lo, s4, v29
	v_lshlrev_b64 v[77:78], 3, v[31:32]
	v_add_nc_u32_e32 v89, s1, v83
	v_add_co_ci_u32_e32 v68, vcc_lo, s5, v30, vcc_lo
	v_add_co_u32 v71, vcc_lo, s4, v27
	s_delay_alu instid0(VALU_DEP_3) | instskip(SKIP_3) | instid1(VALU_DEP_4)
	v_add_nc_u32_e32 v91, s1, v89
	v_lshlrev_b64 v[35:36], 3, v[35:36]
	v_ashrrev_i32_e32 v80, 31, v79
	v_add_co_ci_u32_e32 v72, vcc_lo, s5, v28, vcc_lo
	v_add_nc_u32_e32 v93, s1, v91
	v_add_co_u32 v77, vcc_lo, s4, v77
	v_ashrrev_i32_e32 v84, 31, v83
	v_add_co_ci_u32_e32 v78, vcc_lo, s5, v78, vcc_lo
	s_delay_alu instid0(VALU_DEP_4) | instskip(SKIP_3) | instid1(VALU_DEP_4)
	v_add_nc_u32_e32 v95, s1, v93
	v_lshlrev_b64 v[87:88], 3, v[79:80]
	v_add_co_u32 v79, vcc_lo, s4, v35
	v_ashrrev_i32_e32 v90, 31, v89
	v_add_nc_u32_e32 v97, s1, v95
	v_add_co_ci_u32_e32 v80, vcc_lo, s5, v36, vcc_lo
	v_lshlrev_b64 v[35:36], 3, v[83:84]
	v_ashrrev_i32_e32 v92, 31, v91
	s_delay_alu instid0(VALU_DEP_4) | instskip(SKIP_3) | instid1(VALU_DEP_4)
	v_add_nc_u32_e32 v99, s1, v97
	v_add_co_u32 v83, vcc_lo, s4, v87
	v_lshlrev_b64 v[89:90], 3, v[89:90]
	v_ashrrev_i32_e32 v94, 31, v93
	v_add_nc_u32_e32 v101, s1, v99
	v_add_co_ci_u32_e32 v84, vcc_lo, s5, v88, vcc_lo
	v_add_co_u32 v87, vcc_lo, s4, v35
	s_delay_alu instid0(VALU_DEP_3) | instskip(SKIP_3) | instid1(VALU_DEP_4)
	v_add_nc_u32_e32 v103, s1, v101
	v_lshlrev_b64 v[91:92], 3, v[91:92]
	v_ashrrev_i32_e32 v96, 31, v95
	v_add_co_ci_u32_e32 v88, vcc_lo, s5, v36, vcc_lo
	v_add_nc_u32_e32 v105, s1, v103
	v_add_co_u32 v89, vcc_lo, s4, v89
	v_lshlrev_b64 v[93:94], 3, v[93:94]
	v_ashrrev_i32_e32 v98, 31, v97
	s_delay_alu instid0(VALU_DEP_4) | instskip(SKIP_2) | instid1(VALU_DEP_3)
	v_add_nc_u32_e32 v107, s1, v105
	v_add_co_ci_u32_e32 v90, vcc_lo, s5, v90, vcc_lo
	v_add_co_u32 v91, vcc_lo, s4, v91
	v_add_nc_u32_e32 v109, s1, v107
	v_lshlrev_b64 v[95:96], 3, v[95:96]
	v_ashrrev_i32_e32 v100, 31, v99
	v_add_co_ci_u32_e32 v92, vcc_lo, s5, v92, vcc_lo
	s_delay_alu instid0(VALU_DEP_4) | instskip(SKIP_3) | instid1(VALU_DEP_4)
	v_add_nc_u32_e32 v111, s1, v109
	v_add_co_u32 v93, vcc_lo, s4, v93
	v_lshlrev_b64 v[97:98], 3, v[97:98]
	v_ashrrev_i32_e32 v102, 31, v101
	v_add_nc_u32_e32 v113, s1, v111
	v_add_co_ci_u32_e32 v94, vcc_lo, s5, v94, vcc_lo
	v_add_co_u32 v95, vcc_lo, s4, v95
	s_delay_alu instid0(VALU_DEP_3) | instskip(SKIP_3) | instid1(VALU_DEP_4)
	v_add_nc_u32_e32 v115, s1, v113
	v_lshlrev_b64 v[99:100], 3, v[99:100]
	v_ashrrev_i32_e32 v104, 31, v103
	v_add_co_ci_u32_e32 v96, vcc_lo, s5, v96, vcc_lo
	v_add_nc_u32_e32 v117, s1, v115
	v_add_co_u32 v97, vcc_lo, s4, v97
	v_lshlrev_b64 v[101:102], 3, v[101:102]
	v_ashrrev_i32_e32 v106, 31, v105
	s_delay_alu instid0(VALU_DEP_4)
	v_add_nc_u32_e32 v119, s1, v117
	v_add_co_ci_u32_e32 v98, vcc_lo, s5, v98, vcc_lo
	v_add_co_u32 v99, vcc_lo, s4, v99
	v_lshlrev_b64 v[103:104], 3, v[103:104]
	v_ashrrev_i32_e32 v108, 31, v107
	v_add_co_ci_u32_e32 v100, vcc_lo, s5, v100, vcc_lo
	v_add_co_u32 v101, vcc_lo, s4, v101
	v_lshlrev_b64 v[105:106], 3, v[105:106]
	v_add_nc_u32_e32 v121, s1, v119
	v_ashrrev_i32_e32 v110, 31, v109
	v_add_co_ci_u32_e32 v102, vcc_lo, s5, v102, vcc_lo
	v_add_co_u32 v103, vcc_lo, s4, v103
	v_lshlrev_b64 v[107:108], 3, v[107:108]
	v_ashrrev_i32_e32 v112, 31, v111
	v_add_co_ci_u32_e32 v104, vcc_lo, s5, v104, vcc_lo
	v_add_nc_u32_e32 v123, s1, v121
	v_add_co_u32 v105, vcc_lo, s4, v105
	v_lshlrev_b64 v[109:110], 3, v[109:110]
	v_ashrrev_i32_e32 v114, 31, v113
	v_add_co_ci_u32_e32 v106, vcc_lo, s5, v106, vcc_lo
	v_add_co_u32 v107, vcc_lo, s4, v107
	v_lshlrev_b64 v[111:112], 3, v[111:112]
	v_ashrrev_i32_e32 v116, 31, v115
	v_add_nc_u32_e32 v125, s1, v123
	v_add_co_ci_u32_e32 v108, vcc_lo, s5, v108, vcc_lo
	v_add_co_u32 v109, vcc_lo, s4, v109
	v_lshlrev_b64 v[113:114], 3, v[113:114]
	v_ashrrev_i32_e32 v118, 31, v117
	v_add_co_ci_u32_e32 v110, vcc_lo, s5, v110, vcc_lo
	v_add_co_u32 v111, vcc_lo, s4, v111
	v_lshlrev_b64 v[115:116], 3, v[115:116]
	v_add_nc_u32_e32 v127, s1, v125
	v_ashrrev_i32_e32 v120, 31, v119
	v_add_co_ci_u32_e32 v112, vcc_lo, s5, v112, vcc_lo
	v_add_co_u32 v113, vcc_lo, s4, v113
	v_lshlrev_b64 v[117:118], 3, v[117:118]
	v_ashrrev_i32_e32 v122, 31, v121
	v_add_co_ci_u32_e32 v114, vcc_lo, s5, v114, vcc_lo
	v_add_nc_u32_e32 v129, s1, v127
	v_add_co_u32 v115, vcc_lo, s4, v115
	v_lshlrev_b64 v[119:120], 3, v[119:120]
	v_ashrrev_i32_e32 v124, 31, v123
	v_add_co_ci_u32_e32 v116, vcc_lo, s5, v116, vcc_lo
	v_add_co_u32 v117, vcc_lo, s4, v117
	v_lshlrev_b64 v[121:122], 3, v[121:122]
	v_ashrrev_i32_e32 v126, 31, v125
	v_add_nc_u32_e32 v131, s1, v129
	v_add_co_ci_u32_e32 v118, vcc_lo, s5, v118, vcc_lo
	v_add_co_u32 v119, vcc_lo, s4, v119
	v_lshlrev_b64 v[123:124], 3, v[123:124]
	v_ashrrev_i32_e32 v128, 31, v127
	v_add_co_ci_u32_e32 v120, vcc_lo, s5, v120, vcc_lo
	v_add_co_u32 v121, vcc_lo, s4, v121
	v_lshlrev_b64 v[125:126], 3, v[125:126]
	v_add_nc_u32_e32 v141, s1, v131
	v_ashrrev_i32_e32 v130, 31, v129
	v_add_co_ci_u32_e32 v122, vcc_lo, s5, v122, vcc_lo
	v_add_co_u32 v123, vcc_lo, s4, v123
	v_lshlrev_b64 v[127:128], 3, v[127:128]
	v_ashrrev_i32_e32 v132, 31, v131
	v_add_co_ci_u32_e32 v124, vcc_lo, s5, v124, vcc_lo
	v_add_nc_u32_e32 v143, s1, v141
	v_add_co_u32 v125, vcc_lo, s4, v125
	v_lshlrev_b64 v[129:130], 3, v[129:130]
	v_ashrrev_i32_e32 v142, 31, v141
	v_add_co_ci_u32_e32 v126, vcc_lo, s5, v126, vcc_lo
	v_add_co_u32 v127, vcc_lo, s4, v127
	v_lshlrev_b64 v[131:132], 3, v[131:132]
	v_ashrrev_i32_e32 v144, 31, v143
	v_add_co_ci_u32_e32 v128, vcc_lo, s5, v128, vcc_lo
	v_add_nc_u32_e32 v162, s1, v143
	v_add_co_u32 v129, vcc_lo, s4, v129
	v_lshlrev_b64 v[141:142], 3, v[141:142]
	v_add_co_ci_u32_e32 v130, vcc_lo, s5, v130, vcc_lo
	v_add_co_u32 v131, vcc_lo, s4, v131
	v_lshlrev_b64 v[143:144], 3, v[143:144]
	v_add_nc_u32_e32 v164, s1, v162
	s_clause 0xb
	global_load_b64 v[27:28], v[57:58], off
	global_load_b64 v[29:30], v[61:62], off
	;; [unrolled: 1-line block ×12, first 2 shown]
	v_add_co_ci_u32_e32 v132, vcc_lo, s5, v132, vcc_lo
	v_ashrrev_i32_e32 v163, 31, v162
	v_ashrrev_i32_e32 v165, 31, v164
	s_waitcnt vmcnt(27)
	scratch_store_b128 off, v[1:4], off
	s_clause 0x2
	global_load_b64 v[160:161], v[95:96], off
	global_load_b64 v[1:2], v[97:98], off
	;; [unrolled: 1-line block ×3, first 2 shown]
	s_waitcnt vmcnt(28)
	scratch_store_b128 off, v[9:12], off offset:16
	v_add_co_u32 v9, vcc_lo, s4, v141
	v_add_co_ci_u32_e32 v10, vcc_lo, s5, v142, vcc_lo
	v_add_co_u32 v11, vcc_lo, s4, v143
	v_add_nc_u32_e32 v143, s1, v164
	s_waitcnt vmcnt(26)
	scratch_store_b128 off, v[5:8], off offset:32
	s_waitcnt vmcnt(24)
	scratch_store_b128 off, v[133:136], off offset:48
	;; [unrolled: 2-line block ×3, first 2 shown]
	v_lshlrev_b64 v[141:142], 3, v[162:163]
	v_add_nc_u32_e32 v135, s1, v143
	v_add_co_ci_u32_e32 v12, vcc_lo, s5, v144, vcc_lo
	v_ashrrev_i32_e32 v144, 31, v143
	v_lshlrev_b64 v[133:134], 3, v[164:165]
	s_delay_alu instid0(VALU_DEP_4) | instskip(SKIP_3) | instid1(VALU_DEP_4)
	v_add_nc_u32_e32 v139, s1, v135
	v_ashrrev_i32_e32 v136, 31, v135
	v_add_co_u32 v6, vcc_lo, s4, v141
	v_lshlrev_b64 v[137:138], 3, v[143:144]
	v_add_nc_u32_e32 v143, s1, v139
	v_add_co_ci_u32_e32 v7, vcc_lo, s5, v142, vcc_lo
	v_add_co_u32 v133, vcc_lo, s4, v133
	v_lshlrev_b64 v[141:142], 3, v[135:136]
	v_ashrrev_i32_e32 v140, 31, v139
	v_add_nc_u32_e32 v162, s1, v143
	v_add_co_ci_u32_e32 v134, vcc_lo, s5, v134, vcc_lo
	v_add_co_u32 v135, vcc_lo, s4, v137
	v_ashrrev_i32_e32 v144, 31, v143
	v_add_co_ci_u32_e32 v136, vcc_lo, s5, v138, vcc_lo
	v_lshlrev_b64 v[137:138], 3, v[139:140]
	v_add_co_u32 v139, vcc_lo, s4, v141
	v_ashrrev_i32_e32 v163, 31, v162
	v_add_co_ci_u32_e32 v140, vcc_lo, s5, v142, vcc_lo
	v_lshlrev_b64 v[141:142], 3, v[143:144]
	v_add_co_u32 v143, vcc_lo, s4, v137
	s_delay_alu instid0(VALU_DEP_4) | instskip(SKIP_1) | instid1(VALU_DEP_4)
	v_lshlrev_b64 v[162:163], 3, v[162:163]
	v_add_co_ci_u32_e32 v144, vcc_lo, s5, v138, vcc_lo
	v_add_co_u32 v137, vcc_lo, s4, v141
	v_add_co_ci_u32_e32 v138, vcc_lo, s5, v142, vcc_lo
	s_delay_alu instid0(VALU_DEP_4)
	v_add_co_u32 v141, vcc_lo, s4, v162
	v_add_co_ci_u32_e32 v142, vcc_lo, s5, v163, vcc_lo
	s_clause 0x1
	global_load_b64 v[162:163], v[101:102], off
	global_load_b64 v[164:165], v[103:104], off
	s_waitcnt vmcnt(22)
	scratch_store_b128 off, v[13:16], off offset:80
	s_waitcnt vmcnt(20)
	scratch_store_b128 off, v[17:20], off offset:96
	s_clause 0x2
	global_load_b64 v[13:14], v[105:106], off
	global_load_b64 v[15:16], v[107:108], off
	global_load_b64 v[17:18], v[109:110], off
	s_waitcnt vmcnt(21)
	scratch_store_b128 off, v[21:24], off offset:112
	s_waitcnt vmcnt(19)
	scratch_store_b128 off, v[25:28], off offset:128
	s_clause 0x3
	global_load_b64 v[19:20], v[111:112], off
	global_load_b64 v[21:22], v[113:114], off
	global_load_b64 v[23:24], v[115:116], off
	global_load_b64 v[25:26], v[117:118], off
	s_waitcnt vmcnt(21)
	scratch_store_b128 off, v[29:32], off offset:144
	s_waitcnt vmcnt(19)
	scratch_store_b128 off, v[33:36], off offset:160
	s_clause 0x3
	global_load_b64 v[27:28], v[119:120], off
	;; [unrolled: 9-line block ×4, first 2 shown]
	global_load_b64 v[154:155], v[6:7], off
	global_load_b64 v[156:157], v[133:134], off
	;; [unrolled: 1-line block ×3, first 2 shown]
	s_waitcnt vmcnt(21)
	scratch_store_b128 off, v[1:4], off offset:240
	s_clause 0x2
	global_load_b64 v[160:161], v[139:140], off
	global_load_b64 v[1:2], v[143:144], off
	;; [unrolled: 1-line block ×3, first 2 shown]
	s_mov_b32 s1, -1
	s_waitcnt vmcnt(22)
	scratch_store_b128 off, v[162:165], off offset:256
	global_load_b64 v[162:163], v[141:142], off
	s_waitcnt vmcnt(21)
	scratch_store_b128 off, v[13:16], off offset:272
	s_waitcnt vmcnt(19)
	scratch_store_b128 off, v[17:20], off offset:288
	;; [unrolled: 2-line block ×11, first 2 shown]
	s_waitcnt vmcnt(0)
	scratch_store_b64 off, v[162:163], off offset:448
	s_cbranch_scc1 .LBB120_236
; %bb.4:
	v_cmp_eq_u32_e64 s0, 0, v0
	s_delay_alu instid0(VALU_DEP_1)
	s_and_saveexec_b32 s1, s0
	s_cbranch_execz .LBB120_6
; %bb.5:
	v_mov_b32_e32 v1, 0
	ds_store_b32 v1, v1 offset:456
.LBB120_6:
	s_or_b32 exec_lo, exec_lo, s1
	s_waitcnt lgkmcnt(0)
	s_waitcnt_vscnt null, 0x0
	s_barrier
	buffer_gl0_inv
	scratch_load_b64 v[1:2], v145, off
	s_mov_b32 s4, exec_lo
	s_waitcnt vmcnt(0)
	v_cmpx_eq_f64_e32 0, v[1:2]
	s_cbranch_execz .LBB120_10
; %bb.7:
	v_mov_b32_e32 v1, 0
	s_mov_b32 s5, 0
	ds_load_b32 v2, v1 offset:456
	s_waitcnt lgkmcnt(0)
	v_readfirstlane_b32 s1, v2
	v_add_nc_u32_e32 v2, 1, v0
	s_delay_alu instid0(VALU_DEP_2) | instskip(NEXT) | instid1(VALU_DEP_1)
	s_cmp_eq_u32 s1, 0
	v_cmp_gt_i32_e32 vcc_lo, s1, v2
	s_cselect_b32 s10, -1, 0
	s_delay_alu instid0(SALU_CYCLE_1) | instskip(NEXT) | instid1(SALU_CYCLE_1)
	s_or_b32 s10, s10, vcc_lo
	s_and_b32 exec_lo, exec_lo, s10
	s_cbranch_execz .LBB120_10
; %bb.8:
	v_mov_b32_e32 v3, s1
.LBB120_9:                              ; =>This Inner Loop Header: Depth=1
	ds_cmpstore_rtn_b32 v3, v1, v2, v3 offset:456
	s_waitcnt lgkmcnt(0)
	v_cmp_ne_u32_e32 vcc_lo, 0, v3
	v_cmp_le_i32_e64 s1, v3, v2
	s_delay_alu instid0(VALU_DEP_1) | instskip(NEXT) | instid1(SALU_CYCLE_1)
	s_and_b32 s1, vcc_lo, s1
	s_and_b32 s1, exec_lo, s1
	s_delay_alu instid0(SALU_CYCLE_1) | instskip(NEXT) | instid1(SALU_CYCLE_1)
	s_or_b32 s5, s1, s5
	s_and_not1_b32 exec_lo, exec_lo, s5
	s_cbranch_execnz .LBB120_9
.LBB120_10:
	s_or_b32 exec_lo, exec_lo, s4
	v_mov_b32_e32 v1, 0
	s_barrier
	buffer_gl0_inv
	ds_load_b32 v2, v1 offset:456
	s_and_saveexec_b32 s1, s0
	s_cbranch_execz .LBB120_12
; %bb.11:
	s_lshl_b64 s[4:5], s[8:9], 2
	s_delay_alu instid0(SALU_CYCLE_1)
	s_add_u32 s4, s6, s4
	s_addc_u32 s5, s7, s5
	s_waitcnt lgkmcnt(0)
	global_store_b32 v1, v2, s[4:5]
.LBB120_12:
	s_or_b32 exec_lo, exec_lo, s1
	s_waitcnt lgkmcnt(0)
	v_cmp_ne_u32_e32 vcc_lo, 0, v2
	s_mov_b32 s1, 0
	s_cbranch_vccnz .LBB120_236
; %bb.13:
	v_add_nc_u32_e32 v3, 0, v145
	scratch_load_b64 v[1:2], v3, off
	s_waitcnt vmcnt(0)
	v_div_scale_f64 v[4:5], null, v[1:2], v[1:2], 1.0
	v_div_scale_f64 v[17:18], vcc_lo, 1.0, v[1:2], 1.0
	s_delay_alu instid0(VALU_DEP_2) | instskip(SKIP_2) | instid1(VALU_DEP_1)
	v_rcp_f64_e32 v[13:14], v[4:5]
	s_waitcnt_depctr 0xfff
	v_fma_f64 v[15:16], -v[4:5], v[13:14], 1.0
	v_fma_f64 v[13:14], v[13:14], v[15:16], v[13:14]
	s_delay_alu instid0(VALU_DEP_1) | instskip(NEXT) | instid1(VALU_DEP_1)
	v_fma_f64 v[15:16], -v[4:5], v[13:14], 1.0
	v_fma_f64 v[13:14], v[13:14], v[15:16], v[13:14]
	s_delay_alu instid0(VALU_DEP_1) | instskip(NEXT) | instid1(VALU_DEP_1)
	v_mul_f64 v[15:16], v[17:18], v[13:14]
	v_fma_f64 v[4:5], -v[4:5], v[15:16], v[17:18]
	s_delay_alu instid0(VALU_DEP_1) | instskip(NEXT) | instid1(VALU_DEP_1)
	v_div_fmas_f64 v[4:5], v[4:5], v[13:14], v[15:16]
	v_div_fixup_f64 v[1:2], v[4:5], v[1:2], 1.0
	v_add_nc_u32_e32 v4, 0x1d0, v145
	scratch_store_b64 v3, v[1:2], off
	scratch_load_b64 v[13:14], off, off offset:8
	v_xor_b32_e32 v2, 0x80000000, v2
	s_waitcnt vmcnt(0)
	ds_store_2addr_b64 v145, v[1:2], v[13:14] offset1:58
	s_waitcnt lgkmcnt(0)
	s_waitcnt_vscnt null, 0x0
	s_barrier
	buffer_gl0_inv
	s_and_saveexec_b32 s1, s0
	s_cbranch_execz .LBB120_15
; %bb.14:
	scratch_load_b64 v[1:2], v3, off
	ds_load_b64 v[13:14], v4
	v_mov_b32_e32 v5, 0
	s_waitcnt vmcnt(0) lgkmcnt(0)
	v_fma_f64 v[1:2], v[1:2], v[13:14], 0
	ds_load_b64 v[13:14], v5 offset:8
	s_waitcnt lgkmcnt(0)
	v_mul_f64 v[1:2], v[1:2], v[13:14]
	scratch_store_b64 off, v[1:2], off offset:8
.LBB120_15:
	s_or_b32 exec_lo, exec_lo, s1
	s_waitcnt_vscnt null, 0x0
	s_barrier
	buffer_gl0_inv
	scratch_load_b64 v[1:2], off, off offset:16
	s_mov_b32 s1, exec_lo
	s_waitcnt vmcnt(0)
	ds_store_b64 v4, v[1:2]
	s_waitcnt lgkmcnt(0)
	s_barrier
	buffer_gl0_inv
	v_cmpx_gt_u32_e32 2, v0
	s_cbranch_execz .LBB120_19
; %bb.16:
	scratch_load_b64 v[1:2], v3, off
	ds_load_b64 v[13:14], v4
	s_waitcnt vmcnt(0) lgkmcnt(0)
	v_fma_f64 v[1:2], v[1:2], v[13:14], 0
	s_and_saveexec_b32 s4, s0
	s_cbranch_execz .LBB120_18
; %bb.17:
	scratch_load_b64 v[13:14], off, off offset:8
	v_mov_b32_e32 v5, 0
	ds_load_b64 v[15:16], v5 offset:472
	s_waitcnt vmcnt(0) lgkmcnt(0)
	v_fma_f64 v[1:2], v[13:14], v[15:16], v[1:2]
.LBB120_18:
	s_or_b32 exec_lo, exec_lo, s4
	v_mov_b32_e32 v5, 0
	ds_load_b64 v[13:14], v5 offset:16
	s_waitcnt lgkmcnt(0)
	v_mul_f64 v[1:2], v[1:2], v[13:14]
	scratch_store_b64 off, v[1:2], off offset:16
.LBB120_19:
	s_or_b32 exec_lo, exec_lo, s1
	s_waitcnt_vscnt null, 0x0
	s_barrier
	buffer_gl0_inv
	scratch_load_b64 v[1:2], off, off offset:24
	v_add_nc_u32_e32 v5, -1, v0
	s_mov_b32 s0, exec_lo
	s_waitcnt vmcnt(0)
	ds_store_b64 v4, v[1:2]
	s_waitcnt lgkmcnt(0)
	s_barrier
	buffer_gl0_inv
	v_cmpx_gt_u32_e32 3, v0
	s_cbranch_execz .LBB120_23
; %bb.20:
	v_dual_mov_b32 v1, 0 :: v_dual_add_nc_u32 v8, -1, v0
	v_dual_mov_b32 v2, 0 :: v_dual_add_nc_u32 v13, 0x1d0, v145
	v_add_nc_u32_e32 v14, 0, v145
	s_mov_b32 s1, 0
.LBB120_21:                             ; =>This Inner Loop Header: Depth=1
	scratch_load_b64 v[15:16], v14, off
	ds_load_b64 v[17:18], v13
	v_add_nc_u32_e32 v8, 1, v8
	v_add_nc_u32_e32 v13, 8, v13
	v_add_nc_u32_e32 v14, 8, v14
	s_delay_alu instid0(VALU_DEP_3)
	v_cmp_lt_u32_e32 vcc_lo, 1, v8
	s_or_b32 s1, vcc_lo, s1
	s_waitcnt vmcnt(0) lgkmcnt(0)
	v_fma_f64 v[1:2], v[15:16], v[17:18], v[1:2]
	s_and_not1_b32 exec_lo, exec_lo, s1
	s_cbranch_execnz .LBB120_21
; %bb.22:
	s_or_b32 exec_lo, exec_lo, s1
	v_mov_b32_e32 v8, 0
	ds_load_b64 v[13:14], v8 offset:24
	s_waitcnt lgkmcnt(0)
	v_mul_f64 v[1:2], v[1:2], v[13:14]
	scratch_store_b64 off, v[1:2], off offset:24
.LBB120_23:
	s_or_b32 exec_lo, exec_lo, s0
	s_waitcnt_vscnt null, 0x0
	s_barrier
	buffer_gl0_inv
	scratch_load_b64 v[1:2], off, off offset:32
	s_mov_b32 s0, exec_lo
	s_waitcnt vmcnt(0)
	ds_store_b64 v4, v[1:2]
	s_waitcnt lgkmcnt(0)
	s_barrier
	buffer_gl0_inv
	v_cmpx_gt_u32_e32 4, v0
	s_cbranch_execz .LBB120_27
; %bb.24:
	v_dual_mov_b32 v1, 0 :: v_dual_add_nc_u32 v8, -1, v0
	v_dual_mov_b32 v2, 0 :: v_dual_add_nc_u32 v13, 0x1d0, v145
	v_add_nc_u32_e32 v14, 0, v145
	s_mov_b32 s1, 0
.LBB120_25:                             ; =>This Inner Loop Header: Depth=1
	scratch_load_b64 v[15:16], v14, off
	ds_load_b64 v[17:18], v13
	v_add_nc_u32_e32 v8, 1, v8
	v_add_nc_u32_e32 v13, 8, v13
	v_add_nc_u32_e32 v14, 8, v14
	s_delay_alu instid0(VALU_DEP_3)
	v_cmp_lt_u32_e32 vcc_lo, 2, v8
	s_or_b32 s1, vcc_lo, s1
	s_waitcnt vmcnt(0) lgkmcnt(0)
	v_fma_f64 v[1:2], v[15:16], v[17:18], v[1:2]
	s_and_not1_b32 exec_lo, exec_lo, s1
	s_cbranch_execnz .LBB120_25
; %bb.26:
	s_or_b32 exec_lo, exec_lo, s1
	v_mov_b32_e32 v8, 0
	ds_load_b64 v[13:14], v8 offset:32
	s_waitcnt lgkmcnt(0)
	v_mul_f64 v[1:2], v[1:2], v[13:14]
	scratch_store_b64 off, v[1:2], off offset:32
.LBB120_27:
	s_or_b32 exec_lo, exec_lo, s0
	s_waitcnt_vscnt null, 0x0
	s_barrier
	buffer_gl0_inv
	scratch_load_b64 v[1:2], off, off offset:40
	;; [unrolled: 39-line block ×20, first 2 shown]
	s_mov_b32 s0, exec_lo
	s_waitcnt vmcnt(0)
	ds_store_b64 v4, v[1:2]
	s_waitcnt lgkmcnt(0)
	s_barrier
	buffer_gl0_inv
	v_cmpx_gt_u32_e32 23, v0
	s_cbranch_execz .LBB120_103
; %bb.100:
	v_dual_mov_b32 v1, 0 :: v_dual_add_nc_u32 v8, -1, v0
	v_dual_mov_b32 v2, 0 :: v_dual_add_nc_u32 v13, 0x1d0, v145
	v_add_nc_u32_e32 v14, 0, v145
	s_mov_b32 s1, 0
.LBB120_101:                            ; =>This Inner Loop Header: Depth=1
	scratch_load_b64 v[15:16], v14, off
	ds_load_b64 v[17:18], v13
	v_add_nc_u32_e32 v8, 1, v8
	v_add_nc_u32_e32 v13, 8, v13
	v_add_nc_u32_e32 v14, 8, v14
	s_delay_alu instid0(VALU_DEP_3)
	v_cmp_lt_u32_e32 vcc_lo, 21, v8
	s_or_b32 s1, vcc_lo, s1
	s_waitcnt vmcnt(0) lgkmcnt(0)
	v_fma_f64 v[1:2], v[15:16], v[17:18], v[1:2]
	s_and_not1_b32 exec_lo, exec_lo, s1
	s_cbranch_execnz .LBB120_101
; %bb.102:
	s_or_b32 exec_lo, exec_lo, s1
	v_mov_b32_e32 v8, 0
	ds_load_b64 v[13:14], v8 offset:184
	s_waitcnt lgkmcnt(0)
	v_mul_f64 v[1:2], v[1:2], v[13:14]
	scratch_store_b64 off, v[1:2], off offset:184
.LBB120_103:
	s_or_b32 exec_lo, exec_lo, s0
	s_waitcnt_vscnt null, 0x0
	s_barrier
	buffer_gl0_inv
	scratch_load_b64 v[1:2], off, off offset:192
	s_mov_b32 s0, exec_lo
	s_waitcnt vmcnt(0)
	ds_store_b64 v4, v[1:2]
	s_waitcnt lgkmcnt(0)
	s_barrier
	buffer_gl0_inv
	v_cmpx_gt_u32_e32 24, v0
	s_cbranch_execz .LBB120_107
; %bb.104:
	v_dual_mov_b32 v1, 0 :: v_dual_add_nc_u32 v8, -1, v0
	v_dual_mov_b32 v2, 0 :: v_dual_add_nc_u32 v13, 0x1d0, v145
	v_add_nc_u32_e32 v14, 0, v145
	s_mov_b32 s1, 0
.LBB120_105:                            ; =>This Inner Loop Header: Depth=1
	scratch_load_b64 v[15:16], v14, off
	ds_load_b64 v[17:18], v13
	v_add_nc_u32_e32 v8, 1, v8
	v_add_nc_u32_e32 v13, 8, v13
	v_add_nc_u32_e32 v14, 8, v14
	s_delay_alu instid0(VALU_DEP_3)
	v_cmp_lt_u32_e32 vcc_lo, 22, v8
	s_or_b32 s1, vcc_lo, s1
	s_waitcnt vmcnt(0) lgkmcnt(0)
	v_fma_f64 v[1:2], v[15:16], v[17:18], v[1:2]
	s_and_not1_b32 exec_lo, exec_lo, s1
	s_cbranch_execnz .LBB120_105
; %bb.106:
	s_or_b32 exec_lo, exec_lo, s1
	v_mov_b32_e32 v8, 0
	ds_load_b64 v[13:14], v8 offset:192
	s_waitcnt lgkmcnt(0)
	v_mul_f64 v[1:2], v[1:2], v[13:14]
	scratch_store_b64 off, v[1:2], off offset:192
.LBB120_107:
	s_or_b32 exec_lo, exec_lo, s0
	s_waitcnt_vscnt null, 0x0
	s_barrier
	buffer_gl0_inv
	scratch_load_b64 v[1:2], off, off offset:200
	;; [unrolled: 39-line block ×33, first 2 shown]
	s_mov_b32 s0, exec_lo
	s_waitcnt vmcnt(0)
	ds_store_b64 v4, v[1:2]
	s_waitcnt lgkmcnt(0)
	s_barrier
	buffer_gl0_inv
	v_cmpx_ne_u32_e32 56, v0
	s_cbranch_execz .LBB120_235
; %bb.232:
	v_mov_b32_e32 v1, 0
	v_mov_b32_e32 v2, 0
	s_mov_b32 s1, 0
.LBB120_233:                            ; =>This Inner Loop Header: Depth=1
	scratch_load_b64 v[13:14], v3, off
	ds_load_b64 v[15:16], v4
	v_add_nc_u32_e32 v5, 1, v5
	v_add_nc_u32_e32 v4, 8, v4
	;; [unrolled: 1-line block ×3, first 2 shown]
	s_delay_alu instid0(VALU_DEP_3)
	v_cmp_lt_u32_e32 vcc_lo, 54, v5
	s_or_b32 s1, vcc_lo, s1
	s_waitcnt vmcnt(0) lgkmcnt(0)
	v_fma_f64 v[1:2], v[13:14], v[15:16], v[1:2]
	s_and_not1_b32 exec_lo, exec_lo, s1
	s_cbranch_execnz .LBB120_233
; %bb.234:
	s_or_b32 exec_lo, exec_lo, s1
	v_mov_b32_e32 v3, 0
	ds_load_b64 v[3:4], v3 offset:448
	s_waitcnt lgkmcnt(0)
	v_mul_f64 v[1:2], v[1:2], v[3:4]
	scratch_store_b64 off, v[1:2], off offset:448
.LBB120_235:
	s_or_b32 exec_lo, exec_lo, s0
	s_mov_b32 s1, -1
	s_waitcnt_vscnt null, 0x0
	s_barrier
	buffer_gl0_inv
.LBB120_236:
	s_and_b32 vcc_lo, exec_lo, s1
	s_cbranch_vccz .LBB120_238
; %bb.237:
	s_lshl_b64 s[0:1], s[8:9], 2
	v_mov_b32_e32 v1, 0
	s_add_u32 s0, s6, s0
	s_addc_u32 s1, s7, s1
	global_load_b32 v1, v1, s[0:1]
	s_waitcnt vmcnt(0)
	v_cmp_ne_u32_e32 vcc_lo, 0, v1
	s_cbranch_vccz .LBB120_239
.LBB120_238:
	s_endpgm
.LBB120_239:
	v_lshl_add_u32 v5, v0, 3, 0x1d0
	s_mov_b32 s0, exec_lo
	v_cmpx_eq_u32_e32 56, v0
	s_cbranch_execz .LBB120_241
; %bb.240:
	scratch_load_b64 v[1:2], off, off offset:440
	v_mov_b32_e32 v3, 0
	s_delay_alu instid0(VALU_DEP_1)
	v_mov_b32_e32 v4, v3
	scratch_store_b64 off, v[3:4], off offset:440
	s_waitcnt vmcnt(0)
	ds_store_b64 v5, v[1:2]
.LBB120_241:
	s_or_b32 exec_lo, exec_lo, s0
	s_waitcnt lgkmcnt(0)
	s_waitcnt_vscnt null, 0x0
	s_barrier
	buffer_gl0_inv
	scratch_load_b128 v[13:16], off, off offset:440
	v_mov_b32_e32 v1, 0
	s_mov_b32 s0, exec_lo
	ds_load_b64 v[2:3], v1 offset:912
	s_waitcnt vmcnt(0) lgkmcnt(0)
	v_fma_f64 v[2:3], v[15:16], v[2:3], 0
	s_delay_alu instid0(VALU_DEP_1)
	v_add_f64 v[2:3], v[13:14], -v[2:3]
	scratch_store_b64 off, v[2:3], off offset:440
	v_cmpx_lt_u32_e32 54, v0
	s_cbranch_execz .LBB120_243
; %bb.242:
	scratch_load_b64 v[3:4], off, off offset:432
	v_mov_b32_e32 v2, v1
	scratch_store_b64 off, v[1:2], off offset:432
	s_waitcnt vmcnt(0)
	ds_store_b64 v5, v[3:4]
.LBB120_243:
	s_or_b32 exec_lo, exec_lo, s0
	s_waitcnt lgkmcnt(0)
	s_waitcnt_vscnt null, 0x0
	s_barrier
	buffer_gl0_inv
	s_clause 0x1
	scratch_load_b128 v[13:16], off, off offset:432
	scratch_load_b64 v[17:18], off, off offset:448
	ds_load_2addr_b64 v[1:4], v1 offset0:113 offset1:114
	s_mov_b32 s0, exec_lo
	s_waitcnt vmcnt(1) lgkmcnt(0)
	v_fma_f64 v[1:2], v[15:16], v[1:2], 0
	s_waitcnt vmcnt(0)
	s_delay_alu instid0(VALU_DEP_1) | instskip(NEXT) | instid1(VALU_DEP_1)
	v_fma_f64 v[1:2], v[17:18], v[3:4], v[1:2]
	v_add_f64 v[1:2], v[13:14], -v[1:2]
	scratch_store_b64 off, v[1:2], off offset:432
	v_cmpx_lt_u32_e32 53, v0
	s_cbranch_execz .LBB120_245
; %bb.244:
	scratch_load_b64 v[1:2], off, off offset:424
	v_mov_b32_e32 v3, 0
	s_delay_alu instid0(VALU_DEP_1)
	v_mov_b32_e32 v4, v3
	scratch_store_b64 off, v[3:4], off offset:424
	s_waitcnt vmcnt(0)
	ds_store_b64 v5, v[1:2]
.LBB120_245:
	s_or_b32 exec_lo, exec_lo, s0
	s_waitcnt lgkmcnt(0)
	s_waitcnt_vscnt null, 0x0
	s_barrier
	buffer_gl0_inv
	s_clause 0x1
	scratch_load_b128 v[13:16], off, off offset:424
	scratch_load_b128 v[17:20], off, off offset:440
	v_mov_b32_e32 v1, 0
	ds_load_b128 v[21:24], v1 offset:896
	ds_load_b64 v[2:3], v1 offset:912
	s_mov_b32 s0, exec_lo
	s_waitcnt vmcnt(1) lgkmcnt(1)
	v_fma_f64 v[15:16], v[15:16], v[21:22], 0
	s_waitcnt vmcnt(0)
	s_delay_alu instid0(VALU_DEP_1) | instskip(SKIP_1) | instid1(VALU_DEP_1)
	v_fma_f64 v[15:16], v[17:18], v[23:24], v[15:16]
	s_waitcnt lgkmcnt(0)
	v_fma_f64 v[2:3], v[19:20], v[2:3], v[15:16]
	s_delay_alu instid0(VALU_DEP_1)
	v_add_f64 v[2:3], v[13:14], -v[2:3]
	scratch_store_b64 off, v[2:3], off offset:424
	v_cmpx_lt_u32_e32 52, v0
	s_cbranch_execz .LBB120_247
; %bb.246:
	scratch_load_b64 v[3:4], off, off offset:416
	v_mov_b32_e32 v2, v1
	scratch_store_b64 off, v[1:2], off offset:416
	s_waitcnt vmcnt(0)
	ds_store_b64 v5, v[3:4]
.LBB120_247:
	s_or_b32 exec_lo, exec_lo, s0
	s_waitcnt lgkmcnt(0)
	s_waitcnt_vscnt null, 0x0
	s_barrier
	buffer_gl0_inv
	s_clause 0x2
	scratch_load_b128 v[13:16], off, off offset:416
	scratch_load_b128 v[17:20], off, off offset:432
	scratch_load_b64 v[25:26], off, off offset:448
	ds_load_2addr_b64 v[21:24], v1 offset0:111 offset1:112
	ds_load_2addr_b64 v[1:4], v1 offset0:113 offset1:114
	s_mov_b32 s0, exec_lo
	s_waitcnt vmcnt(2) lgkmcnt(1)
	v_fma_f64 v[15:16], v[15:16], v[21:22], 0
	s_waitcnt vmcnt(1)
	s_delay_alu instid0(VALU_DEP_1) | instskip(SKIP_1) | instid1(VALU_DEP_1)
	v_fma_f64 v[15:16], v[17:18], v[23:24], v[15:16]
	s_waitcnt lgkmcnt(0)
	v_fma_f64 v[1:2], v[19:20], v[1:2], v[15:16]
	s_waitcnt vmcnt(0)
	s_delay_alu instid0(VALU_DEP_1) | instskip(NEXT) | instid1(VALU_DEP_1)
	v_fma_f64 v[1:2], v[25:26], v[3:4], v[1:2]
	v_add_f64 v[1:2], v[13:14], -v[1:2]
	scratch_store_b64 off, v[1:2], off offset:416
	v_cmpx_lt_u32_e32 51, v0
	s_cbranch_execz .LBB120_249
; %bb.248:
	scratch_load_b64 v[1:2], off, off offset:408
	v_mov_b32_e32 v3, 0
	s_delay_alu instid0(VALU_DEP_1)
	v_mov_b32_e32 v4, v3
	scratch_store_b64 off, v[3:4], off offset:408
	s_waitcnt vmcnt(0)
	ds_store_b64 v5, v[1:2]
.LBB120_249:
	s_or_b32 exec_lo, exec_lo, s0
	s_waitcnt lgkmcnt(0)
	s_waitcnt_vscnt null, 0x0
	s_barrier
	buffer_gl0_inv
	s_clause 0x2
	scratch_load_b128 v[13:16], off, off offset:408
	scratch_load_b128 v[17:20], off, off offset:424
	;; [unrolled: 1-line block ×3, first 2 shown]
	v_mov_b32_e32 v1, 0
	ds_load_b128 v[25:28], v1 offset:880
	ds_load_b128 v[29:32], v1 offset:896
	s_mov_b32 s0, exec_lo
	s_waitcnt vmcnt(2) lgkmcnt(1)
	v_fma_f64 v[2:3], v[15:16], v[25:26], 0
	ds_load_b64 v[15:16], v1 offset:912
	s_waitcnt vmcnt(1)
	v_fma_f64 v[2:3], v[17:18], v[27:28], v[2:3]
	s_waitcnt lgkmcnt(1)
	s_delay_alu instid0(VALU_DEP_1) | instskip(SKIP_1) | instid1(VALU_DEP_1)
	v_fma_f64 v[2:3], v[19:20], v[29:30], v[2:3]
	s_waitcnt vmcnt(0)
	v_fma_f64 v[2:3], v[21:22], v[31:32], v[2:3]
	s_waitcnt lgkmcnt(0)
	s_delay_alu instid0(VALU_DEP_1) | instskip(NEXT) | instid1(VALU_DEP_1)
	v_fma_f64 v[2:3], v[23:24], v[15:16], v[2:3]
	v_add_f64 v[2:3], v[13:14], -v[2:3]
	scratch_store_b64 off, v[2:3], off offset:408
	v_cmpx_lt_u32_e32 50, v0
	s_cbranch_execz .LBB120_251
; %bb.250:
	scratch_load_b64 v[3:4], off, off offset:400
	v_mov_b32_e32 v2, v1
	scratch_store_b64 off, v[1:2], off offset:400
	s_waitcnt vmcnt(0)
	ds_store_b64 v5, v[3:4]
.LBB120_251:
	s_or_b32 exec_lo, exec_lo, s0
	s_waitcnt lgkmcnt(0)
	s_waitcnt_vscnt null, 0x0
	s_barrier
	buffer_gl0_inv
	s_clause 0x3
	scratch_load_b128 v[13:16], off, off offset:400
	scratch_load_b128 v[17:20], off, off offset:416
	;; [unrolled: 1-line block ×3, first 2 shown]
	scratch_load_b64 v[33:34], off, off offset:448
	ds_load_2addr_b64 v[25:28], v1 offset0:109 offset1:110
	ds_load_2addr_b64 v[29:32], v1 offset0:111 offset1:112
	s_mov_b32 s0, exec_lo
	s_waitcnt vmcnt(3) lgkmcnt(1)
	v_fma_f64 v[2:3], v[15:16], v[25:26], 0
	s_waitcnt vmcnt(2)
	s_delay_alu instid0(VALU_DEP_1) | instskip(SKIP_1) | instid1(VALU_DEP_1)
	v_fma_f64 v[2:3], v[17:18], v[27:28], v[2:3]
	s_waitcnt lgkmcnt(0)
	v_fma_f64 v[2:3], v[19:20], v[29:30], v[2:3]
	s_waitcnt vmcnt(1)
	s_delay_alu instid0(VALU_DEP_1) | instskip(SKIP_4) | instid1(VALU_DEP_1)
	v_fma_f64 v[15:16], v[21:22], v[31:32], v[2:3]
	ds_load_2addr_b64 v[1:4], v1 offset0:113 offset1:114
	s_waitcnt lgkmcnt(0)
	v_fma_f64 v[1:2], v[23:24], v[1:2], v[15:16]
	s_waitcnt vmcnt(0)
	v_fma_f64 v[1:2], v[33:34], v[3:4], v[1:2]
	s_delay_alu instid0(VALU_DEP_1)
	v_add_f64 v[1:2], v[13:14], -v[1:2]
	scratch_store_b64 off, v[1:2], off offset:400
	v_cmpx_lt_u32_e32 49, v0
	s_cbranch_execz .LBB120_253
; %bb.252:
	scratch_load_b64 v[1:2], off, off offset:392
	v_mov_b32_e32 v3, 0
	s_delay_alu instid0(VALU_DEP_1)
	v_mov_b32_e32 v4, v3
	scratch_store_b64 off, v[3:4], off offset:392
	s_waitcnt vmcnt(0)
	ds_store_b64 v5, v[1:2]
.LBB120_253:
	s_or_b32 exec_lo, exec_lo, s0
	s_waitcnt lgkmcnt(0)
	s_waitcnt_vscnt null, 0x0
	s_barrier
	buffer_gl0_inv
	s_clause 0x3
	scratch_load_b128 v[13:16], off, off offset:392
	scratch_load_b128 v[17:20], off, off offset:408
	;; [unrolled: 1-line block ×4, first 2 shown]
	v_mov_b32_e32 v1, 0
	ds_load_b128 v[29:32], v1 offset:864
	ds_load_b128 v[33:36], v1 offset:880
	s_mov_b32 s0, exec_lo
	s_waitcnt vmcnt(3) lgkmcnt(1)
	v_fma_f64 v[2:3], v[15:16], v[29:30], 0
	s_waitcnt vmcnt(2)
	s_delay_alu instid0(VALU_DEP_1) | instskip(SKIP_1) | instid1(VALU_DEP_1)
	v_fma_f64 v[2:3], v[17:18], v[31:32], v[2:3]
	s_waitcnt lgkmcnt(0)
	v_fma_f64 v[2:3], v[19:20], v[33:34], v[2:3]
	ds_load_b128 v[15:18], v1 offset:896
	ds_load_b64 v[19:20], v1 offset:912
	s_waitcnt vmcnt(1)
	v_fma_f64 v[2:3], v[21:22], v[35:36], v[2:3]
	s_waitcnt lgkmcnt(1)
	s_delay_alu instid0(VALU_DEP_1) | instskip(SKIP_1) | instid1(VALU_DEP_1)
	v_fma_f64 v[2:3], v[23:24], v[15:16], v[2:3]
	s_waitcnt vmcnt(0)
	v_fma_f64 v[2:3], v[25:26], v[17:18], v[2:3]
	s_waitcnt lgkmcnt(0)
	s_delay_alu instid0(VALU_DEP_1) | instskip(NEXT) | instid1(VALU_DEP_1)
	v_fma_f64 v[2:3], v[27:28], v[19:20], v[2:3]
	v_add_f64 v[2:3], v[13:14], -v[2:3]
	scratch_store_b64 off, v[2:3], off offset:392
	v_cmpx_lt_u32_e32 48, v0
	s_cbranch_execz .LBB120_255
; %bb.254:
	scratch_load_b64 v[3:4], off, off offset:384
	v_mov_b32_e32 v2, v1
	scratch_store_b64 off, v[1:2], off offset:384
	s_waitcnt vmcnt(0)
	ds_store_b64 v5, v[3:4]
.LBB120_255:
	s_or_b32 exec_lo, exec_lo, s0
	s_waitcnt lgkmcnt(0)
	s_waitcnt_vscnt null, 0x0
	s_barrier
	buffer_gl0_inv
	s_clause 0x4
	scratch_load_b128 v[13:16], off, off offset:384
	scratch_load_b128 v[17:20], off, off offset:400
	;; [unrolled: 1-line block ×4, first 2 shown]
	scratch_load_b64 v[33:34], off, off offset:448
	ds_load_2addr_b64 v[29:32], v1 offset0:107 offset1:108
	s_mov_b32 s0, exec_lo
	s_waitcnt vmcnt(4) lgkmcnt(0)
	v_fma_f64 v[2:3], v[15:16], v[29:30], 0
	s_waitcnt vmcnt(3)
	s_delay_alu instid0(VALU_DEP_1) | instskip(SKIP_4) | instid1(VALU_DEP_1)
	v_fma_f64 v[2:3], v[17:18], v[31:32], v[2:3]
	ds_load_2addr_b64 v[15:18], v1 offset0:109 offset1:110
	s_waitcnt lgkmcnt(0)
	v_fma_f64 v[2:3], v[19:20], v[15:16], v[2:3]
	s_waitcnt vmcnt(2)
	v_fma_f64 v[2:3], v[21:22], v[17:18], v[2:3]
	ds_load_2addr_b64 v[15:18], v1 offset0:111 offset1:112
	s_waitcnt lgkmcnt(0)
	v_fma_f64 v[2:3], v[23:24], v[15:16], v[2:3]
	s_waitcnt vmcnt(1)
	s_delay_alu instid0(VALU_DEP_1) | instskip(SKIP_4) | instid1(VALU_DEP_1)
	v_fma_f64 v[15:16], v[25:26], v[17:18], v[2:3]
	ds_load_2addr_b64 v[1:4], v1 offset0:113 offset1:114
	s_waitcnt lgkmcnt(0)
	v_fma_f64 v[1:2], v[27:28], v[1:2], v[15:16]
	s_waitcnt vmcnt(0)
	v_fma_f64 v[1:2], v[33:34], v[3:4], v[1:2]
	s_delay_alu instid0(VALU_DEP_1)
	v_add_f64 v[1:2], v[13:14], -v[1:2]
	scratch_store_b64 off, v[1:2], off offset:384
	v_cmpx_lt_u32_e32 47, v0
	s_cbranch_execz .LBB120_257
; %bb.256:
	scratch_load_b64 v[1:2], off, off offset:376
	v_mov_b32_e32 v3, 0
	s_delay_alu instid0(VALU_DEP_1)
	v_mov_b32_e32 v4, v3
	scratch_store_b64 off, v[3:4], off offset:376
	s_waitcnt vmcnt(0)
	ds_store_b64 v5, v[1:2]
.LBB120_257:
	s_or_b32 exec_lo, exec_lo, s0
	s_waitcnt lgkmcnt(0)
	s_waitcnt_vscnt null, 0x0
	s_barrier
	buffer_gl0_inv
	s_clause 0x4
	scratch_load_b128 v[13:16], off, off offset:376
	scratch_load_b128 v[17:20], off, off offset:392
	;; [unrolled: 1-line block ×5, first 2 shown]
	v_mov_b32_e32 v1, 0
	s_mov_b32 s0, exec_lo
	ds_load_b128 v[33:36], v1 offset:848
	s_waitcnt vmcnt(4) lgkmcnt(0)
	v_fma_f64 v[2:3], v[15:16], v[33:34], 0
	s_waitcnt vmcnt(3)
	s_delay_alu instid0(VALU_DEP_1) | instskip(SKIP_4) | instid1(VALU_DEP_1)
	v_fma_f64 v[2:3], v[17:18], v[35:36], v[2:3]
	ds_load_b128 v[15:18], v1 offset:864
	s_waitcnt lgkmcnt(0)
	v_fma_f64 v[2:3], v[19:20], v[15:16], v[2:3]
	s_waitcnt vmcnt(2)
	v_fma_f64 v[2:3], v[21:22], v[17:18], v[2:3]
	ds_load_b128 v[15:18], v1 offset:880
	s_waitcnt lgkmcnt(0)
	v_fma_f64 v[2:3], v[23:24], v[15:16], v[2:3]
	s_waitcnt vmcnt(1)
	s_delay_alu instid0(VALU_DEP_1)
	v_fma_f64 v[2:3], v[25:26], v[17:18], v[2:3]
	ds_load_b128 v[15:18], v1 offset:896
	s_waitcnt lgkmcnt(0)
	v_fma_f64 v[2:3], v[27:28], v[15:16], v[2:3]
	ds_load_b64 v[15:16], v1 offset:912
	s_waitcnt vmcnt(0)
	v_fma_f64 v[2:3], v[29:30], v[17:18], v[2:3]
	s_waitcnt lgkmcnt(0)
	s_delay_alu instid0(VALU_DEP_1) | instskip(NEXT) | instid1(VALU_DEP_1)
	v_fma_f64 v[2:3], v[31:32], v[15:16], v[2:3]
	v_add_f64 v[2:3], v[13:14], -v[2:3]
	scratch_store_b64 off, v[2:3], off offset:376
	v_cmpx_lt_u32_e32 46, v0
	s_cbranch_execz .LBB120_259
; %bb.258:
	scratch_load_b64 v[3:4], off, off offset:368
	v_mov_b32_e32 v2, v1
	scratch_store_b64 off, v[1:2], off offset:368
	s_waitcnt vmcnt(0)
	ds_store_b64 v5, v[3:4]
.LBB120_259:
	s_or_b32 exec_lo, exec_lo, s0
	s_waitcnt lgkmcnt(0)
	s_waitcnt_vscnt null, 0x0
	s_barrier
	buffer_gl0_inv
	s_clause 0x4
	scratch_load_b128 v[13:16], off, off offset:368
	scratch_load_b128 v[17:20], off, off offset:384
	;; [unrolled: 1-line block ×5, first 2 shown]
	ds_load_2addr_b64 v[33:36], v1 offset0:105 offset1:106
	s_mov_b32 s0, exec_lo
	s_waitcnt vmcnt(4) lgkmcnt(0)
	v_fma_f64 v[2:3], v[15:16], v[33:34], 0
	scratch_load_b64 v[33:34], off, off offset:448
	s_waitcnt vmcnt(4)
	v_fma_f64 v[2:3], v[17:18], v[35:36], v[2:3]
	ds_load_2addr_b64 v[15:18], v1 offset0:107 offset1:108
	s_waitcnt lgkmcnt(0)
	v_fma_f64 v[2:3], v[19:20], v[15:16], v[2:3]
	s_waitcnt vmcnt(3)
	s_delay_alu instid0(VALU_DEP_1) | instskip(SKIP_4) | instid1(VALU_DEP_1)
	v_fma_f64 v[2:3], v[21:22], v[17:18], v[2:3]
	ds_load_2addr_b64 v[15:18], v1 offset0:109 offset1:110
	s_waitcnt lgkmcnt(0)
	v_fma_f64 v[2:3], v[23:24], v[15:16], v[2:3]
	s_waitcnt vmcnt(2)
	v_fma_f64 v[2:3], v[25:26], v[17:18], v[2:3]
	ds_load_2addr_b64 v[15:18], v1 offset0:111 offset1:112
	s_waitcnt lgkmcnt(0)
	v_fma_f64 v[2:3], v[27:28], v[15:16], v[2:3]
	s_waitcnt vmcnt(1)
	s_delay_alu instid0(VALU_DEP_1) | instskip(SKIP_4) | instid1(VALU_DEP_1)
	v_fma_f64 v[15:16], v[29:30], v[17:18], v[2:3]
	ds_load_2addr_b64 v[1:4], v1 offset0:113 offset1:114
	s_waitcnt lgkmcnt(0)
	v_fma_f64 v[1:2], v[31:32], v[1:2], v[15:16]
	s_waitcnt vmcnt(0)
	v_fma_f64 v[1:2], v[33:34], v[3:4], v[1:2]
	s_delay_alu instid0(VALU_DEP_1)
	v_add_f64 v[1:2], v[13:14], -v[1:2]
	scratch_store_b64 off, v[1:2], off offset:368
	v_cmpx_lt_u32_e32 45, v0
	s_cbranch_execz .LBB120_261
; %bb.260:
	scratch_load_b64 v[1:2], off, off offset:360
	v_mov_b32_e32 v3, 0
	s_delay_alu instid0(VALU_DEP_1)
	v_mov_b32_e32 v4, v3
	scratch_store_b64 off, v[3:4], off offset:360
	s_waitcnt vmcnt(0)
	ds_store_b64 v5, v[1:2]
.LBB120_261:
	s_or_b32 exec_lo, exec_lo, s0
	s_waitcnt lgkmcnt(0)
	s_waitcnt_vscnt null, 0x0
	s_barrier
	buffer_gl0_inv
	s_clause 0x4
	scratch_load_b128 v[13:16], off, off offset:360
	scratch_load_b128 v[17:20], off, off offset:376
	;; [unrolled: 1-line block ×5, first 2 shown]
	v_mov_b32_e32 v1, 0
	scratch_load_b128 v[145:148], off, off offset:440
	s_mov_b32 s0, exec_lo
	ds_load_b128 v[33:36], v1 offset:832
	s_waitcnt vmcnt(5) lgkmcnt(0)
	v_fma_f64 v[2:3], v[15:16], v[33:34], 0
	s_waitcnt vmcnt(4)
	s_delay_alu instid0(VALU_DEP_1) | instskip(SKIP_4) | instid1(VALU_DEP_1)
	v_fma_f64 v[2:3], v[17:18], v[35:36], v[2:3]
	ds_load_b128 v[15:18], v1 offset:848
	s_waitcnt lgkmcnt(0)
	v_fma_f64 v[2:3], v[19:20], v[15:16], v[2:3]
	s_waitcnt vmcnt(3)
	v_fma_f64 v[2:3], v[21:22], v[17:18], v[2:3]
	ds_load_b128 v[15:18], v1 offset:864
	s_waitcnt lgkmcnt(0)
	v_fma_f64 v[2:3], v[23:24], v[15:16], v[2:3]
	s_waitcnt vmcnt(2)
	s_delay_alu instid0(VALU_DEP_1) | instskip(SKIP_4) | instid1(VALU_DEP_1)
	v_fma_f64 v[2:3], v[25:26], v[17:18], v[2:3]
	ds_load_b128 v[15:18], v1 offset:880
	s_waitcnt lgkmcnt(0)
	v_fma_f64 v[2:3], v[27:28], v[15:16], v[2:3]
	s_waitcnt vmcnt(1)
	v_fma_f64 v[2:3], v[29:30], v[17:18], v[2:3]
	ds_load_b128 v[15:18], v1 offset:896
	s_waitcnt lgkmcnt(0)
	v_fma_f64 v[2:3], v[31:32], v[15:16], v[2:3]
	ds_load_b64 v[15:16], v1 offset:912
	s_waitcnt vmcnt(0)
	v_fma_f64 v[2:3], v[145:146], v[17:18], v[2:3]
	s_waitcnt lgkmcnt(0)
	s_delay_alu instid0(VALU_DEP_1) | instskip(NEXT) | instid1(VALU_DEP_1)
	v_fma_f64 v[2:3], v[147:148], v[15:16], v[2:3]
	v_add_f64 v[2:3], v[13:14], -v[2:3]
	scratch_store_b64 off, v[2:3], off offset:360
	v_cmpx_lt_u32_e32 44, v0
	s_cbranch_execz .LBB120_263
; %bb.262:
	scratch_load_b64 v[3:4], off, off offset:352
	v_mov_b32_e32 v2, v1
	scratch_store_b64 off, v[1:2], off offset:352
	s_waitcnt vmcnt(0)
	ds_store_b64 v5, v[3:4]
.LBB120_263:
	s_or_b32 exec_lo, exec_lo, s0
	s_waitcnt lgkmcnt(0)
	s_waitcnt_vscnt null, 0x0
	s_barrier
	buffer_gl0_inv
	s_clause 0x4
	scratch_load_b128 v[13:16], off, off offset:352
	scratch_load_b128 v[17:20], off, off offset:368
	;; [unrolled: 1-line block ×5, first 2 shown]
	ds_load_2addr_b64 v[33:36], v1 offset0:103 offset1:104
	ds_load_2addr_b64 v[145:148], v1 offset0:105 offset1:106
	scratch_load_b128 v[149:152], off, off offset:432
	s_mov_b32 s0, exec_lo
	s_waitcnt vmcnt(5) lgkmcnt(1)
	v_fma_f64 v[2:3], v[15:16], v[33:34], 0
	scratch_load_b64 v[33:34], off, off offset:448
	s_waitcnt vmcnt(5)
	v_fma_f64 v[2:3], v[17:18], v[35:36], v[2:3]
	s_waitcnt lgkmcnt(0)
	s_delay_alu instid0(VALU_DEP_1) | instskip(SKIP_1) | instid1(VALU_DEP_1)
	v_fma_f64 v[2:3], v[19:20], v[145:146], v[2:3]
	s_waitcnt vmcnt(4)
	v_fma_f64 v[2:3], v[21:22], v[147:148], v[2:3]
	ds_load_2addr_b64 v[15:18], v1 offset0:107 offset1:108
	ds_load_2addr_b64 v[19:22], v1 offset0:109 offset1:110
	s_waitcnt lgkmcnt(1)
	v_fma_f64 v[2:3], v[23:24], v[15:16], v[2:3]
	s_waitcnt vmcnt(3)
	s_delay_alu instid0(VALU_DEP_1) | instskip(SKIP_1) | instid1(VALU_DEP_1)
	v_fma_f64 v[2:3], v[25:26], v[17:18], v[2:3]
	s_waitcnt lgkmcnt(0)
	v_fma_f64 v[2:3], v[27:28], v[19:20], v[2:3]
	s_waitcnt vmcnt(2)
	s_delay_alu instid0(VALU_DEP_1)
	v_fma_f64 v[19:20], v[29:30], v[21:22], v[2:3]
	ds_load_2addr_b64 v[15:18], v1 offset0:111 offset1:112
	ds_load_2addr_b64 v[1:4], v1 offset0:113 offset1:114
	s_waitcnt lgkmcnt(1)
	v_fma_f64 v[15:16], v[31:32], v[15:16], v[19:20]
	s_waitcnt vmcnt(1)
	s_delay_alu instid0(VALU_DEP_1) | instskip(SKIP_1) | instid1(VALU_DEP_1)
	v_fma_f64 v[15:16], v[149:150], v[17:18], v[15:16]
	s_waitcnt lgkmcnt(0)
	v_fma_f64 v[1:2], v[151:152], v[1:2], v[15:16]
	s_waitcnt vmcnt(0)
	s_delay_alu instid0(VALU_DEP_1) | instskip(NEXT) | instid1(VALU_DEP_1)
	v_fma_f64 v[1:2], v[33:34], v[3:4], v[1:2]
	v_add_f64 v[1:2], v[13:14], -v[1:2]
	scratch_store_b64 off, v[1:2], off offset:352
	v_cmpx_lt_u32_e32 43, v0
	s_cbranch_execz .LBB120_265
; %bb.264:
	scratch_load_b64 v[1:2], off, off offset:344
	v_mov_b32_e32 v3, 0
	s_delay_alu instid0(VALU_DEP_1)
	v_mov_b32_e32 v4, v3
	scratch_store_b64 off, v[3:4], off offset:344
	s_waitcnt vmcnt(0)
	ds_store_b64 v5, v[1:2]
.LBB120_265:
	s_or_b32 exec_lo, exec_lo, s0
	s_waitcnt lgkmcnt(0)
	s_waitcnt_vscnt null, 0x0
	s_barrier
	buffer_gl0_inv
	s_clause 0x4
	scratch_load_b128 v[13:16], off, off offset:344
	scratch_load_b128 v[17:20], off, off offset:360
	;; [unrolled: 1-line block ×5, first 2 shown]
	v_mov_b32_e32 v1, 0
	ds_load_b128 v[33:36], v1 offset:816
	ds_load_b128 v[145:148], v1 offset:832
	scratch_load_b128 v[149:152], off, off offset:424
	s_mov_b32 s0, exec_lo
	s_waitcnt vmcnt(5) lgkmcnt(1)
	v_fma_f64 v[2:3], v[15:16], v[33:34], 0
	s_waitcnt vmcnt(4)
	s_delay_alu instid0(VALU_DEP_1) | instskip(SKIP_4) | instid1(VALU_DEP_1)
	v_fma_f64 v[2:3], v[17:18], v[35:36], v[2:3]
	scratch_load_b128 v[15:18], off, off offset:440
	s_waitcnt lgkmcnt(0)
	v_fma_f64 v[2:3], v[19:20], v[145:146], v[2:3]
	s_waitcnt vmcnt(4)
	v_fma_f64 v[2:3], v[21:22], v[147:148], v[2:3]
	ds_load_b128 v[19:22], v1 offset:848
	ds_load_b128 v[33:36], v1 offset:864
	s_waitcnt lgkmcnt(1)
	v_fma_f64 v[2:3], v[23:24], v[19:20], v[2:3]
	s_waitcnt vmcnt(3)
	s_delay_alu instid0(VALU_DEP_1)
	v_fma_f64 v[2:3], v[25:26], v[21:22], v[2:3]
	ds_load_b128 v[19:22], v1 offset:880
	ds_load_b128 v[23:26], v1 offset:896
	s_waitcnt lgkmcnt(2)
	v_fma_f64 v[2:3], v[27:28], v[33:34], v[2:3]
	s_waitcnt vmcnt(2)
	s_delay_alu instid0(VALU_DEP_1) | instskip(SKIP_1) | instid1(VALU_DEP_1)
	v_fma_f64 v[2:3], v[29:30], v[35:36], v[2:3]
	s_waitcnt lgkmcnt(1)
	v_fma_f64 v[2:3], v[31:32], v[19:20], v[2:3]
	s_waitcnt vmcnt(1)
	s_delay_alu instid0(VALU_DEP_1) | instskip(SKIP_1) | instid1(VALU_DEP_1)
	v_fma_f64 v[2:3], v[149:150], v[21:22], v[2:3]
	s_waitcnt lgkmcnt(0)
	v_fma_f64 v[2:3], v[151:152], v[23:24], v[2:3]
	s_waitcnt vmcnt(0)
	s_delay_alu instid0(VALU_DEP_1) | instskip(SKIP_3) | instid1(VALU_DEP_1)
	v_fma_f64 v[2:3], v[15:16], v[25:26], v[2:3]
	ds_load_b64 v[15:16], v1 offset:912
	s_waitcnt lgkmcnt(0)
	v_fma_f64 v[2:3], v[17:18], v[15:16], v[2:3]
	v_add_f64 v[2:3], v[13:14], -v[2:3]
	scratch_store_b64 off, v[2:3], off offset:344
	v_cmpx_lt_u32_e32 42, v0
	s_cbranch_execz .LBB120_267
; %bb.266:
	scratch_load_b64 v[3:4], off, off offset:336
	v_mov_b32_e32 v2, v1
	scratch_store_b64 off, v[1:2], off offset:336
	s_waitcnt vmcnt(0)
	ds_store_b64 v5, v[3:4]
.LBB120_267:
	s_or_b32 exec_lo, exec_lo, s0
	s_waitcnt lgkmcnt(0)
	s_waitcnt_vscnt null, 0x0
	s_barrier
	buffer_gl0_inv
	s_clause 0x4
	scratch_load_b128 v[13:16], off, off offset:336
	scratch_load_b128 v[17:20], off, off offset:352
	;; [unrolled: 1-line block ×5, first 2 shown]
	ds_load_2addr_b64 v[33:36], v1 offset0:101 offset1:102
	ds_load_2addr_b64 v[145:148], v1 offset0:103 offset1:104
	scratch_load_b128 v[149:152], off, off offset:416
	s_mov_b32 s0, exec_lo
	s_waitcnt vmcnt(5) lgkmcnt(1)
	v_fma_f64 v[2:3], v[15:16], v[33:34], 0
	s_waitcnt vmcnt(4)
	s_delay_alu instid0(VALU_DEP_1) | instskip(SKIP_4) | instid1(VALU_DEP_1)
	v_fma_f64 v[2:3], v[17:18], v[35:36], v[2:3]
	scratch_load_b128 v[15:18], off, off offset:432
	s_waitcnt lgkmcnt(0)
	v_fma_f64 v[2:3], v[19:20], v[145:146], v[2:3]
	s_waitcnt vmcnt(4)
	v_fma_f64 v[2:3], v[21:22], v[147:148], v[2:3]
	ds_load_2addr_b64 v[19:22], v1 offset0:105 offset1:106
	ds_load_2addr_b64 v[33:36], v1 offset0:107 offset1:108
	scratch_load_b64 v[145:146], off, off offset:448
	s_waitcnt lgkmcnt(1)
	v_fma_f64 v[2:3], v[23:24], v[19:20], v[2:3]
	s_waitcnt vmcnt(4)
	s_delay_alu instid0(VALU_DEP_1)
	v_fma_f64 v[2:3], v[25:26], v[21:22], v[2:3]
	ds_load_2addr_b64 v[19:22], v1 offset0:109 offset1:110
	ds_load_2addr_b64 v[23:26], v1 offset0:111 offset1:112
	s_waitcnt lgkmcnt(2)
	v_fma_f64 v[2:3], v[27:28], v[33:34], v[2:3]
	s_waitcnt vmcnt(3)
	s_delay_alu instid0(VALU_DEP_1) | instskip(SKIP_1) | instid1(VALU_DEP_1)
	v_fma_f64 v[2:3], v[29:30], v[35:36], v[2:3]
	s_waitcnt lgkmcnt(1)
	v_fma_f64 v[2:3], v[31:32], v[19:20], v[2:3]
	s_waitcnt vmcnt(2)
	s_delay_alu instid0(VALU_DEP_1) | instskip(SKIP_1) | instid1(VALU_DEP_1)
	v_fma_f64 v[2:3], v[149:150], v[21:22], v[2:3]
	s_waitcnt lgkmcnt(0)
	v_fma_f64 v[2:3], v[151:152], v[23:24], v[2:3]
	s_waitcnt vmcnt(1)
	s_delay_alu instid0(VALU_DEP_1) | instskip(SKIP_4) | instid1(VALU_DEP_1)
	v_fma_f64 v[15:16], v[15:16], v[25:26], v[2:3]
	ds_load_2addr_b64 v[1:4], v1 offset0:113 offset1:114
	s_waitcnt lgkmcnt(0)
	v_fma_f64 v[1:2], v[17:18], v[1:2], v[15:16]
	s_waitcnt vmcnt(0)
	v_fma_f64 v[1:2], v[145:146], v[3:4], v[1:2]
	s_delay_alu instid0(VALU_DEP_1)
	v_add_f64 v[1:2], v[13:14], -v[1:2]
	scratch_store_b64 off, v[1:2], off offset:336
	v_cmpx_lt_u32_e32 41, v0
	s_cbranch_execz .LBB120_269
; %bb.268:
	scratch_load_b64 v[1:2], off, off offset:328
	v_mov_b32_e32 v3, 0
	s_delay_alu instid0(VALU_DEP_1)
	v_mov_b32_e32 v4, v3
	scratch_store_b64 off, v[3:4], off offset:328
	s_waitcnt vmcnt(0)
	ds_store_b64 v5, v[1:2]
.LBB120_269:
	s_or_b32 exec_lo, exec_lo, s0
	s_waitcnt lgkmcnt(0)
	s_waitcnt_vscnt null, 0x0
	s_barrier
	buffer_gl0_inv
	s_clause 0x4
	scratch_load_b128 v[13:16], off, off offset:328
	scratch_load_b128 v[17:20], off, off offset:344
	;; [unrolled: 1-line block ×5, first 2 shown]
	v_mov_b32_e32 v1, 0
	ds_load_b128 v[33:36], v1 offset:800
	ds_load_b128 v[145:148], v1 offset:816
	scratch_load_b128 v[149:152], off, off offset:408
	s_mov_b32 s0, exec_lo
	s_waitcnt vmcnt(5) lgkmcnt(1)
	v_fma_f64 v[2:3], v[15:16], v[33:34], 0
	s_waitcnt vmcnt(4)
	s_delay_alu instid0(VALU_DEP_1) | instskip(SKIP_4) | instid1(VALU_DEP_1)
	v_fma_f64 v[2:3], v[17:18], v[35:36], v[2:3]
	scratch_load_b128 v[15:18], off, off offset:424
	s_waitcnt lgkmcnt(0)
	v_fma_f64 v[2:3], v[19:20], v[145:146], v[2:3]
	s_waitcnt vmcnt(4)
	v_fma_f64 v[2:3], v[21:22], v[147:148], v[2:3]
	ds_load_b128 v[19:22], v1 offset:832
	ds_load_b128 v[33:36], v1 offset:848
	scratch_load_b128 v[145:148], off, off offset:440
	s_waitcnt lgkmcnt(1)
	v_fma_f64 v[2:3], v[23:24], v[19:20], v[2:3]
	s_waitcnt vmcnt(4)
	s_delay_alu instid0(VALU_DEP_1)
	v_fma_f64 v[2:3], v[25:26], v[21:22], v[2:3]
	ds_load_b128 v[19:22], v1 offset:864
	ds_load_b128 v[23:26], v1 offset:880
	s_waitcnt lgkmcnt(2)
	v_fma_f64 v[2:3], v[27:28], v[33:34], v[2:3]
	s_waitcnt vmcnt(3)
	s_delay_alu instid0(VALU_DEP_1) | instskip(SKIP_1) | instid1(VALU_DEP_1)
	v_fma_f64 v[2:3], v[29:30], v[35:36], v[2:3]
	s_waitcnt lgkmcnt(1)
	v_fma_f64 v[2:3], v[31:32], v[19:20], v[2:3]
	s_waitcnt vmcnt(2)
	s_delay_alu instid0(VALU_DEP_1) | instskip(SKIP_1) | instid1(VALU_DEP_1)
	v_fma_f64 v[2:3], v[149:150], v[21:22], v[2:3]
	s_waitcnt lgkmcnt(0)
	v_fma_f64 v[2:3], v[151:152], v[23:24], v[2:3]
	s_waitcnt vmcnt(1)
	s_delay_alu instid0(VALU_DEP_1)
	v_fma_f64 v[2:3], v[15:16], v[25:26], v[2:3]
	ds_load_b128 v[19:22], v1 offset:896
	ds_load_b64 v[15:16], v1 offset:912
	s_waitcnt lgkmcnt(1)
	v_fma_f64 v[2:3], v[17:18], v[19:20], v[2:3]
	s_waitcnt vmcnt(0)
	s_delay_alu instid0(VALU_DEP_1) | instskip(SKIP_1) | instid1(VALU_DEP_1)
	v_fma_f64 v[2:3], v[145:146], v[21:22], v[2:3]
	s_waitcnt lgkmcnt(0)
	v_fma_f64 v[2:3], v[147:148], v[15:16], v[2:3]
	s_delay_alu instid0(VALU_DEP_1)
	v_add_f64 v[2:3], v[13:14], -v[2:3]
	scratch_store_b64 off, v[2:3], off offset:328
	v_cmpx_lt_u32_e32 40, v0
	s_cbranch_execz .LBB120_271
; %bb.270:
	scratch_load_b64 v[3:4], off, off offset:320
	v_mov_b32_e32 v2, v1
	scratch_store_b64 off, v[1:2], off offset:320
	s_waitcnt vmcnt(0)
	ds_store_b64 v5, v[3:4]
.LBB120_271:
	s_or_b32 exec_lo, exec_lo, s0
	s_waitcnt lgkmcnt(0)
	s_waitcnt_vscnt null, 0x0
	s_barrier
	buffer_gl0_inv
	s_clause 0x4
	scratch_load_b128 v[13:16], off, off offset:320
	scratch_load_b128 v[17:20], off, off offset:336
	;; [unrolled: 1-line block ×5, first 2 shown]
	ds_load_2addr_b64 v[33:36], v1 offset0:99 offset1:100
	ds_load_2addr_b64 v[145:148], v1 offset0:101 offset1:102
	scratch_load_b128 v[149:152], off, off offset:400
	s_mov_b32 s0, exec_lo
	s_waitcnt vmcnt(5) lgkmcnt(1)
	v_fma_f64 v[2:3], v[15:16], v[33:34], 0
	s_waitcnt vmcnt(4)
	s_delay_alu instid0(VALU_DEP_1) | instskip(SKIP_4) | instid1(VALU_DEP_1)
	v_fma_f64 v[2:3], v[17:18], v[35:36], v[2:3]
	scratch_load_b128 v[15:18], off, off offset:416
	s_waitcnt lgkmcnt(0)
	v_fma_f64 v[2:3], v[19:20], v[145:146], v[2:3]
	s_waitcnt vmcnt(4)
	v_fma_f64 v[2:3], v[21:22], v[147:148], v[2:3]
	ds_load_2addr_b64 v[19:22], v1 offset0:103 offset1:104
	ds_load_2addr_b64 v[33:36], v1 offset0:105 offset1:106
	scratch_load_b128 v[145:148], off, off offset:432
	s_waitcnt lgkmcnt(1)
	v_fma_f64 v[2:3], v[23:24], v[19:20], v[2:3]
	s_waitcnt vmcnt(4)
	s_delay_alu instid0(VALU_DEP_1) | instskip(SKIP_1) | instid1(VALU_DEP_1)
	v_fma_f64 v[2:3], v[25:26], v[21:22], v[2:3]
	s_waitcnt lgkmcnt(0)
	v_fma_f64 v[2:3], v[27:28], v[33:34], v[2:3]
	scratch_load_b64 v[27:28], off, off offset:448
	ds_load_2addr_b64 v[19:22], v1 offset0:107 offset1:108
	ds_load_2addr_b64 v[23:26], v1 offset0:109 offset1:110
	s_waitcnt vmcnt(4)
	v_fma_f64 v[2:3], v[29:30], v[35:36], v[2:3]
	s_waitcnt lgkmcnt(1)
	s_delay_alu instid0(VALU_DEP_1) | instskip(SKIP_1) | instid1(VALU_DEP_1)
	v_fma_f64 v[2:3], v[31:32], v[19:20], v[2:3]
	s_waitcnt vmcnt(3)
	v_fma_f64 v[2:3], v[149:150], v[21:22], v[2:3]
	s_waitcnt lgkmcnt(0)
	s_delay_alu instid0(VALU_DEP_1) | instskip(SKIP_1) | instid1(VALU_DEP_1)
	v_fma_f64 v[2:3], v[151:152], v[23:24], v[2:3]
	s_waitcnt vmcnt(2)
	v_fma_f64 v[15:16], v[15:16], v[25:26], v[2:3]
	ds_load_2addr_b64 v[19:22], v1 offset0:111 offset1:112
	ds_load_2addr_b64 v[1:4], v1 offset0:113 offset1:114
	s_waitcnt lgkmcnt(1)
	v_fma_f64 v[15:16], v[17:18], v[19:20], v[15:16]
	s_waitcnt vmcnt(1)
	s_delay_alu instid0(VALU_DEP_1) | instskip(SKIP_1) | instid1(VALU_DEP_1)
	v_fma_f64 v[15:16], v[145:146], v[21:22], v[15:16]
	s_waitcnt lgkmcnt(0)
	v_fma_f64 v[1:2], v[147:148], v[1:2], v[15:16]
	s_waitcnt vmcnt(0)
	s_delay_alu instid0(VALU_DEP_1) | instskip(NEXT) | instid1(VALU_DEP_1)
	v_fma_f64 v[1:2], v[27:28], v[3:4], v[1:2]
	v_add_f64 v[1:2], v[13:14], -v[1:2]
	scratch_store_b64 off, v[1:2], off offset:320
	v_cmpx_lt_u32_e32 39, v0
	s_cbranch_execz .LBB120_273
; %bb.272:
	scratch_load_b64 v[1:2], off, off offset:312
	v_mov_b32_e32 v3, 0
	s_delay_alu instid0(VALU_DEP_1)
	v_mov_b32_e32 v4, v3
	scratch_store_b64 off, v[3:4], off offset:312
	s_waitcnt vmcnt(0)
	ds_store_b64 v5, v[1:2]
.LBB120_273:
	s_or_b32 exec_lo, exec_lo, s0
	s_waitcnt lgkmcnt(0)
	s_waitcnt_vscnt null, 0x0
	s_barrier
	buffer_gl0_inv
	s_clause 0x4
	scratch_load_b128 v[13:16], off, off offset:312
	scratch_load_b128 v[17:20], off, off offset:328
	;; [unrolled: 1-line block ×5, first 2 shown]
	v_mov_b32_e32 v1, 0
	ds_load_b128 v[33:36], v1 offset:784
	ds_load_b128 v[145:148], v1 offset:800
	scratch_load_b128 v[149:152], off, off offset:392
	s_mov_b32 s0, exec_lo
	s_waitcnt vmcnt(5) lgkmcnt(1)
	v_fma_f64 v[2:3], v[15:16], v[33:34], 0
	s_waitcnt vmcnt(4)
	s_delay_alu instid0(VALU_DEP_1) | instskip(SKIP_4) | instid1(VALU_DEP_1)
	v_fma_f64 v[2:3], v[17:18], v[35:36], v[2:3]
	scratch_load_b128 v[15:18], off, off offset:408
	s_waitcnt lgkmcnt(0)
	v_fma_f64 v[2:3], v[19:20], v[145:146], v[2:3]
	s_waitcnt vmcnt(4)
	v_fma_f64 v[2:3], v[21:22], v[147:148], v[2:3]
	ds_load_b128 v[19:22], v1 offset:816
	ds_load_b128 v[33:36], v1 offset:832
	scratch_load_b128 v[145:148], off, off offset:424
	s_waitcnt lgkmcnt(1)
	v_fma_f64 v[2:3], v[23:24], v[19:20], v[2:3]
	s_waitcnt vmcnt(4)
	s_delay_alu instid0(VALU_DEP_1) | instskip(SKIP_4) | instid1(VALU_DEP_1)
	v_fma_f64 v[2:3], v[25:26], v[21:22], v[2:3]
	scratch_load_b128 v[19:22], off, off offset:440
	s_waitcnt lgkmcnt(0)
	v_fma_f64 v[2:3], v[27:28], v[33:34], v[2:3]
	s_waitcnt vmcnt(4)
	v_fma_f64 v[2:3], v[29:30], v[35:36], v[2:3]
	ds_load_b128 v[23:26], v1 offset:848
	ds_load_b128 v[27:30], v1 offset:864
	s_waitcnt lgkmcnt(1)
	v_fma_f64 v[2:3], v[31:32], v[23:24], v[2:3]
	s_waitcnt vmcnt(3)
	s_delay_alu instid0(VALU_DEP_1) | instskip(SKIP_1) | instid1(VALU_DEP_1)
	v_fma_f64 v[2:3], v[149:150], v[25:26], v[2:3]
	s_waitcnt lgkmcnt(0)
	v_fma_f64 v[2:3], v[151:152], v[27:28], v[2:3]
	s_waitcnt vmcnt(2)
	s_delay_alu instid0(VALU_DEP_1)
	v_fma_f64 v[2:3], v[15:16], v[29:30], v[2:3]
	ds_load_b128 v[23:26], v1 offset:880
	ds_load_b128 v[27:30], v1 offset:896
	ds_load_b64 v[15:16], v1 offset:912
	s_waitcnt lgkmcnt(2)
	v_fma_f64 v[2:3], v[17:18], v[23:24], v[2:3]
	s_waitcnt vmcnt(1)
	s_delay_alu instid0(VALU_DEP_1) | instskip(SKIP_1) | instid1(VALU_DEP_1)
	v_fma_f64 v[2:3], v[145:146], v[25:26], v[2:3]
	s_waitcnt lgkmcnt(1)
	v_fma_f64 v[2:3], v[147:148], v[27:28], v[2:3]
	s_waitcnt vmcnt(0)
	s_delay_alu instid0(VALU_DEP_1) | instskip(SKIP_1) | instid1(VALU_DEP_1)
	v_fma_f64 v[2:3], v[19:20], v[29:30], v[2:3]
	s_waitcnt lgkmcnt(0)
	v_fma_f64 v[2:3], v[21:22], v[15:16], v[2:3]
	s_delay_alu instid0(VALU_DEP_1)
	v_add_f64 v[2:3], v[13:14], -v[2:3]
	scratch_store_b64 off, v[2:3], off offset:312
	v_cmpx_lt_u32_e32 38, v0
	s_cbranch_execz .LBB120_275
; %bb.274:
	scratch_load_b64 v[3:4], off, off offset:304
	v_mov_b32_e32 v2, v1
	scratch_store_b64 off, v[1:2], off offset:304
	s_waitcnt vmcnt(0)
	ds_store_b64 v5, v[3:4]
.LBB120_275:
	s_or_b32 exec_lo, exec_lo, s0
	s_waitcnt lgkmcnt(0)
	s_waitcnt_vscnt null, 0x0
	s_barrier
	buffer_gl0_inv
	s_clause 0x4
	scratch_load_b128 v[13:16], off, off offset:304
	scratch_load_b128 v[17:20], off, off offset:320
	scratch_load_b128 v[21:24], off, off offset:336
	scratch_load_b128 v[25:28], off, off offset:352
	scratch_load_b128 v[29:32], off, off offset:368
	ds_load_2addr_b64 v[33:36], v1 offset0:97 offset1:98
	ds_load_2addr_b64 v[145:148], v1 offset0:99 offset1:100
	scratch_load_b128 v[149:152], off, off offset:384
	s_mov_b32 s0, exec_lo
	s_waitcnt vmcnt(5) lgkmcnt(1)
	v_fma_f64 v[2:3], v[15:16], v[33:34], 0
	s_waitcnt vmcnt(4)
	s_delay_alu instid0(VALU_DEP_1) | instskip(SKIP_4) | instid1(VALU_DEP_1)
	v_fma_f64 v[2:3], v[17:18], v[35:36], v[2:3]
	scratch_load_b128 v[15:18], off, off offset:400
	s_waitcnt lgkmcnt(0)
	v_fma_f64 v[2:3], v[19:20], v[145:146], v[2:3]
	s_waitcnt vmcnt(4)
	v_fma_f64 v[2:3], v[21:22], v[147:148], v[2:3]
	ds_load_2addr_b64 v[19:22], v1 offset0:101 offset1:102
	ds_load_2addr_b64 v[33:36], v1 offset0:103 offset1:104
	scratch_load_b128 v[145:148], off, off offset:416
	s_waitcnt lgkmcnt(1)
	v_fma_f64 v[2:3], v[23:24], v[19:20], v[2:3]
	s_waitcnt vmcnt(4)
	s_delay_alu instid0(VALU_DEP_1) | instskip(SKIP_4) | instid1(VALU_DEP_1)
	v_fma_f64 v[2:3], v[25:26], v[21:22], v[2:3]
	scratch_load_b128 v[19:22], off, off offset:432
	s_waitcnt lgkmcnt(0)
	v_fma_f64 v[2:3], v[27:28], v[33:34], v[2:3]
	s_waitcnt vmcnt(4)
	v_fma_f64 v[2:3], v[29:30], v[35:36], v[2:3]
	ds_load_2addr_b64 v[23:26], v1 offset0:105 offset1:106
	ds_load_2addr_b64 v[27:30], v1 offset0:107 offset1:108
	s_waitcnt lgkmcnt(1)
	v_fma_f64 v[2:3], v[31:32], v[23:24], v[2:3]
	scratch_load_b64 v[31:32], off, off offset:448
	s_waitcnt vmcnt(4)
	v_fma_f64 v[2:3], v[149:150], v[25:26], v[2:3]
	s_waitcnt lgkmcnt(0)
	s_delay_alu instid0(VALU_DEP_1) | instskip(SKIP_1) | instid1(VALU_DEP_1)
	v_fma_f64 v[2:3], v[151:152], v[27:28], v[2:3]
	s_waitcnt vmcnt(3)
	v_fma_f64 v[2:3], v[15:16], v[29:30], v[2:3]
	ds_load_2addr_b64 v[23:26], v1 offset0:109 offset1:110
	ds_load_2addr_b64 v[27:30], v1 offset0:111 offset1:112
	s_waitcnt lgkmcnt(1)
	v_fma_f64 v[2:3], v[17:18], v[23:24], v[2:3]
	s_waitcnt vmcnt(2)
	s_delay_alu instid0(VALU_DEP_1) | instskip(SKIP_1) | instid1(VALU_DEP_1)
	v_fma_f64 v[2:3], v[145:146], v[25:26], v[2:3]
	s_waitcnt lgkmcnt(0)
	v_fma_f64 v[2:3], v[147:148], v[27:28], v[2:3]
	s_waitcnt vmcnt(1)
	s_delay_alu instid0(VALU_DEP_1) | instskip(SKIP_4) | instid1(VALU_DEP_1)
	v_fma_f64 v[15:16], v[19:20], v[29:30], v[2:3]
	ds_load_2addr_b64 v[1:4], v1 offset0:113 offset1:114
	s_waitcnt lgkmcnt(0)
	v_fma_f64 v[1:2], v[21:22], v[1:2], v[15:16]
	s_waitcnt vmcnt(0)
	v_fma_f64 v[1:2], v[31:32], v[3:4], v[1:2]
	s_delay_alu instid0(VALU_DEP_1)
	v_add_f64 v[1:2], v[13:14], -v[1:2]
	scratch_store_b64 off, v[1:2], off offset:304
	v_cmpx_lt_u32_e32 37, v0
	s_cbranch_execz .LBB120_277
; %bb.276:
	scratch_load_b64 v[1:2], off, off offset:296
	v_mov_b32_e32 v3, 0
	s_delay_alu instid0(VALU_DEP_1)
	v_mov_b32_e32 v4, v3
	scratch_store_b64 off, v[3:4], off offset:296
	s_waitcnt vmcnt(0)
	ds_store_b64 v5, v[1:2]
.LBB120_277:
	s_or_b32 exec_lo, exec_lo, s0
	s_waitcnt lgkmcnt(0)
	s_waitcnt_vscnt null, 0x0
	s_barrier
	buffer_gl0_inv
	s_clause 0x4
	scratch_load_b128 v[13:16], off, off offset:296
	scratch_load_b128 v[17:20], off, off offset:312
	;; [unrolled: 1-line block ×5, first 2 shown]
	v_mov_b32_e32 v1, 0
	ds_load_b128 v[33:36], v1 offset:768
	ds_load_b128 v[145:148], v1 offset:784
	scratch_load_b128 v[149:152], off, off offset:376
	s_mov_b32 s0, exec_lo
	s_waitcnt vmcnt(5) lgkmcnt(1)
	v_fma_f64 v[2:3], v[15:16], v[33:34], 0
	s_waitcnt vmcnt(4)
	s_delay_alu instid0(VALU_DEP_1) | instskip(SKIP_4) | instid1(VALU_DEP_1)
	v_fma_f64 v[2:3], v[17:18], v[35:36], v[2:3]
	scratch_load_b128 v[15:18], off, off offset:392
	s_waitcnt lgkmcnt(0)
	v_fma_f64 v[2:3], v[19:20], v[145:146], v[2:3]
	s_waitcnt vmcnt(4)
	v_fma_f64 v[2:3], v[21:22], v[147:148], v[2:3]
	ds_load_b128 v[19:22], v1 offset:800
	ds_load_b128 v[33:36], v1 offset:816
	scratch_load_b128 v[145:148], off, off offset:408
	s_waitcnt lgkmcnt(1)
	v_fma_f64 v[2:3], v[23:24], v[19:20], v[2:3]
	s_waitcnt vmcnt(4)
	s_delay_alu instid0(VALU_DEP_1) | instskip(SKIP_4) | instid1(VALU_DEP_1)
	v_fma_f64 v[2:3], v[25:26], v[21:22], v[2:3]
	scratch_load_b128 v[19:22], off, off offset:424
	s_waitcnt lgkmcnt(0)
	v_fma_f64 v[2:3], v[27:28], v[33:34], v[2:3]
	s_waitcnt vmcnt(4)
	v_fma_f64 v[2:3], v[29:30], v[35:36], v[2:3]
	ds_load_b128 v[23:26], v1 offset:832
	ds_load_b128 v[27:30], v1 offset:848
	s_waitcnt lgkmcnt(1)
	v_fma_f64 v[2:3], v[31:32], v[23:24], v[2:3]
	scratch_load_b128 v[31:34], off, off offset:440
	s_waitcnt vmcnt(4)
	v_fma_f64 v[2:3], v[149:150], v[25:26], v[2:3]
	s_waitcnt lgkmcnt(0)
	s_delay_alu instid0(VALU_DEP_1) | instskip(SKIP_1) | instid1(VALU_DEP_1)
	v_fma_f64 v[2:3], v[151:152], v[27:28], v[2:3]
	s_waitcnt vmcnt(3)
	v_fma_f64 v[2:3], v[15:16], v[29:30], v[2:3]
	ds_load_b128 v[23:26], v1 offset:864
	ds_load_b128 v[27:30], v1 offset:880
	s_waitcnt lgkmcnt(1)
	v_fma_f64 v[2:3], v[17:18], v[23:24], v[2:3]
	s_waitcnt vmcnt(2)
	s_delay_alu instid0(VALU_DEP_1) | instskip(SKIP_1) | instid1(VALU_DEP_1)
	v_fma_f64 v[2:3], v[145:146], v[25:26], v[2:3]
	s_waitcnt lgkmcnt(0)
	v_fma_f64 v[2:3], v[147:148], v[27:28], v[2:3]
	s_waitcnt vmcnt(1)
	s_delay_alu instid0(VALU_DEP_1)
	v_fma_f64 v[2:3], v[19:20], v[29:30], v[2:3]
	ds_load_b128 v[15:18], v1 offset:896
	ds_load_b64 v[19:20], v1 offset:912
	s_waitcnt lgkmcnt(1)
	v_fma_f64 v[2:3], v[21:22], v[15:16], v[2:3]
	s_waitcnt vmcnt(0)
	s_delay_alu instid0(VALU_DEP_1) | instskip(SKIP_1) | instid1(VALU_DEP_1)
	v_fma_f64 v[2:3], v[31:32], v[17:18], v[2:3]
	s_waitcnt lgkmcnt(0)
	v_fma_f64 v[2:3], v[33:34], v[19:20], v[2:3]
	s_delay_alu instid0(VALU_DEP_1)
	v_add_f64 v[2:3], v[13:14], -v[2:3]
	scratch_store_b64 off, v[2:3], off offset:296
	v_cmpx_lt_u32_e32 36, v0
	s_cbranch_execz .LBB120_279
; %bb.278:
	scratch_load_b64 v[3:4], off, off offset:288
	v_mov_b32_e32 v2, v1
	scratch_store_b64 off, v[1:2], off offset:288
	s_waitcnt vmcnt(0)
	ds_store_b64 v5, v[3:4]
.LBB120_279:
	s_or_b32 exec_lo, exec_lo, s0
	s_waitcnt lgkmcnt(0)
	s_waitcnt_vscnt null, 0x0
	s_barrier
	buffer_gl0_inv
	s_clause 0x4
	scratch_load_b128 v[13:16], off, off offset:288
	scratch_load_b128 v[17:20], off, off offset:304
	;; [unrolled: 1-line block ×5, first 2 shown]
	ds_load_2addr_b64 v[33:36], v1 offset0:95 offset1:96
	ds_load_2addr_b64 v[145:148], v1 offset0:97 offset1:98
	scratch_load_b128 v[149:152], off, off offset:368
	s_mov_b32 s0, exec_lo
	s_waitcnt vmcnt(5) lgkmcnt(1)
	v_fma_f64 v[2:3], v[15:16], v[33:34], 0
	s_waitcnt vmcnt(4)
	s_delay_alu instid0(VALU_DEP_1) | instskip(SKIP_4) | instid1(VALU_DEP_1)
	v_fma_f64 v[2:3], v[17:18], v[35:36], v[2:3]
	scratch_load_b128 v[15:18], off, off offset:384
	s_waitcnt lgkmcnt(0)
	v_fma_f64 v[2:3], v[19:20], v[145:146], v[2:3]
	s_waitcnt vmcnt(4)
	v_fma_f64 v[2:3], v[21:22], v[147:148], v[2:3]
	ds_load_2addr_b64 v[19:22], v1 offset0:99 offset1:100
	ds_load_2addr_b64 v[33:36], v1 offset0:101 offset1:102
	scratch_load_b128 v[145:148], off, off offset:400
	s_waitcnt lgkmcnt(1)
	v_fma_f64 v[2:3], v[23:24], v[19:20], v[2:3]
	s_waitcnt vmcnt(4)
	s_delay_alu instid0(VALU_DEP_1) | instskip(SKIP_4) | instid1(VALU_DEP_1)
	v_fma_f64 v[2:3], v[25:26], v[21:22], v[2:3]
	scratch_load_b128 v[19:22], off, off offset:416
	s_waitcnt lgkmcnt(0)
	v_fma_f64 v[2:3], v[27:28], v[33:34], v[2:3]
	s_waitcnt vmcnt(4)
	v_fma_f64 v[2:3], v[29:30], v[35:36], v[2:3]
	ds_load_2addr_b64 v[23:26], v1 offset0:103 offset1:104
	ds_load_2addr_b64 v[27:30], v1 offset0:105 offset1:106
	scratch_load_b64 v[35:36], off, off offset:448
	s_waitcnt lgkmcnt(1)
	v_fma_f64 v[2:3], v[31:32], v[23:24], v[2:3]
	scratch_load_b128 v[31:34], off, off offset:432
	s_waitcnt vmcnt(5)
	v_fma_f64 v[2:3], v[149:150], v[25:26], v[2:3]
	s_waitcnt lgkmcnt(0)
	s_delay_alu instid0(VALU_DEP_1) | instskip(SKIP_1) | instid1(VALU_DEP_1)
	v_fma_f64 v[2:3], v[151:152], v[27:28], v[2:3]
	s_waitcnt vmcnt(4)
	v_fma_f64 v[2:3], v[15:16], v[29:30], v[2:3]
	ds_load_2addr_b64 v[23:26], v1 offset0:107 offset1:108
	ds_load_2addr_b64 v[27:30], v1 offset0:109 offset1:110
	s_waitcnt lgkmcnt(1)
	v_fma_f64 v[2:3], v[17:18], v[23:24], v[2:3]
	s_waitcnt vmcnt(3)
	s_delay_alu instid0(VALU_DEP_1) | instskip(SKIP_1) | instid1(VALU_DEP_1)
	v_fma_f64 v[2:3], v[145:146], v[25:26], v[2:3]
	s_waitcnt lgkmcnt(0)
	v_fma_f64 v[2:3], v[147:148], v[27:28], v[2:3]
	s_waitcnt vmcnt(2)
	s_delay_alu instid0(VALU_DEP_1)
	v_fma_f64 v[19:20], v[19:20], v[29:30], v[2:3]
	ds_load_2addr_b64 v[15:18], v1 offset0:111 offset1:112
	ds_load_2addr_b64 v[1:4], v1 offset0:113 offset1:114
	s_waitcnt lgkmcnt(1)
	v_fma_f64 v[15:16], v[21:22], v[15:16], v[19:20]
	s_waitcnt vmcnt(0)
	s_delay_alu instid0(VALU_DEP_1) | instskip(SKIP_1) | instid1(VALU_DEP_1)
	v_fma_f64 v[15:16], v[31:32], v[17:18], v[15:16]
	s_waitcnt lgkmcnt(0)
	v_fma_f64 v[1:2], v[33:34], v[1:2], v[15:16]
	s_delay_alu instid0(VALU_DEP_1) | instskip(NEXT) | instid1(VALU_DEP_1)
	v_fma_f64 v[1:2], v[35:36], v[3:4], v[1:2]
	v_add_f64 v[1:2], v[13:14], -v[1:2]
	scratch_store_b64 off, v[1:2], off offset:288
	v_cmpx_lt_u32_e32 35, v0
	s_cbranch_execz .LBB120_281
; %bb.280:
	scratch_load_b64 v[1:2], off, off offset:280
	v_mov_b32_e32 v3, 0
	s_delay_alu instid0(VALU_DEP_1)
	v_mov_b32_e32 v4, v3
	scratch_store_b64 off, v[3:4], off offset:280
	s_waitcnt vmcnt(0)
	ds_store_b64 v5, v[1:2]
.LBB120_281:
	s_or_b32 exec_lo, exec_lo, s0
	s_waitcnt lgkmcnt(0)
	s_waitcnt_vscnt null, 0x0
	s_barrier
	buffer_gl0_inv
	s_clause 0x4
	scratch_load_b128 v[13:16], off, off offset:280
	scratch_load_b128 v[17:20], off, off offset:296
	;; [unrolled: 1-line block ×5, first 2 shown]
	v_mov_b32_e32 v1, 0
	ds_load_b128 v[33:36], v1 offset:752
	ds_load_b128 v[145:148], v1 offset:768
	scratch_load_b128 v[149:152], off, off offset:360
	s_mov_b32 s0, exec_lo
	s_waitcnt vmcnt(5) lgkmcnt(1)
	v_fma_f64 v[2:3], v[15:16], v[33:34], 0
	s_waitcnt vmcnt(4)
	s_delay_alu instid0(VALU_DEP_1) | instskip(SKIP_4) | instid1(VALU_DEP_1)
	v_fma_f64 v[2:3], v[17:18], v[35:36], v[2:3]
	scratch_load_b128 v[15:18], off, off offset:376
	s_waitcnt lgkmcnt(0)
	v_fma_f64 v[2:3], v[19:20], v[145:146], v[2:3]
	s_waitcnt vmcnt(4)
	v_fma_f64 v[2:3], v[21:22], v[147:148], v[2:3]
	ds_load_b128 v[19:22], v1 offset:784
	ds_load_b128 v[33:36], v1 offset:800
	scratch_load_b128 v[145:148], off, off offset:392
	s_waitcnt lgkmcnt(1)
	v_fma_f64 v[2:3], v[23:24], v[19:20], v[2:3]
	s_waitcnt vmcnt(4)
	s_delay_alu instid0(VALU_DEP_1) | instskip(SKIP_4) | instid1(VALU_DEP_1)
	v_fma_f64 v[2:3], v[25:26], v[21:22], v[2:3]
	scratch_load_b128 v[19:22], off, off offset:408
	s_waitcnt lgkmcnt(0)
	v_fma_f64 v[2:3], v[27:28], v[33:34], v[2:3]
	s_waitcnt vmcnt(4)
	v_fma_f64 v[2:3], v[29:30], v[35:36], v[2:3]
	ds_load_b128 v[23:26], v1 offset:816
	ds_load_b128 v[27:30], v1 offset:832
	s_waitcnt lgkmcnt(1)
	v_fma_f64 v[2:3], v[31:32], v[23:24], v[2:3]
	scratch_load_b128 v[31:34], off, off offset:424
	s_waitcnt vmcnt(4)
	v_fma_f64 v[2:3], v[149:150], v[25:26], v[2:3]
	scratch_load_b128 v[23:26], off, off offset:440
	s_waitcnt lgkmcnt(0)
	v_fma_f64 v[2:3], v[151:152], v[27:28], v[2:3]
	s_waitcnt vmcnt(4)
	s_delay_alu instid0(VALU_DEP_1)
	v_fma_f64 v[2:3], v[15:16], v[29:30], v[2:3]
	ds_load_b128 v[27:30], v1 offset:848
	ds_load_b128 v[149:152], v1 offset:864
	s_waitcnt lgkmcnt(1)
	v_fma_f64 v[2:3], v[17:18], v[27:28], v[2:3]
	s_waitcnt vmcnt(3)
	s_delay_alu instid0(VALU_DEP_1)
	v_fma_f64 v[2:3], v[145:146], v[29:30], v[2:3]
	ds_load_b128 v[15:18], v1 offset:880
	ds_load_b128 v[27:30], v1 offset:896
	s_waitcnt lgkmcnt(2)
	v_fma_f64 v[2:3], v[147:148], v[149:150], v[2:3]
	s_waitcnt vmcnt(2)
	s_delay_alu instid0(VALU_DEP_1) | instskip(SKIP_1) | instid1(VALU_DEP_1)
	v_fma_f64 v[2:3], v[19:20], v[151:152], v[2:3]
	s_waitcnt lgkmcnt(1)
	v_fma_f64 v[2:3], v[21:22], v[15:16], v[2:3]
	ds_load_b64 v[15:16], v1 offset:912
	s_waitcnt vmcnt(1)
	v_fma_f64 v[2:3], v[31:32], v[17:18], v[2:3]
	s_waitcnt lgkmcnt(1)
	s_delay_alu instid0(VALU_DEP_1) | instskip(SKIP_1) | instid1(VALU_DEP_1)
	v_fma_f64 v[2:3], v[33:34], v[27:28], v[2:3]
	s_waitcnt vmcnt(0)
	v_fma_f64 v[2:3], v[23:24], v[29:30], v[2:3]
	s_waitcnt lgkmcnt(0)
	s_delay_alu instid0(VALU_DEP_1) | instskip(NEXT) | instid1(VALU_DEP_1)
	v_fma_f64 v[2:3], v[25:26], v[15:16], v[2:3]
	v_add_f64 v[2:3], v[13:14], -v[2:3]
	scratch_store_b64 off, v[2:3], off offset:280
	v_cmpx_lt_u32_e32 34, v0
	s_cbranch_execz .LBB120_283
; %bb.282:
	scratch_load_b64 v[3:4], off, off offset:272
	v_mov_b32_e32 v2, v1
	scratch_store_b64 off, v[1:2], off offset:272
	s_waitcnt vmcnt(0)
	ds_store_b64 v5, v[3:4]
.LBB120_283:
	s_or_b32 exec_lo, exec_lo, s0
	s_waitcnt lgkmcnt(0)
	s_waitcnt_vscnt null, 0x0
	s_barrier
	buffer_gl0_inv
	s_clause 0x4
	scratch_load_b128 v[13:16], off, off offset:272
	scratch_load_b128 v[17:20], off, off offset:288
	;; [unrolled: 1-line block ×5, first 2 shown]
	ds_load_2addr_b64 v[33:36], v1 offset0:93 offset1:94
	ds_load_2addr_b64 v[145:148], v1 offset0:95 offset1:96
	scratch_load_b128 v[149:152], off, off offset:352
	s_mov_b32 s0, exec_lo
	s_waitcnt vmcnt(5) lgkmcnt(1)
	v_fma_f64 v[2:3], v[15:16], v[33:34], 0
	s_waitcnt vmcnt(4)
	s_delay_alu instid0(VALU_DEP_1) | instskip(SKIP_4) | instid1(VALU_DEP_1)
	v_fma_f64 v[2:3], v[17:18], v[35:36], v[2:3]
	scratch_load_b128 v[15:18], off, off offset:368
	s_waitcnt lgkmcnt(0)
	v_fma_f64 v[2:3], v[19:20], v[145:146], v[2:3]
	s_waitcnt vmcnt(4)
	v_fma_f64 v[2:3], v[21:22], v[147:148], v[2:3]
	ds_load_2addr_b64 v[19:22], v1 offset0:97 offset1:98
	ds_load_2addr_b64 v[33:36], v1 offset0:99 offset1:100
	scratch_load_b128 v[145:148], off, off offset:384
	s_waitcnt lgkmcnt(1)
	v_fma_f64 v[2:3], v[23:24], v[19:20], v[2:3]
	s_waitcnt vmcnt(4)
	s_delay_alu instid0(VALU_DEP_1) | instskip(SKIP_4) | instid1(VALU_DEP_1)
	v_fma_f64 v[2:3], v[25:26], v[21:22], v[2:3]
	scratch_load_b128 v[19:22], off, off offset:400
	s_waitcnt lgkmcnt(0)
	v_fma_f64 v[2:3], v[27:28], v[33:34], v[2:3]
	s_waitcnt vmcnt(4)
	v_fma_f64 v[2:3], v[29:30], v[35:36], v[2:3]
	ds_load_2addr_b64 v[23:26], v1 offset0:101 offset1:102
	ds_load_2addr_b64 v[27:30], v1 offset0:103 offset1:104
	s_waitcnt lgkmcnt(1)
	v_fma_f64 v[2:3], v[31:32], v[23:24], v[2:3]
	scratch_load_b128 v[31:34], off, off offset:416
	s_waitcnt vmcnt(4)
	v_fma_f64 v[2:3], v[149:150], v[25:26], v[2:3]
	scratch_load_b128 v[23:26], off, off offset:432
	s_waitcnt lgkmcnt(0)
	v_fma_f64 v[2:3], v[151:152], v[27:28], v[2:3]
	s_waitcnt vmcnt(4)
	s_delay_alu instid0(VALU_DEP_1)
	v_fma_f64 v[2:3], v[15:16], v[29:30], v[2:3]
	ds_load_2addr_b64 v[27:30], v1 offset0:105 offset1:106
	ds_load_2addr_b64 v[149:152], v1 offset0:107 offset1:108
	scratch_load_b64 v[35:36], off, off offset:448
	s_waitcnt lgkmcnt(1)
	v_fma_f64 v[2:3], v[17:18], v[27:28], v[2:3]
	s_waitcnt vmcnt(4)
	s_delay_alu instid0(VALU_DEP_1)
	v_fma_f64 v[2:3], v[145:146], v[29:30], v[2:3]
	ds_load_2addr_b64 v[15:18], v1 offset0:109 offset1:110
	ds_load_2addr_b64 v[27:30], v1 offset0:111 offset1:112
	s_waitcnt lgkmcnt(2)
	v_fma_f64 v[2:3], v[147:148], v[149:150], v[2:3]
	s_waitcnt vmcnt(3)
	s_delay_alu instid0(VALU_DEP_1) | instskip(SKIP_1) | instid1(VALU_DEP_1)
	v_fma_f64 v[2:3], v[19:20], v[151:152], v[2:3]
	s_waitcnt lgkmcnt(1)
	v_fma_f64 v[2:3], v[21:22], v[15:16], v[2:3]
	s_waitcnt vmcnt(2)
	s_delay_alu instid0(VALU_DEP_1) | instskip(SKIP_1) | instid1(VALU_DEP_1)
	v_fma_f64 v[2:3], v[31:32], v[17:18], v[2:3]
	s_waitcnt lgkmcnt(0)
	v_fma_f64 v[2:3], v[33:34], v[27:28], v[2:3]
	s_waitcnt vmcnt(1)
	s_delay_alu instid0(VALU_DEP_1) | instskip(SKIP_4) | instid1(VALU_DEP_1)
	v_fma_f64 v[15:16], v[23:24], v[29:30], v[2:3]
	ds_load_2addr_b64 v[1:4], v1 offset0:113 offset1:114
	s_waitcnt lgkmcnt(0)
	v_fma_f64 v[1:2], v[25:26], v[1:2], v[15:16]
	s_waitcnt vmcnt(0)
	v_fma_f64 v[1:2], v[35:36], v[3:4], v[1:2]
	s_delay_alu instid0(VALU_DEP_1)
	v_add_f64 v[1:2], v[13:14], -v[1:2]
	scratch_store_b64 off, v[1:2], off offset:272
	v_cmpx_lt_u32_e32 33, v0
	s_cbranch_execz .LBB120_285
; %bb.284:
	scratch_load_b64 v[1:2], off, off offset:264
	v_mov_b32_e32 v3, 0
	s_delay_alu instid0(VALU_DEP_1)
	v_mov_b32_e32 v4, v3
	scratch_store_b64 off, v[3:4], off offset:264
	s_waitcnt vmcnt(0)
	ds_store_b64 v5, v[1:2]
.LBB120_285:
	s_or_b32 exec_lo, exec_lo, s0
	s_waitcnt lgkmcnt(0)
	s_waitcnt_vscnt null, 0x0
	s_barrier
	buffer_gl0_inv
	s_clause 0x4
	scratch_load_b128 v[13:16], off, off offset:264
	scratch_load_b128 v[17:20], off, off offset:280
	;; [unrolled: 1-line block ×5, first 2 shown]
	v_mov_b32_e32 v1, 0
	ds_load_b128 v[33:36], v1 offset:736
	ds_load_b128 v[145:148], v1 offset:752
	scratch_load_b128 v[149:152], off, off offset:344
	s_mov_b32 s0, exec_lo
	s_waitcnt vmcnt(5) lgkmcnt(1)
	v_fma_f64 v[2:3], v[15:16], v[33:34], 0
	s_waitcnt vmcnt(4)
	s_delay_alu instid0(VALU_DEP_1) | instskip(SKIP_4) | instid1(VALU_DEP_1)
	v_fma_f64 v[2:3], v[17:18], v[35:36], v[2:3]
	scratch_load_b128 v[15:18], off, off offset:360
	s_waitcnt lgkmcnt(0)
	v_fma_f64 v[2:3], v[19:20], v[145:146], v[2:3]
	s_waitcnt vmcnt(4)
	v_fma_f64 v[2:3], v[21:22], v[147:148], v[2:3]
	ds_load_b128 v[19:22], v1 offset:768
	ds_load_b128 v[33:36], v1 offset:784
	scratch_load_b128 v[145:148], off, off offset:376
	s_waitcnt lgkmcnt(1)
	v_fma_f64 v[2:3], v[23:24], v[19:20], v[2:3]
	s_waitcnt vmcnt(4)
	s_delay_alu instid0(VALU_DEP_1) | instskip(SKIP_4) | instid1(VALU_DEP_1)
	v_fma_f64 v[2:3], v[25:26], v[21:22], v[2:3]
	scratch_load_b128 v[19:22], off, off offset:392
	s_waitcnt lgkmcnt(0)
	v_fma_f64 v[2:3], v[27:28], v[33:34], v[2:3]
	s_waitcnt vmcnt(4)
	v_fma_f64 v[2:3], v[29:30], v[35:36], v[2:3]
	ds_load_b128 v[23:26], v1 offset:800
	ds_load_b128 v[27:30], v1 offset:816
	s_waitcnt lgkmcnt(1)
	v_fma_f64 v[2:3], v[31:32], v[23:24], v[2:3]
	scratch_load_b128 v[31:34], off, off offset:408
	s_waitcnt vmcnt(4)
	v_fma_f64 v[2:3], v[149:150], v[25:26], v[2:3]
	scratch_load_b128 v[23:26], off, off offset:424
	s_waitcnt lgkmcnt(0)
	v_fma_f64 v[2:3], v[151:152], v[27:28], v[2:3]
	s_waitcnt vmcnt(4)
	s_delay_alu instid0(VALU_DEP_1)
	v_fma_f64 v[2:3], v[15:16], v[29:30], v[2:3]
	ds_load_b128 v[27:30], v1 offset:832
	ds_load_b128 v[149:152], v1 offset:848
	s_waitcnt lgkmcnt(1)
	v_fma_f64 v[2:3], v[17:18], v[27:28], v[2:3]
	scratch_load_b128 v[15:18], off, off offset:440
	s_waitcnt vmcnt(4)
	v_fma_f64 v[2:3], v[145:146], v[29:30], v[2:3]
	s_waitcnt lgkmcnt(0)
	s_delay_alu instid0(VALU_DEP_1)
	v_fma_f64 v[2:3], v[147:148], v[149:150], v[2:3]
	ds_load_b128 v[27:30], v1 offset:864
	ds_load_b128 v[145:148], v1 offset:880
	s_waitcnt vmcnt(3)
	v_fma_f64 v[2:3], v[19:20], v[151:152], v[2:3]
	s_waitcnt lgkmcnt(1)
	s_delay_alu instid0(VALU_DEP_1) | instskip(SKIP_1) | instid1(VALU_DEP_1)
	v_fma_f64 v[2:3], v[21:22], v[27:28], v[2:3]
	s_waitcnt vmcnt(2)
	v_fma_f64 v[2:3], v[31:32], v[29:30], v[2:3]
	s_waitcnt lgkmcnt(0)
	s_delay_alu instid0(VALU_DEP_1) | instskip(SKIP_1) | instid1(VALU_DEP_1)
	v_fma_f64 v[2:3], v[33:34], v[145:146], v[2:3]
	s_waitcnt vmcnt(1)
	v_fma_f64 v[2:3], v[23:24], v[147:148], v[2:3]
	ds_load_b128 v[19:22], v1 offset:896
	ds_load_b64 v[23:24], v1 offset:912
	s_waitcnt lgkmcnt(1)
	v_fma_f64 v[2:3], v[25:26], v[19:20], v[2:3]
	s_waitcnt vmcnt(0)
	s_delay_alu instid0(VALU_DEP_1) | instskip(SKIP_1) | instid1(VALU_DEP_1)
	v_fma_f64 v[2:3], v[15:16], v[21:22], v[2:3]
	s_waitcnt lgkmcnt(0)
	v_fma_f64 v[2:3], v[17:18], v[23:24], v[2:3]
	s_delay_alu instid0(VALU_DEP_1)
	v_add_f64 v[2:3], v[13:14], -v[2:3]
	scratch_store_b64 off, v[2:3], off offset:264
	v_cmpx_lt_u32_e32 32, v0
	s_cbranch_execz .LBB120_287
; %bb.286:
	scratch_load_b64 v[3:4], off, off offset:256
	v_mov_b32_e32 v2, v1
	scratch_store_b64 off, v[1:2], off offset:256
	s_waitcnt vmcnt(0)
	ds_store_b64 v5, v[3:4]
.LBB120_287:
	s_or_b32 exec_lo, exec_lo, s0
	s_waitcnt lgkmcnt(0)
	s_waitcnt_vscnt null, 0x0
	s_barrier
	buffer_gl0_inv
	s_clause 0x4
	scratch_load_b128 v[13:16], off, off offset:256
	scratch_load_b128 v[17:20], off, off offset:272
	;; [unrolled: 1-line block ×5, first 2 shown]
	ds_load_2addr_b64 v[33:36], v1 offset0:91 offset1:92
	ds_load_2addr_b64 v[145:148], v1 offset0:93 offset1:94
	scratch_load_b128 v[149:152], off, off offset:336
	s_mov_b32 s0, exec_lo
	s_waitcnt vmcnt(5) lgkmcnt(1)
	v_fma_f64 v[2:3], v[15:16], v[33:34], 0
	s_waitcnt vmcnt(4)
	s_delay_alu instid0(VALU_DEP_1) | instskip(SKIP_4) | instid1(VALU_DEP_1)
	v_fma_f64 v[2:3], v[17:18], v[35:36], v[2:3]
	scratch_load_b128 v[15:18], off, off offset:352
	s_waitcnt lgkmcnt(0)
	v_fma_f64 v[2:3], v[19:20], v[145:146], v[2:3]
	s_waitcnt vmcnt(4)
	v_fma_f64 v[2:3], v[21:22], v[147:148], v[2:3]
	ds_load_2addr_b64 v[19:22], v1 offset0:95 offset1:96
	ds_load_2addr_b64 v[33:36], v1 offset0:97 offset1:98
	scratch_load_b128 v[145:148], off, off offset:368
	s_waitcnt lgkmcnt(1)
	v_fma_f64 v[2:3], v[23:24], v[19:20], v[2:3]
	s_waitcnt vmcnt(4)
	s_delay_alu instid0(VALU_DEP_1) | instskip(SKIP_4) | instid1(VALU_DEP_1)
	v_fma_f64 v[2:3], v[25:26], v[21:22], v[2:3]
	scratch_load_b128 v[19:22], off, off offset:384
	s_waitcnt lgkmcnt(0)
	v_fma_f64 v[2:3], v[27:28], v[33:34], v[2:3]
	s_waitcnt vmcnt(4)
	v_fma_f64 v[2:3], v[29:30], v[35:36], v[2:3]
	ds_load_2addr_b64 v[23:26], v1 offset0:99 offset1:100
	ds_load_2addr_b64 v[27:30], v1 offset0:101 offset1:102
	s_waitcnt lgkmcnt(1)
	v_fma_f64 v[2:3], v[31:32], v[23:24], v[2:3]
	scratch_load_b128 v[31:34], off, off offset:400
	s_waitcnt vmcnt(4)
	v_fma_f64 v[2:3], v[149:150], v[25:26], v[2:3]
	scratch_load_b128 v[23:26], off, off offset:416
	s_waitcnt lgkmcnt(0)
	v_fma_f64 v[2:3], v[151:152], v[27:28], v[2:3]
	s_waitcnt vmcnt(4)
	s_delay_alu instid0(VALU_DEP_1)
	v_fma_f64 v[2:3], v[15:16], v[29:30], v[2:3]
	ds_load_2addr_b64 v[27:30], v1 offset0:103 offset1:104
	ds_load_2addr_b64 v[149:152], v1 offset0:105 offset1:106
	scratch_load_b64 v[35:36], off, off offset:448
	s_waitcnt lgkmcnt(1)
	v_fma_f64 v[2:3], v[17:18], v[27:28], v[2:3]
	scratch_load_b128 v[15:18], off, off offset:432
	s_waitcnt vmcnt(5)
	v_fma_f64 v[2:3], v[145:146], v[29:30], v[2:3]
	s_waitcnt lgkmcnt(0)
	s_delay_alu instid0(VALU_DEP_1)
	v_fma_f64 v[2:3], v[147:148], v[149:150], v[2:3]
	ds_load_2addr_b64 v[27:30], v1 offset0:107 offset1:108
	ds_load_2addr_b64 v[145:148], v1 offset0:109 offset1:110
	s_waitcnt vmcnt(4)
	v_fma_f64 v[2:3], v[19:20], v[151:152], v[2:3]
	s_waitcnt lgkmcnt(1)
	s_delay_alu instid0(VALU_DEP_1) | instskip(SKIP_1) | instid1(VALU_DEP_1)
	v_fma_f64 v[2:3], v[21:22], v[27:28], v[2:3]
	s_waitcnt vmcnt(3)
	v_fma_f64 v[2:3], v[31:32], v[29:30], v[2:3]
	s_waitcnt lgkmcnt(0)
	s_delay_alu instid0(VALU_DEP_1) | instskip(SKIP_1) | instid1(VALU_DEP_1)
	v_fma_f64 v[2:3], v[33:34], v[145:146], v[2:3]
	s_waitcnt vmcnt(2)
	v_fma_f64 v[23:24], v[23:24], v[147:148], v[2:3]
	ds_load_2addr_b64 v[19:22], v1 offset0:111 offset1:112
	ds_load_2addr_b64 v[1:4], v1 offset0:113 offset1:114
	s_waitcnt lgkmcnt(1)
	v_fma_f64 v[19:20], v[25:26], v[19:20], v[23:24]
	s_waitcnt vmcnt(0)
	s_delay_alu instid0(VALU_DEP_1) | instskip(SKIP_1) | instid1(VALU_DEP_1)
	v_fma_f64 v[15:16], v[15:16], v[21:22], v[19:20]
	s_waitcnt lgkmcnt(0)
	v_fma_f64 v[1:2], v[17:18], v[1:2], v[15:16]
	s_delay_alu instid0(VALU_DEP_1) | instskip(NEXT) | instid1(VALU_DEP_1)
	v_fma_f64 v[1:2], v[35:36], v[3:4], v[1:2]
	v_add_f64 v[1:2], v[13:14], -v[1:2]
	scratch_store_b64 off, v[1:2], off offset:256
	v_cmpx_lt_u32_e32 31, v0
	s_cbranch_execz .LBB120_289
; %bb.288:
	scratch_load_b64 v[1:2], off, off offset:248
	v_mov_b32_e32 v3, 0
	s_delay_alu instid0(VALU_DEP_1)
	v_mov_b32_e32 v4, v3
	scratch_store_b64 off, v[3:4], off offset:248
	s_waitcnt vmcnt(0)
	ds_store_b64 v5, v[1:2]
.LBB120_289:
	s_or_b32 exec_lo, exec_lo, s0
	s_waitcnt lgkmcnt(0)
	s_waitcnt_vscnt null, 0x0
	s_barrier
	buffer_gl0_inv
	s_clause 0x4
	scratch_load_b128 v[13:16], off, off offset:248
	scratch_load_b128 v[17:20], off, off offset:264
	;; [unrolled: 1-line block ×5, first 2 shown]
	v_mov_b32_e32 v1, 0
	ds_load_b128 v[33:36], v1 offset:720
	ds_load_b128 v[145:148], v1 offset:736
	scratch_load_b128 v[149:152], off, off offset:328
	s_mov_b32 s0, exec_lo
	s_waitcnt vmcnt(5) lgkmcnt(1)
	v_fma_f64 v[2:3], v[15:16], v[33:34], 0
	s_waitcnt vmcnt(4)
	s_delay_alu instid0(VALU_DEP_1) | instskip(SKIP_4) | instid1(VALU_DEP_1)
	v_fma_f64 v[2:3], v[17:18], v[35:36], v[2:3]
	scratch_load_b128 v[15:18], off, off offset:344
	s_waitcnt lgkmcnt(0)
	v_fma_f64 v[2:3], v[19:20], v[145:146], v[2:3]
	s_waitcnt vmcnt(4)
	v_fma_f64 v[2:3], v[21:22], v[147:148], v[2:3]
	ds_load_b128 v[19:22], v1 offset:752
	ds_load_b128 v[33:36], v1 offset:768
	scratch_load_b128 v[145:148], off, off offset:360
	s_waitcnt lgkmcnt(1)
	v_fma_f64 v[2:3], v[23:24], v[19:20], v[2:3]
	s_waitcnt vmcnt(4)
	s_delay_alu instid0(VALU_DEP_1) | instskip(SKIP_4) | instid1(VALU_DEP_1)
	v_fma_f64 v[2:3], v[25:26], v[21:22], v[2:3]
	scratch_load_b128 v[19:22], off, off offset:376
	s_waitcnt lgkmcnt(0)
	v_fma_f64 v[2:3], v[27:28], v[33:34], v[2:3]
	s_waitcnt vmcnt(4)
	v_fma_f64 v[2:3], v[29:30], v[35:36], v[2:3]
	ds_load_b128 v[23:26], v1 offset:784
	ds_load_b128 v[27:30], v1 offset:800
	s_waitcnt lgkmcnt(1)
	v_fma_f64 v[2:3], v[31:32], v[23:24], v[2:3]
	scratch_load_b128 v[31:34], off, off offset:392
	s_waitcnt vmcnt(4)
	v_fma_f64 v[2:3], v[149:150], v[25:26], v[2:3]
	scratch_load_b128 v[23:26], off, off offset:408
	s_waitcnt lgkmcnt(0)
	v_fma_f64 v[2:3], v[151:152], v[27:28], v[2:3]
	s_waitcnt vmcnt(4)
	s_delay_alu instid0(VALU_DEP_1)
	v_fma_f64 v[2:3], v[15:16], v[29:30], v[2:3]
	ds_load_b128 v[27:30], v1 offset:816
	ds_load_b128 v[149:152], v1 offset:832
	s_waitcnt lgkmcnt(1)
	v_fma_f64 v[2:3], v[17:18], v[27:28], v[2:3]
	scratch_load_b128 v[15:18], off, off offset:424
	s_waitcnt vmcnt(4)
	v_fma_f64 v[2:3], v[145:146], v[29:30], v[2:3]
	scratch_load_b128 v[27:30], off, off offset:440
	s_waitcnt lgkmcnt(0)
	v_fma_f64 v[2:3], v[147:148], v[149:150], v[2:3]
	s_waitcnt vmcnt(4)
	s_delay_alu instid0(VALU_DEP_1)
	v_fma_f64 v[2:3], v[19:20], v[151:152], v[2:3]
	ds_load_b128 v[145:148], v1 offset:848
	ds_load_b128 v[149:152], v1 offset:864
	s_waitcnt lgkmcnt(1)
	v_fma_f64 v[2:3], v[21:22], v[145:146], v[2:3]
	s_waitcnt vmcnt(3)
	s_delay_alu instid0(VALU_DEP_1) | instskip(SKIP_1) | instid1(VALU_DEP_1)
	v_fma_f64 v[2:3], v[31:32], v[147:148], v[2:3]
	s_waitcnt lgkmcnt(0)
	v_fma_f64 v[2:3], v[33:34], v[149:150], v[2:3]
	ds_load_b128 v[19:22], v1 offset:880
	ds_load_b128 v[31:34], v1 offset:896
	s_waitcnt vmcnt(2)
	v_fma_f64 v[2:3], v[23:24], v[151:152], v[2:3]
	s_waitcnt lgkmcnt(1)
	s_delay_alu instid0(VALU_DEP_1) | instskip(SKIP_1) | instid1(VALU_DEP_1)
	v_fma_f64 v[2:3], v[25:26], v[19:20], v[2:3]
	s_waitcnt vmcnt(1)
	v_fma_f64 v[2:3], v[15:16], v[21:22], v[2:3]
	ds_load_b64 v[15:16], v1 offset:912
	s_waitcnt lgkmcnt(1)
	v_fma_f64 v[2:3], v[17:18], v[31:32], v[2:3]
	s_waitcnt vmcnt(0)
	s_delay_alu instid0(VALU_DEP_1) | instskip(SKIP_1) | instid1(VALU_DEP_1)
	v_fma_f64 v[2:3], v[27:28], v[33:34], v[2:3]
	s_waitcnt lgkmcnt(0)
	v_fma_f64 v[2:3], v[29:30], v[15:16], v[2:3]
	s_delay_alu instid0(VALU_DEP_1)
	v_add_f64 v[2:3], v[13:14], -v[2:3]
	scratch_store_b64 off, v[2:3], off offset:248
	v_cmpx_lt_u32_e32 30, v0
	s_cbranch_execz .LBB120_291
; %bb.290:
	scratch_load_b64 v[3:4], off, off offset:240
	v_mov_b32_e32 v2, v1
	scratch_store_b64 off, v[1:2], off offset:240
	s_waitcnt vmcnt(0)
	ds_store_b64 v5, v[3:4]
.LBB120_291:
	s_or_b32 exec_lo, exec_lo, s0
	s_waitcnt lgkmcnt(0)
	s_waitcnt_vscnt null, 0x0
	s_barrier
	buffer_gl0_inv
	s_clause 0x4
	scratch_load_b128 v[13:16], off, off offset:240
	scratch_load_b128 v[17:20], off, off offset:256
	;; [unrolled: 1-line block ×5, first 2 shown]
	ds_load_2addr_b64 v[33:36], v1 offset0:89 offset1:90
	ds_load_2addr_b64 v[145:148], v1 offset0:91 offset1:92
	scratch_load_b128 v[149:152], off, off offset:320
	s_mov_b32 s0, exec_lo
	s_waitcnt vmcnt(5) lgkmcnt(1)
	v_fma_f64 v[2:3], v[15:16], v[33:34], 0
	s_waitcnt vmcnt(4)
	s_delay_alu instid0(VALU_DEP_1) | instskip(SKIP_4) | instid1(VALU_DEP_1)
	v_fma_f64 v[2:3], v[17:18], v[35:36], v[2:3]
	scratch_load_b128 v[15:18], off, off offset:336
	s_waitcnt lgkmcnt(0)
	v_fma_f64 v[2:3], v[19:20], v[145:146], v[2:3]
	s_waitcnt vmcnt(4)
	v_fma_f64 v[2:3], v[21:22], v[147:148], v[2:3]
	ds_load_2addr_b64 v[19:22], v1 offset0:93 offset1:94
	ds_load_2addr_b64 v[33:36], v1 offset0:95 offset1:96
	scratch_load_b128 v[145:148], off, off offset:352
	s_waitcnt lgkmcnt(1)
	v_fma_f64 v[2:3], v[23:24], v[19:20], v[2:3]
	s_waitcnt vmcnt(4)
	s_delay_alu instid0(VALU_DEP_1) | instskip(SKIP_4) | instid1(VALU_DEP_1)
	v_fma_f64 v[2:3], v[25:26], v[21:22], v[2:3]
	scratch_load_b128 v[19:22], off, off offset:368
	s_waitcnt lgkmcnt(0)
	v_fma_f64 v[2:3], v[27:28], v[33:34], v[2:3]
	s_waitcnt vmcnt(4)
	v_fma_f64 v[2:3], v[29:30], v[35:36], v[2:3]
	ds_load_2addr_b64 v[23:26], v1 offset0:97 offset1:98
	ds_load_2addr_b64 v[27:30], v1 offset0:99 offset1:100
	s_waitcnt lgkmcnt(1)
	v_fma_f64 v[2:3], v[31:32], v[23:24], v[2:3]
	scratch_load_b128 v[31:34], off, off offset:384
	s_waitcnt vmcnt(4)
	v_fma_f64 v[2:3], v[149:150], v[25:26], v[2:3]
	scratch_load_b128 v[23:26], off, off offset:400
	s_waitcnt lgkmcnt(0)
	v_fma_f64 v[2:3], v[151:152], v[27:28], v[2:3]
	s_waitcnt vmcnt(4)
	s_delay_alu instid0(VALU_DEP_1)
	v_fma_f64 v[2:3], v[15:16], v[29:30], v[2:3]
	ds_load_2addr_b64 v[27:30], v1 offset0:101 offset1:102
	ds_load_2addr_b64 v[149:152], v1 offset0:103 offset1:104
	s_waitcnt lgkmcnt(1)
	v_fma_f64 v[2:3], v[17:18], v[27:28], v[2:3]
	scratch_load_b128 v[15:18], off, off offset:416
	s_waitcnt vmcnt(4)
	v_fma_f64 v[2:3], v[145:146], v[29:30], v[2:3]
	scratch_load_b128 v[27:30], off, off offset:432
	s_waitcnt lgkmcnt(0)
	v_fma_f64 v[2:3], v[147:148], v[149:150], v[2:3]
	s_waitcnt vmcnt(4)
	s_delay_alu instid0(VALU_DEP_1)
	v_fma_f64 v[2:3], v[19:20], v[151:152], v[2:3]
	ds_load_2addr_b64 v[145:148], v1 offset0:105 offset1:106
	ds_load_2addr_b64 v[149:152], v1 offset0:107 offset1:108
	scratch_load_b64 v[35:36], off, off offset:448
	s_waitcnt lgkmcnt(1)
	v_fma_f64 v[2:3], v[21:22], v[145:146], v[2:3]
	s_waitcnt vmcnt(4)
	s_delay_alu instid0(VALU_DEP_1) | instskip(SKIP_1) | instid1(VALU_DEP_1)
	v_fma_f64 v[2:3], v[31:32], v[147:148], v[2:3]
	s_waitcnt lgkmcnt(0)
	v_fma_f64 v[2:3], v[33:34], v[149:150], v[2:3]
	ds_load_2addr_b64 v[19:22], v1 offset0:109 offset1:110
	ds_load_2addr_b64 v[31:34], v1 offset0:111 offset1:112
	s_waitcnt vmcnt(3)
	v_fma_f64 v[2:3], v[23:24], v[151:152], v[2:3]
	s_waitcnt lgkmcnt(1)
	s_delay_alu instid0(VALU_DEP_1) | instskip(SKIP_1) | instid1(VALU_DEP_1)
	v_fma_f64 v[2:3], v[25:26], v[19:20], v[2:3]
	s_waitcnt vmcnt(2)
	v_fma_f64 v[2:3], v[15:16], v[21:22], v[2:3]
	s_waitcnt lgkmcnt(0)
	s_delay_alu instid0(VALU_DEP_1) | instskip(SKIP_1) | instid1(VALU_DEP_1)
	v_fma_f64 v[2:3], v[17:18], v[31:32], v[2:3]
	s_waitcnt vmcnt(1)
	v_fma_f64 v[15:16], v[27:28], v[33:34], v[2:3]
	ds_load_2addr_b64 v[1:4], v1 offset0:113 offset1:114
	s_waitcnt lgkmcnt(0)
	v_fma_f64 v[1:2], v[29:30], v[1:2], v[15:16]
	s_waitcnt vmcnt(0)
	s_delay_alu instid0(VALU_DEP_1) | instskip(NEXT) | instid1(VALU_DEP_1)
	v_fma_f64 v[1:2], v[35:36], v[3:4], v[1:2]
	v_add_f64 v[1:2], v[13:14], -v[1:2]
	scratch_store_b64 off, v[1:2], off offset:240
	v_cmpx_lt_u32_e32 29, v0
	s_cbranch_execz .LBB120_293
; %bb.292:
	scratch_load_b64 v[1:2], off, off offset:232
	v_mov_b32_e32 v3, 0
	s_delay_alu instid0(VALU_DEP_1)
	v_mov_b32_e32 v4, v3
	scratch_store_b64 off, v[3:4], off offset:232
	s_waitcnt vmcnt(0)
	ds_store_b64 v5, v[1:2]
.LBB120_293:
	s_or_b32 exec_lo, exec_lo, s0
	s_waitcnt lgkmcnt(0)
	s_waitcnt_vscnt null, 0x0
	s_barrier
	buffer_gl0_inv
	s_clause 0x4
	scratch_load_b128 v[13:16], off, off offset:232
	scratch_load_b128 v[17:20], off, off offset:248
	;; [unrolled: 1-line block ×5, first 2 shown]
	v_mov_b32_e32 v1, 0
	ds_load_b128 v[33:36], v1 offset:704
	ds_load_b128 v[145:148], v1 offset:720
	scratch_load_b128 v[149:152], off, off offset:312
	s_mov_b32 s0, exec_lo
	s_waitcnt vmcnt(5) lgkmcnt(1)
	v_fma_f64 v[2:3], v[15:16], v[33:34], 0
	s_waitcnt vmcnt(4)
	s_delay_alu instid0(VALU_DEP_1) | instskip(SKIP_4) | instid1(VALU_DEP_1)
	v_fma_f64 v[2:3], v[17:18], v[35:36], v[2:3]
	scratch_load_b128 v[15:18], off, off offset:328
	s_waitcnt lgkmcnt(0)
	v_fma_f64 v[2:3], v[19:20], v[145:146], v[2:3]
	s_waitcnt vmcnt(4)
	v_fma_f64 v[2:3], v[21:22], v[147:148], v[2:3]
	ds_load_b128 v[19:22], v1 offset:736
	ds_load_b128 v[33:36], v1 offset:752
	scratch_load_b128 v[145:148], off, off offset:344
	s_waitcnt lgkmcnt(1)
	v_fma_f64 v[2:3], v[23:24], v[19:20], v[2:3]
	s_waitcnt vmcnt(4)
	s_delay_alu instid0(VALU_DEP_1) | instskip(SKIP_4) | instid1(VALU_DEP_1)
	v_fma_f64 v[2:3], v[25:26], v[21:22], v[2:3]
	scratch_load_b128 v[19:22], off, off offset:360
	s_waitcnt lgkmcnt(0)
	v_fma_f64 v[2:3], v[27:28], v[33:34], v[2:3]
	s_waitcnt vmcnt(4)
	v_fma_f64 v[2:3], v[29:30], v[35:36], v[2:3]
	ds_load_b128 v[23:26], v1 offset:768
	ds_load_b128 v[27:30], v1 offset:784
	s_waitcnt lgkmcnt(1)
	v_fma_f64 v[2:3], v[31:32], v[23:24], v[2:3]
	scratch_load_b128 v[31:34], off, off offset:376
	s_waitcnt vmcnt(4)
	v_fma_f64 v[2:3], v[149:150], v[25:26], v[2:3]
	scratch_load_b128 v[23:26], off, off offset:392
	s_waitcnt lgkmcnt(0)
	v_fma_f64 v[2:3], v[151:152], v[27:28], v[2:3]
	s_waitcnt vmcnt(4)
	s_delay_alu instid0(VALU_DEP_1)
	v_fma_f64 v[2:3], v[15:16], v[29:30], v[2:3]
	ds_load_b128 v[27:30], v1 offset:800
	ds_load_b128 v[149:152], v1 offset:816
	s_waitcnt lgkmcnt(1)
	v_fma_f64 v[2:3], v[17:18], v[27:28], v[2:3]
	scratch_load_b128 v[15:18], off, off offset:408
	s_waitcnt vmcnt(4)
	v_fma_f64 v[2:3], v[145:146], v[29:30], v[2:3]
	scratch_load_b128 v[27:30], off, off offset:424
	s_waitcnt lgkmcnt(0)
	v_fma_f64 v[2:3], v[147:148], v[149:150], v[2:3]
	s_waitcnt vmcnt(4)
	s_delay_alu instid0(VALU_DEP_1)
	v_fma_f64 v[2:3], v[19:20], v[151:152], v[2:3]
	ds_load_b128 v[145:148], v1 offset:832
	ds_load_b128 v[149:152], v1 offset:848
	s_waitcnt lgkmcnt(1)
	v_fma_f64 v[2:3], v[21:22], v[145:146], v[2:3]
	scratch_load_b128 v[19:22], off, off offset:440
	s_waitcnt vmcnt(4)
	v_fma_f64 v[2:3], v[31:32], v[147:148], v[2:3]
	s_waitcnt lgkmcnt(0)
	s_delay_alu instid0(VALU_DEP_1)
	v_fma_f64 v[2:3], v[33:34], v[149:150], v[2:3]
	ds_load_b128 v[31:34], v1 offset:864
	ds_load_b128 v[145:148], v1 offset:880
	s_waitcnt vmcnt(3)
	v_fma_f64 v[2:3], v[23:24], v[151:152], v[2:3]
	s_waitcnt lgkmcnt(1)
	s_delay_alu instid0(VALU_DEP_1) | instskip(SKIP_1) | instid1(VALU_DEP_1)
	v_fma_f64 v[2:3], v[25:26], v[31:32], v[2:3]
	s_waitcnt vmcnt(2)
	v_fma_f64 v[2:3], v[15:16], v[33:34], v[2:3]
	s_waitcnt lgkmcnt(0)
	s_delay_alu instid0(VALU_DEP_1)
	v_fma_f64 v[2:3], v[17:18], v[145:146], v[2:3]
	ds_load_b128 v[15:18], v1 offset:896
	ds_load_b64 v[23:24], v1 offset:912
	s_waitcnt vmcnt(1)
	v_fma_f64 v[2:3], v[27:28], v[147:148], v[2:3]
	s_waitcnt lgkmcnt(1)
	s_delay_alu instid0(VALU_DEP_1) | instskip(SKIP_1) | instid1(VALU_DEP_1)
	v_fma_f64 v[2:3], v[29:30], v[15:16], v[2:3]
	s_waitcnt vmcnt(0)
	v_fma_f64 v[2:3], v[19:20], v[17:18], v[2:3]
	s_waitcnt lgkmcnt(0)
	s_delay_alu instid0(VALU_DEP_1) | instskip(NEXT) | instid1(VALU_DEP_1)
	v_fma_f64 v[2:3], v[21:22], v[23:24], v[2:3]
	v_add_f64 v[2:3], v[13:14], -v[2:3]
	scratch_store_b64 off, v[2:3], off offset:232
	v_cmpx_lt_u32_e32 28, v0
	s_cbranch_execz .LBB120_295
; %bb.294:
	scratch_load_b64 v[3:4], off, off offset:224
	v_mov_b32_e32 v2, v1
	scratch_store_b64 off, v[1:2], off offset:224
	s_waitcnt vmcnt(0)
	ds_store_b64 v5, v[3:4]
.LBB120_295:
	s_or_b32 exec_lo, exec_lo, s0
	s_waitcnt lgkmcnt(0)
	s_waitcnt_vscnt null, 0x0
	s_barrier
	buffer_gl0_inv
	s_clause 0x4
	scratch_load_b128 v[13:16], off, off offset:224
	scratch_load_b128 v[17:20], off, off offset:240
	;; [unrolled: 1-line block ×5, first 2 shown]
	ds_load_2addr_b64 v[33:36], v1 offset0:87 offset1:88
	ds_load_2addr_b64 v[145:148], v1 offset0:89 offset1:90
	scratch_load_b128 v[149:152], off, off offset:304
	s_mov_b32 s0, exec_lo
	s_waitcnt vmcnt(5) lgkmcnt(1)
	v_fma_f64 v[2:3], v[15:16], v[33:34], 0
	s_waitcnt vmcnt(4)
	s_delay_alu instid0(VALU_DEP_1) | instskip(SKIP_4) | instid1(VALU_DEP_1)
	v_fma_f64 v[2:3], v[17:18], v[35:36], v[2:3]
	scratch_load_b128 v[15:18], off, off offset:320
	s_waitcnt lgkmcnt(0)
	v_fma_f64 v[2:3], v[19:20], v[145:146], v[2:3]
	s_waitcnt vmcnt(4)
	v_fma_f64 v[2:3], v[21:22], v[147:148], v[2:3]
	ds_load_2addr_b64 v[19:22], v1 offset0:91 offset1:92
	ds_load_2addr_b64 v[33:36], v1 offset0:93 offset1:94
	scratch_load_b128 v[145:148], off, off offset:336
	s_waitcnt lgkmcnt(1)
	v_fma_f64 v[2:3], v[23:24], v[19:20], v[2:3]
	s_waitcnt vmcnt(4)
	s_delay_alu instid0(VALU_DEP_1) | instskip(SKIP_4) | instid1(VALU_DEP_1)
	v_fma_f64 v[2:3], v[25:26], v[21:22], v[2:3]
	scratch_load_b128 v[19:22], off, off offset:352
	s_waitcnt lgkmcnt(0)
	v_fma_f64 v[2:3], v[27:28], v[33:34], v[2:3]
	s_waitcnt vmcnt(4)
	v_fma_f64 v[2:3], v[29:30], v[35:36], v[2:3]
	ds_load_2addr_b64 v[23:26], v1 offset0:95 offset1:96
	ds_load_2addr_b64 v[27:30], v1 offset0:97 offset1:98
	s_waitcnt lgkmcnt(1)
	v_fma_f64 v[2:3], v[31:32], v[23:24], v[2:3]
	scratch_load_b128 v[31:34], off, off offset:368
	s_waitcnt vmcnt(4)
	v_fma_f64 v[2:3], v[149:150], v[25:26], v[2:3]
	scratch_load_b128 v[23:26], off, off offset:384
	s_waitcnt lgkmcnt(0)
	v_fma_f64 v[2:3], v[151:152], v[27:28], v[2:3]
	s_waitcnt vmcnt(4)
	s_delay_alu instid0(VALU_DEP_1)
	v_fma_f64 v[2:3], v[15:16], v[29:30], v[2:3]
	ds_load_2addr_b64 v[27:30], v1 offset0:99 offset1:100
	ds_load_2addr_b64 v[149:152], v1 offset0:101 offset1:102
	s_waitcnt lgkmcnt(1)
	v_fma_f64 v[2:3], v[17:18], v[27:28], v[2:3]
	scratch_load_b128 v[15:18], off, off offset:400
	s_waitcnt vmcnt(4)
	v_fma_f64 v[2:3], v[145:146], v[29:30], v[2:3]
	scratch_load_b128 v[27:30], off, off offset:416
	s_waitcnt lgkmcnt(0)
	v_fma_f64 v[2:3], v[147:148], v[149:150], v[2:3]
	s_waitcnt vmcnt(4)
	s_delay_alu instid0(VALU_DEP_1)
	v_fma_f64 v[2:3], v[19:20], v[151:152], v[2:3]
	ds_load_2addr_b64 v[145:148], v1 offset0:103 offset1:104
	ds_load_2addr_b64 v[149:152], v1 offset0:105 offset1:106
	scratch_load_b64 v[35:36], off, off offset:448
	s_waitcnt lgkmcnt(1)
	v_fma_f64 v[2:3], v[21:22], v[145:146], v[2:3]
	scratch_load_b128 v[19:22], off, off offset:432
	s_waitcnt vmcnt(5)
	v_fma_f64 v[2:3], v[31:32], v[147:148], v[2:3]
	s_waitcnt lgkmcnt(0)
	s_delay_alu instid0(VALU_DEP_1)
	v_fma_f64 v[2:3], v[33:34], v[149:150], v[2:3]
	ds_load_2addr_b64 v[31:34], v1 offset0:107 offset1:108
	ds_load_2addr_b64 v[145:148], v1 offset0:109 offset1:110
	s_waitcnt vmcnt(4)
	v_fma_f64 v[2:3], v[23:24], v[151:152], v[2:3]
	s_waitcnt lgkmcnt(1)
	s_delay_alu instid0(VALU_DEP_1) | instskip(SKIP_1) | instid1(VALU_DEP_1)
	v_fma_f64 v[2:3], v[25:26], v[31:32], v[2:3]
	s_waitcnt vmcnt(3)
	v_fma_f64 v[2:3], v[15:16], v[33:34], v[2:3]
	s_waitcnt lgkmcnt(0)
	s_delay_alu instid0(VALU_DEP_1) | instskip(SKIP_1) | instid1(VALU_DEP_1)
	v_fma_f64 v[2:3], v[17:18], v[145:146], v[2:3]
	s_waitcnt vmcnt(2)
	v_fma_f64 v[23:24], v[27:28], v[147:148], v[2:3]
	ds_load_2addr_b64 v[15:18], v1 offset0:111 offset1:112
	ds_load_2addr_b64 v[1:4], v1 offset0:113 offset1:114
	s_waitcnt lgkmcnt(1)
	v_fma_f64 v[15:16], v[29:30], v[15:16], v[23:24]
	s_waitcnt vmcnt(0)
	s_delay_alu instid0(VALU_DEP_1) | instskip(SKIP_1) | instid1(VALU_DEP_1)
	v_fma_f64 v[15:16], v[19:20], v[17:18], v[15:16]
	s_waitcnt lgkmcnt(0)
	v_fma_f64 v[1:2], v[21:22], v[1:2], v[15:16]
	s_delay_alu instid0(VALU_DEP_1) | instskip(NEXT) | instid1(VALU_DEP_1)
	v_fma_f64 v[1:2], v[35:36], v[3:4], v[1:2]
	v_add_f64 v[1:2], v[13:14], -v[1:2]
	scratch_store_b64 off, v[1:2], off offset:224
	v_cmpx_lt_u32_e32 27, v0
	s_cbranch_execz .LBB120_297
; %bb.296:
	scratch_load_b64 v[1:2], off, off offset:216
	v_mov_b32_e32 v3, 0
	s_delay_alu instid0(VALU_DEP_1)
	v_mov_b32_e32 v4, v3
	scratch_store_b64 off, v[3:4], off offset:216
	s_waitcnt vmcnt(0)
	ds_store_b64 v5, v[1:2]
.LBB120_297:
	s_or_b32 exec_lo, exec_lo, s0
	s_waitcnt lgkmcnt(0)
	s_waitcnt_vscnt null, 0x0
	s_barrier
	buffer_gl0_inv
	s_clause 0x4
	scratch_load_b128 v[13:16], off, off offset:216
	scratch_load_b128 v[17:20], off, off offset:232
	;; [unrolled: 1-line block ×5, first 2 shown]
	v_mov_b32_e32 v1, 0
	ds_load_b128 v[33:36], v1 offset:688
	ds_load_b128 v[145:148], v1 offset:704
	scratch_load_b128 v[149:152], off, off offset:296
	s_mov_b32 s0, exec_lo
	s_waitcnt vmcnt(5) lgkmcnt(1)
	v_fma_f64 v[2:3], v[15:16], v[33:34], 0
	s_waitcnt vmcnt(4)
	s_delay_alu instid0(VALU_DEP_1) | instskip(SKIP_4) | instid1(VALU_DEP_1)
	v_fma_f64 v[2:3], v[17:18], v[35:36], v[2:3]
	scratch_load_b128 v[15:18], off, off offset:312
	s_waitcnt lgkmcnt(0)
	v_fma_f64 v[2:3], v[19:20], v[145:146], v[2:3]
	s_waitcnt vmcnt(4)
	v_fma_f64 v[2:3], v[21:22], v[147:148], v[2:3]
	ds_load_b128 v[19:22], v1 offset:720
	ds_load_b128 v[33:36], v1 offset:736
	scratch_load_b128 v[145:148], off, off offset:328
	s_waitcnt lgkmcnt(1)
	v_fma_f64 v[2:3], v[23:24], v[19:20], v[2:3]
	s_waitcnt vmcnt(4)
	s_delay_alu instid0(VALU_DEP_1) | instskip(SKIP_4) | instid1(VALU_DEP_1)
	v_fma_f64 v[2:3], v[25:26], v[21:22], v[2:3]
	scratch_load_b128 v[19:22], off, off offset:344
	s_waitcnt lgkmcnt(0)
	v_fma_f64 v[2:3], v[27:28], v[33:34], v[2:3]
	s_waitcnt vmcnt(4)
	v_fma_f64 v[2:3], v[29:30], v[35:36], v[2:3]
	ds_load_b128 v[23:26], v1 offset:752
	ds_load_b128 v[27:30], v1 offset:768
	s_waitcnt lgkmcnt(1)
	v_fma_f64 v[2:3], v[31:32], v[23:24], v[2:3]
	scratch_load_b128 v[31:34], off, off offset:360
	s_waitcnt vmcnt(4)
	v_fma_f64 v[2:3], v[149:150], v[25:26], v[2:3]
	scratch_load_b128 v[23:26], off, off offset:376
	s_waitcnt lgkmcnt(0)
	v_fma_f64 v[2:3], v[151:152], v[27:28], v[2:3]
	s_waitcnt vmcnt(4)
	s_delay_alu instid0(VALU_DEP_1)
	v_fma_f64 v[2:3], v[15:16], v[29:30], v[2:3]
	ds_load_b128 v[27:30], v1 offset:784
	ds_load_b128 v[149:152], v1 offset:800
	s_waitcnt lgkmcnt(1)
	v_fma_f64 v[2:3], v[17:18], v[27:28], v[2:3]
	scratch_load_b128 v[15:18], off, off offset:392
	s_waitcnt vmcnt(4)
	v_fma_f64 v[2:3], v[145:146], v[29:30], v[2:3]
	scratch_load_b128 v[27:30], off, off offset:408
	s_waitcnt lgkmcnt(0)
	v_fma_f64 v[2:3], v[147:148], v[149:150], v[2:3]
	s_waitcnt vmcnt(4)
	s_delay_alu instid0(VALU_DEP_1)
	v_fma_f64 v[2:3], v[19:20], v[151:152], v[2:3]
	ds_load_b128 v[145:148], v1 offset:816
	ds_load_b128 v[149:152], v1 offset:832
	s_waitcnt lgkmcnt(1)
	v_fma_f64 v[2:3], v[21:22], v[145:146], v[2:3]
	scratch_load_b128 v[19:22], off, off offset:424
	s_waitcnt vmcnt(4)
	v_fma_f64 v[2:3], v[31:32], v[147:148], v[2:3]
	s_waitcnt lgkmcnt(0)
	s_delay_alu instid0(VALU_DEP_1)
	v_fma_f64 v[2:3], v[33:34], v[149:150], v[2:3]
	scratch_load_b128 v[31:34], off, off offset:440
	s_waitcnt vmcnt(4)
	v_fma_f64 v[2:3], v[23:24], v[151:152], v[2:3]
	ds_load_b128 v[145:148], v1 offset:848
	ds_load_b128 v[149:152], v1 offset:864
	s_waitcnt lgkmcnt(1)
	v_fma_f64 v[2:3], v[25:26], v[145:146], v[2:3]
	s_waitcnt vmcnt(3)
	s_delay_alu instid0(VALU_DEP_1) | instskip(SKIP_1) | instid1(VALU_DEP_1)
	v_fma_f64 v[2:3], v[15:16], v[147:148], v[2:3]
	s_waitcnt lgkmcnt(0)
	v_fma_f64 v[2:3], v[17:18], v[149:150], v[2:3]
	ds_load_b128 v[15:18], v1 offset:880
	ds_load_b128 v[23:26], v1 offset:896
	s_waitcnt vmcnt(2)
	v_fma_f64 v[2:3], v[27:28], v[151:152], v[2:3]
	s_waitcnt lgkmcnt(1)
	s_delay_alu instid0(VALU_DEP_1) | instskip(SKIP_4) | instid1(VALU_DEP_1)
	v_fma_f64 v[2:3], v[29:30], v[15:16], v[2:3]
	ds_load_b64 v[15:16], v1 offset:912
	s_waitcnt vmcnt(1)
	v_fma_f64 v[2:3], v[19:20], v[17:18], v[2:3]
	s_waitcnt lgkmcnt(1)
	v_fma_f64 v[2:3], v[21:22], v[23:24], v[2:3]
	s_waitcnt vmcnt(0)
	s_delay_alu instid0(VALU_DEP_1) | instskip(SKIP_1) | instid1(VALU_DEP_1)
	v_fma_f64 v[2:3], v[31:32], v[25:26], v[2:3]
	s_waitcnt lgkmcnt(0)
	v_fma_f64 v[2:3], v[33:34], v[15:16], v[2:3]
	s_delay_alu instid0(VALU_DEP_1)
	v_add_f64 v[2:3], v[13:14], -v[2:3]
	scratch_store_b64 off, v[2:3], off offset:216
	v_cmpx_lt_u32_e32 26, v0
	s_cbranch_execz .LBB120_299
; %bb.298:
	scratch_load_b64 v[3:4], off, off offset:208
	v_mov_b32_e32 v2, v1
	scratch_store_b64 off, v[1:2], off offset:208
	s_waitcnt vmcnt(0)
	ds_store_b64 v5, v[3:4]
.LBB120_299:
	s_or_b32 exec_lo, exec_lo, s0
	s_waitcnt lgkmcnt(0)
	s_waitcnt_vscnt null, 0x0
	s_barrier
	buffer_gl0_inv
	s_clause 0x4
	scratch_load_b128 v[13:16], off, off offset:208
	scratch_load_b128 v[17:20], off, off offset:224
	scratch_load_b128 v[21:24], off, off offset:240
	scratch_load_b128 v[25:28], off, off offset:256
	scratch_load_b128 v[29:32], off, off offset:272
	ds_load_2addr_b64 v[33:36], v1 offset0:85 offset1:86
	ds_load_2addr_b64 v[145:148], v1 offset0:87 offset1:88
	scratch_load_b128 v[149:152], off, off offset:288
	s_mov_b32 s0, exec_lo
	s_waitcnt vmcnt(5) lgkmcnt(1)
	v_fma_f64 v[2:3], v[15:16], v[33:34], 0
	s_waitcnt vmcnt(4)
	s_delay_alu instid0(VALU_DEP_1) | instskip(SKIP_4) | instid1(VALU_DEP_1)
	v_fma_f64 v[2:3], v[17:18], v[35:36], v[2:3]
	scratch_load_b128 v[15:18], off, off offset:304
	s_waitcnt lgkmcnt(0)
	v_fma_f64 v[2:3], v[19:20], v[145:146], v[2:3]
	s_waitcnt vmcnt(4)
	v_fma_f64 v[2:3], v[21:22], v[147:148], v[2:3]
	ds_load_2addr_b64 v[19:22], v1 offset0:89 offset1:90
	ds_load_2addr_b64 v[33:36], v1 offset0:91 offset1:92
	scratch_load_b128 v[145:148], off, off offset:320
	s_waitcnt lgkmcnt(1)
	v_fma_f64 v[2:3], v[23:24], v[19:20], v[2:3]
	s_waitcnt vmcnt(4)
	s_delay_alu instid0(VALU_DEP_1) | instskip(SKIP_4) | instid1(VALU_DEP_1)
	v_fma_f64 v[2:3], v[25:26], v[21:22], v[2:3]
	scratch_load_b128 v[19:22], off, off offset:336
	s_waitcnt lgkmcnt(0)
	v_fma_f64 v[2:3], v[27:28], v[33:34], v[2:3]
	s_waitcnt vmcnt(4)
	v_fma_f64 v[2:3], v[29:30], v[35:36], v[2:3]
	ds_load_2addr_b64 v[23:26], v1 offset0:93 offset1:94
	ds_load_2addr_b64 v[27:30], v1 offset0:95 offset1:96
	s_waitcnt lgkmcnt(1)
	v_fma_f64 v[2:3], v[31:32], v[23:24], v[2:3]
	scratch_load_b128 v[31:34], off, off offset:352
	s_waitcnt vmcnt(4)
	v_fma_f64 v[2:3], v[149:150], v[25:26], v[2:3]
	scratch_load_b128 v[23:26], off, off offset:368
	s_waitcnt lgkmcnt(0)
	v_fma_f64 v[2:3], v[151:152], v[27:28], v[2:3]
	s_waitcnt vmcnt(4)
	s_delay_alu instid0(VALU_DEP_1)
	v_fma_f64 v[2:3], v[15:16], v[29:30], v[2:3]
	ds_load_2addr_b64 v[27:30], v1 offset0:97 offset1:98
	ds_load_2addr_b64 v[149:152], v1 offset0:99 offset1:100
	s_waitcnt lgkmcnt(1)
	v_fma_f64 v[2:3], v[17:18], v[27:28], v[2:3]
	scratch_load_b128 v[15:18], off, off offset:384
	s_waitcnt vmcnt(4)
	v_fma_f64 v[2:3], v[145:146], v[29:30], v[2:3]
	scratch_load_b128 v[27:30], off, off offset:400
	s_waitcnt lgkmcnt(0)
	v_fma_f64 v[2:3], v[147:148], v[149:150], v[2:3]
	s_waitcnt vmcnt(4)
	s_delay_alu instid0(VALU_DEP_1)
	v_fma_f64 v[2:3], v[19:20], v[151:152], v[2:3]
	ds_load_2addr_b64 v[145:148], v1 offset0:101 offset1:102
	ds_load_2addr_b64 v[149:152], v1 offset0:103 offset1:104
	s_waitcnt lgkmcnt(1)
	v_fma_f64 v[2:3], v[21:22], v[145:146], v[2:3]
	scratch_load_b128 v[19:22], off, off offset:416
	s_waitcnt vmcnt(4)
	v_fma_f64 v[2:3], v[31:32], v[147:148], v[2:3]
	s_waitcnt lgkmcnt(0)
	s_delay_alu instid0(VALU_DEP_1)
	v_fma_f64 v[2:3], v[33:34], v[149:150], v[2:3]
	scratch_load_b128 v[31:34], off, off offset:432
	s_waitcnt vmcnt(4)
	v_fma_f64 v[2:3], v[23:24], v[151:152], v[2:3]
	ds_load_2addr_b64 v[145:148], v1 offset0:105 offset1:106
	ds_load_2addr_b64 v[149:152], v1 offset0:107 offset1:108
	scratch_load_b64 v[35:36], off, off offset:448
	s_waitcnt lgkmcnt(1)
	v_fma_f64 v[2:3], v[25:26], v[145:146], v[2:3]
	s_waitcnt vmcnt(4)
	s_delay_alu instid0(VALU_DEP_1) | instskip(SKIP_1) | instid1(VALU_DEP_1)
	v_fma_f64 v[2:3], v[15:16], v[147:148], v[2:3]
	s_waitcnt lgkmcnt(0)
	v_fma_f64 v[2:3], v[17:18], v[149:150], v[2:3]
	ds_load_2addr_b64 v[15:18], v1 offset0:109 offset1:110
	ds_load_2addr_b64 v[23:26], v1 offset0:111 offset1:112
	s_waitcnt vmcnt(3)
	v_fma_f64 v[2:3], v[27:28], v[151:152], v[2:3]
	s_waitcnt lgkmcnt(1)
	s_delay_alu instid0(VALU_DEP_1) | instskip(SKIP_1) | instid1(VALU_DEP_1)
	v_fma_f64 v[2:3], v[29:30], v[15:16], v[2:3]
	s_waitcnt vmcnt(2)
	v_fma_f64 v[2:3], v[19:20], v[17:18], v[2:3]
	s_waitcnt lgkmcnt(0)
	s_delay_alu instid0(VALU_DEP_1) | instskip(SKIP_1) | instid1(VALU_DEP_1)
	v_fma_f64 v[2:3], v[21:22], v[23:24], v[2:3]
	s_waitcnt vmcnt(1)
	v_fma_f64 v[15:16], v[31:32], v[25:26], v[2:3]
	ds_load_2addr_b64 v[1:4], v1 offset0:113 offset1:114
	s_waitcnt lgkmcnt(0)
	v_fma_f64 v[1:2], v[33:34], v[1:2], v[15:16]
	s_waitcnt vmcnt(0)
	s_delay_alu instid0(VALU_DEP_1) | instskip(NEXT) | instid1(VALU_DEP_1)
	v_fma_f64 v[1:2], v[35:36], v[3:4], v[1:2]
	v_add_f64 v[1:2], v[13:14], -v[1:2]
	scratch_store_b64 off, v[1:2], off offset:208
	v_cmpx_lt_u32_e32 25, v0
	s_cbranch_execz .LBB120_301
; %bb.300:
	scratch_load_b64 v[1:2], off, off offset:200
	v_mov_b32_e32 v3, 0
	s_delay_alu instid0(VALU_DEP_1)
	v_mov_b32_e32 v4, v3
	scratch_store_b64 off, v[3:4], off offset:200
	s_waitcnt vmcnt(0)
	ds_store_b64 v5, v[1:2]
.LBB120_301:
	s_or_b32 exec_lo, exec_lo, s0
	s_waitcnt lgkmcnt(0)
	s_waitcnt_vscnt null, 0x0
	s_barrier
	buffer_gl0_inv
	s_clause 0x4
	scratch_load_b128 v[13:16], off, off offset:200
	scratch_load_b128 v[17:20], off, off offset:216
	;; [unrolled: 1-line block ×5, first 2 shown]
	v_mov_b32_e32 v1, 0
	ds_load_b128 v[33:36], v1 offset:672
	ds_load_b128 v[145:148], v1 offset:688
	scratch_load_b128 v[149:152], off, off offset:280
	s_mov_b32 s0, exec_lo
	s_waitcnt vmcnt(5) lgkmcnt(1)
	v_fma_f64 v[2:3], v[15:16], v[33:34], 0
	s_waitcnt vmcnt(4)
	s_delay_alu instid0(VALU_DEP_1) | instskip(SKIP_4) | instid1(VALU_DEP_1)
	v_fma_f64 v[2:3], v[17:18], v[35:36], v[2:3]
	scratch_load_b128 v[15:18], off, off offset:296
	s_waitcnt lgkmcnt(0)
	v_fma_f64 v[2:3], v[19:20], v[145:146], v[2:3]
	s_waitcnt vmcnt(4)
	v_fma_f64 v[2:3], v[21:22], v[147:148], v[2:3]
	ds_load_b128 v[19:22], v1 offset:704
	ds_load_b128 v[33:36], v1 offset:720
	scratch_load_b128 v[145:148], off, off offset:312
	s_waitcnt lgkmcnt(1)
	v_fma_f64 v[2:3], v[23:24], v[19:20], v[2:3]
	s_waitcnt vmcnt(4)
	s_delay_alu instid0(VALU_DEP_1) | instskip(SKIP_4) | instid1(VALU_DEP_1)
	v_fma_f64 v[2:3], v[25:26], v[21:22], v[2:3]
	scratch_load_b128 v[19:22], off, off offset:328
	s_waitcnt lgkmcnt(0)
	v_fma_f64 v[2:3], v[27:28], v[33:34], v[2:3]
	s_waitcnt vmcnt(4)
	v_fma_f64 v[2:3], v[29:30], v[35:36], v[2:3]
	ds_load_b128 v[23:26], v1 offset:736
	ds_load_b128 v[27:30], v1 offset:752
	s_waitcnt lgkmcnt(1)
	v_fma_f64 v[2:3], v[31:32], v[23:24], v[2:3]
	scratch_load_b128 v[31:34], off, off offset:344
	s_waitcnt vmcnt(4)
	v_fma_f64 v[2:3], v[149:150], v[25:26], v[2:3]
	scratch_load_b128 v[23:26], off, off offset:360
	s_waitcnt lgkmcnt(0)
	v_fma_f64 v[2:3], v[151:152], v[27:28], v[2:3]
	s_waitcnt vmcnt(4)
	s_delay_alu instid0(VALU_DEP_1)
	v_fma_f64 v[2:3], v[15:16], v[29:30], v[2:3]
	ds_load_b128 v[27:30], v1 offset:768
	ds_load_b128 v[149:152], v1 offset:784
	s_waitcnt lgkmcnt(1)
	v_fma_f64 v[2:3], v[17:18], v[27:28], v[2:3]
	scratch_load_b128 v[15:18], off, off offset:376
	s_waitcnt vmcnt(4)
	v_fma_f64 v[2:3], v[145:146], v[29:30], v[2:3]
	scratch_load_b128 v[27:30], off, off offset:392
	s_waitcnt lgkmcnt(0)
	v_fma_f64 v[2:3], v[147:148], v[149:150], v[2:3]
	s_waitcnt vmcnt(4)
	s_delay_alu instid0(VALU_DEP_1)
	v_fma_f64 v[2:3], v[19:20], v[151:152], v[2:3]
	ds_load_b128 v[145:148], v1 offset:800
	ds_load_b128 v[149:152], v1 offset:816
	s_waitcnt lgkmcnt(1)
	v_fma_f64 v[2:3], v[21:22], v[145:146], v[2:3]
	scratch_load_b128 v[19:22], off, off offset:408
	s_waitcnt vmcnt(4)
	v_fma_f64 v[2:3], v[31:32], v[147:148], v[2:3]
	s_waitcnt lgkmcnt(0)
	s_delay_alu instid0(VALU_DEP_1)
	v_fma_f64 v[2:3], v[33:34], v[149:150], v[2:3]
	scratch_load_b128 v[31:34], off, off offset:424
	s_waitcnt vmcnt(4)
	v_fma_f64 v[2:3], v[23:24], v[151:152], v[2:3]
	ds_load_b128 v[145:148], v1 offset:832
	ds_load_b128 v[149:152], v1 offset:848
	s_waitcnt lgkmcnt(1)
	v_fma_f64 v[2:3], v[25:26], v[145:146], v[2:3]
	scratch_load_b128 v[23:26], off, off offset:440
	s_waitcnt vmcnt(4)
	v_fma_f64 v[2:3], v[15:16], v[147:148], v[2:3]
	s_waitcnt lgkmcnt(0)
	s_delay_alu instid0(VALU_DEP_1)
	v_fma_f64 v[2:3], v[17:18], v[149:150], v[2:3]
	ds_load_b128 v[15:18], v1 offset:864
	ds_load_b128 v[145:148], v1 offset:880
	s_waitcnt vmcnt(3)
	v_fma_f64 v[2:3], v[27:28], v[151:152], v[2:3]
	s_waitcnt lgkmcnt(1)
	s_delay_alu instid0(VALU_DEP_1) | instskip(SKIP_1) | instid1(VALU_DEP_1)
	v_fma_f64 v[2:3], v[29:30], v[15:16], v[2:3]
	s_waitcnt vmcnt(2)
	v_fma_f64 v[2:3], v[19:20], v[17:18], v[2:3]
	ds_load_b128 v[15:18], v1 offset:896
	ds_load_b64 v[19:20], v1 offset:912
	s_waitcnt lgkmcnt(2)
	v_fma_f64 v[2:3], v[21:22], v[145:146], v[2:3]
	s_waitcnt vmcnt(1)
	s_delay_alu instid0(VALU_DEP_1) | instskip(SKIP_1) | instid1(VALU_DEP_1)
	v_fma_f64 v[2:3], v[31:32], v[147:148], v[2:3]
	s_waitcnt lgkmcnt(1)
	v_fma_f64 v[2:3], v[33:34], v[15:16], v[2:3]
	s_waitcnt vmcnt(0)
	s_delay_alu instid0(VALU_DEP_1) | instskip(SKIP_1) | instid1(VALU_DEP_1)
	v_fma_f64 v[2:3], v[23:24], v[17:18], v[2:3]
	s_waitcnt lgkmcnt(0)
	v_fma_f64 v[2:3], v[25:26], v[19:20], v[2:3]
	s_delay_alu instid0(VALU_DEP_1)
	v_add_f64 v[2:3], v[13:14], -v[2:3]
	scratch_store_b64 off, v[2:3], off offset:200
	v_cmpx_lt_u32_e32 24, v0
	s_cbranch_execz .LBB120_303
; %bb.302:
	scratch_load_b64 v[3:4], off, off offset:192
	v_mov_b32_e32 v2, v1
	scratch_store_b64 off, v[1:2], off offset:192
	s_waitcnt vmcnt(0)
	ds_store_b64 v5, v[3:4]
.LBB120_303:
	s_or_b32 exec_lo, exec_lo, s0
	s_waitcnt lgkmcnt(0)
	s_waitcnt_vscnt null, 0x0
	s_barrier
	buffer_gl0_inv
	s_clause 0x4
	scratch_load_b128 v[13:16], off, off offset:192
	scratch_load_b128 v[17:20], off, off offset:208
	;; [unrolled: 1-line block ×5, first 2 shown]
	ds_load_2addr_b64 v[33:36], v1 offset0:83 offset1:84
	ds_load_2addr_b64 v[145:148], v1 offset0:85 offset1:86
	scratch_load_b128 v[149:152], off, off offset:272
	s_mov_b32 s0, exec_lo
	s_waitcnt vmcnt(5) lgkmcnt(1)
	v_fma_f64 v[2:3], v[15:16], v[33:34], 0
	s_waitcnt vmcnt(4)
	s_delay_alu instid0(VALU_DEP_1) | instskip(SKIP_4) | instid1(VALU_DEP_1)
	v_fma_f64 v[2:3], v[17:18], v[35:36], v[2:3]
	scratch_load_b128 v[15:18], off, off offset:288
	s_waitcnt lgkmcnt(0)
	v_fma_f64 v[2:3], v[19:20], v[145:146], v[2:3]
	s_waitcnt vmcnt(4)
	v_fma_f64 v[2:3], v[21:22], v[147:148], v[2:3]
	ds_load_2addr_b64 v[19:22], v1 offset0:87 offset1:88
	ds_load_2addr_b64 v[33:36], v1 offset0:89 offset1:90
	scratch_load_b128 v[145:148], off, off offset:304
	s_waitcnt lgkmcnt(1)
	v_fma_f64 v[2:3], v[23:24], v[19:20], v[2:3]
	s_waitcnt vmcnt(4)
	s_delay_alu instid0(VALU_DEP_1) | instskip(SKIP_4) | instid1(VALU_DEP_1)
	v_fma_f64 v[2:3], v[25:26], v[21:22], v[2:3]
	scratch_load_b128 v[19:22], off, off offset:320
	s_waitcnt lgkmcnt(0)
	v_fma_f64 v[2:3], v[27:28], v[33:34], v[2:3]
	s_waitcnt vmcnt(4)
	v_fma_f64 v[2:3], v[29:30], v[35:36], v[2:3]
	ds_load_2addr_b64 v[23:26], v1 offset0:91 offset1:92
	ds_load_2addr_b64 v[27:30], v1 offset0:93 offset1:94
	s_waitcnt lgkmcnt(1)
	v_fma_f64 v[2:3], v[31:32], v[23:24], v[2:3]
	scratch_load_b128 v[31:34], off, off offset:336
	s_waitcnt vmcnt(4)
	v_fma_f64 v[2:3], v[149:150], v[25:26], v[2:3]
	scratch_load_b128 v[23:26], off, off offset:352
	s_waitcnt lgkmcnt(0)
	v_fma_f64 v[2:3], v[151:152], v[27:28], v[2:3]
	s_waitcnt vmcnt(4)
	s_delay_alu instid0(VALU_DEP_1)
	v_fma_f64 v[2:3], v[15:16], v[29:30], v[2:3]
	ds_load_2addr_b64 v[27:30], v1 offset0:95 offset1:96
	ds_load_2addr_b64 v[149:152], v1 offset0:97 offset1:98
	s_waitcnt lgkmcnt(1)
	v_fma_f64 v[2:3], v[17:18], v[27:28], v[2:3]
	scratch_load_b128 v[15:18], off, off offset:368
	s_waitcnt vmcnt(4)
	v_fma_f64 v[2:3], v[145:146], v[29:30], v[2:3]
	scratch_load_b128 v[27:30], off, off offset:384
	s_waitcnt lgkmcnt(0)
	v_fma_f64 v[2:3], v[147:148], v[149:150], v[2:3]
	s_waitcnt vmcnt(4)
	s_delay_alu instid0(VALU_DEP_1)
	v_fma_f64 v[2:3], v[19:20], v[151:152], v[2:3]
	ds_load_2addr_b64 v[145:148], v1 offset0:99 offset1:100
	ds_load_2addr_b64 v[149:152], v1 offset0:101 offset1:102
	s_waitcnt lgkmcnt(1)
	v_fma_f64 v[2:3], v[21:22], v[145:146], v[2:3]
	scratch_load_b128 v[19:22], off, off offset:400
	s_waitcnt vmcnt(4)
	v_fma_f64 v[2:3], v[31:32], v[147:148], v[2:3]
	s_waitcnt lgkmcnt(0)
	s_delay_alu instid0(VALU_DEP_1)
	v_fma_f64 v[2:3], v[33:34], v[149:150], v[2:3]
	scratch_load_b128 v[31:34], off, off offset:416
	s_waitcnt vmcnt(4)
	v_fma_f64 v[2:3], v[23:24], v[151:152], v[2:3]
	ds_load_2addr_b64 v[145:148], v1 offset0:103 offset1:104
	ds_load_2addr_b64 v[149:152], v1 offset0:105 offset1:106
	scratch_load_b64 v[35:36], off, off offset:448
	s_waitcnt lgkmcnt(1)
	v_fma_f64 v[2:3], v[25:26], v[145:146], v[2:3]
	scratch_load_b128 v[23:26], off, off offset:432
	s_waitcnt vmcnt(5)
	v_fma_f64 v[2:3], v[15:16], v[147:148], v[2:3]
	s_waitcnt lgkmcnt(0)
	s_delay_alu instid0(VALU_DEP_1)
	v_fma_f64 v[2:3], v[17:18], v[149:150], v[2:3]
	ds_load_2addr_b64 v[15:18], v1 offset0:107 offset1:108
	ds_load_2addr_b64 v[145:148], v1 offset0:109 offset1:110
	s_waitcnt vmcnt(4)
	v_fma_f64 v[2:3], v[27:28], v[151:152], v[2:3]
	s_waitcnt lgkmcnt(1)
	s_delay_alu instid0(VALU_DEP_1) | instskip(SKIP_1) | instid1(VALU_DEP_1)
	v_fma_f64 v[2:3], v[29:30], v[15:16], v[2:3]
	s_waitcnt vmcnt(3)
	v_fma_f64 v[2:3], v[19:20], v[17:18], v[2:3]
	s_waitcnt lgkmcnt(0)
	s_delay_alu instid0(VALU_DEP_1) | instskip(SKIP_1) | instid1(VALU_DEP_1)
	v_fma_f64 v[2:3], v[21:22], v[145:146], v[2:3]
	s_waitcnt vmcnt(2)
	v_fma_f64 v[19:20], v[31:32], v[147:148], v[2:3]
	ds_load_2addr_b64 v[15:18], v1 offset0:111 offset1:112
	ds_load_2addr_b64 v[1:4], v1 offset0:113 offset1:114
	s_waitcnt lgkmcnt(1)
	v_fma_f64 v[15:16], v[33:34], v[15:16], v[19:20]
	s_waitcnt vmcnt(0)
	s_delay_alu instid0(VALU_DEP_1) | instskip(SKIP_1) | instid1(VALU_DEP_1)
	v_fma_f64 v[15:16], v[23:24], v[17:18], v[15:16]
	s_waitcnt lgkmcnt(0)
	v_fma_f64 v[1:2], v[25:26], v[1:2], v[15:16]
	s_delay_alu instid0(VALU_DEP_1) | instskip(NEXT) | instid1(VALU_DEP_1)
	v_fma_f64 v[1:2], v[35:36], v[3:4], v[1:2]
	v_add_f64 v[1:2], v[13:14], -v[1:2]
	scratch_store_b64 off, v[1:2], off offset:192
	v_cmpx_lt_u32_e32 23, v0
	s_cbranch_execz .LBB120_305
; %bb.304:
	scratch_load_b64 v[1:2], off, off offset:184
	v_mov_b32_e32 v3, 0
	s_delay_alu instid0(VALU_DEP_1)
	v_mov_b32_e32 v4, v3
	scratch_store_b64 off, v[3:4], off offset:184
	s_waitcnt vmcnt(0)
	ds_store_b64 v5, v[1:2]
.LBB120_305:
	s_or_b32 exec_lo, exec_lo, s0
	s_waitcnt lgkmcnt(0)
	s_waitcnt_vscnt null, 0x0
	s_barrier
	buffer_gl0_inv
	s_clause 0x4
	scratch_load_b128 v[13:16], off, off offset:184
	scratch_load_b128 v[17:20], off, off offset:200
	;; [unrolled: 1-line block ×5, first 2 shown]
	v_mov_b32_e32 v1, 0
	ds_load_b128 v[33:36], v1 offset:656
	ds_load_b128 v[145:148], v1 offset:672
	scratch_load_b128 v[149:152], off, off offset:264
	s_mov_b32 s0, exec_lo
	s_waitcnt vmcnt(5) lgkmcnt(1)
	v_fma_f64 v[2:3], v[15:16], v[33:34], 0
	s_waitcnt vmcnt(4)
	s_delay_alu instid0(VALU_DEP_1) | instskip(SKIP_4) | instid1(VALU_DEP_1)
	v_fma_f64 v[2:3], v[17:18], v[35:36], v[2:3]
	scratch_load_b128 v[15:18], off, off offset:280
	s_waitcnt lgkmcnt(0)
	v_fma_f64 v[2:3], v[19:20], v[145:146], v[2:3]
	s_waitcnt vmcnt(4)
	v_fma_f64 v[2:3], v[21:22], v[147:148], v[2:3]
	ds_load_b128 v[19:22], v1 offset:688
	ds_load_b128 v[33:36], v1 offset:704
	scratch_load_b128 v[145:148], off, off offset:296
	s_waitcnt lgkmcnt(1)
	v_fma_f64 v[2:3], v[23:24], v[19:20], v[2:3]
	s_waitcnt vmcnt(4)
	s_delay_alu instid0(VALU_DEP_1) | instskip(SKIP_4) | instid1(VALU_DEP_1)
	v_fma_f64 v[2:3], v[25:26], v[21:22], v[2:3]
	scratch_load_b128 v[19:22], off, off offset:312
	s_waitcnt lgkmcnt(0)
	v_fma_f64 v[2:3], v[27:28], v[33:34], v[2:3]
	s_waitcnt vmcnt(4)
	v_fma_f64 v[2:3], v[29:30], v[35:36], v[2:3]
	ds_load_b128 v[23:26], v1 offset:720
	ds_load_b128 v[27:30], v1 offset:736
	s_waitcnt lgkmcnt(1)
	v_fma_f64 v[2:3], v[31:32], v[23:24], v[2:3]
	scratch_load_b128 v[31:34], off, off offset:328
	s_waitcnt vmcnt(4)
	v_fma_f64 v[2:3], v[149:150], v[25:26], v[2:3]
	scratch_load_b128 v[23:26], off, off offset:344
	s_waitcnt lgkmcnt(0)
	v_fma_f64 v[2:3], v[151:152], v[27:28], v[2:3]
	s_waitcnt vmcnt(4)
	s_delay_alu instid0(VALU_DEP_1)
	v_fma_f64 v[2:3], v[15:16], v[29:30], v[2:3]
	ds_load_b128 v[27:30], v1 offset:752
	ds_load_b128 v[149:152], v1 offset:768
	s_waitcnt lgkmcnt(1)
	v_fma_f64 v[2:3], v[17:18], v[27:28], v[2:3]
	scratch_load_b128 v[15:18], off, off offset:360
	s_waitcnt vmcnt(4)
	v_fma_f64 v[2:3], v[145:146], v[29:30], v[2:3]
	scratch_load_b128 v[27:30], off, off offset:376
	s_waitcnt lgkmcnt(0)
	v_fma_f64 v[2:3], v[147:148], v[149:150], v[2:3]
	s_waitcnt vmcnt(4)
	s_delay_alu instid0(VALU_DEP_1)
	v_fma_f64 v[2:3], v[19:20], v[151:152], v[2:3]
	ds_load_b128 v[145:148], v1 offset:784
	ds_load_b128 v[149:152], v1 offset:800
	s_waitcnt lgkmcnt(1)
	v_fma_f64 v[2:3], v[21:22], v[145:146], v[2:3]
	scratch_load_b128 v[19:22], off, off offset:392
	s_waitcnt vmcnt(4)
	v_fma_f64 v[2:3], v[31:32], v[147:148], v[2:3]
	s_waitcnt lgkmcnt(0)
	s_delay_alu instid0(VALU_DEP_1)
	v_fma_f64 v[2:3], v[33:34], v[149:150], v[2:3]
	scratch_load_b128 v[31:34], off, off offset:408
	s_waitcnt vmcnt(4)
	v_fma_f64 v[2:3], v[23:24], v[151:152], v[2:3]
	ds_load_b128 v[145:148], v1 offset:816
	ds_load_b128 v[149:152], v1 offset:832
	s_waitcnt lgkmcnt(1)
	v_fma_f64 v[2:3], v[25:26], v[145:146], v[2:3]
	scratch_load_b128 v[23:26], off, off offset:424
	s_waitcnt vmcnt(4)
	v_fma_f64 v[2:3], v[15:16], v[147:148], v[2:3]
	s_waitcnt lgkmcnt(0)
	s_delay_alu instid0(VALU_DEP_1)
	v_fma_f64 v[2:3], v[17:18], v[149:150], v[2:3]
	scratch_load_b128 v[15:18], off, off offset:440
	s_waitcnt vmcnt(4)
	v_fma_f64 v[2:3], v[27:28], v[151:152], v[2:3]
	ds_load_b128 v[145:148], v1 offset:848
	ds_load_b128 v[149:152], v1 offset:864
	s_waitcnt lgkmcnt(1)
	v_fma_f64 v[2:3], v[29:30], v[145:146], v[2:3]
	s_waitcnt vmcnt(3)
	s_delay_alu instid0(VALU_DEP_1) | instskip(SKIP_1) | instid1(VALU_DEP_1)
	v_fma_f64 v[2:3], v[19:20], v[147:148], v[2:3]
	s_waitcnt lgkmcnt(0)
	v_fma_f64 v[2:3], v[21:22], v[149:150], v[2:3]
	ds_load_b128 v[19:22], v1 offset:880
	ds_load_b128 v[27:30], v1 offset:896
	s_waitcnt vmcnt(2)
	v_fma_f64 v[2:3], v[31:32], v[151:152], v[2:3]
	s_waitcnt lgkmcnt(1)
	s_delay_alu instid0(VALU_DEP_1) | instskip(SKIP_1) | instid1(VALU_DEP_1)
	v_fma_f64 v[2:3], v[33:34], v[19:20], v[2:3]
	s_waitcnt vmcnt(1)
	v_fma_f64 v[2:3], v[23:24], v[21:22], v[2:3]
	s_waitcnt lgkmcnt(0)
	s_delay_alu instid0(VALU_DEP_1) | instskip(SKIP_1) | instid1(VALU_DEP_1)
	v_fma_f64 v[2:3], v[25:26], v[27:28], v[2:3]
	s_waitcnt vmcnt(0)
	v_fma_f64 v[2:3], v[15:16], v[29:30], v[2:3]
	ds_load_b64 v[15:16], v1 offset:912
	s_waitcnt lgkmcnt(0)
	v_fma_f64 v[2:3], v[17:18], v[15:16], v[2:3]
	s_delay_alu instid0(VALU_DEP_1)
	v_add_f64 v[2:3], v[13:14], -v[2:3]
	scratch_store_b64 off, v[2:3], off offset:184
	v_cmpx_lt_u32_e32 22, v0
	s_cbranch_execz .LBB120_307
; %bb.306:
	scratch_load_b64 v[3:4], off, off offset:176
	v_mov_b32_e32 v2, v1
	scratch_store_b64 off, v[1:2], off offset:176
	s_waitcnt vmcnt(0)
	ds_store_b64 v5, v[3:4]
.LBB120_307:
	s_or_b32 exec_lo, exec_lo, s0
	s_waitcnt lgkmcnt(0)
	s_waitcnt_vscnt null, 0x0
	s_barrier
	buffer_gl0_inv
	s_clause 0x4
	scratch_load_b128 v[13:16], off, off offset:176
	scratch_load_b128 v[17:20], off, off offset:192
	;; [unrolled: 1-line block ×5, first 2 shown]
	ds_load_2addr_b64 v[33:36], v1 offset0:81 offset1:82
	ds_load_2addr_b64 v[145:148], v1 offset0:83 offset1:84
	scratch_load_b128 v[149:152], off, off offset:256
	s_mov_b32 s0, exec_lo
	s_waitcnt vmcnt(5) lgkmcnt(1)
	v_fma_f64 v[2:3], v[15:16], v[33:34], 0
	s_waitcnt vmcnt(4)
	s_delay_alu instid0(VALU_DEP_1) | instskip(SKIP_4) | instid1(VALU_DEP_1)
	v_fma_f64 v[2:3], v[17:18], v[35:36], v[2:3]
	scratch_load_b128 v[15:18], off, off offset:272
	s_waitcnt lgkmcnt(0)
	v_fma_f64 v[2:3], v[19:20], v[145:146], v[2:3]
	s_waitcnt vmcnt(4)
	v_fma_f64 v[2:3], v[21:22], v[147:148], v[2:3]
	ds_load_2addr_b64 v[19:22], v1 offset0:85 offset1:86
	ds_load_2addr_b64 v[33:36], v1 offset0:87 offset1:88
	scratch_load_b128 v[145:148], off, off offset:288
	s_waitcnt lgkmcnt(1)
	v_fma_f64 v[2:3], v[23:24], v[19:20], v[2:3]
	s_waitcnt vmcnt(4)
	s_delay_alu instid0(VALU_DEP_1) | instskip(SKIP_4) | instid1(VALU_DEP_1)
	v_fma_f64 v[2:3], v[25:26], v[21:22], v[2:3]
	scratch_load_b128 v[19:22], off, off offset:304
	s_waitcnt lgkmcnt(0)
	v_fma_f64 v[2:3], v[27:28], v[33:34], v[2:3]
	s_waitcnt vmcnt(4)
	v_fma_f64 v[2:3], v[29:30], v[35:36], v[2:3]
	ds_load_2addr_b64 v[23:26], v1 offset0:89 offset1:90
	ds_load_2addr_b64 v[27:30], v1 offset0:91 offset1:92
	s_waitcnt lgkmcnt(1)
	v_fma_f64 v[2:3], v[31:32], v[23:24], v[2:3]
	scratch_load_b128 v[31:34], off, off offset:320
	s_waitcnt vmcnt(4)
	v_fma_f64 v[2:3], v[149:150], v[25:26], v[2:3]
	scratch_load_b128 v[23:26], off, off offset:336
	s_waitcnt lgkmcnt(0)
	v_fma_f64 v[2:3], v[151:152], v[27:28], v[2:3]
	s_waitcnt vmcnt(4)
	s_delay_alu instid0(VALU_DEP_1)
	v_fma_f64 v[2:3], v[15:16], v[29:30], v[2:3]
	ds_load_2addr_b64 v[27:30], v1 offset0:93 offset1:94
	ds_load_2addr_b64 v[149:152], v1 offset0:95 offset1:96
	s_waitcnt lgkmcnt(1)
	v_fma_f64 v[2:3], v[17:18], v[27:28], v[2:3]
	scratch_load_b128 v[15:18], off, off offset:352
	s_waitcnt vmcnt(4)
	v_fma_f64 v[2:3], v[145:146], v[29:30], v[2:3]
	scratch_load_b128 v[27:30], off, off offset:368
	s_waitcnt lgkmcnt(0)
	v_fma_f64 v[2:3], v[147:148], v[149:150], v[2:3]
	s_waitcnt vmcnt(4)
	s_delay_alu instid0(VALU_DEP_1)
	v_fma_f64 v[2:3], v[19:20], v[151:152], v[2:3]
	ds_load_2addr_b64 v[145:148], v1 offset0:97 offset1:98
	ds_load_2addr_b64 v[149:152], v1 offset0:99 offset1:100
	s_waitcnt lgkmcnt(1)
	v_fma_f64 v[2:3], v[21:22], v[145:146], v[2:3]
	scratch_load_b128 v[19:22], off, off offset:384
	s_waitcnt vmcnt(4)
	v_fma_f64 v[2:3], v[31:32], v[147:148], v[2:3]
	s_waitcnt lgkmcnt(0)
	s_delay_alu instid0(VALU_DEP_1)
	v_fma_f64 v[2:3], v[33:34], v[149:150], v[2:3]
	scratch_load_b128 v[31:34], off, off offset:400
	s_waitcnt vmcnt(4)
	v_fma_f64 v[2:3], v[23:24], v[151:152], v[2:3]
	ds_load_2addr_b64 v[145:148], v1 offset0:101 offset1:102
	ds_load_2addr_b64 v[149:152], v1 offset0:103 offset1:104
	s_waitcnt lgkmcnt(1)
	v_fma_f64 v[2:3], v[25:26], v[145:146], v[2:3]
	scratch_load_b128 v[23:26], off, off offset:416
	s_waitcnt vmcnt(4)
	v_fma_f64 v[2:3], v[15:16], v[147:148], v[2:3]
	s_waitcnt lgkmcnt(0)
	s_delay_alu instid0(VALU_DEP_1)
	v_fma_f64 v[2:3], v[17:18], v[149:150], v[2:3]
	scratch_load_b128 v[15:18], off, off offset:432
	s_waitcnt vmcnt(4)
	v_fma_f64 v[2:3], v[27:28], v[151:152], v[2:3]
	ds_load_2addr_b64 v[145:148], v1 offset0:105 offset1:106
	ds_load_2addr_b64 v[149:152], v1 offset0:107 offset1:108
	scratch_load_b64 v[35:36], off, off offset:448
	s_waitcnt lgkmcnt(1)
	v_fma_f64 v[2:3], v[29:30], v[145:146], v[2:3]
	s_waitcnt vmcnt(4)
	s_delay_alu instid0(VALU_DEP_1) | instskip(SKIP_1) | instid1(VALU_DEP_1)
	v_fma_f64 v[2:3], v[19:20], v[147:148], v[2:3]
	s_waitcnt lgkmcnt(0)
	v_fma_f64 v[2:3], v[21:22], v[149:150], v[2:3]
	ds_load_2addr_b64 v[19:22], v1 offset0:109 offset1:110
	ds_load_2addr_b64 v[27:30], v1 offset0:111 offset1:112
	s_waitcnt vmcnt(3)
	v_fma_f64 v[2:3], v[31:32], v[151:152], v[2:3]
	s_waitcnt lgkmcnt(1)
	s_delay_alu instid0(VALU_DEP_1) | instskip(SKIP_1) | instid1(VALU_DEP_1)
	v_fma_f64 v[2:3], v[33:34], v[19:20], v[2:3]
	s_waitcnt vmcnt(2)
	v_fma_f64 v[2:3], v[23:24], v[21:22], v[2:3]
	s_waitcnt lgkmcnt(0)
	s_delay_alu instid0(VALU_DEP_1) | instskip(SKIP_1) | instid1(VALU_DEP_1)
	v_fma_f64 v[2:3], v[25:26], v[27:28], v[2:3]
	s_waitcnt vmcnt(1)
	v_fma_f64 v[15:16], v[15:16], v[29:30], v[2:3]
	ds_load_2addr_b64 v[1:4], v1 offset0:113 offset1:114
	s_waitcnt lgkmcnt(0)
	v_fma_f64 v[1:2], v[17:18], v[1:2], v[15:16]
	s_waitcnt vmcnt(0)
	s_delay_alu instid0(VALU_DEP_1) | instskip(NEXT) | instid1(VALU_DEP_1)
	v_fma_f64 v[1:2], v[35:36], v[3:4], v[1:2]
	v_add_f64 v[1:2], v[13:14], -v[1:2]
	scratch_store_b64 off, v[1:2], off offset:176
	v_cmpx_lt_u32_e32 21, v0
	s_cbranch_execz .LBB120_309
; %bb.308:
	scratch_load_b64 v[1:2], off, off offset:168
	v_mov_b32_e32 v3, 0
	s_delay_alu instid0(VALU_DEP_1)
	v_mov_b32_e32 v4, v3
	scratch_store_b64 off, v[3:4], off offset:168
	s_waitcnt vmcnt(0)
	ds_store_b64 v5, v[1:2]
.LBB120_309:
	s_or_b32 exec_lo, exec_lo, s0
	s_waitcnt lgkmcnt(0)
	s_waitcnt_vscnt null, 0x0
	s_barrier
	buffer_gl0_inv
	s_clause 0x4
	scratch_load_b128 v[13:16], off, off offset:168
	scratch_load_b128 v[17:20], off, off offset:184
	;; [unrolled: 1-line block ×5, first 2 shown]
	v_mov_b32_e32 v1, 0
	ds_load_b128 v[33:36], v1 offset:640
	ds_load_b128 v[145:148], v1 offset:656
	scratch_load_b128 v[149:152], off, off offset:248
	s_mov_b32 s0, exec_lo
	s_waitcnt vmcnt(5) lgkmcnt(1)
	v_fma_f64 v[2:3], v[15:16], v[33:34], 0
	s_waitcnt vmcnt(4)
	s_delay_alu instid0(VALU_DEP_1) | instskip(SKIP_4) | instid1(VALU_DEP_1)
	v_fma_f64 v[2:3], v[17:18], v[35:36], v[2:3]
	scratch_load_b128 v[15:18], off, off offset:264
	s_waitcnt lgkmcnt(0)
	v_fma_f64 v[2:3], v[19:20], v[145:146], v[2:3]
	s_waitcnt vmcnt(4)
	v_fma_f64 v[2:3], v[21:22], v[147:148], v[2:3]
	ds_load_b128 v[19:22], v1 offset:672
	ds_load_b128 v[33:36], v1 offset:688
	scratch_load_b128 v[145:148], off, off offset:280
	s_waitcnt lgkmcnt(1)
	v_fma_f64 v[2:3], v[23:24], v[19:20], v[2:3]
	s_waitcnt vmcnt(4)
	s_delay_alu instid0(VALU_DEP_1) | instskip(SKIP_4) | instid1(VALU_DEP_1)
	v_fma_f64 v[2:3], v[25:26], v[21:22], v[2:3]
	scratch_load_b128 v[19:22], off, off offset:296
	s_waitcnt lgkmcnt(0)
	v_fma_f64 v[2:3], v[27:28], v[33:34], v[2:3]
	s_waitcnt vmcnt(4)
	v_fma_f64 v[2:3], v[29:30], v[35:36], v[2:3]
	ds_load_b128 v[23:26], v1 offset:704
	ds_load_b128 v[27:30], v1 offset:720
	s_waitcnt lgkmcnt(1)
	v_fma_f64 v[2:3], v[31:32], v[23:24], v[2:3]
	scratch_load_b128 v[31:34], off, off offset:312
	s_waitcnt vmcnt(4)
	v_fma_f64 v[2:3], v[149:150], v[25:26], v[2:3]
	scratch_load_b128 v[23:26], off, off offset:328
	s_waitcnt lgkmcnt(0)
	v_fma_f64 v[2:3], v[151:152], v[27:28], v[2:3]
	s_waitcnt vmcnt(4)
	s_delay_alu instid0(VALU_DEP_1)
	v_fma_f64 v[2:3], v[15:16], v[29:30], v[2:3]
	ds_load_b128 v[27:30], v1 offset:736
	ds_load_b128 v[149:152], v1 offset:752
	s_waitcnt lgkmcnt(1)
	v_fma_f64 v[2:3], v[17:18], v[27:28], v[2:3]
	scratch_load_b128 v[15:18], off, off offset:344
	s_waitcnt vmcnt(4)
	v_fma_f64 v[2:3], v[145:146], v[29:30], v[2:3]
	scratch_load_b128 v[27:30], off, off offset:360
	s_waitcnt lgkmcnt(0)
	v_fma_f64 v[2:3], v[147:148], v[149:150], v[2:3]
	s_waitcnt vmcnt(4)
	s_delay_alu instid0(VALU_DEP_1)
	v_fma_f64 v[2:3], v[19:20], v[151:152], v[2:3]
	ds_load_b128 v[145:148], v1 offset:768
	ds_load_b128 v[149:152], v1 offset:784
	s_waitcnt lgkmcnt(1)
	v_fma_f64 v[2:3], v[21:22], v[145:146], v[2:3]
	scratch_load_b128 v[19:22], off, off offset:376
	s_waitcnt vmcnt(4)
	v_fma_f64 v[2:3], v[31:32], v[147:148], v[2:3]
	s_waitcnt lgkmcnt(0)
	s_delay_alu instid0(VALU_DEP_1)
	v_fma_f64 v[2:3], v[33:34], v[149:150], v[2:3]
	scratch_load_b128 v[31:34], off, off offset:392
	s_waitcnt vmcnt(4)
	v_fma_f64 v[2:3], v[23:24], v[151:152], v[2:3]
	ds_load_b128 v[145:148], v1 offset:800
	ds_load_b128 v[149:152], v1 offset:816
	s_waitcnt lgkmcnt(1)
	v_fma_f64 v[2:3], v[25:26], v[145:146], v[2:3]
	scratch_load_b128 v[23:26], off, off offset:408
	s_waitcnt vmcnt(4)
	v_fma_f64 v[2:3], v[15:16], v[147:148], v[2:3]
	s_waitcnt lgkmcnt(0)
	s_delay_alu instid0(VALU_DEP_1)
	v_fma_f64 v[2:3], v[17:18], v[149:150], v[2:3]
	scratch_load_b128 v[15:18], off, off offset:424
	s_waitcnt vmcnt(4)
	v_fma_f64 v[2:3], v[27:28], v[151:152], v[2:3]
	ds_load_b128 v[145:148], v1 offset:832
	ds_load_b128 v[149:152], v1 offset:848
	s_waitcnt lgkmcnt(1)
	v_fma_f64 v[2:3], v[29:30], v[145:146], v[2:3]
	scratch_load_b128 v[27:30], off, off offset:440
	s_waitcnt vmcnt(4)
	v_fma_f64 v[2:3], v[19:20], v[147:148], v[2:3]
	s_waitcnt lgkmcnt(0)
	s_delay_alu instid0(VALU_DEP_1)
	v_fma_f64 v[2:3], v[21:22], v[149:150], v[2:3]
	ds_load_b128 v[19:22], v1 offset:864
	ds_load_b128 v[145:148], v1 offset:880
	s_waitcnt vmcnt(3)
	v_fma_f64 v[2:3], v[31:32], v[151:152], v[2:3]
	s_waitcnt lgkmcnt(1)
	s_delay_alu instid0(VALU_DEP_1) | instskip(SKIP_1) | instid1(VALU_DEP_1)
	v_fma_f64 v[2:3], v[33:34], v[19:20], v[2:3]
	s_waitcnt vmcnt(2)
	v_fma_f64 v[2:3], v[23:24], v[21:22], v[2:3]
	s_waitcnt lgkmcnt(0)
	s_delay_alu instid0(VALU_DEP_1) | instskip(SKIP_1) | instid1(VALU_DEP_1)
	v_fma_f64 v[2:3], v[25:26], v[145:146], v[2:3]
	s_waitcnt vmcnt(1)
	v_fma_f64 v[2:3], v[15:16], v[147:148], v[2:3]
	ds_load_b128 v[19:22], v1 offset:896
	ds_load_b64 v[15:16], v1 offset:912
	s_waitcnt lgkmcnt(1)
	v_fma_f64 v[2:3], v[17:18], v[19:20], v[2:3]
	s_waitcnt vmcnt(0)
	s_delay_alu instid0(VALU_DEP_1) | instskip(SKIP_1) | instid1(VALU_DEP_1)
	v_fma_f64 v[2:3], v[27:28], v[21:22], v[2:3]
	s_waitcnt lgkmcnt(0)
	v_fma_f64 v[2:3], v[29:30], v[15:16], v[2:3]
	s_delay_alu instid0(VALU_DEP_1)
	v_add_f64 v[2:3], v[13:14], -v[2:3]
	scratch_store_b64 off, v[2:3], off offset:168
	v_cmpx_lt_u32_e32 20, v0
	s_cbranch_execz .LBB120_311
; %bb.310:
	scratch_load_b64 v[3:4], off, off offset:160
	v_mov_b32_e32 v2, v1
	scratch_store_b64 off, v[1:2], off offset:160
	s_waitcnt vmcnt(0)
	ds_store_b64 v5, v[3:4]
.LBB120_311:
	s_or_b32 exec_lo, exec_lo, s0
	s_waitcnt lgkmcnt(0)
	s_waitcnt_vscnt null, 0x0
	s_barrier
	buffer_gl0_inv
	s_clause 0x4
	scratch_load_b128 v[13:16], off, off offset:160
	scratch_load_b128 v[17:20], off, off offset:176
	;; [unrolled: 1-line block ×5, first 2 shown]
	ds_load_2addr_b64 v[33:36], v1 offset0:79 offset1:80
	ds_load_2addr_b64 v[145:148], v1 offset0:81 offset1:82
	scratch_load_b128 v[149:152], off, off offset:240
	s_mov_b32 s0, exec_lo
	s_waitcnt vmcnt(5) lgkmcnt(1)
	v_fma_f64 v[2:3], v[15:16], v[33:34], 0
	s_waitcnt vmcnt(4)
	s_delay_alu instid0(VALU_DEP_1) | instskip(SKIP_4) | instid1(VALU_DEP_1)
	v_fma_f64 v[2:3], v[17:18], v[35:36], v[2:3]
	scratch_load_b128 v[15:18], off, off offset:256
	s_waitcnt lgkmcnt(0)
	v_fma_f64 v[2:3], v[19:20], v[145:146], v[2:3]
	s_waitcnt vmcnt(4)
	v_fma_f64 v[2:3], v[21:22], v[147:148], v[2:3]
	ds_load_2addr_b64 v[19:22], v1 offset0:83 offset1:84
	ds_load_2addr_b64 v[33:36], v1 offset0:85 offset1:86
	scratch_load_b128 v[145:148], off, off offset:272
	s_waitcnt lgkmcnt(1)
	v_fma_f64 v[2:3], v[23:24], v[19:20], v[2:3]
	s_waitcnt vmcnt(4)
	s_delay_alu instid0(VALU_DEP_1) | instskip(SKIP_4) | instid1(VALU_DEP_1)
	v_fma_f64 v[2:3], v[25:26], v[21:22], v[2:3]
	scratch_load_b128 v[19:22], off, off offset:288
	s_waitcnt lgkmcnt(0)
	v_fma_f64 v[2:3], v[27:28], v[33:34], v[2:3]
	s_waitcnt vmcnt(4)
	v_fma_f64 v[2:3], v[29:30], v[35:36], v[2:3]
	ds_load_2addr_b64 v[23:26], v1 offset0:87 offset1:88
	ds_load_2addr_b64 v[27:30], v1 offset0:89 offset1:90
	s_waitcnt lgkmcnt(1)
	v_fma_f64 v[2:3], v[31:32], v[23:24], v[2:3]
	scratch_load_b128 v[31:34], off, off offset:304
	s_waitcnt vmcnt(4)
	v_fma_f64 v[2:3], v[149:150], v[25:26], v[2:3]
	scratch_load_b128 v[23:26], off, off offset:320
	s_waitcnt lgkmcnt(0)
	v_fma_f64 v[2:3], v[151:152], v[27:28], v[2:3]
	s_waitcnt vmcnt(4)
	s_delay_alu instid0(VALU_DEP_1)
	v_fma_f64 v[2:3], v[15:16], v[29:30], v[2:3]
	ds_load_2addr_b64 v[27:30], v1 offset0:91 offset1:92
	ds_load_2addr_b64 v[149:152], v1 offset0:93 offset1:94
	s_waitcnt lgkmcnt(1)
	v_fma_f64 v[2:3], v[17:18], v[27:28], v[2:3]
	scratch_load_b128 v[15:18], off, off offset:336
	s_waitcnt vmcnt(4)
	v_fma_f64 v[2:3], v[145:146], v[29:30], v[2:3]
	scratch_load_b128 v[27:30], off, off offset:352
	s_waitcnt lgkmcnt(0)
	v_fma_f64 v[2:3], v[147:148], v[149:150], v[2:3]
	s_waitcnt vmcnt(4)
	s_delay_alu instid0(VALU_DEP_1)
	v_fma_f64 v[2:3], v[19:20], v[151:152], v[2:3]
	ds_load_2addr_b64 v[145:148], v1 offset0:95 offset1:96
	ds_load_2addr_b64 v[149:152], v1 offset0:97 offset1:98
	s_waitcnt lgkmcnt(1)
	v_fma_f64 v[2:3], v[21:22], v[145:146], v[2:3]
	scratch_load_b128 v[19:22], off, off offset:368
	s_waitcnt vmcnt(4)
	v_fma_f64 v[2:3], v[31:32], v[147:148], v[2:3]
	s_waitcnt lgkmcnt(0)
	s_delay_alu instid0(VALU_DEP_1)
	v_fma_f64 v[2:3], v[33:34], v[149:150], v[2:3]
	scratch_load_b128 v[31:34], off, off offset:384
	s_waitcnt vmcnt(4)
	v_fma_f64 v[2:3], v[23:24], v[151:152], v[2:3]
	ds_load_2addr_b64 v[145:148], v1 offset0:99 offset1:100
	ds_load_2addr_b64 v[149:152], v1 offset0:101 offset1:102
	s_waitcnt lgkmcnt(1)
	v_fma_f64 v[2:3], v[25:26], v[145:146], v[2:3]
	scratch_load_b128 v[23:26], off, off offset:400
	s_waitcnt vmcnt(4)
	v_fma_f64 v[2:3], v[15:16], v[147:148], v[2:3]
	s_waitcnt lgkmcnt(0)
	s_delay_alu instid0(VALU_DEP_1)
	v_fma_f64 v[2:3], v[17:18], v[149:150], v[2:3]
	scratch_load_b128 v[15:18], off, off offset:416
	s_waitcnt vmcnt(4)
	v_fma_f64 v[2:3], v[27:28], v[151:152], v[2:3]
	ds_load_2addr_b64 v[145:148], v1 offset0:103 offset1:104
	ds_load_2addr_b64 v[149:152], v1 offset0:105 offset1:106
	scratch_load_b64 v[35:36], off, off offset:448
	s_waitcnt lgkmcnt(1)
	v_fma_f64 v[2:3], v[29:30], v[145:146], v[2:3]
	scratch_load_b128 v[27:30], off, off offset:432
	s_waitcnt vmcnt(5)
	v_fma_f64 v[2:3], v[19:20], v[147:148], v[2:3]
	s_waitcnt lgkmcnt(0)
	s_delay_alu instid0(VALU_DEP_1)
	v_fma_f64 v[2:3], v[21:22], v[149:150], v[2:3]
	ds_load_2addr_b64 v[19:22], v1 offset0:107 offset1:108
	ds_load_2addr_b64 v[145:148], v1 offset0:109 offset1:110
	s_waitcnt vmcnt(4)
	v_fma_f64 v[2:3], v[31:32], v[151:152], v[2:3]
	s_waitcnt lgkmcnt(1)
	s_delay_alu instid0(VALU_DEP_1) | instskip(SKIP_1) | instid1(VALU_DEP_1)
	v_fma_f64 v[2:3], v[33:34], v[19:20], v[2:3]
	s_waitcnt vmcnt(3)
	v_fma_f64 v[2:3], v[23:24], v[21:22], v[2:3]
	s_waitcnt lgkmcnt(0)
	s_delay_alu instid0(VALU_DEP_1) | instskip(SKIP_1) | instid1(VALU_DEP_1)
	v_fma_f64 v[2:3], v[25:26], v[145:146], v[2:3]
	s_waitcnt vmcnt(2)
	v_fma_f64 v[15:16], v[15:16], v[147:148], v[2:3]
	ds_load_2addr_b64 v[19:22], v1 offset0:111 offset1:112
	ds_load_2addr_b64 v[1:4], v1 offset0:113 offset1:114
	s_waitcnt lgkmcnt(1)
	v_fma_f64 v[15:16], v[17:18], v[19:20], v[15:16]
	s_waitcnt vmcnt(0)
	s_delay_alu instid0(VALU_DEP_1) | instskip(SKIP_1) | instid1(VALU_DEP_1)
	v_fma_f64 v[15:16], v[27:28], v[21:22], v[15:16]
	s_waitcnt lgkmcnt(0)
	v_fma_f64 v[1:2], v[29:30], v[1:2], v[15:16]
	s_delay_alu instid0(VALU_DEP_1) | instskip(NEXT) | instid1(VALU_DEP_1)
	v_fma_f64 v[1:2], v[35:36], v[3:4], v[1:2]
	v_add_f64 v[1:2], v[13:14], -v[1:2]
	scratch_store_b64 off, v[1:2], off offset:160
	v_cmpx_lt_u32_e32 19, v0
	s_cbranch_execz .LBB120_313
; %bb.312:
	scratch_load_b64 v[1:2], off, off offset:152
	v_mov_b32_e32 v3, 0
	s_delay_alu instid0(VALU_DEP_1)
	v_mov_b32_e32 v4, v3
	scratch_store_b64 off, v[3:4], off offset:152
	s_waitcnt vmcnt(0)
	ds_store_b64 v5, v[1:2]
.LBB120_313:
	s_or_b32 exec_lo, exec_lo, s0
	s_waitcnt lgkmcnt(0)
	s_waitcnt_vscnt null, 0x0
	s_barrier
	buffer_gl0_inv
	s_clause 0x4
	scratch_load_b128 v[13:16], off, off offset:152
	scratch_load_b128 v[17:20], off, off offset:168
	;; [unrolled: 1-line block ×5, first 2 shown]
	v_mov_b32_e32 v1, 0
	ds_load_b128 v[33:36], v1 offset:624
	ds_load_b128 v[145:148], v1 offset:640
	scratch_load_b128 v[149:152], off, off offset:232
	s_mov_b32 s0, exec_lo
	s_waitcnt vmcnt(5) lgkmcnt(1)
	v_fma_f64 v[2:3], v[15:16], v[33:34], 0
	s_waitcnt vmcnt(4)
	s_delay_alu instid0(VALU_DEP_1) | instskip(SKIP_4) | instid1(VALU_DEP_1)
	v_fma_f64 v[2:3], v[17:18], v[35:36], v[2:3]
	scratch_load_b128 v[15:18], off, off offset:248
	s_waitcnt lgkmcnt(0)
	v_fma_f64 v[2:3], v[19:20], v[145:146], v[2:3]
	s_waitcnt vmcnt(4)
	v_fma_f64 v[2:3], v[21:22], v[147:148], v[2:3]
	ds_load_b128 v[19:22], v1 offset:656
	ds_load_b128 v[33:36], v1 offset:672
	scratch_load_b128 v[145:148], off, off offset:264
	s_waitcnt lgkmcnt(1)
	v_fma_f64 v[2:3], v[23:24], v[19:20], v[2:3]
	s_waitcnt vmcnt(4)
	s_delay_alu instid0(VALU_DEP_1) | instskip(SKIP_4) | instid1(VALU_DEP_1)
	v_fma_f64 v[2:3], v[25:26], v[21:22], v[2:3]
	scratch_load_b128 v[19:22], off, off offset:280
	s_waitcnt lgkmcnt(0)
	v_fma_f64 v[2:3], v[27:28], v[33:34], v[2:3]
	s_waitcnt vmcnt(4)
	v_fma_f64 v[2:3], v[29:30], v[35:36], v[2:3]
	ds_load_b128 v[23:26], v1 offset:688
	ds_load_b128 v[27:30], v1 offset:704
	s_waitcnt lgkmcnt(1)
	v_fma_f64 v[2:3], v[31:32], v[23:24], v[2:3]
	scratch_load_b128 v[31:34], off, off offset:296
	s_waitcnt vmcnt(4)
	v_fma_f64 v[2:3], v[149:150], v[25:26], v[2:3]
	scratch_load_b128 v[23:26], off, off offset:312
	s_waitcnt lgkmcnt(0)
	v_fma_f64 v[2:3], v[151:152], v[27:28], v[2:3]
	s_waitcnt vmcnt(4)
	s_delay_alu instid0(VALU_DEP_1)
	v_fma_f64 v[2:3], v[15:16], v[29:30], v[2:3]
	ds_load_b128 v[27:30], v1 offset:720
	ds_load_b128 v[149:152], v1 offset:736
	s_waitcnt lgkmcnt(1)
	v_fma_f64 v[2:3], v[17:18], v[27:28], v[2:3]
	scratch_load_b128 v[15:18], off, off offset:328
	s_waitcnt vmcnt(4)
	v_fma_f64 v[2:3], v[145:146], v[29:30], v[2:3]
	scratch_load_b128 v[27:30], off, off offset:344
	s_waitcnt lgkmcnt(0)
	v_fma_f64 v[2:3], v[147:148], v[149:150], v[2:3]
	s_waitcnt vmcnt(4)
	s_delay_alu instid0(VALU_DEP_1)
	v_fma_f64 v[2:3], v[19:20], v[151:152], v[2:3]
	ds_load_b128 v[145:148], v1 offset:752
	ds_load_b128 v[149:152], v1 offset:768
	s_waitcnt lgkmcnt(1)
	v_fma_f64 v[2:3], v[21:22], v[145:146], v[2:3]
	scratch_load_b128 v[19:22], off, off offset:360
	s_waitcnt vmcnt(4)
	v_fma_f64 v[2:3], v[31:32], v[147:148], v[2:3]
	s_waitcnt lgkmcnt(0)
	s_delay_alu instid0(VALU_DEP_1)
	v_fma_f64 v[2:3], v[33:34], v[149:150], v[2:3]
	scratch_load_b128 v[31:34], off, off offset:376
	s_waitcnt vmcnt(4)
	v_fma_f64 v[2:3], v[23:24], v[151:152], v[2:3]
	ds_load_b128 v[145:148], v1 offset:784
	ds_load_b128 v[149:152], v1 offset:800
	s_waitcnt lgkmcnt(1)
	v_fma_f64 v[2:3], v[25:26], v[145:146], v[2:3]
	scratch_load_b128 v[23:26], off, off offset:392
	s_waitcnt vmcnt(4)
	v_fma_f64 v[2:3], v[15:16], v[147:148], v[2:3]
	s_waitcnt lgkmcnt(0)
	s_delay_alu instid0(VALU_DEP_1)
	v_fma_f64 v[2:3], v[17:18], v[149:150], v[2:3]
	scratch_load_b128 v[15:18], off, off offset:408
	s_waitcnt vmcnt(4)
	v_fma_f64 v[2:3], v[27:28], v[151:152], v[2:3]
	ds_load_b128 v[145:148], v1 offset:816
	ds_load_b128 v[149:152], v1 offset:832
	s_waitcnt lgkmcnt(1)
	v_fma_f64 v[2:3], v[29:30], v[145:146], v[2:3]
	scratch_load_b128 v[27:30], off, off offset:424
	s_waitcnt vmcnt(4)
	v_fma_f64 v[2:3], v[19:20], v[147:148], v[2:3]
	s_waitcnt lgkmcnt(0)
	s_delay_alu instid0(VALU_DEP_1)
	v_fma_f64 v[2:3], v[21:22], v[149:150], v[2:3]
	scratch_load_b128 v[19:22], off, off offset:440
	s_waitcnt vmcnt(4)
	v_fma_f64 v[2:3], v[31:32], v[151:152], v[2:3]
	ds_load_b128 v[145:148], v1 offset:848
	ds_load_b128 v[149:152], v1 offset:864
	s_waitcnt lgkmcnt(1)
	v_fma_f64 v[2:3], v[33:34], v[145:146], v[2:3]
	s_waitcnt vmcnt(3)
	s_delay_alu instid0(VALU_DEP_1) | instskip(SKIP_1) | instid1(VALU_DEP_1)
	v_fma_f64 v[2:3], v[23:24], v[147:148], v[2:3]
	s_waitcnt lgkmcnt(0)
	v_fma_f64 v[2:3], v[25:26], v[149:150], v[2:3]
	ds_load_b128 v[23:26], v1 offset:880
	ds_load_b128 v[31:34], v1 offset:896
	s_waitcnt vmcnt(2)
	v_fma_f64 v[2:3], v[15:16], v[151:152], v[2:3]
	ds_load_b64 v[15:16], v1 offset:912
	s_waitcnt lgkmcnt(2)
	v_fma_f64 v[2:3], v[17:18], v[23:24], v[2:3]
	s_waitcnt vmcnt(1)
	s_delay_alu instid0(VALU_DEP_1) | instskip(SKIP_1) | instid1(VALU_DEP_1)
	v_fma_f64 v[2:3], v[27:28], v[25:26], v[2:3]
	s_waitcnt lgkmcnt(1)
	v_fma_f64 v[2:3], v[29:30], v[31:32], v[2:3]
	s_waitcnt vmcnt(0)
	s_delay_alu instid0(VALU_DEP_1) | instskip(SKIP_1) | instid1(VALU_DEP_1)
	v_fma_f64 v[2:3], v[19:20], v[33:34], v[2:3]
	s_waitcnt lgkmcnt(0)
	v_fma_f64 v[2:3], v[21:22], v[15:16], v[2:3]
	s_delay_alu instid0(VALU_DEP_1)
	v_add_f64 v[2:3], v[13:14], -v[2:3]
	scratch_store_b64 off, v[2:3], off offset:152
	v_cmpx_lt_u32_e32 18, v0
	s_cbranch_execz .LBB120_315
; %bb.314:
	scratch_load_b64 v[3:4], off, off offset:144
	v_mov_b32_e32 v2, v1
	scratch_store_b64 off, v[1:2], off offset:144
	s_waitcnt vmcnt(0)
	ds_store_b64 v5, v[3:4]
.LBB120_315:
	s_or_b32 exec_lo, exec_lo, s0
	s_waitcnt lgkmcnt(0)
	s_waitcnt_vscnt null, 0x0
	s_barrier
	buffer_gl0_inv
	s_clause 0x4
	scratch_load_b128 v[13:16], off, off offset:144
	scratch_load_b128 v[17:20], off, off offset:160
	;; [unrolled: 1-line block ×5, first 2 shown]
	ds_load_2addr_b64 v[33:36], v1 offset0:77 offset1:78
	ds_load_2addr_b64 v[145:148], v1 offset0:79 offset1:80
	scratch_load_b128 v[149:152], off, off offset:224
	s_mov_b32 s0, exec_lo
	s_waitcnt vmcnt(5) lgkmcnt(1)
	v_fma_f64 v[2:3], v[15:16], v[33:34], 0
	s_waitcnt vmcnt(4)
	s_delay_alu instid0(VALU_DEP_1) | instskip(SKIP_4) | instid1(VALU_DEP_1)
	v_fma_f64 v[2:3], v[17:18], v[35:36], v[2:3]
	scratch_load_b128 v[15:18], off, off offset:240
	s_waitcnt lgkmcnt(0)
	v_fma_f64 v[2:3], v[19:20], v[145:146], v[2:3]
	s_waitcnt vmcnt(4)
	v_fma_f64 v[2:3], v[21:22], v[147:148], v[2:3]
	ds_load_2addr_b64 v[19:22], v1 offset0:81 offset1:82
	ds_load_2addr_b64 v[33:36], v1 offset0:83 offset1:84
	scratch_load_b128 v[145:148], off, off offset:256
	s_waitcnt lgkmcnt(1)
	v_fma_f64 v[2:3], v[23:24], v[19:20], v[2:3]
	s_waitcnt vmcnt(4)
	s_delay_alu instid0(VALU_DEP_1) | instskip(SKIP_4) | instid1(VALU_DEP_1)
	v_fma_f64 v[2:3], v[25:26], v[21:22], v[2:3]
	scratch_load_b128 v[19:22], off, off offset:272
	s_waitcnt lgkmcnt(0)
	v_fma_f64 v[2:3], v[27:28], v[33:34], v[2:3]
	s_waitcnt vmcnt(4)
	v_fma_f64 v[2:3], v[29:30], v[35:36], v[2:3]
	ds_load_2addr_b64 v[23:26], v1 offset0:85 offset1:86
	ds_load_2addr_b64 v[27:30], v1 offset0:87 offset1:88
	s_waitcnt lgkmcnt(1)
	v_fma_f64 v[2:3], v[31:32], v[23:24], v[2:3]
	scratch_load_b128 v[31:34], off, off offset:288
	s_waitcnt vmcnt(4)
	v_fma_f64 v[2:3], v[149:150], v[25:26], v[2:3]
	scratch_load_b128 v[23:26], off, off offset:304
	s_waitcnt lgkmcnt(0)
	v_fma_f64 v[2:3], v[151:152], v[27:28], v[2:3]
	s_waitcnt vmcnt(4)
	s_delay_alu instid0(VALU_DEP_1)
	v_fma_f64 v[2:3], v[15:16], v[29:30], v[2:3]
	ds_load_2addr_b64 v[27:30], v1 offset0:89 offset1:90
	ds_load_2addr_b64 v[149:152], v1 offset0:91 offset1:92
	s_waitcnt lgkmcnt(1)
	v_fma_f64 v[2:3], v[17:18], v[27:28], v[2:3]
	scratch_load_b128 v[15:18], off, off offset:320
	s_waitcnt vmcnt(4)
	v_fma_f64 v[2:3], v[145:146], v[29:30], v[2:3]
	scratch_load_b128 v[27:30], off, off offset:336
	s_waitcnt lgkmcnt(0)
	v_fma_f64 v[2:3], v[147:148], v[149:150], v[2:3]
	s_waitcnt vmcnt(4)
	s_delay_alu instid0(VALU_DEP_1)
	v_fma_f64 v[2:3], v[19:20], v[151:152], v[2:3]
	ds_load_2addr_b64 v[145:148], v1 offset0:93 offset1:94
	ds_load_2addr_b64 v[149:152], v1 offset0:95 offset1:96
	s_waitcnt lgkmcnt(1)
	v_fma_f64 v[2:3], v[21:22], v[145:146], v[2:3]
	scratch_load_b128 v[19:22], off, off offset:352
	s_waitcnt vmcnt(4)
	v_fma_f64 v[2:3], v[31:32], v[147:148], v[2:3]
	s_waitcnt lgkmcnt(0)
	s_delay_alu instid0(VALU_DEP_1)
	v_fma_f64 v[2:3], v[33:34], v[149:150], v[2:3]
	scratch_load_b128 v[31:34], off, off offset:368
	s_waitcnt vmcnt(4)
	v_fma_f64 v[2:3], v[23:24], v[151:152], v[2:3]
	ds_load_2addr_b64 v[145:148], v1 offset0:97 offset1:98
	ds_load_2addr_b64 v[149:152], v1 offset0:99 offset1:100
	s_waitcnt lgkmcnt(1)
	v_fma_f64 v[2:3], v[25:26], v[145:146], v[2:3]
	scratch_load_b128 v[23:26], off, off offset:384
	s_waitcnt vmcnt(4)
	v_fma_f64 v[2:3], v[15:16], v[147:148], v[2:3]
	s_waitcnt lgkmcnt(0)
	s_delay_alu instid0(VALU_DEP_1)
	v_fma_f64 v[2:3], v[17:18], v[149:150], v[2:3]
	scratch_load_b128 v[15:18], off, off offset:400
	s_waitcnt vmcnt(4)
	;; [unrolled: 13-line block ×3, first 2 shown]
	v_fma_f64 v[2:3], v[31:32], v[151:152], v[2:3]
	ds_load_2addr_b64 v[145:148], v1 offset0:105 offset1:106
	ds_load_2addr_b64 v[149:152], v1 offset0:107 offset1:108
	scratch_load_b64 v[35:36], off, off offset:448
	s_waitcnt lgkmcnt(1)
	v_fma_f64 v[2:3], v[33:34], v[145:146], v[2:3]
	s_waitcnt vmcnt(4)
	s_delay_alu instid0(VALU_DEP_1) | instskip(SKIP_1) | instid1(VALU_DEP_1)
	v_fma_f64 v[2:3], v[23:24], v[147:148], v[2:3]
	s_waitcnt lgkmcnt(0)
	v_fma_f64 v[2:3], v[25:26], v[149:150], v[2:3]
	ds_load_2addr_b64 v[23:26], v1 offset0:109 offset1:110
	ds_load_2addr_b64 v[31:34], v1 offset0:111 offset1:112
	s_waitcnt vmcnt(3)
	v_fma_f64 v[2:3], v[15:16], v[151:152], v[2:3]
	s_waitcnt lgkmcnt(1)
	s_delay_alu instid0(VALU_DEP_1) | instskip(SKIP_1) | instid1(VALU_DEP_1)
	v_fma_f64 v[2:3], v[17:18], v[23:24], v[2:3]
	s_waitcnt vmcnt(2)
	v_fma_f64 v[2:3], v[27:28], v[25:26], v[2:3]
	s_waitcnt lgkmcnt(0)
	s_delay_alu instid0(VALU_DEP_1) | instskip(SKIP_1) | instid1(VALU_DEP_1)
	v_fma_f64 v[2:3], v[29:30], v[31:32], v[2:3]
	s_waitcnt vmcnt(1)
	v_fma_f64 v[15:16], v[19:20], v[33:34], v[2:3]
	ds_load_2addr_b64 v[1:4], v1 offset0:113 offset1:114
	s_waitcnt lgkmcnt(0)
	v_fma_f64 v[1:2], v[21:22], v[1:2], v[15:16]
	s_waitcnt vmcnt(0)
	s_delay_alu instid0(VALU_DEP_1) | instskip(NEXT) | instid1(VALU_DEP_1)
	v_fma_f64 v[1:2], v[35:36], v[3:4], v[1:2]
	v_add_f64 v[1:2], v[13:14], -v[1:2]
	scratch_store_b64 off, v[1:2], off offset:144
	v_cmpx_lt_u32_e32 17, v0
	s_cbranch_execz .LBB120_317
; %bb.316:
	scratch_load_b64 v[1:2], off, off offset:136
	v_mov_b32_e32 v3, 0
	s_delay_alu instid0(VALU_DEP_1)
	v_mov_b32_e32 v4, v3
	scratch_store_b64 off, v[3:4], off offset:136
	s_waitcnt vmcnt(0)
	ds_store_b64 v5, v[1:2]
.LBB120_317:
	s_or_b32 exec_lo, exec_lo, s0
	s_waitcnt lgkmcnt(0)
	s_waitcnt_vscnt null, 0x0
	s_barrier
	buffer_gl0_inv
	s_clause 0x4
	scratch_load_b128 v[13:16], off, off offset:136
	scratch_load_b128 v[17:20], off, off offset:152
	;; [unrolled: 1-line block ×5, first 2 shown]
	v_mov_b32_e32 v1, 0
	ds_load_b128 v[33:36], v1 offset:608
	ds_load_b128 v[145:148], v1 offset:624
	scratch_load_b128 v[149:152], off, off offset:216
	s_mov_b32 s0, exec_lo
	s_waitcnt vmcnt(5) lgkmcnt(1)
	v_fma_f64 v[2:3], v[15:16], v[33:34], 0
	s_waitcnt vmcnt(4)
	s_delay_alu instid0(VALU_DEP_1) | instskip(SKIP_4) | instid1(VALU_DEP_1)
	v_fma_f64 v[2:3], v[17:18], v[35:36], v[2:3]
	scratch_load_b128 v[15:18], off, off offset:232
	s_waitcnt lgkmcnt(0)
	v_fma_f64 v[2:3], v[19:20], v[145:146], v[2:3]
	s_waitcnt vmcnt(4)
	v_fma_f64 v[2:3], v[21:22], v[147:148], v[2:3]
	ds_load_b128 v[19:22], v1 offset:640
	ds_load_b128 v[33:36], v1 offset:656
	scratch_load_b128 v[145:148], off, off offset:248
	s_waitcnt lgkmcnt(1)
	v_fma_f64 v[2:3], v[23:24], v[19:20], v[2:3]
	s_waitcnt vmcnt(4)
	s_delay_alu instid0(VALU_DEP_1) | instskip(SKIP_4) | instid1(VALU_DEP_1)
	v_fma_f64 v[2:3], v[25:26], v[21:22], v[2:3]
	scratch_load_b128 v[19:22], off, off offset:264
	s_waitcnt lgkmcnt(0)
	v_fma_f64 v[2:3], v[27:28], v[33:34], v[2:3]
	s_waitcnt vmcnt(4)
	v_fma_f64 v[2:3], v[29:30], v[35:36], v[2:3]
	ds_load_b128 v[23:26], v1 offset:672
	ds_load_b128 v[27:30], v1 offset:688
	s_waitcnt lgkmcnt(1)
	v_fma_f64 v[2:3], v[31:32], v[23:24], v[2:3]
	scratch_load_b128 v[31:34], off, off offset:280
	s_waitcnt vmcnt(4)
	v_fma_f64 v[2:3], v[149:150], v[25:26], v[2:3]
	scratch_load_b128 v[23:26], off, off offset:296
	s_waitcnt lgkmcnt(0)
	v_fma_f64 v[2:3], v[151:152], v[27:28], v[2:3]
	s_waitcnt vmcnt(4)
	s_delay_alu instid0(VALU_DEP_1)
	v_fma_f64 v[2:3], v[15:16], v[29:30], v[2:3]
	ds_load_b128 v[27:30], v1 offset:704
	ds_load_b128 v[149:152], v1 offset:720
	s_waitcnt lgkmcnt(1)
	v_fma_f64 v[2:3], v[17:18], v[27:28], v[2:3]
	scratch_load_b128 v[15:18], off, off offset:312
	s_waitcnt vmcnt(4)
	v_fma_f64 v[2:3], v[145:146], v[29:30], v[2:3]
	scratch_load_b128 v[27:30], off, off offset:328
	s_waitcnt lgkmcnt(0)
	v_fma_f64 v[2:3], v[147:148], v[149:150], v[2:3]
	s_waitcnt vmcnt(4)
	s_delay_alu instid0(VALU_DEP_1)
	v_fma_f64 v[2:3], v[19:20], v[151:152], v[2:3]
	ds_load_b128 v[145:148], v1 offset:736
	ds_load_b128 v[149:152], v1 offset:752
	s_waitcnt lgkmcnt(1)
	v_fma_f64 v[2:3], v[21:22], v[145:146], v[2:3]
	scratch_load_b128 v[19:22], off, off offset:344
	s_waitcnt vmcnt(4)
	v_fma_f64 v[2:3], v[31:32], v[147:148], v[2:3]
	s_waitcnt lgkmcnt(0)
	s_delay_alu instid0(VALU_DEP_1)
	v_fma_f64 v[2:3], v[33:34], v[149:150], v[2:3]
	scratch_load_b128 v[31:34], off, off offset:360
	s_waitcnt vmcnt(4)
	v_fma_f64 v[2:3], v[23:24], v[151:152], v[2:3]
	ds_load_b128 v[145:148], v1 offset:768
	ds_load_b128 v[149:152], v1 offset:784
	s_waitcnt lgkmcnt(1)
	v_fma_f64 v[2:3], v[25:26], v[145:146], v[2:3]
	scratch_load_b128 v[23:26], off, off offset:376
	s_waitcnt vmcnt(4)
	v_fma_f64 v[2:3], v[15:16], v[147:148], v[2:3]
	s_waitcnt lgkmcnt(0)
	s_delay_alu instid0(VALU_DEP_1)
	v_fma_f64 v[2:3], v[17:18], v[149:150], v[2:3]
	scratch_load_b128 v[15:18], off, off offset:392
	s_waitcnt vmcnt(4)
	;; [unrolled: 13-line block ×3, first 2 shown]
	v_fma_f64 v[2:3], v[31:32], v[151:152], v[2:3]
	ds_load_b128 v[145:148], v1 offset:832
	ds_load_b128 v[149:152], v1 offset:848
	s_waitcnt lgkmcnt(1)
	v_fma_f64 v[2:3], v[33:34], v[145:146], v[2:3]
	scratch_load_b128 v[31:34], off, off offset:440
	s_waitcnt vmcnt(4)
	v_fma_f64 v[2:3], v[23:24], v[147:148], v[2:3]
	s_waitcnt lgkmcnt(0)
	s_delay_alu instid0(VALU_DEP_1)
	v_fma_f64 v[2:3], v[25:26], v[149:150], v[2:3]
	ds_load_b128 v[23:26], v1 offset:864
	ds_load_b128 v[145:148], v1 offset:880
	s_waitcnt vmcnt(3)
	v_fma_f64 v[2:3], v[15:16], v[151:152], v[2:3]
	s_waitcnt lgkmcnt(1)
	s_delay_alu instid0(VALU_DEP_1) | instskip(SKIP_1) | instid1(VALU_DEP_1)
	v_fma_f64 v[2:3], v[17:18], v[23:24], v[2:3]
	s_waitcnt vmcnt(2)
	v_fma_f64 v[2:3], v[27:28], v[25:26], v[2:3]
	s_waitcnt lgkmcnt(0)
	s_delay_alu instid0(VALU_DEP_1) | instskip(SKIP_1) | instid1(VALU_DEP_1)
	v_fma_f64 v[2:3], v[29:30], v[145:146], v[2:3]
	s_waitcnt vmcnt(1)
	v_fma_f64 v[2:3], v[19:20], v[147:148], v[2:3]
	ds_load_b128 v[15:18], v1 offset:896
	ds_load_b64 v[19:20], v1 offset:912
	s_waitcnt lgkmcnt(1)
	v_fma_f64 v[2:3], v[21:22], v[15:16], v[2:3]
	s_waitcnt vmcnt(0)
	s_delay_alu instid0(VALU_DEP_1) | instskip(SKIP_1) | instid1(VALU_DEP_1)
	v_fma_f64 v[2:3], v[31:32], v[17:18], v[2:3]
	s_waitcnt lgkmcnt(0)
	v_fma_f64 v[2:3], v[33:34], v[19:20], v[2:3]
	s_delay_alu instid0(VALU_DEP_1)
	v_add_f64 v[2:3], v[13:14], -v[2:3]
	scratch_store_b64 off, v[2:3], off offset:136
	v_cmpx_lt_u32_e32 16, v0
	s_cbranch_execz .LBB120_319
; %bb.318:
	scratch_load_b64 v[3:4], off, off offset:128
	v_mov_b32_e32 v2, v1
	scratch_store_b64 off, v[1:2], off offset:128
	s_waitcnt vmcnt(0)
	ds_store_b64 v5, v[3:4]
.LBB120_319:
	s_or_b32 exec_lo, exec_lo, s0
	s_waitcnt lgkmcnt(0)
	s_waitcnt_vscnt null, 0x0
	s_barrier
	buffer_gl0_inv
	s_clause 0x4
	scratch_load_b128 v[13:16], off, off offset:128
	scratch_load_b128 v[17:20], off, off offset:144
	;; [unrolled: 1-line block ×5, first 2 shown]
	ds_load_2addr_b64 v[33:36], v1 offset0:75 offset1:76
	ds_load_2addr_b64 v[145:148], v1 offset0:77 offset1:78
	scratch_load_b128 v[149:152], off, off offset:208
	s_mov_b32 s0, exec_lo
	s_waitcnt vmcnt(5) lgkmcnt(1)
	v_fma_f64 v[2:3], v[15:16], v[33:34], 0
	s_waitcnt vmcnt(4)
	s_delay_alu instid0(VALU_DEP_1) | instskip(SKIP_4) | instid1(VALU_DEP_1)
	v_fma_f64 v[2:3], v[17:18], v[35:36], v[2:3]
	scratch_load_b128 v[15:18], off, off offset:224
	s_waitcnt lgkmcnt(0)
	v_fma_f64 v[2:3], v[19:20], v[145:146], v[2:3]
	s_waitcnt vmcnt(4)
	v_fma_f64 v[2:3], v[21:22], v[147:148], v[2:3]
	ds_load_2addr_b64 v[19:22], v1 offset0:79 offset1:80
	ds_load_2addr_b64 v[33:36], v1 offset0:81 offset1:82
	scratch_load_b128 v[145:148], off, off offset:240
	s_waitcnt lgkmcnt(1)
	v_fma_f64 v[2:3], v[23:24], v[19:20], v[2:3]
	s_waitcnt vmcnt(4)
	s_delay_alu instid0(VALU_DEP_1) | instskip(SKIP_4) | instid1(VALU_DEP_1)
	v_fma_f64 v[2:3], v[25:26], v[21:22], v[2:3]
	scratch_load_b128 v[19:22], off, off offset:256
	s_waitcnt lgkmcnt(0)
	v_fma_f64 v[2:3], v[27:28], v[33:34], v[2:3]
	s_waitcnt vmcnt(4)
	v_fma_f64 v[2:3], v[29:30], v[35:36], v[2:3]
	ds_load_2addr_b64 v[23:26], v1 offset0:83 offset1:84
	ds_load_2addr_b64 v[27:30], v1 offset0:85 offset1:86
	s_waitcnt lgkmcnt(1)
	v_fma_f64 v[2:3], v[31:32], v[23:24], v[2:3]
	scratch_load_b128 v[31:34], off, off offset:272
	s_waitcnt vmcnt(4)
	v_fma_f64 v[2:3], v[149:150], v[25:26], v[2:3]
	scratch_load_b128 v[23:26], off, off offset:288
	s_waitcnt lgkmcnt(0)
	v_fma_f64 v[2:3], v[151:152], v[27:28], v[2:3]
	s_waitcnt vmcnt(4)
	s_delay_alu instid0(VALU_DEP_1)
	v_fma_f64 v[2:3], v[15:16], v[29:30], v[2:3]
	ds_load_2addr_b64 v[27:30], v1 offset0:87 offset1:88
	ds_load_2addr_b64 v[149:152], v1 offset0:89 offset1:90
	s_waitcnt lgkmcnt(1)
	v_fma_f64 v[2:3], v[17:18], v[27:28], v[2:3]
	scratch_load_b128 v[15:18], off, off offset:304
	s_waitcnt vmcnt(4)
	v_fma_f64 v[2:3], v[145:146], v[29:30], v[2:3]
	scratch_load_b128 v[27:30], off, off offset:320
	s_waitcnt lgkmcnt(0)
	v_fma_f64 v[2:3], v[147:148], v[149:150], v[2:3]
	s_waitcnt vmcnt(4)
	s_delay_alu instid0(VALU_DEP_1)
	v_fma_f64 v[2:3], v[19:20], v[151:152], v[2:3]
	ds_load_2addr_b64 v[145:148], v1 offset0:91 offset1:92
	ds_load_2addr_b64 v[149:152], v1 offset0:93 offset1:94
	s_waitcnt lgkmcnt(1)
	v_fma_f64 v[2:3], v[21:22], v[145:146], v[2:3]
	scratch_load_b128 v[19:22], off, off offset:336
	s_waitcnt vmcnt(4)
	v_fma_f64 v[2:3], v[31:32], v[147:148], v[2:3]
	s_waitcnt lgkmcnt(0)
	s_delay_alu instid0(VALU_DEP_1)
	v_fma_f64 v[2:3], v[33:34], v[149:150], v[2:3]
	scratch_load_b128 v[31:34], off, off offset:352
	s_waitcnt vmcnt(4)
	v_fma_f64 v[2:3], v[23:24], v[151:152], v[2:3]
	ds_load_2addr_b64 v[145:148], v1 offset0:95 offset1:96
	ds_load_2addr_b64 v[149:152], v1 offset0:97 offset1:98
	s_waitcnt lgkmcnt(1)
	v_fma_f64 v[2:3], v[25:26], v[145:146], v[2:3]
	scratch_load_b128 v[23:26], off, off offset:368
	s_waitcnt vmcnt(4)
	v_fma_f64 v[2:3], v[15:16], v[147:148], v[2:3]
	s_waitcnt lgkmcnt(0)
	s_delay_alu instid0(VALU_DEP_1)
	v_fma_f64 v[2:3], v[17:18], v[149:150], v[2:3]
	scratch_load_b128 v[15:18], off, off offset:384
	s_waitcnt vmcnt(4)
	;; [unrolled: 13-line block ×3, first 2 shown]
	v_fma_f64 v[2:3], v[31:32], v[151:152], v[2:3]
	ds_load_2addr_b64 v[145:148], v1 offset0:103 offset1:104
	ds_load_2addr_b64 v[149:152], v1 offset0:105 offset1:106
	scratch_load_b64 v[35:36], off, off offset:448
	s_waitcnt lgkmcnt(1)
	v_fma_f64 v[2:3], v[33:34], v[145:146], v[2:3]
	scratch_load_b128 v[31:34], off, off offset:432
	s_waitcnt vmcnt(5)
	v_fma_f64 v[2:3], v[23:24], v[147:148], v[2:3]
	s_waitcnt lgkmcnt(0)
	s_delay_alu instid0(VALU_DEP_1)
	v_fma_f64 v[2:3], v[25:26], v[149:150], v[2:3]
	ds_load_2addr_b64 v[23:26], v1 offset0:107 offset1:108
	ds_load_2addr_b64 v[145:148], v1 offset0:109 offset1:110
	s_waitcnt vmcnt(4)
	v_fma_f64 v[2:3], v[15:16], v[151:152], v[2:3]
	s_waitcnt lgkmcnt(1)
	s_delay_alu instid0(VALU_DEP_1) | instskip(SKIP_1) | instid1(VALU_DEP_1)
	v_fma_f64 v[2:3], v[17:18], v[23:24], v[2:3]
	s_waitcnt vmcnt(3)
	v_fma_f64 v[2:3], v[27:28], v[25:26], v[2:3]
	s_waitcnt lgkmcnt(0)
	s_delay_alu instid0(VALU_DEP_1) | instskip(SKIP_1) | instid1(VALU_DEP_1)
	v_fma_f64 v[2:3], v[29:30], v[145:146], v[2:3]
	s_waitcnt vmcnt(2)
	v_fma_f64 v[19:20], v[19:20], v[147:148], v[2:3]
	ds_load_2addr_b64 v[15:18], v1 offset0:111 offset1:112
	ds_load_2addr_b64 v[1:4], v1 offset0:113 offset1:114
	s_waitcnt lgkmcnt(1)
	v_fma_f64 v[15:16], v[21:22], v[15:16], v[19:20]
	s_waitcnt vmcnt(0)
	s_delay_alu instid0(VALU_DEP_1) | instskip(SKIP_1) | instid1(VALU_DEP_1)
	v_fma_f64 v[15:16], v[31:32], v[17:18], v[15:16]
	s_waitcnt lgkmcnt(0)
	v_fma_f64 v[1:2], v[33:34], v[1:2], v[15:16]
	s_delay_alu instid0(VALU_DEP_1) | instskip(NEXT) | instid1(VALU_DEP_1)
	v_fma_f64 v[1:2], v[35:36], v[3:4], v[1:2]
	v_add_f64 v[1:2], v[13:14], -v[1:2]
	scratch_store_b64 off, v[1:2], off offset:128
	v_cmpx_lt_u32_e32 15, v0
	s_cbranch_execz .LBB120_321
; %bb.320:
	scratch_load_b64 v[1:2], off, off offset:120
	v_mov_b32_e32 v3, 0
	s_delay_alu instid0(VALU_DEP_1)
	v_mov_b32_e32 v4, v3
	scratch_store_b64 off, v[3:4], off offset:120
	s_waitcnt vmcnt(0)
	ds_store_b64 v5, v[1:2]
.LBB120_321:
	s_or_b32 exec_lo, exec_lo, s0
	s_waitcnt lgkmcnt(0)
	s_waitcnt_vscnt null, 0x0
	s_barrier
	buffer_gl0_inv
	s_clause 0x4
	scratch_load_b128 v[13:16], off, off offset:120
	scratch_load_b128 v[17:20], off, off offset:136
	;; [unrolled: 1-line block ×5, first 2 shown]
	v_mov_b32_e32 v1, 0
	ds_load_b128 v[33:36], v1 offset:592
	ds_load_b128 v[145:148], v1 offset:608
	scratch_load_b128 v[149:152], off, off offset:200
	s_mov_b32 s0, exec_lo
	s_waitcnt vmcnt(5) lgkmcnt(1)
	v_fma_f64 v[2:3], v[15:16], v[33:34], 0
	s_waitcnt vmcnt(4)
	s_delay_alu instid0(VALU_DEP_1) | instskip(SKIP_4) | instid1(VALU_DEP_1)
	v_fma_f64 v[2:3], v[17:18], v[35:36], v[2:3]
	scratch_load_b128 v[15:18], off, off offset:216
	s_waitcnt lgkmcnt(0)
	v_fma_f64 v[2:3], v[19:20], v[145:146], v[2:3]
	s_waitcnt vmcnt(4)
	v_fma_f64 v[2:3], v[21:22], v[147:148], v[2:3]
	ds_load_b128 v[19:22], v1 offset:624
	ds_load_b128 v[33:36], v1 offset:640
	scratch_load_b128 v[145:148], off, off offset:232
	s_waitcnt lgkmcnt(1)
	v_fma_f64 v[2:3], v[23:24], v[19:20], v[2:3]
	s_waitcnt vmcnt(4)
	s_delay_alu instid0(VALU_DEP_1) | instskip(SKIP_4) | instid1(VALU_DEP_1)
	v_fma_f64 v[2:3], v[25:26], v[21:22], v[2:3]
	scratch_load_b128 v[19:22], off, off offset:248
	s_waitcnt lgkmcnt(0)
	v_fma_f64 v[2:3], v[27:28], v[33:34], v[2:3]
	s_waitcnt vmcnt(4)
	v_fma_f64 v[2:3], v[29:30], v[35:36], v[2:3]
	ds_load_b128 v[23:26], v1 offset:656
	ds_load_b128 v[27:30], v1 offset:672
	s_waitcnt lgkmcnt(1)
	v_fma_f64 v[2:3], v[31:32], v[23:24], v[2:3]
	scratch_load_b128 v[31:34], off, off offset:264
	s_waitcnt vmcnt(4)
	v_fma_f64 v[2:3], v[149:150], v[25:26], v[2:3]
	scratch_load_b128 v[23:26], off, off offset:280
	s_waitcnt lgkmcnt(0)
	v_fma_f64 v[2:3], v[151:152], v[27:28], v[2:3]
	s_waitcnt vmcnt(4)
	s_delay_alu instid0(VALU_DEP_1)
	v_fma_f64 v[2:3], v[15:16], v[29:30], v[2:3]
	ds_load_b128 v[27:30], v1 offset:688
	ds_load_b128 v[149:152], v1 offset:704
	s_waitcnt lgkmcnt(1)
	v_fma_f64 v[2:3], v[17:18], v[27:28], v[2:3]
	scratch_load_b128 v[15:18], off, off offset:296
	s_waitcnt vmcnt(4)
	v_fma_f64 v[2:3], v[145:146], v[29:30], v[2:3]
	scratch_load_b128 v[27:30], off, off offset:312
	s_waitcnt lgkmcnt(0)
	v_fma_f64 v[2:3], v[147:148], v[149:150], v[2:3]
	s_waitcnt vmcnt(4)
	s_delay_alu instid0(VALU_DEP_1)
	v_fma_f64 v[2:3], v[19:20], v[151:152], v[2:3]
	ds_load_b128 v[145:148], v1 offset:720
	ds_load_b128 v[149:152], v1 offset:736
	s_waitcnt lgkmcnt(1)
	v_fma_f64 v[2:3], v[21:22], v[145:146], v[2:3]
	scratch_load_b128 v[19:22], off, off offset:328
	s_waitcnt vmcnt(4)
	v_fma_f64 v[2:3], v[31:32], v[147:148], v[2:3]
	s_waitcnt lgkmcnt(0)
	s_delay_alu instid0(VALU_DEP_1)
	v_fma_f64 v[2:3], v[33:34], v[149:150], v[2:3]
	scratch_load_b128 v[31:34], off, off offset:344
	s_waitcnt vmcnt(4)
	v_fma_f64 v[2:3], v[23:24], v[151:152], v[2:3]
	ds_load_b128 v[145:148], v1 offset:752
	ds_load_b128 v[149:152], v1 offset:768
	s_waitcnt lgkmcnt(1)
	v_fma_f64 v[2:3], v[25:26], v[145:146], v[2:3]
	scratch_load_b128 v[23:26], off, off offset:360
	s_waitcnt vmcnt(4)
	v_fma_f64 v[2:3], v[15:16], v[147:148], v[2:3]
	s_waitcnt lgkmcnt(0)
	s_delay_alu instid0(VALU_DEP_1)
	v_fma_f64 v[2:3], v[17:18], v[149:150], v[2:3]
	scratch_load_b128 v[15:18], off, off offset:376
	s_waitcnt vmcnt(4)
	;; [unrolled: 13-line block ×4, first 2 shown]
	v_fma_f64 v[2:3], v[15:16], v[151:152], v[2:3]
	ds_load_b128 v[145:148], v1 offset:848
	ds_load_b128 v[149:152], v1 offset:864
	s_waitcnt lgkmcnt(1)
	v_fma_f64 v[2:3], v[17:18], v[145:146], v[2:3]
	s_waitcnt vmcnt(3)
	s_delay_alu instid0(VALU_DEP_1) | instskip(SKIP_1) | instid1(VALU_DEP_1)
	v_fma_f64 v[2:3], v[27:28], v[147:148], v[2:3]
	s_waitcnt lgkmcnt(0)
	v_fma_f64 v[2:3], v[29:30], v[149:150], v[2:3]
	ds_load_b128 v[15:18], v1 offset:880
	ds_load_b128 v[27:30], v1 offset:896
	s_waitcnt vmcnt(2)
	v_fma_f64 v[2:3], v[19:20], v[151:152], v[2:3]
	s_waitcnt lgkmcnt(1)
	s_delay_alu instid0(VALU_DEP_1) | instskip(SKIP_4) | instid1(VALU_DEP_1)
	v_fma_f64 v[2:3], v[21:22], v[15:16], v[2:3]
	ds_load_b64 v[15:16], v1 offset:912
	s_waitcnt vmcnt(1)
	v_fma_f64 v[2:3], v[31:32], v[17:18], v[2:3]
	s_waitcnt lgkmcnt(1)
	v_fma_f64 v[2:3], v[33:34], v[27:28], v[2:3]
	s_waitcnt vmcnt(0)
	s_delay_alu instid0(VALU_DEP_1) | instskip(SKIP_1) | instid1(VALU_DEP_1)
	v_fma_f64 v[2:3], v[23:24], v[29:30], v[2:3]
	s_waitcnt lgkmcnt(0)
	v_fma_f64 v[2:3], v[25:26], v[15:16], v[2:3]
	s_delay_alu instid0(VALU_DEP_1)
	v_add_f64 v[2:3], v[13:14], -v[2:3]
	scratch_store_b64 off, v[2:3], off offset:120
	v_cmpx_lt_u32_e32 14, v0
	s_cbranch_execz .LBB120_323
; %bb.322:
	scratch_load_b64 v[3:4], off, off offset:112
	v_mov_b32_e32 v2, v1
	scratch_store_b64 off, v[1:2], off offset:112
	s_waitcnt vmcnt(0)
	ds_store_b64 v5, v[3:4]
.LBB120_323:
	s_or_b32 exec_lo, exec_lo, s0
	s_waitcnt lgkmcnt(0)
	s_waitcnt_vscnt null, 0x0
	s_barrier
	buffer_gl0_inv
	s_clause 0x4
	scratch_load_b128 v[13:16], off, off offset:112
	scratch_load_b128 v[17:20], off, off offset:128
	;; [unrolled: 1-line block ×5, first 2 shown]
	ds_load_2addr_b64 v[33:36], v1 offset0:73 offset1:74
	ds_load_2addr_b64 v[145:148], v1 offset0:75 offset1:76
	scratch_load_b128 v[149:152], off, off offset:192
	s_mov_b32 s0, exec_lo
	s_waitcnt vmcnt(5) lgkmcnt(1)
	v_fma_f64 v[2:3], v[15:16], v[33:34], 0
	s_waitcnt vmcnt(4)
	s_delay_alu instid0(VALU_DEP_1) | instskip(SKIP_4) | instid1(VALU_DEP_1)
	v_fma_f64 v[2:3], v[17:18], v[35:36], v[2:3]
	scratch_load_b128 v[15:18], off, off offset:208
	s_waitcnt lgkmcnt(0)
	v_fma_f64 v[2:3], v[19:20], v[145:146], v[2:3]
	s_waitcnt vmcnt(4)
	v_fma_f64 v[2:3], v[21:22], v[147:148], v[2:3]
	ds_load_2addr_b64 v[19:22], v1 offset0:77 offset1:78
	ds_load_2addr_b64 v[33:36], v1 offset0:79 offset1:80
	scratch_load_b128 v[145:148], off, off offset:224
	s_waitcnt lgkmcnt(1)
	v_fma_f64 v[2:3], v[23:24], v[19:20], v[2:3]
	s_waitcnt vmcnt(4)
	s_delay_alu instid0(VALU_DEP_1) | instskip(SKIP_4) | instid1(VALU_DEP_1)
	v_fma_f64 v[2:3], v[25:26], v[21:22], v[2:3]
	scratch_load_b128 v[19:22], off, off offset:240
	s_waitcnt lgkmcnt(0)
	v_fma_f64 v[2:3], v[27:28], v[33:34], v[2:3]
	s_waitcnt vmcnt(4)
	v_fma_f64 v[2:3], v[29:30], v[35:36], v[2:3]
	ds_load_2addr_b64 v[23:26], v1 offset0:81 offset1:82
	ds_load_2addr_b64 v[27:30], v1 offset0:83 offset1:84
	s_waitcnt lgkmcnt(1)
	v_fma_f64 v[2:3], v[31:32], v[23:24], v[2:3]
	scratch_load_b128 v[31:34], off, off offset:256
	s_waitcnt vmcnt(4)
	v_fma_f64 v[2:3], v[149:150], v[25:26], v[2:3]
	scratch_load_b128 v[23:26], off, off offset:272
	s_waitcnt lgkmcnt(0)
	v_fma_f64 v[2:3], v[151:152], v[27:28], v[2:3]
	s_waitcnt vmcnt(4)
	s_delay_alu instid0(VALU_DEP_1)
	v_fma_f64 v[2:3], v[15:16], v[29:30], v[2:3]
	ds_load_2addr_b64 v[27:30], v1 offset0:85 offset1:86
	ds_load_2addr_b64 v[149:152], v1 offset0:87 offset1:88
	s_waitcnt lgkmcnt(1)
	v_fma_f64 v[2:3], v[17:18], v[27:28], v[2:3]
	scratch_load_b128 v[15:18], off, off offset:288
	s_waitcnt vmcnt(4)
	v_fma_f64 v[2:3], v[145:146], v[29:30], v[2:3]
	scratch_load_b128 v[27:30], off, off offset:304
	s_waitcnt lgkmcnt(0)
	v_fma_f64 v[2:3], v[147:148], v[149:150], v[2:3]
	s_waitcnt vmcnt(4)
	s_delay_alu instid0(VALU_DEP_1)
	v_fma_f64 v[2:3], v[19:20], v[151:152], v[2:3]
	ds_load_2addr_b64 v[145:148], v1 offset0:89 offset1:90
	ds_load_2addr_b64 v[149:152], v1 offset0:91 offset1:92
	s_waitcnt lgkmcnt(1)
	v_fma_f64 v[2:3], v[21:22], v[145:146], v[2:3]
	scratch_load_b128 v[19:22], off, off offset:320
	s_waitcnt vmcnt(4)
	v_fma_f64 v[2:3], v[31:32], v[147:148], v[2:3]
	s_waitcnt lgkmcnt(0)
	s_delay_alu instid0(VALU_DEP_1)
	v_fma_f64 v[2:3], v[33:34], v[149:150], v[2:3]
	scratch_load_b128 v[31:34], off, off offset:336
	s_waitcnt vmcnt(4)
	v_fma_f64 v[2:3], v[23:24], v[151:152], v[2:3]
	ds_load_2addr_b64 v[145:148], v1 offset0:93 offset1:94
	ds_load_2addr_b64 v[149:152], v1 offset0:95 offset1:96
	s_waitcnt lgkmcnt(1)
	v_fma_f64 v[2:3], v[25:26], v[145:146], v[2:3]
	scratch_load_b128 v[23:26], off, off offset:352
	s_waitcnt vmcnt(4)
	v_fma_f64 v[2:3], v[15:16], v[147:148], v[2:3]
	s_waitcnt lgkmcnt(0)
	s_delay_alu instid0(VALU_DEP_1)
	v_fma_f64 v[2:3], v[17:18], v[149:150], v[2:3]
	scratch_load_b128 v[15:18], off, off offset:368
	s_waitcnt vmcnt(4)
	;; [unrolled: 13-line block ×4, first 2 shown]
	v_fma_f64 v[2:3], v[15:16], v[151:152], v[2:3]
	ds_load_2addr_b64 v[145:148], v1 offset0:105 offset1:106
	ds_load_2addr_b64 v[149:152], v1 offset0:107 offset1:108
	scratch_load_b64 v[35:36], off, off offset:448
	s_waitcnt lgkmcnt(1)
	v_fma_f64 v[2:3], v[17:18], v[145:146], v[2:3]
	s_waitcnt vmcnt(4)
	s_delay_alu instid0(VALU_DEP_1) | instskip(SKIP_1) | instid1(VALU_DEP_1)
	v_fma_f64 v[2:3], v[27:28], v[147:148], v[2:3]
	s_waitcnt lgkmcnt(0)
	v_fma_f64 v[2:3], v[29:30], v[149:150], v[2:3]
	ds_load_2addr_b64 v[15:18], v1 offset0:109 offset1:110
	ds_load_2addr_b64 v[27:30], v1 offset0:111 offset1:112
	s_waitcnt vmcnt(3)
	v_fma_f64 v[2:3], v[19:20], v[151:152], v[2:3]
	s_waitcnt lgkmcnt(1)
	s_delay_alu instid0(VALU_DEP_1) | instskip(SKIP_1) | instid1(VALU_DEP_1)
	v_fma_f64 v[2:3], v[21:22], v[15:16], v[2:3]
	s_waitcnt vmcnt(2)
	v_fma_f64 v[2:3], v[31:32], v[17:18], v[2:3]
	s_waitcnt lgkmcnt(0)
	s_delay_alu instid0(VALU_DEP_1) | instskip(SKIP_1) | instid1(VALU_DEP_1)
	v_fma_f64 v[2:3], v[33:34], v[27:28], v[2:3]
	s_waitcnt vmcnt(1)
	v_fma_f64 v[15:16], v[23:24], v[29:30], v[2:3]
	ds_load_2addr_b64 v[1:4], v1 offset0:113 offset1:114
	s_waitcnt lgkmcnt(0)
	v_fma_f64 v[1:2], v[25:26], v[1:2], v[15:16]
	s_waitcnt vmcnt(0)
	s_delay_alu instid0(VALU_DEP_1) | instskip(NEXT) | instid1(VALU_DEP_1)
	v_fma_f64 v[1:2], v[35:36], v[3:4], v[1:2]
	v_add_f64 v[1:2], v[13:14], -v[1:2]
	scratch_store_b64 off, v[1:2], off offset:112
	v_cmpx_lt_u32_e32 13, v0
	s_cbranch_execz .LBB120_325
; %bb.324:
	scratch_load_b64 v[1:2], off, off offset:104
	v_mov_b32_e32 v3, 0
	s_delay_alu instid0(VALU_DEP_1)
	v_mov_b32_e32 v4, v3
	scratch_store_b64 off, v[3:4], off offset:104
	s_waitcnt vmcnt(0)
	ds_store_b64 v5, v[1:2]
.LBB120_325:
	s_or_b32 exec_lo, exec_lo, s0
	s_waitcnt lgkmcnt(0)
	s_waitcnt_vscnt null, 0x0
	s_barrier
	buffer_gl0_inv
	s_clause 0x4
	scratch_load_b128 v[13:16], off, off offset:104
	scratch_load_b128 v[17:20], off, off offset:120
	;; [unrolled: 1-line block ×5, first 2 shown]
	v_mov_b32_e32 v1, 0
	ds_load_b128 v[33:36], v1 offset:576
	ds_load_b128 v[145:148], v1 offset:592
	scratch_load_b128 v[149:152], off, off offset:184
	s_mov_b32 s0, exec_lo
	s_waitcnt vmcnt(5) lgkmcnt(1)
	v_fma_f64 v[2:3], v[15:16], v[33:34], 0
	s_waitcnt vmcnt(4)
	s_delay_alu instid0(VALU_DEP_1) | instskip(SKIP_4) | instid1(VALU_DEP_1)
	v_fma_f64 v[2:3], v[17:18], v[35:36], v[2:3]
	scratch_load_b128 v[15:18], off, off offset:200
	s_waitcnt lgkmcnt(0)
	v_fma_f64 v[2:3], v[19:20], v[145:146], v[2:3]
	s_waitcnt vmcnt(4)
	v_fma_f64 v[2:3], v[21:22], v[147:148], v[2:3]
	ds_load_b128 v[19:22], v1 offset:608
	ds_load_b128 v[33:36], v1 offset:624
	scratch_load_b128 v[145:148], off, off offset:216
	s_waitcnt lgkmcnt(1)
	v_fma_f64 v[2:3], v[23:24], v[19:20], v[2:3]
	s_waitcnt vmcnt(4)
	s_delay_alu instid0(VALU_DEP_1) | instskip(SKIP_4) | instid1(VALU_DEP_1)
	v_fma_f64 v[2:3], v[25:26], v[21:22], v[2:3]
	scratch_load_b128 v[19:22], off, off offset:232
	s_waitcnt lgkmcnt(0)
	v_fma_f64 v[2:3], v[27:28], v[33:34], v[2:3]
	s_waitcnt vmcnt(4)
	v_fma_f64 v[2:3], v[29:30], v[35:36], v[2:3]
	ds_load_b128 v[23:26], v1 offset:640
	ds_load_b128 v[27:30], v1 offset:656
	s_waitcnt lgkmcnt(1)
	v_fma_f64 v[2:3], v[31:32], v[23:24], v[2:3]
	scratch_load_b128 v[31:34], off, off offset:248
	s_waitcnt vmcnt(4)
	v_fma_f64 v[2:3], v[149:150], v[25:26], v[2:3]
	scratch_load_b128 v[23:26], off, off offset:264
	s_waitcnt lgkmcnt(0)
	v_fma_f64 v[2:3], v[151:152], v[27:28], v[2:3]
	s_waitcnt vmcnt(4)
	s_delay_alu instid0(VALU_DEP_1)
	v_fma_f64 v[2:3], v[15:16], v[29:30], v[2:3]
	ds_load_b128 v[27:30], v1 offset:672
	ds_load_b128 v[149:152], v1 offset:688
	s_waitcnt lgkmcnt(1)
	v_fma_f64 v[2:3], v[17:18], v[27:28], v[2:3]
	scratch_load_b128 v[15:18], off, off offset:280
	s_waitcnt vmcnt(4)
	v_fma_f64 v[2:3], v[145:146], v[29:30], v[2:3]
	scratch_load_b128 v[27:30], off, off offset:296
	s_waitcnt lgkmcnt(0)
	v_fma_f64 v[2:3], v[147:148], v[149:150], v[2:3]
	s_waitcnt vmcnt(4)
	s_delay_alu instid0(VALU_DEP_1)
	v_fma_f64 v[2:3], v[19:20], v[151:152], v[2:3]
	ds_load_b128 v[145:148], v1 offset:704
	ds_load_b128 v[149:152], v1 offset:720
	s_waitcnt lgkmcnt(1)
	v_fma_f64 v[2:3], v[21:22], v[145:146], v[2:3]
	scratch_load_b128 v[19:22], off, off offset:312
	s_waitcnt vmcnt(4)
	v_fma_f64 v[2:3], v[31:32], v[147:148], v[2:3]
	s_waitcnt lgkmcnt(0)
	s_delay_alu instid0(VALU_DEP_1)
	v_fma_f64 v[2:3], v[33:34], v[149:150], v[2:3]
	scratch_load_b128 v[31:34], off, off offset:328
	s_waitcnt vmcnt(4)
	v_fma_f64 v[2:3], v[23:24], v[151:152], v[2:3]
	ds_load_b128 v[145:148], v1 offset:736
	ds_load_b128 v[149:152], v1 offset:752
	s_waitcnt lgkmcnt(1)
	v_fma_f64 v[2:3], v[25:26], v[145:146], v[2:3]
	scratch_load_b128 v[23:26], off, off offset:344
	s_waitcnt vmcnt(4)
	v_fma_f64 v[2:3], v[15:16], v[147:148], v[2:3]
	s_waitcnt lgkmcnt(0)
	s_delay_alu instid0(VALU_DEP_1)
	v_fma_f64 v[2:3], v[17:18], v[149:150], v[2:3]
	scratch_load_b128 v[15:18], off, off offset:360
	s_waitcnt vmcnt(4)
	;; [unrolled: 13-line block ×4, first 2 shown]
	v_fma_f64 v[2:3], v[15:16], v[151:152], v[2:3]
	ds_load_b128 v[145:148], v1 offset:832
	ds_load_b128 v[149:152], v1 offset:848
	s_waitcnt lgkmcnt(1)
	v_fma_f64 v[2:3], v[17:18], v[145:146], v[2:3]
	scratch_load_b128 v[15:18], off, off offset:440
	s_waitcnt vmcnt(4)
	v_fma_f64 v[2:3], v[27:28], v[147:148], v[2:3]
	s_waitcnt lgkmcnt(0)
	s_delay_alu instid0(VALU_DEP_1)
	v_fma_f64 v[2:3], v[29:30], v[149:150], v[2:3]
	ds_load_b128 v[27:30], v1 offset:864
	ds_load_b128 v[145:148], v1 offset:880
	s_waitcnt vmcnt(3)
	v_fma_f64 v[2:3], v[19:20], v[151:152], v[2:3]
	s_waitcnt lgkmcnt(1)
	s_delay_alu instid0(VALU_DEP_1) | instskip(SKIP_1) | instid1(VALU_DEP_1)
	v_fma_f64 v[2:3], v[21:22], v[27:28], v[2:3]
	s_waitcnt vmcnt(2)
	v_fma_f64 v[2:3], v[31:32], v[29:30], v[2:3]
	s_waitcnt lgkmcnt(0)
	s_delay_alu instid0(VALU_DEP_1) | instskip(SKIP_1) | instid1(VALU_DEP_1)
	v_fma_f64 v[2:3], v[33:34], v[145:146], v[2:3]
	s_waitcnt vmcnt(1)
	v_fma_f64 v[2:3], v[23:24], v[147:148], v[2:3]
	ds_load_b128 v[19:22], v1 offset:896
	ds_load_b64 v[23:24], v1 offset:912
	s_waitcnt lgkmcnt(1)
	v_fma_f64 v[2:3], v[25:26], v[19:20], v[2:3]
	s_waitcnt vmcnt(0)
	s_delay_alu instid0(VALU_DEP_1) | instskip(SKIP_1) | instid1(VALU_DEP_1)
	v_fma_f64 v[2:3], v[15:16], v[21:22], v[2:3]
	s_waitcnt lgkmcnt(0)
	v_fma_f64 v[2:3], v[17:18], v[23:24], v[2:3]
	s_delay_alu instid0(VALU_DEP_1)
	v_add_f64 v[2:3], v[13:14], -v[2:3]
	scratch_store_b64 off, v[2:3], off offset:104
	v_cmpx_lt_u32_e32 12, v0
	s_cbranch_execz .LBB120_327
; %bb.326:
	scratch_load_b64 v[3:4], off, off offset:96
	v_mov_b32_e32 v2, v1
	scratch_store_b64 off, v[1:2], off offset:96
	s_waitcnt vmcnt(0)
	ds_store_b64 v5, v[3:4]
.LBB120_327:
	s_or_b32 exec_lo, exec_lo, s0
	s_waitcnt lgkmcnt(0)
	s_waitcnt_vscnt null, 0x0
	s_barrier
	buffer_gl0_inv
	s_clause 0x4
	scratch_load_b128 v[13:16], off, off offset:96
	scratch_load_b128 v[17:20], off, off offset:112
	;; [unrolled: 1-line block ×5, first 2 shown]
	ds_load_2addr_b64 v[33:36], v1 offset0:71 offset1:72
	ds_load_2addr_b64 v[145:148], v1 offset0:73 offset1:74
	scratch_load_b128 v[149:152], off, off offset:176
	s_mov_b32 s0, exec_lo
	s_waitcnt vmcnt(5) lgkmcnt(1)
	v_fma_f64 v[2:3], v[15:16], v[33:34], 0
	s_waitcnt vmcnt(4)
	s_delay_alu instid0(VALU_DEP_1) | instskip(SKIP_4) | instid1(VALU_DEP_1)
	v_fma_f64 v[2:3], v[17:18], v[35:36], v[2:3]
	scratch_load_b128 v[15:18], off, off offset:192
	s_waitcnt lgkmcnt(0)
	v_fma_f64 v[2:3], v[19:20], v[145:146], v[2:3]
	s_waitcnt vmcnt(4)
	v_fma_f64 v[2:3], v[21:22], v[147:148], v[2:3]
	ds_load_2addr_b64 v[19:22], v1 offset0:75 offset1:76
	ds_load_2addr_b64 v[33:36], v1 offset0:77 offset1:78
	scratch_load_b128 v[145:148], off, off offset:208
	s_waitcnt lgkmcnt(1)
	v_fma_f64 v[2:3], v[23:24], v[19:20], v[2:3]
	s_waitcnt vmcnt(4)
	s_delay_alu instid0(VALU_DEP_1) | instskip(SKIP_4) | instid1(VALU_DEP_1)
	v_fma_f64 v[2:3], v[25:26], v[21:22], v[2:3]
	scratch_load_b128 v[19:22], off, off offset:224
	s_waitcnt lgkmcnt(0)
	v_fma_f64 v[2:3], v[27:28], v[33:34], v[2:3]
	s_waitcnt vmcnt(4)
	v_fma_f64 v[2:3], v[29:30], v[35:36], v[2:3]
	ds_load_2addr_b64 v[23:26], v1 offset0:79 offset1:80
	ds_load_2addr_b64 v[27:30], v1 offset0:81 offset1:82
	s_waitcnt lgkmcnt(1)
	v_fma_f64 v[2:3], v[31:32], v[23:24], v[2:3]
	scratch_load_b128 v[31:34], off, off offset:240
	s_waitcnt vmcnt(4)
	v_fma_f64 v[2:3], v[149:150], v[25:26], v[2:3]
	scratch_load_b128 v[23:26], off, off offset:256
	s_waitcnt lgkmcnt(0)
	v_fma_f64 v[2:3], v[151:152], v[27:28], v[2:3]
	s_waitcnt vmcnt(4)
	s_delay_alu instid0(VALU_DEP_1)
	v_fma_f64 v[2:3], v[15:16], v[29:30], v[2:3]
	ds_load_2addr_b64 v[27:30], v1 offset0:83 offset1:84
	ds_load_2addr_b64 v[149:152], v1 offset0:85 offset1:86
	s_waitcnt lgkmcnt(1)
	v_fma_f64 v[2:3], v[17:18], v[27:28], v[2:3]
	scratch_load_b128 v[15:18], off, off offset:272
	s_waitcnt vmcnt(4)
	v_fma_f64 v[2:3], v[145:146], v[29:30], v[2:3]
	scratch_load_b128 v[27:30], off, off offset:288
	s_waitcnt lgkmcnt(0)
	v_fma_f64 v[2:3], v[147:148], v[149:150], v[2:3]
	s_waitcnt vmcnt(4)
	s_delay_alu instid0(VALU_DEP_1)
	v_fma_f64 v[2:3], v[19:20], v[151:152], v[2:3]
	ds_load_2addr_b64 v[145:148], v1 offset0:87 offset1:88
	ds_load_2addr_b64 v[149:152], v1 offset0:89 offset1:90
	s_waitcnt lgkmcnt(1)
	v_fma_f64 v[2:3], v[21:22], v[145:146], v[2:3]
	scratch_load_b128 v[19:22], off, off offset:304
	s_waitcnt vmcnt(4)
	v_fma_f64 v[2:3], v[31:32], v[147:148], v[2:3]
	s_waitcnt lgkmcnt(0)
	s_delay_alu instid0(VALU_DEP_1)
	v_fma_f64 v[2:3], v[33:34], v[149:150], v[2:3]
	scratch_load_b128 v[31:34], off, off offset:320
	s_waitcnt vmcnt(4)
	v_fma_f64 v[2:3], v[23:24], v[151:152], v[2:3]
	ds_load_2addr_b64 v[145:148], v1 offset0:91 offset1:92
	ds_load_2addr_b64 v[149:152], v1 offset0:93 offset1:94
	s_waitcnt lgkmcnt(1)
	v_fma_f64 v[2:3], v[25:26], v[145:146], v[2:3]
	scratch_load_b128 v[23:26], off, off offset:336
	s_waitcnt vmcnt(4)
	v_fma_f64 v[2:3], v[15:16], v[147:148], v[2:3]
	s_waitcnt lgkmcnt(0)
	s_delay_alu instid0(VALU_DEP_1)
	v_fma_f64 v[2:3], v[17:18], v[149:150], v[2:3]
	scratch_load_b128 v[15:18], off, off offset:352
	s_waitcnt vmcnt(4)
	;; [unrolled: 13-line block ×4, first 2 shown]
	v_fma_f64 v[2:3], v[15:16], v[151:152], v[2:3]
	ds_load_2addr_b64 v[145:148], v1 offset0:103 offset1:104
	ds_load_2addr_b64 v[149:152], v1 offset0:105 offset1:106
	scratch_load_b64 v[35:36], off, off offset:448
	s_waitcnt lgkmcnt(1)
	v_fma_f64 v[2:3], v[17:18], v[145:146], v[2:3]
	scratch_load_b128 v[15:18], off, off offset:432
	s_waitcnt vmcnt(5)
	v_fma_f64 v[2:3], v[27:28], v[147:148], v[2:3]
	s_waitcnt lgkmcnt(0)
	s_delay_alu instid0(VALU_DEP_1)
	v_fma_f64 v[2:3], v[29:30], v[149:150], v[2:3]
	ds_load_2addr_b64 v[27:30], v1 offset0:107 offset1:108
	ds_load_2addr_b64 v[145:148], v1 offset0:109 offset1:110
	s_waitcnt vmcnt(4)
	v_fma_f64 v[2:3], v[19:20], v[151:152], v[2:3]
	s_waitcnt lgkmcnt(1)
	s_delay_alu instid0(VALU_DEP_1) | instskip(SKIP_1) | instid1(VALU_DEP_1)
	v_fma_f64 v[2:3], v[21:22], v[27:28], v[2:3]
	s_waitcnt vmcnt(3)
	v_fma_f64 v[2:3], v[31:32], v[29:30], v[2:3]
	s_waitcnt lgkmcnt(0)
	s_delay_alu instid0(VALU_DEP_1) | instskip(SKIP_1) | instid1(VALU_DEP_1)
	v_fma_f64 v[2:3], v[33:34], v[145:146], v[2:3]
	s_waitcnt vmcnt(2)
	v_fma_f64 v[23:24], v[23:24], v[147:148], v[2:3]
	ds_load_2addr_b64 v[19:22], v1 offset0:111 offset1:112
	ds_load_2addr_b64 v[1:4], v1 offset0:113 offset1:114
	s_waitcnt lgkmcnt(1)
	v_fma_f64 v[19:20], v[25:26], v[19:20], v[23:24]
	s_waitcnt vmcnt(0)
	s_delay_alu instid0(VALU_DEP_1) | instskip(SKIP_1) | instid1(VALU_DEP_1)
	v_fma_f64 v[15:16], v[15:16], v[21:22], v[19:20]
	s_waitcnt lgkmcnt(0)
	v_fma_f64 v[1:2], v[17:18], v[1:2], v[15:16]
	s_delay_alu instid0(VALU_DEP_1) | instskip(NEXT) | instid1(VALU_DEP_1)
	v_fma_f64 v[1:2], v[35:36], v[3:4], v[1:2]
	v_add_f64 v[1:2], v[13:14], -v[1:2]
	scratch_store_b64 off, v[1:2], off offset:96
	v_cmpx_lt_u32_e32 11, v0
	s_cbranch_execz .LBB120_329
; %bb.328:
	scratch_load_b64 v[1:2], off, off offset:88
	v_mov_b32_e32 v3, 0
	s_delay_alu instid0(VALU_DEP_1)
	v_mov_b32_e32 v4, v3
	scratch_store_b64 off, v[3:4], off offset:88
	s_waitcnt vmcnt(0)
	ds_store_b64 v5, v[1:2]
.LBB120_329:
	s_or_b32 exec_lo, exec_lo, s0
	s_waitcnt lgkmcnt(0)
	s_waitcnt_vscnt null, 0x0
	s_barrier
	buffer_gl0_inv
	s_clause 0x4
	scratch_load_b128 v[1:4], off, off offset:88
	scratch_load_b128 v[14:17], off, off offset:104
	;; [unrolled: 1-line block ×5, first 2 shown]
	v_mov_b32_e32 v13, 0
	ds_load_b128 v[30:33], v13 offset:560
	ds_load_b128 v[145:148], v13 offset:576
	scratch_load_b128 v[149:152], off, off offset:168
	s_mov_b32 s0, exec_lo
	s_waitcnt vmcnt(5) lgkmcnt(1)
	v_fma_f64 v[3:4], v[3:4], v[30:31], 0
	s_waitcnt vmcnt(4)
	s_delay_alu instid0(VALU_DEP_1) | instskip(SKIP_1) | instid1(VALU_DEP_1)
	v_fma_f64 v[3:4], v[14:15], v[32:33], v[3:4]
	s_waitcnt lgkmcnt(0)
	v_fma_f64 v[3:4], v[16:17], v[145:146], v[3:4]
	scratch_load_b128 v[14:17], off, off offset:184
	s_waitcnt vmcnt(4)
	v_fma_f64 v[3:4], v[18:19], v[147:148], v[3:4]
	ds_load_b128 v[30:33], v13 offset:592
	ds_load_b128 v[145:148], v13 offset:608
	s_waitcnt lgkmcnt(1)
	v_fma_f64 v[3:4], v[20:21], v[30:31], v[3:4]
	scratch_load_b128 v[18:21], off, off offset:200
	s_waitcnt vmcnt(4)
	v_fma_f64 v[3:4], v[22:23], v[32:33], v[3:4]
	s_waitcnt lgkmcnt(0)
	s_delay_alu instid0(VALU_DEP_1)
	v_fma_f64 v[3:4], v[24:25], v[145:146], v[3:4]
	scratch_load_b128 v[22:25], off, off offset:216
	s_waitcnt vmcnt(4)
	v_fma_f64 v[3:4], v[26:27], v[147:148], v[3:4]
	ds_load_b128 v[30:33], v13 offset:624
	ds_load_b128 v[145:148], v13 offset:640
	s_waitcnt lgkmcnt(1)
	v_fma_f64 v[3:4], v[28:29], v[30:31], v[3:4]
	scratch_load_b128 v[26:29], off, off offset:232
	s_waitcnt vmcnt(4)
	v_fma_f64 v[3:4], v[149:150], v[32:33], v[3:4]
	scratch_load_b128 v[30:33], off, off offset:248
	s_waitcnt lgkmcnt(0)
	v_fma_f64 v[3:4], v[151:152], v[145:146], v[3:4]
	s_waitcnt vmcnt(4)
	s_delay_alu instid0(VALU_DEP_1)
	v_fma_f64 v[3:4], v[14:15], v[147:148], v[3:4]
	ds_load_b128 v[145:148], v13 offset:656
	ds_load_b128 v[149:152], v13 offset:672
	s_waitcnt lgkmcnt(1)
	v_fma_f64 v[3:4], v[16:17], v[145:146], v[3:4]
	scratch_load_b128 v[14:17], off, off offset:264
	s_waitcnt vmcnt(4)
	v_fma_f64 v[3:4], v[18:19], v[147:148], v[3:4]
	s_waitcnt lgkmcnt(0)
	s_delay_alu instid0(VALU_DEP_1)
	v_fma_f64 v[3:4], v[20:21], v[149:150], v[3:4]
	scratch_load_b128 v[18:21], off, off offset:280
	s_waitcnt vmcnt(4)
	v_fma_f64 v[3:4], v[22:23], v[151:152], v[3:4]
	ds_load_b128 v[145:148], v13 offset:688
	ds_load_b128 v[149:152], v13 offset:704
	s_waitcnt lgkmcnt(1)
	v_fma_f64 v[3:4], v[24:25], v[145:146], v[3:4]
	scratch_load_b128 v[22:25], off, off offset:296
	s_waitcnt vmcnt(4)
	v_fma_f64 v[3:4], v[26:27], v[147:148], v[3:4]
	s_waitcnt lgkmcnt(0)
	s_delay_alu instid0(VALU_DEP_1)
	v_fma_f64 v[3:4], v[28:29], v[149:150], v[3:4]
	scratch_load_b128 v[26:29], off, off offset:312
	s_waitcnt vmcnt(4)
	;; [unrolled: 13-line block ×6, first 2 shown]
	v_fma_f64 v[3:4], v[22:23], v[151:152], v[3:4]
	ds_load_b128 v[145:148], v13 offset:848
	ds_load_b128 v[149:152], v13 offset:864
	s_waitcnt lgkmcnt(1)
	v_fma_f64 v[3:4], v[24:25], v[145:146], v[3:4]
	s_waitcnt vmcnt(3)
	s_delay_alu instid0(VALU_DEP_1) | instskip(SKIP_1) | instid1(VALU_DEP_1)
	v_fma_f64 v[3:4], v[26:27], v[147:148], v[3:4]
	s_waitcnt lgkmcnt(0)
	v_fma_f64 v[3:4], v[28:29], v[149:150], v[3:4]
	ds_load_b128 v[22:25], v13 offset:880
	ds_load_b128 v[26:29], v13 offset:896
	s_waitcnt vmcnt(2)
	v_fma_f64 v[3:4], v[30:31], v[151:152], v[3:4]
	s_waitcnt lgkmcnt(1)
	s_delay_alu instid0(VALU_DEP_1) | instskip(SKIP_1) | instid1(VALU_DEP_1)
	v_fma_f64 v[3:4], v[32:33], v[22:23], v[3:4]
	s_waitcnt vmcnt(1)
	v_fma_f64 v[3:4], v[14:15], v[24:25], v[3:4]
	ds_load_b64 v[14:15], v13 offset:912
	s_waitcnt lgkmcnt(1)
	v_fma_f64 v[3:4], v[16:17], v[26:27], v[3:4]
	s_waitcnt vmcnt(0)
	s_delay_alu instid0(VALU_DEP_1) | instskip(SKIP_1) | instid1(VALU_DEP_1)
	v_fma_f64 v[3:4], v[18:19], v[28:29], v[3:4]
	s_waitcnt lgkmcnt(0)
	v_fma_f64 v[3:4], v[20:21], v[14:15], v[3:4]
	s_delay_alu instid0(VALU_DEP_1)
	v_add_f64 v[1:2], v[1:2], -v[3:4]
	scratch_store_b64 off, v[1:2], off offset:88
	v_cmpx_lt_u32_e32 10, v0
	s_cbranch_execz .LBB120_331
; %bb.330:
	scratch_load_b64 v[1:2], off, off offset:80
	v_mov_b32_e32 v14, v13
	scratch_store_b64 off, v[13:14], off offset:80
	s_waitcnt vmcnt(0)
	ds_store_b64 v5, v[1:2]
.LBB120_331:
	s_or_b32 exec_lo, exec_lo, s0
	s_waitcnt lgkmcnt(0)
	s_waitcnt_vscnt null, 0x0
	s_barrier
	buffer_gl0_inv
	s_clause 0x4
	scratch_load_b128 v[1:4], off, off offset:80
	scratch_load_b128 v[14:17], off, off offset:96
	;; [unrolled: 1-line block ×5, first 2 shown]
	ds_load_2addr_b64 v[30:33], v13 offset0:69 offset1:70
	ds_load_2addr_b64 v[145:148], v13 offset0:71 offset1:72
	scratch_load_b128 v[149:152], off, off offset:160
	s_mov_b32 s0, exec_lo
	s_waitcnt vmcnt(5) lgkmcnt(1)
	v_fma_f64 v[3:4], v[3:4], v[30:31], 0
	s_waitcnt vmcnt(4)
	s_delay_alu instid0(VALU_DEP_1) | instskip(SKIP_1) | instid1(VALU_DEP_1)
	v_fma_f64 v[3:4], v[14:15], v[32:33], v[3:4]
	s_waitcnt lgkmcnt(0)
	v_fma_f64 v[3:4], v[16:17], v[145:146], v[3:4]
	scratch_load_b128 v[14:17], off, off offset:176
	s_waitcnt vmcnt(4)
	v_fma_f64 v[3:4], v[18:19], v[147:148], v[3:4]
	ds_load_2addr_b64 v[30:33], v13 offset0:73 offset1:74
	ds_load_2addr_b64 v[145:148], v13 offset0:75 offset1:76
	s_waitcnt lgkmcnt(1)
	v_fma_f64 v[3:4], v[20:21], v[30:31], v[3:4]
	scratch_load_b128 v[18:21], off, off offset:192
	s_waitcnt vmcnt(4)
	v_fma_f64 v[3:4], v[22:23], v[32:33], v[3:4]
	s_waitcnt lgkmcnt(0)
	s_delay_alu instid0(VALU_DEP_1)
	v_fma_f64 v[3:4], v[24:25], v[145:146], v[3:4]
	scratch_load_b128 v[22:25], off, off offset:208
	s_waitcnt vmcnt(4)
	v_fma_f64 v[3:4], v[26:27], v[147:148], v[3:4]
	ds_load_2addr_b64 v[30:33], v13 offset0:77 offset1:78
	ds_load_2addr_b64 v[145:148], v13 offset0:79 offset1:80
	s_waitcnt lgkmcnt(1)
	v_fma_f64 v[3:4], v[28:29], v[30:31], v[3:4]
	scratch_load_b128 v[26:29], off, off offset:224
	s_waitcnt vmcnt(4)
	v_fma_f64 v[3:4], v[149:150], v[32:33], v[3:4]
	scratch_load_b128 v[30:33], off, off offset:240
	s_waitcnt lgkmcnt(0)
	v_fma_f64 v[3:4], v[151:152], v[145:146], v[3:4]
	s_waitcnt vmcnt(4)
	s_delay_alu instid0(VALU_DEP_1)
	v_fma_f64 v[3:4], v[14:15], v[147:148], v[3:4]
	ds_load_2addr_b64 v[145:148], v13 offset0:81 offset1:82
	ds_load_2addr_b64 v[149:152], v13 offset0:83 offset1:84
	s_waitcnt lgkmcnt(1)
	v_fma_f64 v[3:4], v[16:17], v[145:146], v[3:4]
	scratch_load_b128 v[14:17], off, off offset:256
	s_waitcnt vmcnt(4)
	v_fma_f64 v[3:4], v[18:19], v[147:148], v[3:4]
	s_waitcnt lgkmcnt(0)
	s_delay_alu instid0(VALU_DEP_1)
	v_fma_f64 v[3:4], v[20:21], v[149:150], v[3:4]
	scratch_load_b128 v[18:21], off, off offset:272
	s_waitcnt vmcnt(4)
	v_fma_f64 v[3:4], v[22:23], v[151:152], v[3:4]
	ds_load_2addr_b64 v[145:148], v13 offset0:85 offset1:86
	ds_load_2addr_b64 v[149:152], v13 offset0:87 offset1:88
	s_waitcnt lgkmcnt(1)
	v_fma_f64 v[3:4], v[24:25], v[145:146], v[3:4]
	scratch_load_b128 v[22:25], off, off offset:288
	s_waitcnt vmcnt(4)
	v_fma_f64 v[3:4], v[26:27], v[147:148], v[3:4]
	s_waitcnt lgkmcnt(0)
	s_delay_alu instid0(VALU_DEP_1)
	v_fma_f64 v[3:4], v[28:29], v[149:150], v[3:4]
	scratch_load_b128 v[26:29], off, off offset:304
	s_waitcnt vmcnt(4)
	v_fma_f64 v[3:4], v[30:31], v[151:152], v[3:4]
	ds_load_2addr_b64 v[145:148], v13 offset0:89 offset1:90
	ds_load_2addr_b64 v[149:152], v13 offset0:91 offset1:92
	s_waitcnt lgkmcnt(1)
	v_fma_f64 v[3:4], v[32:33], v[145:146], v[3:4]
	scratch_load_b128 v[30:33], off, off offset:320
	s_waitcnt vmcnt(4)
	v_fma_f64 v[3:4], v[14:15], v[147:148], v[3:4]
	s_waitcnt lgkmcnt(0)
	s_delay_alu instid0(VALU_DEP_1)
	v_fma_f64 v[3:4], v[16:17], v[149:150], v[3:4]
	scratch_load_b128 v[14:17], off, off offset:336
	s_waitcnt vmcnt(4)
	v_fma_f64 v[3:4], v[18:19], v[151:152], v[3:4]
	ds_load_2addr_b64 v[145:148], v13 offset0:93 offset1:94
	ds_load_2addr_b64 v[149:152], v13 offset0:95 offset1:96
	s_waitcnt lgkmcnt(1)
	v_fma_f64 v[3:4], v[20:21], v[145:146], v[3:4]
	scratch_load_b128 v[18:21], off, off offset:352
	s_waitcnt vmcnt(4)
	v_fma_f64 v[3:4], v[22:23], v[147:148], v[3:4]
	s_waitcnt lgkmcnt(0)
	s_delay_alu instid0(VALU_DEP_1)
	v_fma_f64 v[3:4], v[24:25], v[149:150], v[3:4]
	scratch_load_b128 v[22:25], off, off offset:368
	s_waitcnt vmcnt(4)
	v_fma_f64 v[3:4], v[26:27], v[151:152], v[3:4]
	ds_load_2addr_b64 v[145:148], v13 offset0:97 offset1:98
	ds_load_2addr_b64 v[149:152], v13 offset0:99 offset1:100
	s_waitcnt lgkmcnt(1)
	v_fma_f64 v[3:4], v[28:29], v[145:146], v[3:4]
	scratch_load_b128 v[26:29], off, off offset:384
	s_waitcnt vmcnt(4)
	v_fma_f64 v[3:4], v[30:31], v[147:148], v[3:4]
	s_waitcnt lgkmcnt(0)
	s_delay_alu instid0(VALU_DEP_1)
	v_fma_f64 v[3:4], v[32:33], v[149:150], v[3:4]
	scratch_load_b128 v[30:33], off, off offset:400
	s_waitcnt vmcnt(4)
	v_fma_f64 v[3:4], v[14:15], v[151:152], v[3:4]
	ds_load_2addr_b64 v[145:148], v13 offset0:101 offset1:102
	ds_load_2addr_b64 v[149:152], v13 offset0:103 offset1:104
	s_waitcnt lgkmcnt(1)
	v_fma_f64 v[3:4], v[16:17], v[145:146], v[3:4]
	scratch_load_b128 v[14:17], off, off offset:416
	s_waitcnt vmcnt(4)
	v_fma_f64 v[3:4], v[18:19], v[147:148], v[3:4]
	s_waitcnt lgkmcnt(0)
	s_delay_alu instid0(VALU_DEP_1)
	v_fma_f64 v[3:4], v[20:21], v[149:150], v[3:4]
	scratch_load_b128 v[18:21], off, off offset:432
	s_waitcnt vmcnt(4)
	v_fma_f64 v[3:4], v[22:23], v[151:152], v[3:4]
	ds_load_2addr_b64 v[145:148], v13 offset0:105 offset1:106
	ds_load_2addr_b64 v[149:152], v13 offset0:107 offset1:108
	scratch_load_b64 v[34:35], off, off offset:448
	s_waitcnt lgkmcnt(1)
	v_fma_f64 v[3:4], v[24:25], v[145:146], v[3:4]
	s_waitcnt vmcnt(4)
	s_delay_alu instid0(VALU_DEP_1) | instskip(SKIP_1) | instid1(VALU_DEP_1)
	v_fma_f64 v[3:4], v[26:27], v[147:148], v[3:4]
	s_waitcnt lgkmcnt(0)
	v_fma_f64 v[3:4], v[28:29], v[149:150], v[3:4]
	ds_load_2addr_b64 v[22:25], v13 offset0:109 offset1:110
	ds_load_2addr_b64 v[26:29], v13 offset0:111 offset1:112
	s_waitcnt vmcnt(3)
	v_fma_f64 v[3:4], v[30:31], v[151:152], v[3:4]
	s_waitcnt lgkmcnt(1)
	s_delay_alu instid0(VALU_DEP_1) | instskip(SKIP_1) | instid1(VALU_DEP_1)
	v_fma_f64 v[3:4], v[32:33], v[22:23], v[3:4]
	s_waitcnt vmcnt(2)
	v_fma_f64 v[3:4], v[14:15], v[24:25], v[3:4]
	s_waitcnt lgkmcnt(0)
	s_delay_alu instid0(VALU_DEP_1) | instskip(SKIP_4) | instid1(VALU_DEP_1)
	v_fma_f64 v[3:4], v[16:17], v[26:27], v[3:4]
	ds_load_2addr_b64 v[13:16], v13 offset0:113 offset1:114
	s_waitcnt vmcnt(1)
	v_fma_f64 v[3:4], v[18:19], v[28:29], v[3:4]
	s_waitcnt lgkmcnt(0)
	v_fma_f64 v[3:4], v[20:21], v[13:14], v[3:4]
	s_waitcnt vmcnt(0)
	s_delay_alu instid0(VALU_DEP_1) | instskip(NEXT) | instid1(VALU_DEP_1)
	v_fma_f64 v[3:4], v[34:35], v[15:16], v[3:4]
	v_add_f64 v[1:2], v[1:2], -v[3:4]
	scratch_store_b64 off, v[1:2], off offset:80
	v_cmpx_lt_u32_e32 9, v0
	s_cbranch_execz .LBB120_333
; %bb.332:
	scratch_load_b64 v[1:2], off, off offset:72
	v_mov_b32_e32 v3, 0
	s_delay_alu instid0(VALU_DEP_1)
	v_mov_b32_e32 v4, v3
	scratch_store_b64 off, v[3:4], off offset:72
	s_waitcnt vmcnt(0)
	ds_store_b64 v5, v[1:2]
.LBB120_333:
	s_or_b32 exec_lo, exec_lo, s0
	s_waitcnt lgkmcnt(0)
	s_waitcnt_vscnt null, 0x0
	s_barrier
	buffer_gl0_inv
	s_clause 0x4
	scratch_load_b128 v[1:4], off, off offset:72
	scratch_load_b128 v[14:17], off, off offset:88
	;; [unrolled: 1-line block ×5, first 2 shown]
	v_mov_b32_e32 v13, 0
	ds_load_b128 v[30:33], v13 offset:544
	ds_load_b128 v[145:148], v13 offset:560
	scratch_load_b128 v[149:152], off, off offset:152
	s_mov_b32 s0, exec_lo
	s_waitcnt vmcnt(5) lgkmcnt(1)
	v_fma_f64 v[3:4], v[3:4], v[30:31], 0
	s_waitcnt vmcnt(4)
	s_delay_alu instid0(VALU_DEP_1) | instskip(SKIP_1) | instid1(VALU_DEP_1)
	v_fma_f64 v[3:4], v[14:15], v[32:33], v[3:4]
	s_waitcnt lgkmcnt(0)
	v_fma_f64 v[3:4], v[16:17], v[145:146], v[3:4]
	scratch_load_b128 v[14:17], off, off offset:168
	s_waitcnt vmcnt(4)
	v_fma_f64 v[3:4], v[18:19], v[147:148], v[3:4]
	ds_load_b128 v[30:33], v13 offset:576
	ds_load_b128 v[145:148], v13 offset:592
	s_waitcnt lgkmcnt(1)
	v_fma_f64 v[3:4], v[20:21], v[30:31], v[3:4]
	scratch_load_b128 v[18:21], off, off offset:184
	s_waitcnt vmcnt(4)
	v_fma_f64 v[3:4], v[22:23], v[32:33], v[3:4]
	s_waitcnt lgkmcnt(0)
	s_delay_alu instid0(VALU_DEP_1)
	v_fma_f64 v[3:4], v[24:25], v[145:146], v[3:4]
	scratch_load_b128 v[22:25], off, off offset:200
	s_waitcnt vmcnt(4)
	v_fma_f64 v[3:4], v[26:27], v[147:148], v[3:4]
	ds_load_b128 v[30:33], v13 offset:608
	ds_load_b128 v[145:148], v13 offset:624
	s_waitcnt lgkmcnt(1)
	v_fma_f64 v[3:4], v[28:29], v[30:31], v[3:4]
	scratch_load_b128 v[26:29], off, off offset:216
	s_waitcnt vmcnt(4)
	v_fma_f64 v[3:4], v[149:150], v[32:33], v[3:4]
	scratch_load_b128 v[30:33], off, off offset:232
	s_waitcnt lgkmcnt(0)
	v_fma_f64 v[3:4], v[151:152], v[145:146], v[3:4]
	s_waitcnt vmcnt(4)
	s_delay_alu instid0(VALU_DEP_1)
	v_fma_f64 v[3:4], v[14:15], v[147:148], v[3:4]
	ds_load_b128 v[145:148], v13 offset:640
	ds_load_b128 v[149:152], v13 offset:656
	s_waitcnt lgkmcnt(1)
	v_fma_f64 v[3:4], v[16:17], v[145:146], v[3:4]
	scratch_load_b128 v[14:17], off, off offset:248
	s_waitcnt vmcnt(4)
	v_fma_f64 v[3:4], v[18:19], v[147:148], v[3:4]
	s_waitcnt lgkmcnt(0)
	s_delay_alu instid0(VALU_DEP_1)
	v_fma_f64 v[3:4], v[20:21], v[149:150], v[3:4]
	scratch_load_b128 v[18:21], off, off offset:264
	s_waitcnt vmcnt(4)
	v_fma_f64 v[3:4], v[22:23], v[151:152], v[3:4]
	ds_load_b128 v[145:148], v13 offset:672
	ds_load_b128 v[149:152], v13 offset:688
	s_waitcnt lgkmcnt(1)
	v_fma_f64 v[3:4], v[24:25], v[145:146], v[3:4]
	scratch_load_b128 v[22:25], off, off offset:280
	s_waitcnt vmcnt(4)
	v_fma_f64 v[3:4], v[26:27], v[147:148], v[3:4]
	s_waitcnt lgkmcnt(0)
	s_delay_alu instid0(VALU_DEP_1)
	v_fma_f64 v[3:4], v[28:29], v[149:150], v[3:4]
	scratch_load_b128 v[26:29], off, off offset:296
	s_waitcnt vmcnt(4)
	;; [unrolled: 13-line block ×6, first 2 shown]
	v_fma_f64 v[3:4], v[22:23], v[151:152], v[3:4]
	ds_load_b128 v[145:148], v13 offset:832
	ds_load_b128 v[149:152], v13 offset:848
	s_waitcnt lgkmcnt(1)
	v_fma_f64 v[3:4], v[24:25], v[145:146], v[3:4]
	scratch_load_b128 v[22:25], off, off offset:440
	s_waitcnt vmcnt(4)
	v_fma_f64 v[3:4], v[26:27], v[147:148], v[3:4]
	s_waitcnt lgkmcnt(0)
	s_delay_alu instid0(VALU_DEP_1)
	v_fma_f64 v[3:4], v[28:29], v[149:150], v[3:4]
	ds_load_b128 v[26:29], v13 offset:864
	ds_load_b128 v[145:148], v13 offset:880
	s_waitcnt vmcnt(3)
	v_fma_f64 v[3:4], v[30:31], v[151:152], v[3:4]
	s_waitcnt lgkmcnt(1)
	s_delay_alu instid0(VALU_DEP_1) | instskip(SKIP_1) | instid1(VALU_DEP_1)
	v_fma_f64 v[3:4], v[32:33], v[26:27], v[3:4]
	s_waitcnt vmcnt(2)
	v_fma_f64 v[3:4], v[14:15], v[28:29], v[3:4]
	s_waitcnt lgkmcnt(0)
	s_delay_alu instid0(VALU_DEP_1) | instskip(SKIP_1) | instid1(VALU_DEP_1)
	v_fma_f64 v[3:4], v[16:17], v[145:146], v[3:4]
	s_waitcnt vmcnt(1)
	v_fma_f64 v[3:4], v[18:19], v[147:148], v[3:4]
	ds_load_b128 v[14:17], v13 offset:896
	ds_load_b64 v[18:19], v13 offset:912
	s_waitcnt lgkmcnt(1)
	v_fma_f64 v[3:4], v[20:21], v[14:15], v[3:4]
	s_waitcnt vmcnt(0)
	s_delay_alu instid0(VALU_DEP_1) | instskip(SKIP_1) | instid1(VALU_DEP_1)
	v_fma_f64 v[3:4], v[22:23], v[16:17], v[3:4]
	s_waitcnt lgkmcnt(0)
	v_fma_f64 v[3:4], v[24:25], v[18:19], v[3:4]
	s_delay_alu instid0(VALU_DEP_1)
	v_add_f64 v[1:2], v[1:2], -v[3:4]
	scratch_store_b64 off, v[1:2], off offset:72
	v_cmpx_lt_u32_e32 8, v0
	s_cbranch_execz .LBB120_335
; %bb.334:
	scratch_load_b64 v[1:2], off, off offset:64
	v_mov_b32_e32 v14, v13
	scratch_store_b64 off, v[13:14], off offset:64
	s_waitcnt vmcnt(0)
	ds_store_b64 v5, v[1:2]
.LBB120_335:
	s_or_b32 exec_lo, exec_lo, s0
	s_waitcnt lgkmcnt(0)
	s_waitcnt_vscnt null, 0x0
	s_barrier
	buffer_gl0_inv
	s_clause 0x4
	scratch_load_b128 v[1:4], off, off offset:64
	scratch_load_b128 v[14:17], off, off offset:80
	;; [unrolled: 1-line block ×5, first 2 shown]
	ds_load_2addr_b64 v[30:33], v13 offset0:67 offset1:68
	ds_load_2addr_b64 v[145:148], v13 offset0:69 offset1:70
	scratch_load_b128 v[149:152], off, off offset:144
	s_mov_b32 s0, exec_lo
	s_waitcnt vmcnt(5) lgkmcnt(1)
	v_fma_f64 v[3:4], v[3:4], v[30:31], 0
	s_waitcnt vmcnt(4)
	s_delay_alu instid0(VALU_DEP_1) | instskip(SKIP_1) | instid1(VALU_DEP_1)
	v_fma_f64 v[3:4], v[14:15], v[32:33], v[3:4]
	s_waitcnt lgkmcnt(0)
	v_fma_f64 v[3:4], v[16:17], v[145:146], v[3:4]
	scratch_load_b128 v[14:17], off, off offset:160
	s_waitcnt vmcnt(4)
	v_fma_f64 v[3:4], v[18:19], v[147:148], v[3:4]
	ds_load_2addr_b64 v[30:33], v13 offset0:71 offset1:72
	ds_load_2addr_b64 v[145:148], v13 offset0:73 offset1:74
	s_waitcnt lgkmcnt(1)
	v_fma_f64 v[3:4], v[20:21], v[30:31], v[3:4]
	scratch_load_b128 v[18:21], off, off offset:176
	s_waitcnt vmcnt(4)
	v_fma_f64 v[3:4], v[22:23], v[32:33], v[3:4]
	s_waitcnt lgkmcnt(0)
	s_delay_alu instid0(VALU_DEP_1)
	v_fma_f64 v[3:4], v[24:25], v[145:146], v[3:4]
	scratch_load_b128 v[22:25], off, off offset:192
	s_waitcnt vmcnt(4)
	v_fma_f64 v[3:4], v[26:27], v[147:148], v[3:4]
	ds_load_2addr_b64 v[30:33], v13 offset0:75 offset1:76
	ds_load_2addr_b64 v[145:148], v13 offset0:77 offset1:78
	s_waitcnt lgkmcnt(1)
	v_fma_f64 v[3:4], v[28:29], v[30:31], v[3:4]
	scratch_load_b128 v[26:29], off, off offset:208
	s_waitcnt vmcnt(4)
	v_fma_f64 v[3:4], v[149:150], v[32:33], v[3:4]
	scratch_load_b128 v[30:33], off, off offset:224
	s_waitcnt lgkmcnt(0)
	v_fma_f64 v[3:4], v[151:152], v[145:146], v[3:4]
	s_waitcnt vmcnt(4)
	s_delay_alu instid0(VALU_DEP_1)
	v_fma_f64 v[3:4], v[14:15], v[147:148], v[3:4]
	ds_load_2addr_b64 v[145:148], v13 offset0:79 offset1:80
	ds_load_2addr_b64 v[149:152], v13 offset0:81 offset1:82
	s_waitcnt lgkmcnt(1)
	v_fma_f64 v[3:4], v[16:17], v[145:146], v[3:4]
	scratch_load_b128 v[14:17], off, off offset:240
	s_waitcnt vmcnt(4)
	v_fma_f64 v[3:4], v[18:19], v[147:148], v[3:4]
	s_waitcnt lgkmcnt(0)
	s_delay_alu instid0(VALU_DEP_1)
	v_fma_f64 v[3:4], v[20:21], v[149:150], v[3:4]
	scratch_load_b128 v[18:21], off, off offset:256
	s_waitcnt vmcnt(4)
	v_fma_f64 v[3:4], v[22:23], v[151:152], v[3:4]
	ds_load_2addr_b64 v[145:148], v13 offset0:83 offset1:84
	ds_load_2addr_b64 v[149:152], v13 offset0:85 offset1:86
	s_waitcnt lgkmcnt(1)
	v_fma_f64 v[3:4], v[24:25], v[145:146], v[3:4]
	scratch_load_b128 v[22:25], off, off offset:272
	s_waitcnt vmcnt(4)
	v_fma_f64 v[3:4], v[26:27], v[147:148], v[3:4]
	s_waitcnt lgkmcnt(0)
	s_delay_alu instid0(VALU_DEP_1)
	v_fma_f64 v[3:4], v[28:29], v[149:150], v[3:4]
	scratch_load_b128 v[26:29], off, off offset:288
	s_waitcnt vmcnt(4)
	;; [unrolled: 13-line block ×6, first 2 shown]
	v_fma_f64 v[3:4], v[22:23], v[151:152], v[3:4]
	ds_load_2addr_b64 v[145:148], v13 offset0:103 offset1:104
	ds_load_2addr_b64 v[149:152], v13 offset0:105 offset1:106
	scratch_load_b64 v[34:35], off, off offset:448
	s_waitcnt lgkmcnt(1)
	v_fma_f64 v[3:4], v[24:25], v[145:146], v[3:4]
	scratch_load_b128 v[22:25], off, off offset:432
	s_waitcnt vmcnt(5)
	v_fma_f64 v[3:4], v[26:27], v[147:148], v[3:4]
	s_waitcnt lgkmcnt(0)
	s_delay_alu instid0(VALU_DEP_1)
	v_fma_f64 v[3:4], v[28:29], v[149:150], v[3:4]
	ds_load_2addr_b64 v[26:29], v13 offset0:107 offset1:108
	ds_load_2addr_b64 v[145:148], v13 offset0:109 offset1:110
	s_waitcnt vmcnt(4)
	v_fma_f64 v[3:4], v[30:31], v[151:152], v[3:4]
	s_waitcnt lgkmcnt(1)
	s_delay_alu instid0(VALU_DEP_1) | instskip(SKIP_1) | instid1(VALU_DEP_1)
	v_fma_f64 v[3:4], v[32:33], v[26:27], v[3:4]
	s_waitcnt vmcnt(3)
	v_fma_f64 v[3:4], v[14:15], v[28:29], v[3:4]
	s_waitcnt lgkmcnt(0)
	s_delay_alu instid0(VALU_DEP_1)
	v_fma_f64 v[3:4], v[16:17], v[145:146], v[3:4]
	ds_load_2addr_b64 v[14:17], v13 offset0:111 offset1:112
	ds_load_2addr_b64 v[26:29], v13 offset0:113 offset1:114
	s_waitcnt vmcnt(2)
	v_fma_f64 v[3:4], v[18:19], v[147:148], v[3:4]
	s_waitcnt lgkmcnt(1)
	s_delay_alu instid0(VALU_DEP_1) | instskip(SKIP_1) | instid1(VALU_DEP_1)
	v_fma_f64 v[3:4], v[20:21], v[14:15], v[3:4]
	s_waitcnt vmcnt(0)
	v_fma_f64 v[3:4], v[22:23], v[16:17], v[3:4]
	s_waitcnt lgkmcnt(0)
	s_delay_alu instid0(VALU_DEP_1) | instskip(NEXT) | instid1(VALU_DEP_1)
	v_fma_f64 v[3:4], v[24:25], v[26:27], v[3:4]
	v_fma_f64 v[3:4], v[34:35], v[28:29], v[3:4]
	s_delay_alu instid0(VALU_DEP_1)
	v_add_f64 v[1:2], v[1:2], -v[3:4]
	scratch_store_b64 off, v[1:2], off offset:64
	v_cmpx_lt_u32_e32 7, v0
	s_cbranch_execz .LBB120_337
; %bb.336:
	scratch_load_b64 v[1:2], off, off offset:56
	v_mov_b32_e32 v3, 0
	s_delay_alu instid0(VALU_DEP_1)
	v_mov_b32_e32 v4, v3
	scratch_store_b64 off, v[3:4], off offset:56
	s_waitcnt vmcnt(0)
	ds_store_b64 v5, v[1:2]
.LBB120_337:
	s_or_b32 exec_lo, exec_lo, s0
	s_waitcnt lgkmcnt(0)
	s_waitcnt_vscnt null, 0x0
	s_barrier
	buffer_gl0_inv
	s_clause 0x4
	scratch_load_b128 v[1:4], off, off offset:56
	scratch_load_b128 v[14:17], off, off offset:72
	scratch_load_b128 v[18:21], off, off offset:88
	scratch_load_b128 v[22:25], off, off offset:104
	scratch_load_b128 v[26:29], off, off offset:120
	v_mov_b32_e32 v13, 0
	ds_load_b128 v[30:33], v13 offset:528
	ds_load_b128 v[145:148], v13 offset:544
	scratch_load_b128 v[149:152], off, off offset:136
	s_mov_b32 s0, exec_lo
	s_waitcnt vmcnt(5) lgkmcnt(1)
	v_fma_f64 v[3:4], v[3:4], v[30:31], 0
	s_waitcnt vmcnt(4)
	s_delay_alu instid0(VALU_DEP_1) | instskip(SKIP_1) | instid1(VALU_DEP_1)
	v_fma_f64 v[3:4], v[14:15], v[32:33], v[3:4]
	s_waitcnt lgkmcnt(0)
	v_fma_f64 v[3:4], v[16:17], v[145:146], v[3:4]
	scratch_load_b128 v[14:17], off, off offset:152
	s_waitcnt vmcnt(4)
	v_fma_f64 v[3:4], v[18:19], v[147:148], v[3:4]
	ds_load_b128 v[30:33], v13 offset:560
	ds_load_b128 v[145:148], v13 offset:576
	s_waitcnt lgkmcnt(1)
	v_fma_f64 v[3:4], v[20:21], v[30:31], v[3:4]
	scratch_load_b128 v[18:21], off, off offset:168
	s_waitcnt vmcnt(4)
	v_fma_f64 v[3:4], v[22:23], v[32:33], v[3:4]
	s_waitcnt lgkmcnt(0)
	s_delay_alu instid0(VALU_DEP_1)
	v_fma_f64 v[3:4], v[24:25], v[145:146], v[3:4]
	scratch_load_b128 v[22:25], off, off offset:184
	s_waitcnt vmcnt(4)
	v_fma_f64 v[3:4], v[26:27], v[147:148], v[3:4]
	ds_load_b128 v[30:33], v13 offset:592
	ds_load_b128 v[145:148], v13 offset:608
	s_waitcnt lgkmcnt(1)
	v_fma_f64 v[3:4], v[28:29], v[30:31], v[3:4]
	scratch_load_b128 v[26:29], off, off offset:200
	s_waitcnt vmcnt(4)
	v_fma_f64 v[3:4], v[149:150], v[32:33], v[3:4]
	scratch_load_b128 v[30:33], off, off offset:216
	s_waitcnt lgkmcnt(0)
	v_fma_f64 v[3:4], v[151:152], v[145:146], v[3:4]
	s_waitcnt vmcnt(4)
	s_delay_alu instid0(VALU_DEP_1)
	v_fma_f64 v[3:4], v[14:15], v[147:148], v[3:4]
	ds_load_b128 v[145:148], v13 offset:624
	ds_load_b128 v[149:152], v13 offset:640
	s_waitcnt lgkmcnt(1)
	v_fma_f64 v[3:4], v[16:17], v[145:146], v[3:4]
	scratch_load_b128 v[14:17], off, off offset:232
	s_waitcnt vmcnt(4)
	v_fma_f64 v[3:4], v[18:19], v[147:148], v[3:4]
	s_waitcnt lgkmcnt(0)
	s_delay_alu instid0(VALU_DEP_1)
	v_fma_f64 v[3:4], v[20:21], v[149:150], v[3:4]
	scratch_load_b128 v[18:21], off, off offset:248
	s_waitcnt vmcnt(4)
	v_fma_f64 v[3:4], v[22:23], v[151:152], v[3:4]
	ds_load_b128 v[145:148], v13 offset:656
	ds_load_b128 v[149:152], v13 offset:672
	s_waitcnt lgkmcnt(1)
	v_fma_f64 v[3:4], v[24:25], v[145:146], v[3:4]
	scratch_load_b128 v[22:25], off, off offset:264
	s_waitcnt vmcnt(4)
	v_fma_f64 v[3:4], v[26:27], v[147:148], v[3:4]
	s_waitcnt lgkmcnt(0)
	s_delay_alu instid0(VALU_DEP_1)
	v_fma_f64 v[3:4], v[28:29], v[149:150], v[3:4]
	scratch_load_b128 v[26:29], off, off offset:280
	s_waitcnt vmcnt(4)
	;; [unrolled: 13-line block ×7, first 2 shown]
	v_fma_f64 v[3:4], v[30:31], v[151:152], v[3:4]
	ds_load_b128 v[145:148], v13 offset:848
	ds_load_b128 v[149:152], v13 offset:864
	s_waitcnt lgkmcnt(1)
	v_fma_f64 v[3:4], v[32:33], v[145:146], v[3:4]
	s_waitcnt vmcnt(3)
	s_delay_alu instid0(VALU_DEP_1) | instskip(SKIP_1) | instid1(VALU_DEP_1)
	v_fma_f64 v[3:4], v[14:15], v[147:148], v[3:4]
	s_waitcnt lgkmcnt(0)
	v_fma_f64 v[3:4], v[16:17], v[149:150], v[3:4]
	ds_load_b128 v[14:17], v13 offset:880
	ds_load_b128 v[30:33], v13 offset:896
	s_waitcnt vmcnt(2)
	v_fma_f64 v[3:4], v[18:19], v[151:152], v[3:4]
	s_waitcnt lgkmcnt(1)
	s_delay_alu instid0(VALU_DEP_1) | instskip(SKIP_4) | instid1(VALU_DEP_1)
	v_fma_f64 v[3:4], v[20:21], v[14:15], v[3:4]
	ds_load_b64 v[14:15], v13 offset:912
	s_waitcnt vmcnt(1)
	v_fma_f64 v[3:4], v[22:23], v[16:17], v[3:4]
	s_waitcnt lgkmcnt(1)
	v_fma_f64 v[3:4], v[24:25], v[30:31], v[3:4]
	s_waitcnt vmcnt(0)
	s_delay_alu instid0(VALU_DEP_1) | instskip(SKIP_1) | instid1(VALU_DEP_1)
	v_fma_f64 v[3:4], v[26:27], v[32:33], v[3:4]
	s_waitcnt lgkmcnt(0)
	v_fma_f64 v[3:4], v[28:29], v[14:15], v[3:4]
	s_delay_alu instid0(VALU_DEP_1)
	v_add_f64 v[1:2], v[1:2], -v[3:4]
	scratch_store_b64 off, v[1:2], off offset:56
	v_cmpx_lt_u32_e32 6, v0
	s_cbranch_execz .LBB120_339
; %bb.338:
	scratch_load_b64 v[1:2], off, off offset:48
	v_mov_b32_e32 v14, v13
	scratch_store_b64 off, v[13:14], off offset:48
	s_waitcnt vmcnt(0)
	ds_store_b64 v5, v[1:2]
.LBB120_339:
	s_or_b32 exec_lo, exec_lo, s0
	s_waitcnt lgkmcnt(0)
	s_waitcnt_vscnt null, 0x0
	s_barrier
	buffer_gl0_inv
	s_clause 0x4
	scratch_load_b128 v[1:4], off, off offset:48
	scratch_load_b128 v[14:17], off, off offset:64
	;; [unrolled: 1-line block ×5, first 2 shown]
	ds_load_2addr_b64 v[30:33], v13 offset0:65 offset1:66
	ds_load_2addr_b64 v[145:148], v13 offset0:67 offset1:68
	scratch_load_b128 v[149:152], off, off offset:128
	s_mov_b32 s0, exec_lo
	s_waitcnt vmcnt(5) lgkmcnt(1)
	v_fma_f64 v[3:4], v[3:4], v[30:31], 0
	s_waitcnt vmcnt(4)
	s_delay_alu instid0(VALU_DEP_1) | instskip(SKIP_1) | instid1(VALU_DEP_1)
	v_fma_f64 v[3:4], v[14:15], v[32:33], v[3:4]
	s_waitcnt lgkmcnt(0)
	v_fma_f64 v[3:4], v[16:17], v[145:146], v[3:4]
	scratch_load_b128 v[14:17], off, off offset:144
	s_waitcnt vmcnt(4)
	v_fma_f64 v[3:4], v[18:19], v[147:148], v[3:4]
	ds_load_2addr_b64 v[30:33], v13 offset0:69 offset1:70
	ds_load_2addr_b64 v[145:148], v13 offset0:71 offset1:72
	s_waitcnt lgkmcnt(1)
	v_fma_f64 v[3:4], v[20:21], v[30:31], v[3:4]
	scratch_load_b128 v[18:21], off, off offset:160
	s_waitcnt vmcnt(4)
	v_fma_f64 v[3:4], v[22:23], v[32:33], v[3:4]
	s_waitcnt lgkmcnt(0)
	s_delay_alu instid0(VALU_DEP_1)
	v_fma_f64 v[3:4], v[24:25], v[145:146], v[3:4]
	scratch_load_b128 v[22:25], off, off offset:176
	s_waitcnt vmcnt(4)
	v_fma_f64 v[3:4], v[26:27], v[147:148], v[3:4]
	ds_load_2addr_b64 v[30:33], v13 offset0:73 offset1:74
	ds_load_2addr_b64 v[145:148], v13 offset0:75 offset1:76
	s_waitcnt lgkmcnt(1)
	v_fma_f64 v[3:4], v[28:29], v[30:31], v[3:4]
	scratch_load_b128 v[26:29], off, off offset:192
	s_waitcnt vmcnt(4)
	v_fma_f64 v[3:4], v[149:150], v[32:33], v[3:4]
	scratch_load_b128 v[30:33], off, off offset:208
	s_waitcnt lgkmcnt(0)
	v_fma_f64 v[3:4], v[151:152], v[145:146], v[3:4]
	s_waitcnt vmcnt(4)
	s_delay_alu instid0(VALU_DEP_1)
	v_fma_f64 v[3:4], v[14:15], v[147:148], v[3:4]
	ds_load_2addr_b64 v[145:148], v13 offset0:77 offset1:78
	ds_load_2addr_b64 v[149:152], v13 offset0:79 offset1:80
	s_waitcnt lgkmcnt(1)
	v_fma_f64 v[3:4], v[16:17], v[145:146], v[3:4]
	scratch_load_b128 v[14:17], off, off offset:224
	s_waitcnt vmcnt(4)
	v_fma_f64 v[3:4], v[18:19], v[147:148], v[3:4]
	s_waitcnt lgkmcnt(0)
	s_delay_alu instid0(VALU_DEP_1)
	v_fma_f64 v[3:4], v[20:21], v[149:150], v[3:4]
	scratch_load_b128 v[18:21], off, off offset:240
	s_waitcnt vmcnt(4)
	v_fma_f64 v[3:4], v[22:23], v[151:152], v[3:4]
	ds_load_2addr_b64 v[145:148], v13 offset0:81 offset1:82
	ds_load_2addr_b64 v[149:152], v13 offset0:83 offset1:84
	s_waitcnt lgkmcnt(1)
	v_fma_f64 v[3:4], v[24:25], v[145:146], v[3:4]
	scratch_load_b128 v[22:25], off, off offset:256
	s_waitcnt vmcnt(4)
	v_fma_f64 v[3:4], v[26:27], v[147:148], v[3:4]
	s_waitcnt lgkmcnt(0)
	s_delay_alu instid0(VALU_DEP_1)
	v_fma_f64 v[3:4], v[28:29], v[149:150], v[3:4]
	scratch_load_b128 v[26:29], off, off offset:272
	s_waitcnt vmcnt(4)
	;; [unrolled: 13-line block ×7, first 2 shown]
	v_fma_f64 v[3:4], v[30:31], v[151:152], v[3:4]
	ds_load_2addr_b64 v[145:148], v13 offset0:105 offset1:106
	ds_load_2addr_b64 v[149:152], v13 offset0:107 offset1:108
	scratch_load_b64 v[34:35], off, off offset:448
	s_waitcnt lgkmcnt(1)
	v_fma_f64 v[3:4], v[32:33], v[145:146], v[3:4]
	s_waitcnt vmcnt(4)
	s_delay_alu instid0(VALU_DEP_1) | instskip(SKIP_1) | instid1(VALU_DEP_1)
	v_fma_f64 v[3:4], v[14:15], v[147:148], v[3:4]
	s_waitcnt lgkmcnt(0)
	v_fma_f64 v[3:4], v[16:17], v[149:150], v[3:4]
	ds_load_2addr_b64 v[14:17], v13 offset0:109 offset1:110
	ds_load_2addr_b64 v[30:33], v13 offset0:111 offset1:112
	s_waitcnt vmcnt(3)
	v_fma_f64 v[3:4], v[18:19], v[151:152], v[3:4]
	s_waitcnt lgkmcnt(1)
	s_delay_alu instid0(VALU_DEP_1) | instskip(SKIP_1) | instid1(VALU_DEP_1)
	v_fma_f64 v[3:4], v[20:21], v[14:15], v[3:4]
	s_waitcnt vmcnt(2)
	v_fma_f64 v[3:4], v[22:23], v[16:17], v[3:4]
	ds_load_2addr_b64 v[13:16], v13 offset0:113 offset1:114
	s_waitcnt lgkmcnt(1)
	v_fma_f64 v[3:4], v[24:25], v[30:31], v[3:4]
	s_waitcnt vmcnt(1)
	s_delay_alu instid0(VALU_DEP_1) | instskip(SKIP_1) | instid1(VALU_DEP_1)
	v_fma_f64 v[3:4], v[26:27], v[32:33], v[3:4]
	s_waitcnt lgkmcnt(0)
	v_fma_f64 v[3:4], v[28:29], v[13:14], v[3:4]
	s_waitcnt vmcnt(0)
	s_delay_alu instid0(VALU_DEP_1) | instskip(NEXT) | instid1(VALU_DEP_1)
	v_fma_f64 v[3:4], v[34:35], v[15:16], v[3:4]
	v_add_f64 v[1:2], v[1:2], -v[3:4]
	scratch_store_b64 off, v[1:2], off offset:48
	v_cmpx_lt_u32_e32 5, v0
	s_cbranch_execz .LBB120_341
; %bb.340:
	scratch_load_b64 v[1:2], off, off offset:40
	v_mov_b32_e32 v3, 0
	s_delay_alu instid0(VALU_DEP_1)
	v_mov_b32_e32 v4, v3
	scratch_store_b64 off, v[3:4], off offset:40
	s_waitcnt vmcnt(0)
	ds_store_b64 v5, v[1:2]
.LBB120_341:
	s_or_b32 exec_lo, exec_lo, s0
	s_waitcnt lgkmcnt(0)
	s_waitcnt_vscnt null, 0x0
	s_barrier
	buffer_gl0_inv
	s_clause 0x4
	scratch_load_b128 v[1:4], off, off offset:40
	scratch_load_b128 v[14:17], off, off offset:56
	;; [unrolled: 1-line block ×5, first 2 shown]
	v_mov_b32_e32 v13, 0
	ds_load_b128 v[30:33], v13 offset:512
	ds_load_b128 v[145:148], v13 offset:528
	scratch_load_b128 v[149:152], off, off offset:120
	s_mov_b32 s0, exec_lo
	s_waitcnt vmcnt(5) lgkmcnt(1)
	v_fma_f64 v[3:4], v[3:4], v[30:31], 0
	s_waitcnt vmcnt(4)
	s_delay_alu instid0(VALU_DEP_1) | instskip(SKIP_1) | instid1(VALU_DEP_1)
	v_fma_f64 v[3:4], v[14:15], v[32:33], v[3:4]
	s_waitcnt lgkmcnt(0)
	v_fma_f64 v[3:4], v[16:17], v[145:146], v[3:4]
	scratch_load_b128 v[14:17], off, off offset:136
	s_waitcnt vmcnt(4)
	v_fma_f64 v[3:4], v[18:19], v[147:148], v[3:4]
	ds_load_b128 v[30:33], v13 offset:544
	ds_load_b128 v[145:148], v13 offset:560
	s_waitcnt lgkmcnt(1)
	v_fma_f64 v[3:4], v[20:21], v[30:31], v[3:4]
	scratch_load_b128 v[18:21], off, off offset:152
	s_waitcnt vmcnt(4)
	v_fma_f64 v[3:4], v[22:23], v[32:33], v[3:4]
	s_waitcnt lgkmcnt(0)
	s_delay_alu instid0(VALU_DEP_1)
	v_fma_f64 v[3:4], v[24:25], v[145:146], v[3:4]
	scratch_load_b128 v[22:25], off, off offset:168
	s_waitcnt vmcnt(4)
	v_fma_f64 v[3:4], v[26:27], v[147:148], v[3:4]
	ds_load_b128 v[30:33], v13 offset:576
	ds_load_b128 v[145:148], v13 offset:592
	s_waitcnt lgkmcnt(1)
	v_fma_f64 v[3:4], v[28:29], v[30:31], v[3:4]
	scratch_load_b128 v[26:29], off, off offset:184
	s_waitcnt vmcnt(4)
	v_fma_f64 v[3:4], v[149:150], v[32:33], v[3:4]
	scratch_load_b128 v[30:33], off, off offset:200
	s_waitcnt lgkmcnt(0)
	v_fma_f64 v[3:4], v[151:152], v[145:146], v[3:4]
	s_waitcnt vmcnt(4)
	s_delay_alu instid0(VALU_DEP_1)
	v_fma_f64 v[3:4], v[14:15], v[147:148], v[3:4]
	ds_load_b128 v[145:148], v13 offset:608
	ds_load_b128 v[149:152], v13 offset:624
	s_waitcnt lgkmcnt(1)
	v_fma_f64 v[3:4], v[16:17], v[145:146], v[3:4]
	scratch_load_b128 v[14:17], off, off offset:216
	s_waitcnt vmcnt(4)
	v_fma_f64 v[3:4], v[18:19], v[147:148], v[3:4]
	s_waitcnt lgkmcnt(0)
	s_delay_alu instid0(VALU_DEP_1)
	v_fma_f64 v[3:4], v[20:21], v[149:150], v[3:4]
	scratch_load_b128 v[18:21], off, off offset:232
	s_waitcnt vmcnt(4)
	v_fma_f64 v[3:4], v[22:23], v[151:152], v[3:4]
	ds_load_b128 v[145:148], v13 offset:640
	ds_load_b128 v[149:152], v13 offset:656
	s_waitcnt lgkmcnt(1)
	v_fma_f64 v[3:4], v[24:25], v[145:146], v[3:4]
	scratch_load_b128 v[22:25], off, off offset:248
	s_waitcnt vmcnt(4)
	v_fma_f64 v[3:4], v[26:27], v[147:148], v[3:4]
	s_waitcnt lgkmcnt(0)
	s_delay_alu instid0(VALU_DEP_1)
	v_fma_f64 v[3:4], v[28:29], v[149:150], v[3:4]
	scratch_load_b128 v[26:29], off, off offset:264
	s_waitcnt vmcnt(4)
	;; [unrolled: 13-line block ×7, first 2 shown]
	v_fma_f64 v[3:4], v[30:31], v[151:152], v[3:4]
	ds_load_b128 v[145:148], v13 offset:832
	ds_load_b128 v[149:152], v13 offset:848
	s_waitcnt lgkmcnt(1)
	v_fma_f64 v[3:4], v[32:33], v[145:146], v[3:4]
	scratch_load_b128 v[30:33], off, off offset:440
	s_waitcnt vmcnt(4)
	v_fma_f64 v[3:4], v[14:15], v[147:148], v[3:4]
	s_waitcnt lgkmcnt(0)
	s_delay_alu instid0(VALU_DEP_1)
	v_fma_f64 v[3:4], v[16:17], v[149:150], v[3:4]
	ds_load_b128 v[14:17], v13 offset:864
	ds_load_b128 v[145:148], v13 offset:880
	s_waitcnt vmcnt(3)
	v_fma_f64 v[3:4], v[18:19], v[151:152], v[3:4]
	s_waitcnt lgkmcnt(1)
	s_delay_alu instid0(VALU_DEP_1) | instskip(SKIP_1) | instid1(VALU_DEP_1)
	v_fma_f64 v[3:4], v[20:21], v[14:15], v[3:4]
	s_waitcnt vmcnt(2)
	v_fma_f64 v[3:4], v[22:23], v[16:17], v[3:4]
	ds_load_b128 v[14:17], v13 offset:896
	ds_load_b64 v[18:19], v13 offset:912
	s_waitcnt lgkmcnt(2)
	v_fma_f64 v[3:4], v[24:25], v[145:146], v[3:4]
	s_waitcnt vmcnt(1)
	s_delay_alu instid0(VALU_DEP_1) | instskip(SKIP_1) | instid1(VALU_DEP_1)
	v_fma_f64 v[3:4], v[26:27], v[147:148], v[3:4]
	s_waitcnt lgkmcnt(1)
	v_fma_f64 v[3:4], v[28:29], v[14:15], v[3:4]
	s_waitcnt vmcnt(0)
	s_delay_alu instid0(VALU_DEP_1) | instskip(SKIP_1) | instid1(VALU_DEP_1)
	v_fma_f64 v[3:4], v[30:31], v[16:17], v[3:4]
	s_waitcnt lgkmcnt(0)
	v_fma_f64 v[3:4], v[32:33], v[18:19], v[3:4]
	s_delay_alu instid0(VALU_DEP_1)
	v_add_f64 v[1:2], v[1:2], -v[3:4]
	scratch_store_b64 off, v[1:2], off offset:40
	v_cmpx_lt_u32_e32 4, v0
	s_cbranch_execz .LBB120_343
; %bb.342:
	scratch_load_b64 v[1:2], off, off offset:32
	v_mov_b32_e32 v14, v13
	scratch_store_b64 off, v[13:14], off offset:32
	s_waitcnt vmcnt(0)
	ds_store_b64 v5, v[1:2]
.LBB120_343:
	s_or_b32 exec_lo, exec_lo, s0
	s_waitcnt lgkmcnt(0)
	s_waitcnt_vscnt null, 0x0
	s_barrier
	buffer_gl0_inv
	s_clause 0x4
	scratch_load_b128 v[1:4], off, off offset:32
	scratch_load_b128 v[14:17], off, off offset:48
	;; [unrolled: 1-line block ×5, first 2 shown]
	ds_load_2addr_b64 v[30:33], v13 offset0:63 offset1:64
	ds_load_2addr_b64 v[145:148], v13 offset0:65 offset1:66
	scratch_load_b128 v[149:152], off, off offset:112
	s_mov_b32 s0, exec_lo
	s_waitcnt vmcnt(5) lgkmcnt(1)
	v_fma_f64 v[3:4], v[3:4], v[30:31], 0
	s_waitcnt vmcnt(4)
	s_delay_alu instid0(VALU_DEP_1) | instskip(SKIP_1) | instid1(VALU_DEP_1)
	v_fma_f64 v[3:4], v[14:15], v[32:33], v[3:4]
	s_waitcnt lgkmcnt(0)
	v_fma_f64 v[3:4], v[16:17], v[145:146], v[3:4]
	scratch_load_b128 v[14:17], off, off offset:128
	s_waitcnt vmcnt(4)
	v_fma_f64 v[3:4], v[18:19], v[147:148], v[3:4]
	ds_load_2addr_b64 v[30:33], v13 offset0:67 offset1:68
	ds_load_2addr_b64 v[145:148], v13 offset0:69 offset1:70
	s_waitcnt lgkmcnt(1)
	v_fma_f64 v[3:4], v[20:21], v[30:31], v[3:4]
	scratch_load_b128 v[18:21], off, off offset:144
	s_waitcnt vmcnt(4)
	v_fma_f64 v[3:4], v[22:23], v[32:33], v[3:4]
	s_waitcnt lgkmcnt(0)
	s_delay_alu instid0(VALU_DEP_1)
	v_fma_f64 v[3:4], v[24:25], v[145:146], v[3:4]
	scratch_load_b128 v[22:25], off, off offset:160
	s_waitcnt vmcnt(4)
	v_fma_f64 v[3:4], v[26:27], v[147:148], v[3:4]
	ds_load_2addr_b64 v[30:33], v13 offset0:71 offset1:72
	ds_load_2addr_b64 v[145:148], v13 offset0:73 offset1:74
	s_waitcnt lgkmcnt(1)
	v_fma_f64 v[3:4], v[28:29], v[30:31], v[3:4]
	scratch_load_b128 v[26:29], off, off offset:176
	s_waitcnt vmcnt(4)
	v_fma_f64 v[3:4], v[149:150], v[32:33], v[3:4]
	scratch_load_b128 v[30:33], off, off offset:192
	s_waitcnt lgkmcnt(0)
	v_fma_f64 v[3:4], v[151:152], v[145:146], v[3:4]
	s_waitcnt vmcnt(4)
	s_delay_alu instid0(VALU_DEP_1)
	v_fma_f64 v[3:4], v[14:15], v[147:148], v[3:4]
	ds_load_2addr_b64 v[145:148], v13 offset0:75 offset1:76
	ds_load_2addr_b64 v[149:152], v13 offset0:77 offset1:78
	s_waitcnt lgkmcnt(1)
	v_fma_f64 v[3:4], v[16:17], v[145:146], v[3:4]
	scratch_load_b128 v[14:17], off, off offset:208
	s_waitcnt vmcnt(4)
	v_fma_f64 v[3:4], v[18:19], v[147:148], v[3:4]
	s_waitcnt lgkmcnt(0)
	s_delay_alu instid0(VALU_DEP_1)
	v_fma_f64 v[3:4], v[20:21], v[149:150], v[3:4]
	scratch_load_b128 v[18:21], off, off offset:224
	s_waitcnt vmcnt(4)
	v_fma_f64 v[3:4], v[22:23], v[151:152], v[3:4]
	ds_load_2addr_b64 v[145:148], v13 offset0:79 offset1:80
	ds_load_2addr_b64 v[149:152], v13 offset0:81 offset1:82
	s_waitcnt lgkmcnt(1)
	v_fma_f64 v[3:4], v[24:25], v[145:146], v[3:4]
	scratch_load_b128 v[22:25], off, off offset:240
	s_waitcnt vmcnt(4)
	v_fma_f64 v[3:4], v[26:27], v[147:148], v[3:4]
	s_waitcnt lgkmcnt(0)
	s_delay_alu instid0(VALU_DEP_1)
	v_fma_f64 v[3:4], v[28:29], v[149:150], v[3:4]
	scratch_load_b128 v[26:29], off, off offset:256
	s_waitcnt vmcnt(4)
	;; [unrolled: 13-line block ×7, first 2 shown]
	v_fma_f64 v[3:4], v[30:31], v[151:152], v[3:4]
	ds_load_2addr_b64 v[145:148], v13 offset0:103 offset1:104
	ds_load_2addr_b64 v[149:152], v13 offset0:105 offset1:106
	scratch_load_b64 v[34:35], off, off offset:448
	s_waitcnt lgkmcnt(1)
	v_fma_f64 v[3:4], v[32:33], v[145:146], v[3:4]
	scratch_load_b128 v[30:33], off, off offset:432
	s_waitcnt vmcnt(5)
	v_fma_f64 v[3:4], v[14:15], v[147:148], v[3:4]
	s_waitcnt lgkmcnt(0)
	s_delay_alu instid0(VALU_DEP_1)
	v_fma_f64 v[3:4], v[16:17], v[149:150], v[3:4]
	ds_load_2addr_b64 v[14:17], v13 offset0:107 offset1:108
	ds_load_2addr_b64 v[145:148], v13 offset0:109 offset1:110
	s_waitcnt vmcnt(4)
	v_fma_f64 v[3:4], v[18:19], v[151:152], v[3:4]
	s_waitcnt lgkmcnt(1)
	s_delay_alu instid0(VALU_DEP_1) | instskip(SKIP_1) | instid1(VALU_DEP_1)
	v_fma_f64 v[3:4], v[20:21], v[14:15], v[3:4]
	s_waitcnt vmcnt(3)
	v_fma_f64 v[3:4], v[22:23], v[16:17], v[3:4]
	ds_load_2addr_b64 v[14:17], v13 offset0:111 offset1:112
	ds_load_2addr_b64 v[18:21], v13 offset0:113 offset1:114
	s_waitcnt lgkmcnt(2)
	v_fma_f64 v[3:4], v[24:25], v[145:146], v[3:4]
	s_waitcnt vmcnt(2)
	s_delay_alu instid0(VALU_DEP_1) | instskip(SKIP_1) | instid1(VALU_DEP_1)
	v_fma_f64 v[3:4], v[26:27], v[147:148], v[3:4]
	s_waitcnt lgkmcnt(1)
	v_fma_f64 v[3:4], v[28:29], v[14:15], v[3:4]
	s_waitcnt vmcnt(0)
	s_delay_alu instid0(VALU_DEP_1) | instskip(SKIP_1) | instid1(VALU_DEP_1)
	v_fma_f64 v[3:4], v[30:31], v[16:17], v[3:4]
	s_waitcnt lgkmcnt(0)
	v_fma_f64 v[3:4], v[32:33], v[18:19], v[3:4]
	s_delay_alu instid0(VALU_DEP_1) | instskip(NEXT) | instid1(VALU_DEP_1)
	v_fma_f64 v[3:4], v[34:35], v[20:21], v[3:4]
	v_add_f64 v[1:2], v[1:2], -v[3:4]
	scratch_store_b64 off, v[1:2], off offset:32
	v_cmpx_lt_u32_e32 3, v0
	s_cbranch_execz .LBB120_345
; %bb.344:
	scratch_load_b64 v[1:2], off, off offset:24
	v_mov_b32_e32 v3, 0
	s_delay_alu instid0(VALU_DEP_1)
	v_mov_b32_e32 v4, v3
	scratch_store_b64 off, v[3:4], off offset:24
	s_waitcnt vmcnt(0)
	ds_store_b64 v5, v[1:2]
.LBB120_345:
	s_or_b32 exec_lo, exec_lo, s0
	s_waitcnt lgkmcnt(0)
	s_waitcnt_vscnt null, 0x0
	s_barrier
	buffer_gl0_inv
	s_clause 0x4
	scratch_load_b128 v[1:4], off, off offset:24
	scratch_load_b128 v[14:17], off, off offset:40
	;; [unrolled: 1-line block ×5, first 2 shown]
	v_mov_b32_e32 v13, 0
	ds_load_b128 v[30:33], v13 offset:496
	ds_load_b128 v[145:148], v13 offset:512
	scratch_load_b128 v[149:152], off, off offset:104
	s_mov_b32 s0, exec_lo
	s_waitcnt vmcnt(5) lgkmcnt(1)
	v_fma_f64 v[3:4], v[3:4], v[30:31], 0
	s_waitcnt vmcnt(4)
	s_delay_alu instid0(VALU_DEP_1) | instskip(SKIP_1) | instid1(VALU_DEP_1)
	v_fma_f64 v[3:4], v[14:15], v[32:33], v[3:4]
	s_waitcnt lgkmcnt(0)
	v_fma_f64 v[3:4], v[16:17], v[145:146], v[3:4]
	scratch_load_b128 v[14:17], off, off offset:120
	s_waitcnt vmcnt(4)
	v_fma_f64 v[3:4], v[18:19], v[147:148], v[3:4]
	ds_load_b128 v[30:33], v13 offset:528
	ds_load_b128 v[145:148], v13 offset:544
	s_waitcnt lgkmcnt(1)
	v_fma_f64 v[3:4], v[20:21], v[30:31], v[3:4]
	scratch_load_b128 v[18:21], off, off offset:136
	s_waitcnt vmcnt(4)
	v_fma_f64 v[3:4], v[22:23], v[32:33], v[3:4]
	s_waitcnt lgkmcnt(0)
	s_delay_alu instid0(VALU_DEP_1)
	v_fma_f64 v[3:4], v[24:25], v[145:146], v[3:4]
	scratch_load_b128 v[22:25], off, off offset:152
	s_waitcnt vmcnt(4)
	v_fma_f64 v[3:4], v[26:27], v[147:148], v[3:4]
	ds_load_b128 v[30:33], v13 offset:560
	ds_load_b128 v[145:148], v13 offset:576
	s_waitcnt lgkmcnt(1)
	v_fma_f64 v[3:4], v[28:29], v[30:31], v[3:4]
	scratch_load_b128 v[26:29], off, off offset:168
	s_waitcnt vmcnt(4)
	v_fma_f64 v[3:4], v[149:150], v[32:33], v[3:4]
	scratch_load_b128 v[30:33], off, off offset:184
	s_waitcnt lgkmcnt(0)
	v_fma_f64 v[3:4], v[151:152], v[145:146], v[3:4]
	s_waitcnt vmcnt(4)
	s_delay_alu instid0(VALU_DEP_1)
	v_fma_f64 v[3:4], v[14:15], v[147:148], v[3:4]
	ds_load_b128 v[145:148], v13 offset:592
	ds_load_b128 v[149:152], v13 offset:608
	s_waitcnt lgkmcnt(1)
	v_fma_f64 v[3:4], v[16:17], v[145:146], v[3:4]
	scratch_load_b128 v[14:17], off, off offset:200
	s_waitcnt vmcnt(4)
	v_fma_f64 v[3:4], v[18:19], v[147:148], v[3:4]
	s_waitcnt lgkmcnt(0)
	s_delay_alu instid0(VALU_DEP_1)
	v_fma_f64 v[3:4], v[20:21], v[149:150], v[3:4]
	scratch_load_b128 v[18:21], off, off offset:216
	s_waitcnt vmcnt(4)
	v_fma_f64 v[3:4], v[22:23], v[151:152], v[3:4]
	ds_load_b128 v[145:148], v13 offset:624
	ds_load_b128 v[149:152], v13 offset:640
	s_waitcnt lgkmcnt(1)
	v_fma_f64 v[3:4], v[24:25], v[145:146], v[3:4]
	scratch_load_b128 v[22:25], off, off offset:232
	s_waitcnt vmcnt(4)
	v_fma_f64 v[3:4], v[26:27], v[147:148], v[3:4]
	s_waitcnt lgkmcnt(0)
	s_delay_alu instid0(VALU_DEP_1)
	v_fma_f64 v[3:4], v[28:29], v[149:150], v[3:4]
	scratch_load_b128 v[26:29], off, off offset:248
	s_waitcnt vmcnt(4)
	;; [unrolled: 13-line block ×8, first 2 shown]
	v_fma_f64 v[3:4], v[18:19], v[151:152], v[3:4]
	ds_load_b128 v[145:148], v13 offset:848
	ds_load_b128 v[149:152], v13 offset:864
	s_waitcnt lgkmcnt(1)
	v_fma_f64 v[3:4], v[20:21], v[145:146], v[3:4]
	s_waitcnt vmcnt(3)
	s_delay_alu instid0(VALU_DEP_1) | instskip(SKIP_1) | instid1(VALU_DEP_1)
	v_fma_f64 v[3:4], v[22:23], v[147:148], v[3:4]
	s_waitcnt lgkmcnt(0)
	v_fma_f64 v[3:4], v[24:25], v[149:150], v[3:4]
	ds_load_b128 v[18:21], v13 offset:880
	ds_load_b128 v[22:25], v13 offset:896
	s_waitcnt vmcnt(2)
	v_fma_f64 v[3:4], v[26:27], v[151:152], v[3:4]
	s_waitcnt lgkmcnt(1)
	s_delay_alu instid0(VALU_DEP_1) | instskip(SKIP_1) | instid1(VALU_DEP_1)
	v_fma_f64 v[3:4], v[28:29], v[18:19], v[3:4]
	s_waitcnt vmcnt(1)
	v_fma_f64 v[3:4], v[30:31], v[20:21], v[3:4]
	s_waitcnt lgkmcnt(0)
	s_delay_alu instid0(VALU_DEP_1) | instskip(SKIP_1) | instid1(VALU_DEP_1)
	v_fma_f64 v[3:4], v[32:33], v[22:23], v[3:4]
	s_waitcnt vmcnt(0)
	v_fma_f64 v[3:4], v[14:15], v[24:25], v[3:4]
	ds_load_b64 v[14:15], v13 offset:912
	s_waitcnt lgkmcnt(0)
	v_fma_f64 v[3:4], v[16:17], v[14:15], v[3:4]
	s_delay_alu instid0(VALU_DEP_1)
	v_add_f64 v[1:2], v[1:2], -v[3:4]
	scratch_store_b64 off, v[1:2], off offset:24
	v_cmpx_lt_u32_e32 2, v0
	s_cbranch_execz .LBB120_347
; %bb.346:
	scratch_load_b64 v[1:2], off, off offset:16
	v_mov_b32_e32 v14, v13
	scratch_store_b64 off, v[13:14], off offset:16
	s_waitcnt vmcnt(0)
	ds_store_b64 v5, v[1:2]
.LBB120_347:
	s_or_b32 exec_lo, exec_lo, s0
	s_waitcnt lgkmcnt(0)
	s_waitcnt_vscnt null, 0x0
	s_barrier
	buffer_gl0_inv
	s_clause 0x4
	scratch_load_b128 v[1:4], off, off offset:16
	scratch_load_b128 v[14:17], off, off offset:32
	;; [unrolled: 1-line block ×5, first 2 shown]
	ds_load_2addr_b64 v[30:33], v13 offset0:61 offset1:62
	ds_load_2addr_b64 v[145:148], v13 offset0:63 offset1:64
	scratch_load_b128 v[149:152], off, off offset:96
	s_mov_b32 s0, exec_lo
	s_waitcnt vmcnt(5) lgkmcnt(1)
	v_fma_f64 v[3:4], v[3:4], v[30:31], 0
	s_waitcnt vmcnt(4)
	s_delay_alu instid0(VALU_DEP_1) | instskip(SKIP_1) | instid1(VALU_DEP_1)
	v_fma_f64 v[3:4], v[14:15], v[32:33], v[3:4]
	s_waitcnt lgkmcnt(0)
	v_fma_f64 v[3:4], v[16:17], v[145:146], v[3:4]
	scratch_load_b128 v[14:17], off, off offset:112
	s_waitcnt vmcnt(4)
	v_fma_f64 v[3:4], v[18:19], v[147:148], v[3:4]
	ds_load_2addr_b64 v[30:33], v13 offset0:65 offset1:66
	ds_load_2addr_b64 v[145:148], v13 offset0:67 offset1:68
	s_waitcnt lgkmcnt(1)
	v_fma_f64 v[3:4], v[20:21], v[30:31], v[3:4]
	scratch_load_b128 v[18:21], off, off offset:128
	s_waitcnt vmcnt(4)
	v_fma_f64 v[3:4], v[22:23], v[32:33], v[3:4]
	s_waitcnt lgkmcnt(0)
	s_delay_alu instid0(VALU_DEP_1)
	v_fma_f64 v[3:4], v[24:25], v[145:146], v[3:4]
	scratch_load_b128 v[22:25], off, off offset:144
	s_waitcnt vmcnt(4)
	v_fma_f64 v[3:4], v[26:27], v[147:148], v[3:4]
	ds_load_2addr_b64 v[30:33], v13 offset0:69 offset1:70
	ds_load_2addr_b64 v[145:148], v13 offset0:71 offset1:72
	s_waitcnt lgkmcnt(1)
	v_fma_f64 v[3:4], v[28:29], v[30:31], v[3:4]
	scratch_load_b128 v[26:29], off, off offset:160
	s_waitcnt vmcnt(4)
	v_fma_f64 v[3:4], v[149:150], v[32:33], v[3:4]
	scratch_load_b128 v[30:33], off, off offset:176
	s_waitcnt lgkmcnt(0)
	v_fma_f64 v[3:4], v[151:152], v[145:146], v[3:4]
	s_waitcnt vmcnt(4)
	s_delay_alu instid0(VALU_DEP_1)
	v_fma_f64 v[3:4], v[14:15], v[147:148], v[3:4]
	ds_load_2addr_b64 v[145:148], v13 offset0:73 offset1:74
	ds_load_2addr_b64 v[149:152], v13 offset0:75 offset1:76
	s_waitcnt lgkmcnt(1)
	v_fma_f64 v[3:4], v[16:17], v[145:146], v[3:4]
	scratch_load_b128 v[14:17], off, off offset:192
	s_waitcnt vmcnt(4)
	v_fma_f64 v[3:4], v[18:19], v[147:148], v[3:4]
	s_waitcnt lgkmcnt(0)
	s_delay_alu instid0(VALU_DEP_1)
	v_fma_f64 v[3:4], v[20:21], v[149:150], v[3:4]
	scratch_load_b128 v[18:21], off, off offset:208
	s_waitcnt vmcnt(4)
	v_fma_f64 v[3:4], v[22:23], v[151:152], v[3:4]
	ds_load_2addr_b64 v[145:148], v13 offset0:77 offset1:78
	ds_load_2addr_b64 v[149:152], v13 offset0:79 offset1:80
	s_waitcnt lgkmcnt(1)
	v_fma_f64 v[3:4], v[24:25], v[145:146], v[3:4]
	scratch_load_b128 v[22:25], off, off offset:224
	s_waitcnt vmcnt(4)
	v_fma_f64 v[3:4], v[26:27], v[147:148], v[3:4]
	s_waitcnt lgkmcnt(0)
	s_delay_alu instid0(VALU_DEP_1)
	v_fma_f64 v[3:4], v[28:29], v[149:150], v[3:4]
	scratch_load_b128 v[26:29], off, off offset:240
	s_waitcnt vmcnt(4)
	;; [unrolled: 13-line block ×8, first 2 shown]
	v_fma_f64 v[3:4], v[18:19], v[151:152], v[3:4]
	ds_load_2addr_b64 v[145:148], v13 offset0:105 offset1:106
	ds_load_2addr_b64 v[149:152], v13 offset0:107 offset1:108
	scratch_load_b64 v[34:35], off, off offset:448
	s_waitcnt lgkmcnt(1)
	v_fma_f64 v[3:4], v[20:21], v[145:146], v[3:4]
	s_waitcnt vmcnt(4)
	s_delay_alu instid0(VALU_DEP_1) | instskip(SKIP_1) | instid1(VALU_DEP_1)
	v_fma_f64 v[3:4], v[22:23], v[147:148], v[3:4]
	s_waitcnt lgkmcnt(0)
	v_fma_f64 v[3:4], v[24:25], v[149:150], v[3:4]
	ds_load_2addr_b64 v[18:21], v13 offset0:109 offset1:110
	ds_load_2addr_b64 v[22:25], v13 offset0:111 offset1:112
	s_waitcnt vmcnt(3)
	v_fma_f64 v[3:4], v[26:27], v[151:152], v[3:4]
	s_waitcnt lgkmcnt(1)
	s_delay_alu instid0(VALU_DEP_1) | instskip(SKIP_1) | instid1(VALU_DEP_1)
	v_fma_f64 v[3:4], v[28:29], v[18:19], v[3:4]
	s_waitcnt vmcnt(2)
	v_fma_f64 v[3:4], v[30:31], v[20:21], v[3:4]
	ds_load_2addr_b64 v[18:21], v13 offset0:113 offset1:114
	s_waitcnt lgkmcnt(1)
	v_fma_f64 v[3:4], v[32:33], v[22:23], v[3:4]
	s_waitcnt vmcnt(1)
	s_delay_alu instid0(VALU_DEP_1) | instskip(SKIP_1) | instid1(VALU_DEP_1)
	v_fma_f64 v[3:4], v[14:15], v[24:25], v[3:4]
	s_waitcnt lgkmcnt(0)
	v_fma_f64 v[3:4], v[16:17], v[18:19], v[3:4]
	s_waitcnt vmcnt(0)
	s_delay_alu instid0(VALU_DEP_1) | instskip(NEXT) | instid1(VALU_DEP_1)
	v_fma_f64 v[3:4], v[34:35], v[20:21], v[3:4]
	v_add_f64 v[1:2], v[1:2], -v[3:4]
	scratch_store_b64 off, v[1:2], off offset:16
	v_cmpx_lt_u32_e32 1, v0
	s_cbranch_execz .LBB120_349
; %bb.348:
	scratch_load_b64 v[1:2], off, off offset:8
	v_mov_b32_e32 v3, 0
	s_delay_alu instid0(VALU_DEP_1)
	v_mov_b32_e32 v4, v3
	scratch_store_b64 off, v[3:4], off offset:8
	s_waitcnt vmcnt(0)
	ds_store_b64 v5, v[1:2]
.LBB120_349:
	s_or_b32 exec_lo, exec_lo, s0
	s_waitcnt lgkmcnt(0)
	s_waitcnt_vscnt null, 0x0
	s_barrier
	buffer_gl0_inv
	s_clause 0x4
	scratch_load_b128 v[1:4], off, off offset:8
	scratch_load_b128 v[14:17], off, off offset:24
	;; [unrolled: 1-line block ×5, first 2 shown]
	v_mov_b32_e32 v13, 0
	ds_load_b128 v[30:33], v13 offset:480
	ds_load_b128 v[145:148], v13 offset:496
	scratch_load_b128 v[149:152], off, off offset:88
	s_mov_b32 s0, exec_lo
	s_waitcnt vmcnt(5) lgkmcnt(1)
	v_fma_f64 v[3:4], v[3:4], v[30:31], 0
	s_waitcnt vmcnt(4)
	s_delay_alu instid0(VALU_DEP_1) | instskip(SKIP_1) | instid1(VALU_DEP_1)
	v_fma_f64 v[3:4], v[14:15], v[32:33], v[3:4]
	s_waitcnt lgkmcnt(0)
	v_fma_f64 v[3:4], v[16:17], v[145:146], v[3:4]
	scratch_load_b128 v[14:17], off, off offset:104
	s_waitcnt vmcnt(4)
	v_fma_f64 v[3:4], v[18:19], v[147:148], v[3:4]
	ds_load_b128 v[30:33], v13 offset:512
	ds_load_b128 v[145:148], v13 offset:528
	s_waitcnt lgkmcnt(1)
	v_fma_f64 v[3:4], v[20:21], v[30:31], v[3:4]
	scratch_load_b128 v[18:21], off, off offset:120
	s_waitcnt vmcnt(4)
	v_fma_f64 v[3:4], v[22:23], v[32:33], v[3:4]
	s_waitcnt lgkmcnt(0)
	s_delay_alu instid0(VALU_DEP_1)
	v_fma_f64 v[3:4], v[24:25], v[145:146], v[3:4]
	scratch_load_b128 v[22:25], off, off offset:136
	s_waitcnt vmcnt(4)
	v_fma_f64 v[3:4], v[26:27], v[147:148], v[3:4]
	ds_load_b128 v[30:33], v13 offset:544
	ds_load_b128 v[145:148], v13 offset:560
	s_waitcnt lgkmcnt(1)
	v_fma_f64 v[3:4], v[28:29], v[30:31], v[3:4]
	scratch_load_b128 v[26:29], off, off offset:152
	s_waitcnt vmcnt(4)
	v_fma_f64 v[3:4], v[149:150], v[32:33], v[3:4]
	scratch_load_b128 v[30:33], off, off offset:168
	s_waitcnt lgkmcnt(0)
	v_fma_f64 v[3:4], v[151:152], v[145:146], v[3:4]
	s_waitcnt vmcnt(4)
	s_delay_alu instid0(VALU_DEP_1)
	v_fma_f64 v[3:4], v[14:15], v[147:148], v[3:4]
	ds_load_b128 v[145:148], v13 offset:576
	ds_load_b128 v[149:152], v13 offset:592
	s_waitcnt lgkmcnt(1)
	v_fma_f64 v[3:4], v[16:17], v[145:146], v[3:4]
	scratch_load_b128 v[14:17], off, off offset:184
	s_waitcnt vmcnt(4)
	v_fma_f64 v[3:4], v[18:19], v[147:148], v[3:4]
	s_waitcnt lgkmcnt(0)
	s_delay_alu instid0(VALU_DEP_1)
	v_fma_f64 v[3:4], v[20:21], v[149:150], v[3:4]
	scratch_load_b128 v[18:21], off, off offset:200
	s_waitcnt vmcnt(4)
	v_fma_f64 v[3:4], v[22:23], v[151:152], v[3:4]
	ds_load_b128 v[145:148], v13 offset:608
	ds_load_b128 v[149:152], v13 offset:624
	s_waitcnt lgkmcnt(1)
	v_fma_f64 v[3:4], v[24:25], v[145:146], v[3:4]
	scratch_load_b128 v[22:25], off, off offset:216
	s_waitcnt vmcnt(4)
	v_fma_f64 v[3:4], v[26:27], v[147:148], v[3:4]
	s_waitcnt lgkmcnt(0)
	s_delay_alu instid0(VALU_DEP_1)
	v_fma_f64 v[3:4], v[28:29], v[149:150], v[3:4]
	scratch_load_b128 v[26:29], off, off offset:232
	s_waitcnt vmcnt(4)
	;; [unrolled: 13-line block ×8, first 2 shown]
	v_fma_f64 v[3:4], v[18:19], v[151:152], v[3:4]
	ds_load_b128 v[145:148], v13 offset:832
	ds_load_b128 v[149:152], v13 offset:848
	s_waitcnt lgkmcnt(1)
	v_fma_f64 v[3:4], v[20:21], v[145:146], v[3:4]
	scratch_load_b128 v[18:21], off, off offset:440
	s_waitcnt vmcnt(4)
	v_fma_f64 v[3:4], v[22:23], v[147:148], v[3:4]
	s_waitcnt lgkmcnt(0)
	s_delay_alu instid0(VALU_DEP_1)
	v_fma_f64 v[3:4], v[24:25], v[149:150], v[3:4]
	ds_load_b128 v[22:25], v13 offset:864
	ds_load_b128 v[145:148], v13 offset:880
	s_waitcnt vmcnt(3)
	v_fma_f64 v[3:4], v[26:27], v[151:152], v[3:4]
	s_waitcnt lgkmcnt(1)
	s_delay_alu instid0(VALU_DEP_1) | instskip(SKIP_1) | instid1(VALU_DEP_1)
	v_fma_f64 v[3:4], v[28:29], v[22:23], v[3:4]
	s_waitcnt vmcnt(2)
	v_fma_f64 v[3:4], v[30:31], v[24:25], v[3:4]
	s_waitcnt lgkmcnt(0)
	s_delay_alu instid0(VALU_DEP_1) | instskip(SKIP_1) | instid1(VALU_DEP_1)
	v_fma_f64 v[3:4], v[32:33], v[145:146], v[3:4]
	s_waitcnt vmcnt(1)
	v_fma_f64 v[3:4], v[14:15], v[147:148], v[3:4]
	ds_load_b128 v[22:25], v13 offset:896
	ds_load_b64 v[14:15], v13 offset:912
	s_waitcnt lgkmcnt(1)
	v_fma_f64 v[3:4], v[16:17], v[22:23], v[3:4]
	s_waitcnt vmcnt(0)
	s_delay_alu instid0(VALU_DEP_1) | instskip(SKIP_1) | instid1(VALU_DEP_1)
	v_fma_f64 v[3:4], v[18:19], v[24:25], v[3:4]
	s_waitcnt lgkmcnt(0)
	v_fma_f64 v[3:4], v[20:21], v[14:15], v[3:4]
	s_delay_alu instid0(VALU_DEP_1)
	v_add_f64 v[1:2], v[1:2], -v[3:4]
	scratch_store_b64 off, v[1:2], off offset:8
	v_cmpx_ne_u32_e32 0, v0
	s_cbranch_execz .LBB120_351
; %bb.350:
	scratch_load_b64 v[0:1], off, off
	v_mov_b32_e32 v14, v13
	scratch_store_b64 off, v[13:14], off
	s_waitcnt vmcnt(0)
	ds_store_b64 v5, v[0:1]
.LBB120_351:
	s_or_b32 exec_lo, exec_lo, s0
	s_waitcnt lgkmcnt(0)
	s_waitcnt_vscnt null, 0x0
	s_barrier
	buffer_gl0_inv
	s_clause 0x4
	scratch_load_b128 v[0:3], off, off
	scratch_load_b128 v[14:17], off, off offset:16
	scratch_load_b128 v[18:21], off, off offset:32
	;; [unrolled: 1-line block ×4, first 2 shown]
	ds_load_2addr_b64 v[30:33], v13 offset0:59 offset1:60
	ds_load_2addr_b64 v[145:148], v13 offset0:61 offset1:62
	s_and_b32 vcc_lo, exec_lo, s12
	s_waitcnt vmcnt(4) lgkmcnt(1)
	v_fma_f64 v[30:31], v[2:3], v[30:31], 0
	scratch_load_b128 v[2:5], off, off offset:80
	s_waitcnt vmcnt(4)
	v_fma_f64 v[14:15], v[14:15], v[32:33], v[30:31]
	s_waitcnt lgkmcnt(0)
	s_delay_alu instid0(VALU_DEP_1)
	v_fma_f64 v[30:31], v[16:17], v[145:146], v[14:15]
	scratch_load_b128 v[14:17], off, off offset:96
	s_waitcnt vmcnt(4)
	v_fma_f64 v[18:19], v[18:19], v[147:148], v[30:31]
	ds_load_2addr_b64 v[30:33], v13 offset0:63 offset1:64
	ds_load_2addr_b64 v[145:148], v13 offset0:65 offset1:66
	s_waitcnt lgkmcnt(1)
	v_fma_f64 v[30:31], v[20:21], v[30:31], v[18:19]
	scratch_load_b128 v[18:21], off, off offset:112
	s_waitcnt vmcnt(4)
	v_fma_f64 v[22:23], v[22:23], v[32:33], v[30:31]
	s_waitcnt lgkmcnt(0)
	s_delay_alu instid0(VALU_DEP_1)
	v_fma_f64 v[30:31], v[24:25], v[145:146], v[22:23]
	scratch_load_b128 v[22:25], off, off offset:128
	s_waitcnt vmcnt(4)
	v_fma_f64 v[26:27], v[26:27], v[147:148], v[30:31]
	ds_load_2addr_b64 v[30:33], v13 offset0:67 offset1:68
	ds_load_2addr_b64 v[145:148], v13 offset0:69 offset1:70
	s_waitcnt lgkmcnt(1)
	v_fma_f64 v[30:31], v[28:29], v[30:31], v[26:27]
	scratch_load_b128 v[26:29], off, off offset:144
	s_waitcnt vmcnt(4)
	v_fma_f64 v[2:3], v[2:3], v[32:33], v[30:31]
	s_waitcnt lgkmcnt(0)
	s_delay_alu instid0(VALU_DEP_1)
	v_fma_f64 v[30:31], v[4:5], v[145:146], v[2:3]
	scratch_load_b128 v[2:5], off, off offset:160
	s_waitcnt vmcnt(4)
	v_fma_f64 v[14:15], v[14:15], v[147:148], v[30:31]
	ds_load_2addr_b64 v[30:33], v13 offset0:71 offset1:72
	ds_load_2addr_b64 v[145:148], v13 offset0:73 offset1:74
	s_waitcnt lgkmcnt(1)
	v_fma_f64 v[30:31], v[16:17], v[30:31], v[14:15]
	scratch_load_b128 v[14:17], off, off offset:176
	s_waitcnt vmcnt(4)
	v_fma_f64 v[18:19], v[18:19], v[32:33], v[30:31]
	s_waitcnt lgkmcnt(0)
	s_delay_alu instid0(VALU_DEP_1)
	v_fma_f64 v[30:31], v[20:21], v[145:146], v[18:19]
	scratch_load_b128 v[18:21], off, off offset:192
	s_waitcnt vmcnt(4)
	v_fma_f64 v[22:23], v[22:23], v[147:148], v[30:31]
	ds_load_2addr_b64 v[30:33], v13 offset0:75 offset1:76
	ds_load_2addr_b64 v[145:148], v13 offset0:77 offset1:78
	s_waitcnt lgkmcnt(1)
	v_fma_f64 v[30:31], v[24:25], v[30:31], v[22:23]
	scratch_load_b128 v[22:25], off, off offset:208
	s_waitcnt vmcnt(4)
	v_fma_f64 v[26:27], v[26:27], v[32:33], v[30:31]
	s_waitcnt lgkmcnt(0)
	s_delay_alu instid0(VALU_DEP_1)
	v_fma_f64 v[30:31], v[28:29], v[145:146], v[26:27]
	scratch_load_b128 v[26:29], off, off offset:224
	s_waitcnt vmcnt(4)
	v_fma_f64 v[2:3], v[2:3], v[147:148], v[30:31]
	ds_load_2addr_b64 v[30:33], v13 offset0:79 offset1:80
	ds_load_2addr_b64 v[145:148], v13 offset0:81 offset1:82
	s_waitcnt lgkmcnt(1)
	v_fma_f64 v[30:31], v[4:5], v[30:31], v[2:3]
	scratch_load_b128 v[2:5], off, off offset:240
	s_waitcnt vmcnt(4)
	v_fma_f64 v[14:15], v[14:15], v[32:33], v[30:31]
	s_waitcnt lgkmcnt(0)
	s_delay_alu instid0(VALU_DEP_1)
	v_fma_f64 v[30:31], v[16:17], v[145:146], v[14:15]
	scratch_load_b128 v[14:17], off, off offset:256
	s_waitcnt vmcnt(4)
	v_fma_f64 v[18:19], v[18:19], v[147:148], v[30:31]
	ds_load_2addr_b64 v[30:33], v13 offset0:83 offset1:84
	ds_load_2addr_b64 v[145:148], v13 offset0:85 offset1:86
	s_waitcnt lgkmcnt(1)
	v_fma_f64 v[30:31], v[20:21], v[30:31], v[18:19]
	scratch_load_b128 v[18:21], off, off offset:272
	s_waitcnt vmcnt(4)
	v_fma_f64 v[22:23], v[22:23], v[32:33], v[30:31]
	s_waitcnt lgkmcnt(0)
	s_delay_alu instid0(VALU_DEP_1)
	v_fma_f64 v[30:31], v[24:25], v[145:146], v[22:23]
	scratch_load_b128 v[22:25], off, off offset:288
	s_waitcnt vmcnt(4)
	v_fma_f64 v[26:27], v[26:27], v[147:148], v[30:31]
	ds_load_2addr_b64 v[30:33], v13 offset0:87 offset1:88
	ds_load_2addr_b64 v[145:148], v13 offset0:89 offset1:90
	s_waitcnt lgkmcnt(1)
	v_fma_f64 v[30:31], v[28:29], v[30:31], v[26:27]
	scratch_load_b128 v[26:29], off, off offset:304
	s_waitcnt vmcnt(4)
	v_fma_f64 v[2:3], v[2:3], v[32:33], v[30:31]
	s_waitcnt lgkmcnt(0)
	s_delay_alu instid0(VALU_DEP_1)
	v_fma_f64 v[30:31], v[4:5], v[145:146], v[2:3]
	scratch_load_b128 v[2:5], off, off offset:320
	s_waitcnt vmcnt(4)
	v_fma_f64 v[14:15], v[14:15], v[147:148], v[30:31]
	ds_load_2addr_b64 v[30:33], v13 offset0:91 offset1:92
	ds_load_2addr_b64 v[145:148], v13 offset0:93 offset1:94
	s_waitcnt lgkmcnt(1)
	v_fma_f64 v[30:31], v[16:17], v[30:31], v[14:15]
	scratch_load_b128 v[14:17], off, off offset:336
	s_waitcnt vmcnt(4)
	v_fma_f64 v[18:19], v[18:19], v[32:33], v[30:31]
	s_waitcnt lgkmcnt(0)
	s_delay_alu instid0(VALU_DEP_1)
	v_fma_f64 v[30:31], v[20:21], v[145:146], v[18:19]
	scratch_load_b128 v[18:21], off, off offset:352
	s_waitcnt vmcnt(4)
	v_fma_f64 v[22:23], v[22:23], v[147:148], v[30:31]
	ds_load_2addr_b64 v[30:33], v13 offset0:95 offset1:96
	ds_load_2addr_b64 v[145:148], v13 offset0:97 offset1:98
	s_waitcnt lgkmcnt(1)
	v_fma_f64 v[30:31], v[24:25], v[30:31], v[22:23]
	scratch_load_b128 v[22:25], off, off offset:368
	s_waitcnt vmcnt(4)
	v_fma_f64 v[26:27], v[26:27], v[32:33], v[30:31]
	s_waitcnt lgkmcnt(0)
	s_delay_alu instid0(VALU_DEP_1)
	v_fma_f64 v[30:31], v[28:29], v[145:146], v[26:27]
	scratch_load_b128 v[26:29], off, off offset:384
	s_waitcnt vmcnt(4)
	v_fma_f64 v[2:3], v[2:3], v[147:148], v[30:31]
	ds_load_2addr_b64 v[30:33], v13 offset0:99 offset1:100
	ds_load_2addr_b64 v[145:148], v13 offset0:101 offset1:102
	scratch_load_b128 v[149:152], off, off offset:400
	s_waitcnt lgkmcnt(1)
	v_fma_f64 v[2:3], v[4:5], v[30:31], v[2:3]
	s_waitcnt vmcnt(4)
	s_delay_alu instid0(VALU_DEP_1) | instskip(SKIP_1) | instid1(VALU_DEP_1)
	v_fma_f64 v[2:3], v[14:15], v[32:33], v[2:3]
	s_waitcnt lgkmcnt(0)
	v_fma_f64 v[2:3], v[16:17], v[145:146], v[2:3]
	scratch_load_b128 v[14:17], off, off offset:416
	s_waitcnt vmcnt(4)
	v_fma_f64 v[2:3], v[18:19], v[147:148], v[2:3]
	ds_load_2addr_b64 v[30:33], v13 offset0:103 offset1:104
	ds_load_2addr_b64 v[145:148], v13 offset0:105 offset1:106
	s_waitcnt lgkmcnt(1)
	v_fma_f64 v[18:19], v[20:21], v[30:31], v[2:3]
	s_clause 0x1
	scratch_load_b128 v[2:5], off, off offset:432
	scratch_load_b64 v[30:31], off, off offset:448
	s_waitcnt vmcnt(5)
	v_fma_f64 v[18:19], v[22:23], v[32:33], v[18:19]
	s_waitcnt lgkmcnt(0)
	s_delay_alu instid0(VALU_DEP_1) | instskip(SKIP_1) | instid1(VALU_DEP_1)
	v_fma_f64 v[18:19], v[24:25], v[145:146], v[18:19]
	s_waitcnt vmcnt(4)
	v_fma_f64 v[26:27], v[26:27], v[147:148], v[18:19]
	ds_load_2addr_b64 v[18:21], v13 offset0:107 offset1:108
	ds_load_2addr_b64 v[22:25], v13 offset0:109 offset1:110
	s_waitcnt lgkmcnt(1)
	v_fma_f64 v[18:19], v[28:29], v[18:19], v[26:27]
	s_waitcnt vmcnt(3)
	s_delay_alu instid0(VALU_DEP_1) | instskip(SKIP_1) | instid1(VALU_DEP_1)
	v_fma_f64 v[18:19], v[149:150], v[20:21], v[18:19]
	s_waitcnt lgkmcnt(0)
	v_fma_f64 v[18:19], v[151:152], v[22:23], v[18:19]
	s_waitcnt vmcnt(2)
	s_delay_alu instid0(VALU_DEP_1)
	v_fma_f64 v[14:15], v[14:15], v[24:25], v[18:19]
	ds_load_2addr_b64 v[18:21], v13 offset0:111 offset1:112
	ds_load_2addr_b64 v[22:25], v13 offset0:113 offset1:114
	s_waitcnt lgkmcnt(1)
	v_fma_f64 v[13:14], v[16:17], v[18:19], v[14:15]
	s_waitcnt vmcnt(1)
	s_delay_alu instid0(VALU_DEP_1) | instskip(SKIP_1) | instid1(VALU_DEP_1)
	v_fma_f64 v[2:3], v[2:3], v[20:21], v[13:14]
	s_waitcnt lgkmcnt(0)
	v_fma_f64 v[2:3], v[4:5], v[22:23], v[2:3]
	s_waitcnt vmcnt(0)
	s_delay_alu instid0(VALU_DEP_1) | instskip(NEXT) | instid1(VALU_DEP_1)
	v_fma_f64 v[2:3], v[30:31], v[24:25], v[2:3]
	v_add_f64 v[0:1], v[0:1], -v[2:3]
	scratch_store_b64 off, v[0:1], off
	s_cbranch_vccz .LBB120_465
; %bb.352:
	v_dual_mov_b32 v0, s2 :: v_dual_mov_b32 v1, s3
	s_mov_b32 s0, exec_lo
	flat_load_b32 v0, v[0:1] offset:220
	s_waitcnt vmcnt(0) lgkmcnt(0)
	v_cmpx_ne_u32_e32 56, v0
	s_cbranch_execz .LBB120_354
; %bb.353:
	v_lshl_add_u32 v2, v0, 3, 0
	scratch_load_b64 v[0:1], v2, off offset:-8
	s_waitcnt vmcnt(0)
	scratch_store_b64 off, v[0:1], off offset:440
	scratch_store_b64 v2, v[4:5], off offset:-8
.LBB120_354:
	s_or_b32 exec_lo, exec_lo, s0
	v_dual_mov_b32 v0, s2 :: v_dual_mov_b32 v1, s3
	s_mov_b32 s0, exec_lo
	flat_load_b32 v0, v[0:1] offset:216
	s_waitcnt vmcnt(0) lgkmcnt(0)
	v_cmpx_ne_u32_e32 55, v0
	s_cbranch_execz .LBB120_356
; %bb.355:
	v_lshl_add_u32 v4, v0, 3, 0
	scratch_load_b64 v[0:1], v4, off offset:-8
	scratch_load_b64 v[2:3], off, off offset:432
	s_waitcnt vmcnt(1)
	scratch_store_b64 off, v[0:1], off offset:432
	s_waitcnt vmcnt(0)
	scratch_store_b64 v4, v[2:3], off offset:-8
.LBB120_356:
	s_or_b32 exec_lo, exec_lo, s0
	v_dual_mov_b32 v0, s2 :: v_dual_mov_b32 v1, s3
	s_mov_b32 s0, exec_lo
	flat_load_b32 v0, v[0:1] offset:212
	s_waitcnt vmcnt(0) lgkmcnt(0)
	v_cmpx_ne_u32_e32 54, v0
	s_cbranch_execz .LBB120_358
; %bb.357:
	v_lshl_add_u32 v4, v0, 3, 0
	scratch_load_b64 v[0:1], v4, off offset:-8
	scratch_load_b64 v[2:3], off, off offset:424
	s_waitcnt vmcnt(1)
	scratch_store_b64 off, v[0:1], off offset:424
	s_waitcnt vmcnt(0)
	scratch_store_b64 v4, v[2:3], off offset:-8
.LBB120_358:
	;; [unrolled: 16-line block ×54, first 2 shown]
	s_or_b32 exec_lo, exec_lo, s0
	v_dual_mov_b32 v0, s2 :: v_dual_mov_b32 v1, s3
	s_mov_b32 s0, exec_lo
	flat_load_b32 v2, v[0:1]
	scratch_load_b64 v[0:1], off, off
	s_waitcnt vmcnt(1) lgkmcnt(0)
	v_cmpx_ne_u32_e32 1, v2
	s_cbranch_execz .LBB120_464
; %bb.463:
	v_lshl_add_u32 v4, v2, 3, 0
	scratch_load_b64 v[2:3], v4, off offset:-8
	s_waitcnt vmcnt(0)
	scratch_store_b64 off, v[2:3], off
	scratch_store_b64 v4, v[0:1], off offset:-8
	scratch_load_b64 v[0:1], off, off
.LBB120_464:
	s_or_b32 exec_lo, exec_lo, s0
.LBB120_465:
	s_clause 0xb
	scratch_load_b128 v[2:5], off, off offset:8
	scratch_load_b128 v[13:16], off, off offset:24
	;; [unrolled: 1-line block ×12, first 2 shown]
	s_waitcnt vmcnt(12)
	global_store_b64 v[37:38], v[0:1], off
	s_clause 0x1
	scratch_load_b128 v[165:168], off, off offset:360
	scratch_load_b128 v[169:172], off, off offset:424
	s_waitcnt vmcnt(13)
	global_store_b64 v[39:40], v[2:3], off
	s_clause 0x1
	scratch_load_b128 v[0:3], off, off offset:200
	scratch_load_b128 v[37:40], off, off offset:216
	global_store_b64 v[41:42], v[4:5], off
	s_waitcnt vmcnt(14)
	global_store_b64 v[43:44], v[13:14], off
	scratch_load_b128 v[41:44], off, off offset:232
	global_store_b64 v[45:46], v[15:16], off
	scratch_load_b128 v[13:16], off, off offset:248
	s_waitcnt vmcnt(15)
	global_store_b64 v[47:48], v[17:18], off
	scratch_load_b128 v[45:48], off, off offset:264
	global_store_b64 v[49:50], v[19:20], off
	scratch_load_b128 v[17:20], off, off offset:280
	;; [unrolled: 5-line block ×4, first 2 shown]
	s_waitcnt vmcnt(18)
	s_clause 0x1
	global_store_b64 v[81:82], v[29:30], off
	global_store_b64 v[75:76], v[31:32], off
	scratch_load_b128 v[29:32], off, off offset:376
	s_waitcnt vmcnt(18)
	global_store_b64 v[73:74], v[33:34], off
	scratch_load_b128 v[73:76], off, off offset:392
	global_store_b64 v[69:70], v[35:36], off
	scratch_load_b128 v[33:36], off, off offset:408
	s_waitcnt vmcnt(19)
	s_clause 0x1
	global_store_b64 v[63:64], v[145:146], off
	global_store_b64 v[59:60], v[147:148], off
	scratch_load_b128 v[145:148], off, off offset:440
	s_waitcnt vmcnt(19)
	s_clause 0x1
	global_store_b64 v[57:58], v[149:150], off
	global_store_b64 v[61:62], v[151:152], off
	s_waitcnt vmcnt(18)
	s_clause 0x1
	global_store_b64 v[65:66], v[153:154], off
	global_store_b64 v[67:68], v[155:156], off
	;; [unrolled: 4-line block ×14, first 2 shown]
	global_store_b64 v[127:128], v[165:166], off
	global_store_b64 v[129:130], v[167:168], off
	s_waitcnt vmcnt(3)
	s_clause 0x1
	global_store_b64 v[131:132], v[29:30], off
	global_store_b64 v[9:10], v[31:32], off
	s_waitcnt vmcnt(2)
	s_clause 0x1
	;; [unrolled: 4-line block ×3, first 2 shown]
	global_store_b64 v[133:134], v[33:34], off
	global_store_b64 v[135:136], v[35:36], off
	;; [unrolled: 1-line block ×4, first 2 shown]
	s_waitcnt vmcnt(0)
	s_clause 0x1
	global_store_b64 v[137:138], v[145:146], off
	global_store_b64 v[141:142], v[147:148], off
	s_endpgm
	.section	.rodata,"a",@progbits
	.p2align	6, 0x0
	.amdhsa_kernel _ZN9rocsolver6v33100L18getri_kernel_smallILi57EdPKPdEEvT1_iilPiilS6_bb
		.amdhsa_group_segment_fixed_size 920
		.amdhsa_private_segment_fixed_size 464
		.amdhsa_kernarg_size 60
		.amdhsa_user_sgpr_count 15
		.amdhsa_user_sgpr_dispatch_ptr 0
		.amdhsa_user_sgpr_queue_ptr 0
		.amdhsa_user_sgpr_kernarg_segment_ptr 1
		.amdhsa_user_sgpr_dispatch_id 0
		.amdhsa_user_sgpr_private_segment_size 0
		.amdhsa_wavefront_size32 1
		.amdhsa_uses_dynamic_stack 0
		.amdhsa_enable_private_segment 1
		.amdhsa_system_sgpr_workgroup_id_x 1
		.amdhsa_system_sgpr_workgroup_id_y 0
		.amdhsa_system_sgpr_workgroup_id_z 0
		.amdhsa_system_sgpr_workgroup_info 0
		.amdhsa_system_vgpr_workitem_id 0
		.amdhsa_next_free_vgpr 173
		.amdhsa_next_free_sgpr 17
		.amdhsa_reserve_vcc 1
		.amdhsa_float_round_mode_32 0
		.amdhsa_float_round_mode_16_64 0
		.amdhsa_float_denorm_mode_32 3
		.amdhsa_float_denorm_mode_16_64 3
		.amdhsa_dx10_clamp 1
		.amdhsa_ieee_mode 1
		.amdhsa_fp16_overflow 0
		.amdhsa_workgroup_processor_mode 1
		.amdhsa_memory_ordered 1
		.amdhsa_forward_progress 0
		.amdhsa_shared_vgpr_count 0
		.amdhsa_exception_fp_ieee_invalid_op 0
		.amdhsa_exception_fp_denorm_src 0
		.amdhsa_exception_fp_ieee_div_zero 0
		.amdhsa_exception_fp_ieee_overflow 0
		.amdhsa_exception_fp_ieee_underflow 0
		.amdhsa_exception_fp_ieee_inexact 0
		.amdhsa_exception_int_div_zero 0
	.end_amdhsa_kernel
	.section	.text._ZN9rocsolver6v33100L18getri_kernel_smallILi57EdPKPdEEvT1_iilPiilS6_bb,"axG",@progbits,_ZN9rocsolver6v33100L18getri_kernel_smallILi57EdPKPdEEvT1_iilPiilS6_bb,comdat
.Lfunc_end120:
	.size	_ZN9rocsolver6v33100L18getri_kernel_smallILi57EdPKPdEEvT1_iilPiilS6_bb, .Lfunc_end120-_ZN9rocsolver6v33100L18getri_kernel_smallILi57EdPKPdEEvT1_iilPiilS6_bb
                                        ; -- End function
	.section	.AMDGPU.csdata,"",@progbits
; Kernel info:
; codeLenInByte = 59076
; NumSgprs: 19
; NumVgprs: 173
; ScratchSize: 464
; MemoryBound: 0
; FloatMode: 240
; IeeeMode: 1
; LDSByteSize: 920 bytes/workgroup (compile time only)
; SGPRBlocks: 2
; VGPRBlocks: 21
; NumSGPRsForWavesPerEU: 19
; NumVGPRsForWavesPerEU: 173
; Occupancy: 8
; WaveLimiterHint : 1
; COMPUTE_PGM_RSRC2:SCRATCH_EN: 1
; COMPUTE_PGM_RSRC2:USER_SGPR: 15
; COMPUTE_PGM_RSRC2:TRAP_HANDLER: 0
; COMPUTE_PGM_RSRC2:TGID_X_EN: 1
; COMPUTE_PGM_RSRC2:TGID_Y_EN: 0
; COMPUTE_PGM_RSRC2:TGID_Z_EN: 0
; COMPUTE_PGM_RSRC2:TIDIG_COMP_CNT: 0
	.section	.text._ZN9rocsolver6v33100L18getri_kernel_smallILi58EdPKPdEEvT1_iilPiilS6_bb,"axG",@progbits,_ZN9rocsolver6v33100L18getri_kernel_smallILi58EdPKPdEEvT1_iilPiilS6_bb,comdat
	.globl	_ZN9rocsolver6v33100L18getri_kernel_smallILi58EdPKPdEEvT1_iilPiilS6_bb ; -- Begin function _ZN9rocsolver6v33100L18getri_kernel_smallILi58EdPKPdEEvT1_iilPiilS6_bb
	.p2align	8
	.type	_ZN9rocsolver6v33100L18getri_kernel_smallILi58EdPKPdEEvT1_iilPiilS6_bb,@function
_ZN9rocsolver6v33100L18getri_kernel_smallILi58EdPKPdEEvT1_iilPiilS6_bb: ; @_ZN9rocsolver6v33100L18getri_kernel_smallILi58EdPKPdEEvT1_iilPiilS6_bb
; %bb.0:
	s_mov_b32 s2, exec_lo
	v_cmpx_gt_u32_e32 58, v0
	s_cbranch_execz .LBB121_242
; %bb.1:
	s_clause 0x1
	s_load_b32 s13, s[0:1], 0x38
	s_load_b64 s[2:3], s[0:1], 0x0
	s_mov_b32 s8, s15
	s_load_b128 s[4:7], s[0:1], 0x28
	s_waitcnt lgkmcnt(0)
	s_bitcmp1_b32 s13, 8
	s_cselect_b32 s12, -1, 0
	s_ashr_i32 s9, s15, 31
	s_delay_alu instid0(SALU_CYCLE_1) | instskip(NEXT) | instid1(SALU_CYCLE_1)
	s_lshl_b64 s[10:11], s[8:9], 3
	s_add_u32 s2, s2, s10
	s_addc_u32 s3, s3, s11
	s_load_b64 s[10:11], s[2:3], 0x0
	s_bfe_u32 s2, s13, 0x10008
	s_delay_alu instid0(SALU_CYCLE_1)
	s_cmp_eq_u32 s2, 0
                                        ; implicit-def: $sgpr2_sgpr3
	s_cbranch_scc1 .LBB121_3
; %bb.2:
	s_clause 0x1
	s_load_b32 s2, s[0:1], 0x20
	s_load_b64 s[14:15], s[0:1], 0x18
	s_mul_i32 s3, s8, s5
	s_mul_hi_u32 s5, s8, s4
	s_mul_i32 s16, s9, s4
	s_add_i32 s3, s5, s3
	s_mul_i32 s4, s8, s4
	s_add_i32 s5, s3, s16
	s_delay_alu instid0(SALU_CYCLE_1)
	s_lshl_b64 s[4:5], s[4:5], 2
	s_waitcnt lgkmcnt(0)
	s_ashr_i32 s3, s2, 31
	s_add_u32 s4, s14, s4
	s_addc_u32 s5, s15, s5
	s_lshl_b64 s[2:3], s[2:3], 2
	s_delay_alu instid0(SALU_CYCLE_1)
	s_add_u32 s2, s4, s2
	s_addc_u32 s3, s5, s3
.LBB121_3:
	s_load_b64 s[0:1], s[0:1], 0x8
	v_lshlrev_b32_e32 v3, 3, v0
	s_waitcnt lgkmcnt(0)
	v_add3_u32 v1, s1, s1, v0
	s_ashr_i32 s5, s0, 31
	s_mov_b32 s4, s0
	s_mov_b32 s14, s1
	s_lshl_b64 s[4:5], s[4:5], 3
	v_add_nc_u32_e32 v4, s1, v1
	v_ashrrev_i32_e32 v2, 31, v1
	s_add_u32 s4, s10, s4
	s_addc_u32 s5, s11, s5
	v_add_co_u32 v44, s0, s4, v3
	v_add_nc_u32_e32 v6, s1, v4
	s_ashr_i32 s15, s1, 31
	v_add_co_ci_u32_e64 v45, null, s5, 0, s0
	v_ashrrev_i32_e32 v5, 31, v4
	v_lshlrev_b64 v[1:2], 3, v[1:2]
	s_lshl_b64 s[10:11], s[14:15], 3
	v_add_nc_u32_e32 v8, s1, v6
	v_add_co_u32 v40, vcc_lo, v44, s10
	v_add_co_ci_u32_e32 v41, vcc_lo, s11, v45, vcc_lo
	v_lshlrev_b64 v[4:5], 3, v[4:5]
	v_ashrrev_i32_e32 v7, 31, v6
	v_add_co_u32 v34, vcc_lo, s4, v1
	v_add_nc_u32_e32 v1, s1, v8
	v_add_co_ci_u32_e32 v35, vcc_lo, s5, v2, vcc_lo
	s_delay_alu instid0(VALU_DEP_4)
	v_lshlrev_b64 v[6:7], 3, v[6:7]
	v_ashrrev_i32_e32 v9, 31, v8
	v_add_co_u32 v38, vcc_lo, s4, v4
	v_add_nc_u32_e32 v4, s1, v1
	s_clause 0x1
	global_load_b64 v[52:53], v3, s[4:5]
	global_load_b64 v[54:55], v[40:41], off
	v_add_co_ci_u32_e32 v39, vcc_lo, s5, v5, vcc_lo
	v_lshlrev_b64 v[8:9], 3, v[8:9]
	v_ashrrev_i32_e32 v2, 31, v1
	v_add_co_u32 v32, vcc_lo, s4, v6
	v_add_nc_u32_e32 v6, s1, v4
	v_add_co_ci_u32_e32 v33, vcc_lo, s5, v7, vcc_lo
	s_delay_alu instid0(VALU_DEP_4) | instskip(SKIP_4) | instid1(VALU_DEP_4)
	v_lshlrev_b64 v[1:2], 3, v[1:2]
	v_ashrrev_i32_e32 v5, 31, v4
	v_add_co_u32 v24, vcc_lo, s4, v8
	v_add_nc_u32_e32 v8, s1, v6
	v_add_co_ci_u32_e32 v25, vcc_lo, s5, v9, vcc_lo
	v_lshlrev_b64 v[4:5], 3, v[4:5]
	v_ashrrev_i32_e32 v7, 31, v6
	v_add_co_u32 v28, vcc_lo, s4, v1
	v_add_nc_u32_e32 v1, s1, v8
	s_clause 0x3
	global_load_b64 v[60:61], v[34:35], off
	global_load_b64 v[62:63], v[38:39], off
	;; [unrolled: 1-line block ×4, first 2 shown]
	v_add_co_ci_u32_e32 v29, vcc_lo, s5, v2, vcc_lo
	v_lshlrev_b64 v[6:7], 3, v[6:7]
	v_ashrrev_i32_e32 v9, 31, v8
	v_add_co_u32 v26, vcc_lo, s4, v4
	v_add_nc_u32_e32 v4, s1, v1
	v_add_co_ci_u32_e32 v27, vcc_lo, s5, v5, vcc_lo
	s_delay_alu instid0(VALU_DEP_4) | instskip(SKIP_4) | instid1(VALU_DEP_4)
	v_lshlrev_b64 v[8:9], 3, v[8:9]
	v_ashrrev_i32_e32 v2, 31, v1
	v_add_co_u32 v20, vcc_lo, s4, v6
	v_add_nc_u32_e32 v6, s1, v4
	v_add_co_ci_u32_e32 v21, vcc_lo, s5, v7, vcc_lo
	v_lshlrev_b64 v[1:2], 3, v[1:2]
	v_ashrrev_i32_e32 v5, 31, v4
	v_add_co_u32 v12, vcc_lo, s4, v8
	v_add_nc_u32_e32 v8, s1, v6
	v_add_co_ci_u32_e32 v13, vcc_lo, s5, v9, vcc_lo
	v_ashrrev_i32_e32 v7, 31, v6
	v_lshlrev_b64 v[4:5], 3, v[4:5]
	s_clause 0x3
	global_load_b64 v[68:69], v[28:29], off
	global_load_b64 v[70:71], v[26:27], off
	;; [unrolled: 1-line block ×4, first 2 shown]
	v_add_co_u32 v18, vcc_lo, s4, v1
	v_add_nc_u32_e32 v1, s1, v8
	v_ashrrev_i32_e32 v9, 31, v8
	v_lshlrev_b64 v[6:7], 3, v[6:7]
	v_add_co_ci_u32_e32 v19, vcc_lo, s5, v2, vcc_lo
	v_add_co_u32 v16, vcc_lo, s4, v4
	v_add_nc_u32_e32 v4, s1, v1
	v_lshlrev_b64 v[8:9], 3, v[8:9]
	v_ashrrev_i32_e32 v2, 31, v1
	v_add_co_ci_u32_e32 v17, vcc_lo, s5, v5, vcc_lo
	v_add_co_u32 v10, vcc_lo, s4, v6
	v_ashrrev_i32_e32 v5, 31, v4
	v_add_co_ci_u32_e32 v11, vcc_lo, s5, v7, vcc_lo
	v_add_co_u32 v6, vcc_lo, s4, v8
	v_lshlrev_b64 v[1:2], 3, v[1:2]
	v_add_co_ci_u32_e32 v7, vcc_lo, s5, v9, vcc_lo
	v_add_nc_u32_e32 v22, s1, v4
	v_lshlrev_b64 v[4:5], 3, v[4:5]
	s_clause 0x3
	global_load_b64 v[76:77], v[18:19], off
	global_load_b64 v[78:79], v[16:17], off
	;; [unrolled: 1-line block ×4, first 2 shown]
	v_add_co_u32 v14, vcc_lo, s4, v1
	v_add_co_ci_u32_e32 v15, vcc_lo, s5, v2, vcc_lo
	v_add_co_u32 v8, vcc_lo, s4, v4
	v_add_co_ci_u32_e32 v9, vcc_lo, s5, v5, vcc_lo
	s_clause 0x1
	global_load_b64 v[84:85], v[14:15], off
	global_load_b64 v[86:87], v[8:9], off
	v_add_nc_u32_e32 v30, s1, v22
	v_ashrrev_i32_e32 v23, 31, v22
	s_bitcmp0_b32 s13, 0
	s_delay_alu instid0(VALU_DEP_2) | instskip(NEXT) | instid1(VALU_DEP_2)
	v_add_nc_u32_e32 v36, s1, v30
	v_lshlrev_b64 v[22:23], 3, v[22:23]
	v_ashrrev_i32_e32 v31, 31, v30
	s_delay_alu instid0(VALU_DEP_3) | instskip(SKIP_1) | instid1(VALU_DEP_4)
	v_add_nc_u32_e32 v46, s1, v36
	v_ashrrev_i32_e32 v37, 31, v36
	v_add_co_u32 v42, vcc_lo, s4, v22
	v_add_co_ci_u32_e32 v43, vcc_lo, s5, v23, vcc_lo
	s_delay_alu instid0(VALU_DEP_4)
	v_add_nc_u32_e32 v48, s1, v46
	v_lshlrev_b64 v[22:23], 3, v[30:31]
	v_ashrrev_i32_e32 v47, 31, v46
	v_lshlrev_b64 v[36:37], 3, v[36:37]
	global_load_b64 v[88:89], v[42:43], off
	v_add_nc_u32_e32 v1, s1, v48
	v_ashrrev_i32_e32 v49, 31, v48
	v_add_co_u32 v30, vcc_lo, s4, v22
	v_add_co_ci_u32_e32 v31, vcc_lo, s5, v23, vcc_lo
	s_delay_alu instid0(VALU_DEP_4)
	v_add_nc_u32_e32 v4, s1, v1
	v_lshlrev_b64 v[22:23], 3, v[46:47]
	v_add_co_u32 v36, vcc_lo, s4, v36
	global_load_b64 v[90:91], v[30:31], off
	v_add_nc_u32_e32 v56, s1, v4
	v_add_co_ci_u32_e32 v37, vcc_lo, s5, v37, vcc_lo
	v_lshlrev_b64 v[48:49], 3, v[48:49]
	v_ashrrev_i32_e32 v2, 31, v1
	s_delay_alu instid0(VALU_DEP_4) | instskip(SKIP_2) | instid1(VALU_DEP_3)
	v_add_nc_u32_e32 v58, s1, v56
	v_add_co_u32 v46, vcc_lo, s4, v22
	v_add_co_ci_u32_e32 v47, vcc_lo, s5, v23, vcc_lo
	v_add_nc_u32_e32 v100, s1, v58
	v_lshlrev_b64 v[1:2], 3, v[1:2]
	v_ashrrev_i32_e32 v5, 31, v4
	v_add_co_u32 v48, vcc_lo, s4, v48
	s_delay_alu instid0(VALU_DEP_4) | instskip(SKIP_3) | instid1(VALU_DEP_4)
	v_add_nc_u32_e32 v102, s1, v100
	v_add_co_ci_u32_e32 v49, vcc_lo, s5, v49, vcc_lo
	v_ashrrev_i32_e32 v57, 31, v56
	v_lshlrev_b64 v[4:5], 3, v[4:5]
	v_add_nc_u32_e32 v108, s1, v102
	v_ashrrev_i32_e32 v59, 31, v58
	v_ashrrev_i32_e32 v101, 31, v100
	;; [unrolled: 1-line block ×3, first 2 shown]
	s_delay_alu instid0(VALU_DEP_4) | instskip(SKIP_1) | instid1(VALU_DEP_2)
	v_add_nc_u32_e32 v110, s1, v108
	v_ashrrev_i32_e32 v109, 31, v108
	v_add_nc_u32_e32 v112, s1, v110
	v_ashrrev_i32_e32 v111, 31, v110
	s_delay_alu instid0(VALU_DEP_2) | instskip(SKIP_1) | instid1(VALU_DEP_2)
	v_add_nc_u32_e32 v116, s1, v112
	v_ashrrev_i32_e32 v113, 31, v112
	v_add_nc_u32_e32 v118, s1, v116
	v_ashrrev_i32_e32 v117, 31, v116
	s_delay_alu instid0(VALU_DEP_2) | instskip(SKIP_1) | instid1(VALU_DEP_2)
	;; [unrolled: 5-line block ×14, first 2 shown]
	v_add_nc_u32_e32 v170, s1, v168
	v_ashrrev_i32_e32 v169, 31, v168
	v_add_nc_u32_e32 v50, s1, v170
	v_ashrrev_i32_e32 v171, 31, v170
	s_mov_b32 s1, -1
	s_delay_alu instid0(VALU_DEP_2) | instskip(NEXT) | instid1(VALU_DEP_1)
	v_ashrrev_i32_e32 v51, 31, v50
	v_lshlrev_b64 v[22:23], 3, v[50:51]
	s_delay_alu instid0(VALU_DEP_1) | instskip(NEXT) | instid1(VALU_DEP_2)
	v_add_co_u32 v22, vcc_lo, s4, v22
	v_add_co_ci_u32_e32 v23, vcc_lo, s5, v23, vcc_lo
	v_add_co_u32 v50, vcc_lo, s4, v1
	v_add_co_ci_u32_e32 v51, vcc_lo, s5, v2, vcc_lo
	global_load_b64 v[124:125], v[22:23], off
	v_lshlrev_b64 v[1:2], 3, v[56:57]
	s_waitcnt vmcnt(17)
	scratch_store_b128 off, v[52:55], off
	v_add_co_u32 v52, vcc_lo, s4, v4
	s_clause 0x3
	global_load_b64 v[92:93], v[36:37], off
	global_load_b64 v[94:95], v[46:47], off
	;; [unrolled: 1-line block ×4, first 2 shown]
	v_add_co_ci_u32_e32 v53, vcc_lo, s5, v5, vcc_lo
	v_lshlrev_b64 v[4:5], 3, v[58:59]
	v_add_co_u32 v54, vcc_lo, s4, v1
	v_add_co_ci_u32_e32 v55, vcc_lo, s5, v2, vcc_lo
	v_lshlrev_b64 v[1:2], 3, v[100:101]
	s_delay_alu instid0(VALU_DEP_4) | instskip(SKIP_2) | instid1(VALU_DEP_4)
	v_add_co_u32 v56, vcc_lo, s4, v4
	v_add_co_ci_u32_e32 v57, vcc_lo, s5, v5, vcc_lo
	v_lshlrev_b64 v[4:5], 3, v[102:103]
	v_add_co_u32 v58, vcc_lo, s4, v1
	v_add_co_ci_u32_e32 v59, vcc_lo, s5, v2, vcc_lo
	v_lshlrev_b64 v[1:2], 3, v[108:109]
	s_waitcnt vmcnt(19)
	scratch_store_b128 off, v[60:63], off offset:16
	s_waitcnt vmcnt(17)
	scratch_store_b128 off, v[64:67], off offset:32
	v_add_co_u32 v60, vcc_lo, s4, v4
	s_clause 0x3
	global_load_b64 v[100:101], v[52:53], off
	global_load_b64 v[102:103], v[54:55], off
	;; [unrolled: 1-line block ×4, first 2 shown]
	v_add_co_ci_u32_e32 v61, vcc_lo, s5, v5, vcc_lo
	v_lshlrev_b64 v[4:5], 3, v[110:111]
	v_add_co_u32 v62, vcc_lo, s4, v1
	v_add_co_ci_u32_e32 v63, vcc_lo, s5, v2, vcc_lo
	v_lshlrev_b64 v[1:2], 3, v[112:113]
	s_delay_alu instid0(VALU_DEP_4) | instskip(SKIP_2) | instid1(VALU_DEP_4)
	v_add_co_u32 v64, vcc_lo, s4, v4
	v_add_co_ci_u32_e32 v65, vcc_lo, s5, v5, vcc_lo
	v_lshlrev_b64 v[4:5], 3, v[118:119]
	v_add_co_u32 v66, vcc_lo, s4, v1
	v_add_co_ci_u32_e32 v67, vcc_lo, s5, v2, vcc_lo
	v_lshlrev_b64 v[1:2], 3, v[116:117]
	s_waitcnt vmcnt(19)
	scratch_store_b128 off, v[68:71], off offset:48
	s_waitcnt vmcnt(17)
	scratch_store_b128 off, v[72:75], off offset:64
	s_clause 0x3
	global_load_b64 v[108:109], v[60:61], off
	global_load_b64 v[110:111], v[62:63], off
	;; [unrolled: 1-line block ×4, first 2 shown]
	v_add_co_u32 v68, vcc_lo, s4, v1
	v_add_co_ci_u32_e32 v69, vcc_lo, s5, v2, vcc_lo
	v_lshlrev_b64 v[1:2], 3, v[120:121]
	v_add_co_u32 v70, vcc_lo, s4, v4
	v_add_co_ci_u32_e32 v71, vcc_lo, s5, v5, vcc_lo
	v_lshlrev_b64 v[4:5], 3, v[122:123]
	s_delay_alu instid0(VALU_DEP_4) | instskip(SKIP_2) | instid1(VALU_DEP_4)
	v_add_co_u32 v72, vcc_lo, s4, v1
	v_add_co_ci_u32_e32 v73, vcc_lo, s5, v2, vcc_lo
	v_lshlrev_b64 v[1:2], 3, v[126:127]
	v_add_co_u32 v74, vcc_lo, s4, v4
	v_add_co_ci_u32_e32 v75, vcc_lo, s5, v5, vcc_lo
	s_waitcnt vmcnt(19)
	scratch_store_b128 off, v[76:79], off offset:80
	s_waitcnt vmcnt(17)
	scratch_store_b128 off, v[80:83], off offset:96
	v_lshlrev_b64 v[4:5], 3, v[128:129]
	s_clause 0x3
	global_load_b64 v[116:117], v[68:69], off
	global_load_b64 v[118:119], v[70:71], off
	;; [unrolled: 1-line block ×4, first 2 shown]
	v_add_co_u32 v76, vcc_lo, s4, v1
	v_add_co_ci_u32_e32 v77, vcc_lo, s5, v2, vcc_lo
	v_add_co_u32 v78, vcc_lo, s4, v4
	v_add_co_ci_u32_e32 v79, vcc_lo, s5, v5, vcc_lo
	s_waitcnt vmcnt(19)
	scratch_store_b128 off, v[84:87], off offset:112
	s_clause 0x1
	global_load_b64 v[126:127], v[76:77], off
	global_load_b64 v[128:129], v[78:79], off
	v_lshlrev_b64 v[1:2], 3, v[130:131]
	v_lshlrev_b64 v[4:5], 3, v[134:135]
	s_delay_alu instid0(VALU_DEP_2) | instskip(NEXT) | instid1(VALU_DEP_3)
	v_add_co_u32 v80, vcc_lo, s4, v1
	v_add_co_ci_u32_e32 v81, vcc_lo, s5, v2, vcc_lo
	v_lshlrev_b64 v[1:2], 3, v[132:133]
	global_load_b64 v[130:131], v[80:81], off
	v_add_co_u32 v82, vcc_lo, s4, v1
	v_add_co_ci_u32_e32 v83, vcc_lo, s5, v2, vcc_lo
	v_lshlrev_b64 v[1:2], 3, v[136:137]
	v_add_co_u32 v84, vcc_lo, s4, v4
	v_add_co_ci_u32_e32 v85, vcc_lo, s5, v5, vcc_lo
	v_lshlrev_b64 v[4:5], 3, v[138:139]
	s_delay_alu instid0(VALU_DEP_4)
	v_add_co_u32 v86, vcc_lo, s4, v1
	v_add_co_ci_u32_e32 v87, vcc_lo, s5, v2, vcc_lo
	v_lshlrev_b64 v[1:2], 3, v[140:141]
	s_waitcnt vmcnt(20)
	scratch_store_b128 off, v[88:91], off offset:128
	v_add_co_u32 v88, vcc_lo, s4, v4
	v_add_co_ci_u32_e32 v89, vcc_lo, s5, v5, vcc_lo
	v_lshlrev_b64 v[4:5], 3, v[142:143]
	v_add_co_u32 v90, vcc_lo, s4, v1
	v_add_co_ci_u32_e32 v91, vcc_lo, s5, v2, vcc_lo
	v_lshlrev_b64 v[1:2], 3, v[144:145]
	s_waitcnt vmcnt(17)
	scratch_store_b128 off, v[92:95], off offset:144
	s_waitcnt vmcnt(15)
	scratch_store_b128 off, v[96:99], off offset:160
	v_add_co_u32 v92, vcc_lo, s4, v4
	v_add_co_ci_u32_e32 v93, vcc_lo, s5, v5, vcc_lo
	v_lshlrev_b64 v[4:5], 3, v[146:147]
	v_add_co_u32 v94, vcc_lo, s4, v1
	v_add_co_ci_u32_e32 v95, vcc_lo, s5, v2, vcc_lo
	v_lshlrev_b64 v[1:2], 3, v[148:149]
	s_delay_alu instid0(VALU_DEP_4) | instskip(SKIP_2) | instid1(VALU_DEP_4)
	v_add_co_u32 v96, vcc_lo, s4, v4
	v_add_co_ci_u32_e32 v97, vcc_lo, s5, v5, vcc_lo
	v_lshlrev_b64 v[4:5], 3, v[150:151]
	v_add_co_u32 v98, vcc_lo, s4, v1
	v_add_co_ci_u32_e32 v99, vcc_lo, s5, v2, vcc_lo
	v_lshlrev_b64 v[1:2], 3, v[152:153]
	s_clause 0x3
	global_load_b64 v[132:133], v[82:83], off
	global_load_b64 v[134:135], v[84:85], off
	global_load_b64 v[136:137], v[86:87], off
	global_load_b64 v[138:139], v[88:89], off
	s_waitcnt vmcnt(17)
	scratch_store_b128 off, v[100:103], off offset:176
	s_waitcnt vmcnt(15)
	scratch_store_b128 off, v[104:107], off offset:192
	v_add_co_u32 v100, vcc_lo, s4, v4
	v_add_co_ci_u32_e32 v101, vcc_lo, s5, v5, vcc_lo
	v_lshlrev_b64 v[4:5], 3, v[154:155]
	v_add_co_u32 v102, vcc_lo, s4, v1
	v_add_co_ci_u32_e32 v103, vcc_lo, s5, v2, vcc_lo
	v_lshlrev_b64 v[1:2], 3, v[156:157]
	s_delay_alu instid0(VALU_DEP_4) | instskip(SKIP_2) | instid1(VALU_DEP_4)
	v_add_co_u32 v104, vcc_lo, s4, v4
	v_add_co_ci_u32_e32 v105, vcc_lo, s5, v5, vcc_lo
	v_lshlrev_b64 v[4:5], 3, v[158:159]
	v_add_co_u32 v106, vcc_lo, s4, v1
	v_add_co_ci_u32_e32 v107, vcc_lo, s5, v2, vcc_lo
	v_lshlrev_b64 v[1:2], 3, v[160:161]
	s_clause 0x3
	global_load_b64 v[140:141], v[90:91], off
	global_load_b64 v[142:143], v[92:93], off
	global_load_b64 v[144:145], v[94:95], off
	global_load_b64 v[146:147], v[96:97], off
	;; [unrolled: 22-line block ×3, first 2 shown]
	s_waitcnt vmcnt(17)
	scratch_store_b128 off, v[116:119], off offset:240
	s_waitcnt vmcnt(15)
	scratch_store_b128 off, v[120:123], off offset:256
	v_add_co_u32 v116, vcc_lo, s4, v4
	v_add_co_ci_u32_e32 v117, vcc_lo, s5, v5, vcc_lo
	v_lshlrev_b64 v[4:5], 3, v[170:171]
	v_add_co_u32 v118, vcc_lo, s4, v1
	v_add_co_ci_u32_e32 v119, vcc_lo, s5, v2, vcc_lo
	s_clause 0x3
	global_load_b64 v[156:157], v[106:107], off
	global_load_b64 v[158:159], v[108:109], off
	global_load_b64 v[160:161], v[110:111], off
	global_load_b64 v[162:163], v[112:113], off
	v_add_co_u32 v120, vcc_lo, s4, v4
	v_add_co_ci_u32_e32 v121, vcc_lo, s5, v5, vcc_lo
	s_waitcnt vmcnt(17)
	scratch_store_b128 off, v[126:129], off offset:272
	s_clause 0x3
	global_load_b64 v[164:165], v[114:115], off
	global_load_b64 v[126:127], v[116:117], off
	;; [unrolled: 1-line block ×4, first 2 shown]
	s_waitcnt vmcnt(19)
	scratch_store_b128 off, v[130:133], off offset:288
	s_waitcnt vmcnt(17)
	scratch_store_b128 off, v[134:137], off offset:304
	;; [unrolled: 2-line block ×11, first 2 shown]
	s_cbranch_scc1 .LBB121_240
; %bb.4:
	v_cmp_eq_u32_e64 s0, 0, v0
	s_delay_alu instid0(VALU_DEP_1)
	s_and_saveexec_b32 s1, s0
	s_cbranch_execz .LBB121_6
; %bb.5:
	v_mov_b32_e32 v1, 0
	ds_store_b32 v1, v1 offset:928
.LBB121_6:
	s_or_b32 exec_lo, exec_lo, s1
	s_waitcnt lgkmcnt(0)
	s_waitcnt_vscnt null, 0x0
	s_barrier
	buffer_gl0_inv
	scratch_load_b64 v[1:2], v3, off
	s_mov_b32 s4, exec_lo
	s_waitcnt vmcnt(0)
	v_cmpx_eq_f64_e32 0, v[1:2]
	s_cbranch_execz .LBB121_10
; %bb.7:
	v_mov_b32_e32 v1, 0
	s_mov_b32 s5, 0
	ds_load_b32 v2, v1 offset:928
	s_waitcnt lgkmcnt(0)
	v_readfirstlane_b32 s1, v2
	v_add_nc_u32_e32 v2, 1, v0
	s_delay_alu instid0(VALU_DEP_2) | instskip(NEXT) | instid1(VALU_DEP_1)
	s_cmp_eq_u32 s1, 0
	v_cmp_gt_i32_e32 vcc_lo, s1, v2
	s_cselect_b32 s10, -1, 0
	s_delay_alu instid0(SALU_CYCLE_1) | instskip(NEXT) | instid1(SALU_CYCLE_1)
	s_or_b32 s10, s10, vcc_lo
	s_and_b32 exec_lo, exec_lo, s10
	s_cbranch_execz .LBB121_10
; %bb.8:
	v_mov_b32_e32 v4, s1
.LBB121_9:                              ; =>This Inner Loop Header: Depth=1
	ds_cmpstore_rtn_b32 v4, v1, v2, v4 offset:928
	s_waitcnt lgkmcnt(0)
	v_cmp_ne_u32_e32 vcc_lo, 0, v4
	v_cmp_le_i32_e64 s1, v4, v2
	s_delay_alu instid0(VALU_DEP_1) | instskip(NEXT) | instid1(SALU_CYCLE_1)
	s_and_b32 s1, vcc_lo, s1
	s_and_b32 s1, exec_lo, s1
	s_delay_alu instid0(SALU_CYCLE_1) | instskip(NEXT) | instid1(SALU_CYCLE_1)
	s_or_b32 s5, s1, s5
	s_and_not1_b32 exec_lo, exec_lo, s5
	s_cbranch_execnz .LBB121_9
.LBB121_10:
	s_or_b32 exec_lo, exec_lo, s4
	v_mov_b32_e32 v1, 0
	s_barrier
	buffer_gl0_inv
	ds_load_b32 v2, v1 offset:928
	s_and_saveexec_b32 s1, s0
	s_cbranch_execz .LBB121_12
; %bb.11:
	s_lshl_b64 s[4:5], s[8:9], 2
	s_delay_alu instid0(SALU_CYCLE_1)
	s_add_u32 s4, s6, s4
	s_addc_u32 s5, s7, s5
	s_waitcnt lgkmcnt(0)
	global_store_b32 v1, v2, s[4:5]
.LBB121_12:
	s_or_b32 exec_lo, exec_lo, s1
	s_waitcnt lgkmcnt(0)
	v_cmp_ne_u32_e32 vcc_lo, 0, v2
	s_mov_b32 s1, 0
	s_cbranch_vccnz .LBB121_240
; %bb.13:
	v_add_nc_u32_e32 v4, 0, v3
	v_add_nc_u32_e32 v5, 0x1d0, v3
	scratch_load_b64 v[1:2], v4, off
	s_waitcnt vmcnt(0)
	v_div_scale_f64 v[122:123], null, v[1:2], v[1:2], 1.0
	v_div_scale_f64 v[128:129], vcc_lo, 1.0, v[1:2], 1.0
	s_delay_alu instid0(VALU_DEP_2) | instskip(SKIP_2) | instid1(VALU_DEP_1)
	v_rcp_f64_e32 v[124:125], v[122:123]
	s_waitcnt_depctr 0xfff
	v_fma_f64 v[126:127], -v[122:123], v[124:125], 1.0
	v_fma_f64 v[124:125], v[124:125], v[126:127], v[124:125]
	s_delay_alu instid0(VALU_DEP_1) | instskip(NEXT) | instid1(VALU_DEP_1)
	v_fma_f64 v[126:127], -v[122:123], v[124:125], 1.0
	v_fma_f64 v[124:125], v[124:125], v[126:127], v[124:125]
	s_delay_alu instid0(VALU_DEP_1) | instskip(NEXT) | instid1(VALU_DEP_1)
	v_mul_f64 v[126:127], v[128:129], v[124:125]
	v_fma_f64 v[122:123], -v[122:123], v[126:127], v[128:129]
	s_delay_alu instid0(VALU_DEP_1) | instskip(NEXT) | instid1(VALU_DEP_1)
	v_div_fmas_f64 v[122:123], v[122:123], v[124:125], v[126:127]
	v_div_fixup_f64 v[1:2], v[122:123], v[1:2], 1.0
	scratch_store_b64 v4, v[1:2], off
	scratch_load_b64 v[122:123], off, off offset:8
	v_xor_b32_e32 v2, 0x80000000, v2
	s_waitcnt vmcnt(0)
	ds_store_2addr_b64 v3, v[1:2], v[122:123] offset1:58
	s_waitcnt lgkmcnt(0)
	s_waitcnt_vscnt null, 0x0
	s_barrier
	buffer_gl0_inv
	s_and_saveexec_b32 s1, s0
	s_cbranch_execz .LBB121_15
; %bb.14:
	scratch_load_b64 v[1:2], v4, off
	ds_load_b64 v[122:123], v5
	s_waitcnt vmcnt(0) lgkmcnt(0)
	v_fma_f64 v[1:2], v[1:2], v[122:123], 0
	v_mov_b32_e32 v122, 0
	ds_load_b64 v[122:123], v122 offset:8
	s_waitcnt lgkmcnt(0)
	v_mul_f64 v[1:2], v[1:2], v[122:123]
	scratch_store_b64 off, v[1:2], off offset:8
.LBB121_15:
	s_or_b32 exec_lo, exec_lo, s1
	s_waitcnt_vscnt null, 0x0
	s_barrier
	buffer_gl0_inv
	scratch_load_b64 v[1:2], off, off offset:16
	s_mov_b32 s1, exec_lo
	s_waitcnt vmcnt(0)
	ds_store_b64 v5, v[1:2]
	s_waitcnt lgkmcnt(0)
	s_barrier
	buffer_gl0_inv
	v_cmpx_gt_u32_e32 2, v0
	s_cbranch_execz .LBB121_19
; %bb.16:
	scratch_load_b64 v[1:2], v4, off
	ds_load_b64 v[122:123], v5
	s_waitcnt vmcnt(0) lgkmcnt(0)
	v_fma_f64 v[1:2], v[1:2], v[122:123], 0
	s_and_saveexec_b32 s4, s0
	s_cbranch_execz .LBB121_18
; %bb.17:
	scratch_load_b64 v[122:123], off, off offset:8
	v_mov_b32_e32 v124, 0
	ds_load_b64 v[124:125], v124 offset:472
	s_waitcnt vmcnt(0) lgkmcnt(0)
	v_fma_f64 v[1:2], v[122:123], v[124:125], v[1:2]
.LBB121_18:
	s_or_b32 exec_lo, exec_lo, s4
	v_mov_b32_e32 v122, 0
	ds_load_b64 v[122:123], v122 offset:16
	s_waitcnt lgkmcnt(0)
	v_mul_f64 v[1:2], v[1:2], v[122:123]
	scratch_store_b64 off, v[1:2], off offset:16
.LBB121_19:
	s_or_b32 exec_lo, exec_lo, s1
	s_waitcnt_vscnt null, 0x0
	s_barrier
	buffer_gl0_inv
	scratch_load_b64 v[1:2], off, off offset:24
	v_add_nc_u32_e32 v122, -1, v0
	s_mov_b32 s0, exec_lo
	s_waitcnt vmcnt(0)
	ds_store_b64 v5, v[1:2]
	s_waitcnt lgkmcnt(0)
	s_barrier
	buffer_gl0_inv
	v_cmpx_gt_u32_e32 3, v0
	s_cbranch_execz .LBB121_23
; %bb.20:
	v_dual_mov_b32 v1, 0 :: v_dual_add_nc_u32 v124, 0x1d0, v3
	v_dual_mov_b32 v2, 0 :: v_dual_add_nc_u32 v123, -1, v0
	v_add_nc_u32_e32 v125, 0, v3
	s_mov_b32 s1, 0
.LBB121_21:                             ; =>This Inner Loop Header: Depth=1
	scratch_load_b64 v[126:127], v125, off
	ds_load_b64 v[128:129], v124
	v_add_nc_u32_e32 v123, 1, v123
	v_add_nc_u32_e32 v124, 8, v124
	v_add_nc_u32_e32 v125, 8, v125
	s_delay_alu instid0(VALU_DEP_3)
	v_cmp_lt_u32_e32 vcc_lo, 1, v123
	s_or_b32 s1, vcc_lo, s1
	s_waitcnt vmcnt(0) lgkmcnt(0)
	v_fma_f64 v[1:2], v[126:127], v[128:129], v[1:2]
	s_and_not1_b32 exec_lo, exec_lo, s1
	s_cbranch_execnz .LBB121_21
; %bb.22:
	s_or_b32 exec_lo, exec_lo, s1
	v_mov_b32_e32 v123, 0
	ds_load_b64 v[123:124], v123 offset:24
	s_waitcnt lgkmcnt(0)
	v_mul_f64 v[1:2], v[1:2], v[123:124]
	scratch_store_b64 off, v[1:2], off offset:24
.LBB121_23:
	s_or_b32 exec_lo, exec_lo, s0
	s_waitcnt_vscnt null, 0x0
	s_barrier
	buffer_gl0_inv
	scratch_load_b64 v[1:2], off, off offset:32
	s_mov_b32 s0, exec_lo
	s_waitcnt vmcnt(0)
	ds_store_b64 v5, v[1:2]
	s_waitcnt lgkmcnt(0)
	s_barrier
	buffer_gl0_inv
	v_cmpx_gt_u32_e32 4, v0
	s_cbranch_execz .LBB121_27
; %bb.24:
	v_dual_mov_b32 v1, 0 :: v_dual_add_nc_u32 v124, 0x1d0, v3
	v_dual_mov_b32 v2, 0 :: v_dual_add_nc_u32 v123, -1, v0
	v_add_nc_u32_e32 v125, 0, v3
	s_mov_b32 s1, 0
.LBB121_25:                             ; =>This Inner Loop Header: Depth=1
	scratch_load_b64 v[126:127], v125, off
	ds_load_b64 v[128:129], v124
	v_add_nc_u32_e32 v123, 1, v123
	v_add_nc_u32_e32 v124, 8, v124
	v_add_nc_u32_e32 v125, 8, v125
	s_delay_alu instid0(VALU_DEP_3)
	v_cmp_lt_u32_e32 vcc_lo, 2, v123
	s_or_b32 s1, vcc_lo, s1
	s_waitcnt vmcnt(0) lgkmcnt(0)
	v_fma_f64 v[1:2], v[126:127], v[128:129], v[1:2]
	s_and_not1_b32 exec_lo, exec_lo, s1
	s_cbranch_execnz .LBB121_25
; %bb.26:
	s_or_b32 exec_lo, exec_lo, s1
	v_mov_b32_e32 v123, 0
	ds_load_b64 v[123:124], v123 offset:32
	s_waitcnt lgkmcnt(0)
	v_mul_f64 v[1:2], v[1:2], v[123:124]
	scratch_store_b64 off, v[1:2], off offset:32
.LBB121_27:
	s_or_b32 exec_lo, exec_lo, s0
	s_waitcnt_vscnt null, 0x0
	s_barrier
	buffer_gl0_inv
	scratch_load_b64 v[1:2], off, off offset:40
	;; [unrolled: 39-line block ×20, first 2 shown]
	s_mov_b32 s0, exec_lo
	s_waitcnt vmcnt(0)
	ds_store_b64 v5, v[1:2]
	s_waitcnt lgkmcnt(0)
	s_barrier
	buffer_gl0_inv
	v_cmpx_gt_u32_e32 23, v0
	s_cbranch_execz .LBB121_103
; %bb.100:
	v_dual_mov_b32 v1, 0 :: v_dual_add_nc_u32 v124, 0x1d0, v3
	v_dual_mov_b32 v2, 0 :: v_dual_add_nc_u32 v123, -1, v0
	v_add_nc_u32_e32 v125, 0, v3
	s_mov_b32 s1, 0
.LBB121_101:                            ; =>This Inner Loop Header: Depth=1
	scratch_load_b64 v[126:127], v125, off
	ds_load_b64 v[128:129], v124
	v_add_nc_u32_e32 v123, 1, v123
	v_add_nc_u32_e32 v124, 8, v124
	v_add_nc_u32_e32 v125, 8, v125
	s_delay_alu instid0(VALU_DEP_3)
	v_cmp_lt_u32_e32 vcc_lo, 21, v123
	s_or_b32 s1, vcc_lo, s1
	s_waitcnt vmcnt(0) lgkmcnt(0)
	v_fma_f64 v[1:2], v[126:127], v[128:129], v[1:2]
	s_and_not1_b32 exec_lo, exec_lo, s1
	s_cbranch_execnz .LBB121_101
; %bb.102:
	s_or_b32 exec_lo, exec_lo, s1
	v_mov_b32_e32 v123, 0
	ds_load_b64 v[123:124], v123 offset:184
	s_waitcnt lgkmcnt(0)
	v_mul_f64 v[1:2], v[1:2], v[123:124]
	scratch_store_b64 off, v[1:2], off offset:184
.LBB121_103:
	s_or_b32 exec_lo, exec_lo, s0
	s_waitcnt_vscnt null, 0x0
	s_barrier
	buffer_gl0_inv
	scratch_load_b64 v[1:2], off, off offset:192
	s_mov_b32 s0, exec_lo
	s_waitcnt vmcnt(0)
	ds_store_b64 v5, v[1:2]
	s_waitcnt lgkmcnt(0)
	s_barrier
	buffer_gl0_inv
	v_cmpx_gt_u32_e32 24, v0
	s_cbranch_execz .LBB121_107
; %bb.104:
	v_dual_mov_b32 v1, 0 :: v_dual_add_nc_u32 v124, 0x1d0, v3
	v_dual_mov_b32 v2, 0 :: v_dual_add_nc_u32 v123, -1, v0
	v_add_nc_u32_e32 v125, 0, v3
	s_mov_b32 s1, 0
.LBB121_105:                            ; =>This Inner Loop Header: Depth=1
	scratch_load_b64 v[126:127], v125, off
	ds_load_b64 v[128:129], v124
	v_add_nc_u32_e32 v123, 1, v123
	v_add_nc_u32_e32 v124, 8, v124
	v_add_nc_u32_e32 v125, 8, v125
	s_delay_alu instid0(VALU_DEP_3)
	v_cmp_lt_u32_e32 vcc_lo, 22, v123
	s_or_b32 s1, vcc_lo, s1
	s_waitcnt vmcnt(0) lgkmcnt(0)
	v_fma_f64 v[1:2], v[126:127], v[128:129], v[1:2]
	s_and_not1_b32 exec_lo, exec_lo, s1
	s_cbranch_execnz .LBB121_105
; %bb.106:
	s_or_b32 exec_lo, exec_lo, s1
	v_mov_b32_e32 v123, 0
	ds_load_b64 v[123:124], v123 offset:192
	s_waitcnt lgkmcnt(0)
	v_mul_f64 v[1:2], v[1:2], v[123:124]
	scratch_store_b64 off, v[1:2], off offset:192
.LBB121_107:
	s_or_b32 exec_lo, exec_lo, s0
	s_waitcnt_vscnt null, 0x0
	s_barrier
	buffer_gl0_inv
	scratch_load_b64 v[1:2], off, off offset:200
	;; [unrolled: 39-line block ×34, first 2 shown]
	s_mov_b32 s0, exec_lo
	s_waitcnt vmcnt(0)
	ds_store_b64 v5, v[1:2]
	s_waitcnt lgkmcnt(0)
	s_barrier
	buffer_gl0_inv
	v_cmpx_ne_u32_e32 57, v0
	s_cbranch_execz .LBB121_239
; %bb.236:
	v_mov_b32_e32 v1, 0
	v_mov_b32_e32 v2, 0
	s_mov_b32 s1, 0
.LBB121_237:                            ; =>This Inner Loop Header: Depth=1
	scratch_load_b64 v[123:124], v4, off
	ds_load_b64 v[125:126], v5
	v_add_nc_u32_e32 v122, 1, v122
	v_add_nc_u32_e32 v5, 8, v5
	;; [unrolled: 1-line block ×3, first 2 shown]
	s_delay_alu instid0(VALU_DEP_3)
	v_cmp_lt_u32_e32 vcc_lo, 55, v122
	s_or_b32 s1, vcc_lo, s1
	s_waitcnt vmcnt(0) lgkmcnt(0)
	v_fma_f64 v[1:2], v[123:124], v[125:126], v[1:2]
	s_and_not1_b32 exec_lo, exec_lo, s1
	s_cbranch_execnz .LBB121_237
; %bb.238:
	s_or_b32 exec_lo, exec_lo, s1
	v_mov_b32_e32 v3, 0
	ds_load_b64 v[3:4], v3 offset:456
	s_waitcnt lgkmcnt(0)
	v_mul_f64 v[1:2], v[1:2], v[3:4]
	scratch_store_b64 off, v[1:2], off offset:456
.LBB121_239:
	s_or_b32 exec_lo, exec_lo, s0
	s_mov_b32 s1, -1
	s_waitcnt_vscnt null, 0x0
	s_barrier
	buffer_gl0_inv
.LBB121_240:
	s_and_b32 vcc_lo, exec_lo, s1
	s_cbranch_vccz .LBB121_242
; %bb.241:
	s_lshl_b64 s[0:1], s[8:9], 2
	v_mov_b32_e32 v1, 0
	s_add_u32 s0, s6, s0
	s_addc_u32 s1, s7, s1
	global_load_b32 v1, v1, s[0:1]
	s_waitcnt vmcnt(0)
	v_cmp_ne_u32_e32 vcc_lo, 0, v1
	s_cbranch_vccz .LBB121_243
.LBB121_242:
	s_endpgm
.LBB121_243:
	v_lshl_add_u32 v5, v0, 3, 0x1d0
	s_mov_b32 s0, exec_lo
	v_cmpx_eq_u32_e32 57, v0
	s_cbranch_execz .LBB121_245
; %bb.244:
	scratch_load_b64 v[1:2], off, off offset:448
	v_mov_b32_e32 v3, 0
	s_delay_alu instid0(VALU_DEP_1)
	v_mov_b32_e32 v4, v3
	scratch_store_b64 off, v[3:4], off offset:448
	s_waitcnt vmcnt(0)
	ds_store_b64 v5, v[1:2]
.LBB121_245:
	s_or_b32 exec_lo, exec_lo, s0
	s_waitcnt lgkmcnt(0)
	s_waitcnt_vscnt null, 0x0
	s_barrier
	buffer_gl0_inv
	scratch_load_b128 v[122:125], off, off offset:448
	v_mov_b32_e32 v1, 0
	s_mov_b32 s0, exec_lo
	ds_load_b64 v[2:3], v1 offset:920
	s_waitcnt vmcnt(0) lgkmcnt(0)
	v_fma_f64 v[2:3], v[124:125], v[2:3], 0
	s_delay_alu instid0(VALU_DEP_1)
	v_add_f64 v[2:3], v[122:123], -v[2:3]
	scratch_store_b64 off, v[2:3], off offset:448
	v_cmpx_lt_u32_e32 55, v0
	s_cbranch_execz .LBB121_247
; %bb.246:
	scratch_load_b64 v[3:4], off, off offset:440
	v_mov_b32_e32 v2, v1
	scratch_store_b64 off, v[1:2], off offset:440
	s_waitcnt vmcnt(0)
	ds_store_b64 v5, v[3:4]
.LBB121_247:
	s_or_b32 exec_lo, exec_lo, s0
	s_waitcnt lgkmcnt(0)
	s_waitcnt_vscnt null, 0x0
	s_barrier
	buffer_gl0_inv
	s_clause 0x1
	scratch_load_b128 v[122:125], off, off offset:440
	scratch_load_b64 v[126:127], off, off offset:456
	ds_load_b128 v[1:4], v1 offset:912
	s_mov_b32 s0, exec_lo
	s_waitcnt vmcnt(1) lgkmcnt(0)
	v_fma_f64 v[1:2], v[124:125], v[1:2], 0
	s_waitcnt vmcnt(0)
	s_delay_alu instid0(VALU_DEP_1) | instskip(NEXT) | instid1(VALU_DEP_1)
	v_fma_f64 v[1:2], v[126:127], v[3:4], v[1:2]
	v_add_f64 v[1:2], v[122:123], -v[1:2]
	scratch_store_b64 off, v[1:2], off offset:440
	v_cmpx_lt_u32_e32 54, v0
	s_cbranch_execz .LBB121_249
; %bb.248:
	scratch_load_b64 v[1:2], off, off offset:432
	v_mov_b32_e32 v3, 0
	s_delay_alu instid0(VALU_DEP_1)
	v_mov_b32_e32 v4, v3
	scratch_store_b64 off, v[3:4], off offset:432
	s_waitcnt vmcnt(0)
	ds_store_b64 v5, v[1:2]
.LBB121_249:
	s_or_b32 exec_lo, exec_lo, s0
	s_waitcnt lgkmcnt(0)
	s_waitcnt_vscnt null, 0x0
	s_barrier
	buffer_gl0_inv
	s_clause 0x1
	scratch_load_b128 v[122:125], off, off offset:432
	scratch_load_b128 v[126:129], off, off offset:448
	v_mov_b32_e32 v1, 0
	ds_load_2addr_b64 v[130:133], v1 offset0:113 offset1:114
	ds_load_b64 v[2:3], v1 offset:920
	s_mov_b32 s0, exec_lo
	s_waitcnt vmcnt(1) lgkmcnt(1)
	v_fma_f64 v[124:125], v[124:125], v[130:131], 0
	s_waitcnt vmcnt(0)
	s_delay_alu instid0(VALU_DEP_1) | instskip(SKIP_1) | instid1(VALU_DEP_1)
	v_fma_f64 v[124:125], v[126:127], v[132:133], v[124:125]
	s_waitcnt lgkmcnt(0)
	v_fma_f64 v[2:3], v[128:129], v[2:3], v[124:125]
	s_delay_alu instid0(VALU_DEP_1)
	v_add_f64 v[2:3], v[122:123], -v[2:3]
	scratch_store_b64 off, v[2:3], off offset:432
	v_cmpx_lt_u32_e32 53, v0
	s_cbranch_execz .LBB121_251
; %bb.250:
	scratch_load_b64 v[3:4], off, off offset:424
	v_mov_b32_e32 v2, v1
	scratch_store_b64 off, v[1:2], off offset:424
	s_waitcnt vmcnt(0)
	ds_store_b64 v5, v[3:4]
.LBB121_251:
	s_or_b32 exec_lo, exec_lo, s0
	s_waitcnt lgkmcnt(0)
	s_waitcnt_vscnt null, 0x0
	s_barrier
	buffer_gl0_inv
	s_clause 0x2
	scratch_load_b128 v[122:125], off, off offset:424
	scratch_load_b128 v[126:129], off, off offset:440
	scratch_load_b64 v[134:135], off, off offset:456
	ds_load_b128 v[130:133], v1 offset:896
	ds_load_b128 v[1:4], v1 offset:912
	s_mov_b32 s0, exec_lo
	s_waitcnt vmcnt(2) lgkmcnt(1)
	v_fma_f64 v[124:125], v[124:125], v[130:131], 0
	s_waitcnt vmcnt(1)
	s_delay_alu instid0(VALU_DEP_1) | instskip(SKIP_1) | instid1(VALU_DEP_1)
	v_fma_f64 v[124:125], v[126:127], v[132:133], v[124:125]
	s_waitcnt lgkmcnt(0)
	v_fma_f64 v[1:2], v[128:129], v[1:2], v[124:125]
	s_waitcnt vmcnt(0)
	s_delay_alu instid0(VALU_DEP_1) | instskip(NEXT) | instid1(VALU_DEP_1)
	v_fma_f64 v[1:2], v[134:135], v[3:4], v[1:2]
	v_add_f64 v[1:2], v[122:123], -v[1:2]
	scratch_store_b64 off, v[1:2], off offset:424
	v_cmpx_lt_u32_e32 52, v0
	s_cbranch_execz .LBB121_253
; %bb.252:
	scratch_load_b64 v[1:2], off, off offset:416
	v_mov_b32_e32 v3, 0
	s_delay_alu instid0(VALU_DEP_1)
	v_mov_b32_e32 v4, v3
	scratch_store_b64 off, v[3:4], off offset:416
	s_waitcnt vmcnt(0)
	ds_store_b64 v5, v[1:2]
.LBB121_253:
	s_or_b32 exec_lo, exec_lo, s0
	s_waitcnt lgkmcnt(0)
	s_waitcnt_vscnt null, 0x0
	s_barrier
	buffer_gl0_inv
	s_clause 0x2
	scratch_load_b128 v[122:125], off, off offset:416
	scratch_load_b128 v[126:129], off, off offset:432
	;; [unrolled: 1-line block ×3, first 2 shown]
	v_mov_b32_e32 v1, 0
	ds_load_2addr_b64 v[134:137], v1 offset0:111 offset1:112
	ds_load_2addr_b64 v[138:141], v1 offset0:113 offset1:114
	s_mov_b32 s0, exec_lo
	s_waitcnt vmcnt(2) lgkmcnt(1)
	v_fma_f64 v[2:3], v[124:125], v[134:135], 0
	ds_load_b64 v[124:125], v1 offset:920
	s_waitcnt vmcnt(1)
	v_fma_f64 v[2:3], v[126:127], v[136:137], v[2:3]
	s_waitcnt lgkmcnt(1)
	s_delay_alu instid0(VALU_DEP_1) | instskip(SKIP_1) | instid1(VALU_DEP_1)
	v_fma_f64 v[2:3], v[128:129], v[138:139], v[2:3]
	s_waitcnt vmcnt(0)
	v_fma_f64 v[2:3], v[130:131], v[140:141], v[2:3]
	s_waitcnt lgkmcnt(0)
	s_delay_alu instid0(VALU_DEP_1) | instskip(NEXT) | instid1(VALU_DEP_1)
	v_fma_f64 v[2:3], v[132:133], v[124:125], v[2:3]
	v_add_f64 v[2:3], v[122:123], -v[2:3]
	scratch_store_b64 off, v[2:3], off offset:416
	v_cmpx_lt_u32_e32 51, v0
	s_cbranch_execz .LBB121_255
; %bb.254:
	scratch_load_b64 v[3:4], off, off offset:408
	v_mov_b32_e32 v2, v1
	scratch_store_b64 off, v[1:2], off offset:408
	s_waitcnt vmcnt(0)
	ds_store_b64 v5, v[3:4]
.LBB121_255:
	s_or_b32 exec_lo, exec_lo, s0
	s_waitcnt lgkmcnt(0)
	s_waitcnt_vscnt null, 0x0
	s_barrier
	buffer_gl0_inv
	s_clause 0x3
	scratch_load_b128 v[122:125], off, off offset:408
	scratch_load_b128 v[126:129], off, off offset:424
	;; [unrolled: 1-line block ×3, first 2 shown]
	scratch_load_b64 v[142:143], off, off offset:456
	ds_load_b128 v[134:137], v1 offset:880
	ds_load_b128 v[138:141], v1 offset:896
	s_mov_b32 s0, exec_lo
	s_waitcnt vmcnt(3) lgkmcnt(1)
	v_fma_f64 v[2:3], v[124:125], v[134:135], 0
	s_waitcnt vmcnt(2)
	s_delay_alu instid0(VALU_DEP_1) | instskip(SKIP_1) | instid1(VALU_DEP_1)
	v_fma_f64 v[2:3], v[126:127], v[136:137], v[2:3]
	s_waitcnt lgkmcnt(0)
	v_fma_f64 v[2:3], v[128:129], v[138:139], v[2:3]
	s_waitcnt vmcnt(1)
	s_delay_alu instid0(VALU_DEP_1) | instskip(SKIP_4) | instid1(VALU_DEP_1)
	v_fma_f64 v[124:125], v[130:131], v[140:141], v[2:3]
	ds_load_b128 v[1:4], v1 offset:912
	s_waitcnt lgkmcnt(0)
	v_fma_f64 v[1:2], v[132:133], v[1:2], v[124:125]
	s_waitcnt vmcnt(0)
	v_fma_f64 v[1:2], v[142:143], v[3:4], v[1:2]
	s_delay_alu instid0(VALU_DEP_1)
	v_add_f64 v[1:2], v[122:123], -v[1:2]
	scratch_store_b64 off, v[1:2], off offset:408
	v_cmpx_lt_u32_e32 50, v0
	s_cbranch_execz .LBB121_257
; %bb.256:
	scratch_load_b64 v[1:2], off, off offset:400
	v_mov_b32_e32 v3, 0
	s_delay_alu instid0(VALU_DEP_1)
	v_mov_b32_e32 v4, v3
	scratch_store_b64 off, v[3:4], off offset:400
	s_waitcnt vmcnt(0)
	ds_store_b64 v5, v[1:2]
.LBB121_257:
	s_or_b32 exec_lo, exec_lo, s0
	s_waitcnt lgkmcnt(0)
	s_waitcnt_vscnt null, 0x0
	s_barrier
	buffer_gl0_inv
	s_clause 0x3
	scratch_load_b128 v[122:125], off, off offset:400
	scratch_load_b128 v[126:129], off, off offset:416
	;; [unrolled: 1-line block ×4, first 2 shown]
	v_mov_b32_e32 v1, 0
	s_mov_b32 s0, exec_lo
	ds_load_2addr_b64 v[138:141], v1 offset0:109 offset1:110
	s_waitcnt vmcnt(3) lgkmcnt(0)
	v_fma_f64 v[2:3], v[124:125], v[138:139], 0
	s_waitcnt vmcnt(2)
	s_delay_alu instid0(VALU_DEP_1) | instskip(SKIP_4) | instid1(VALU_DEP_1)
	v_fma_f64 v[2:3], v[126:127], v[140:141], v[2:3]
	ds_load_2addr_b64 v[124:127], v1 offset0:111 offset1:112
	s_waitcnt lgkmcnt(0)
	v_fma_f64 v[2:3], v[128:129], v[124:125], v[2:3]
	s_waitcnt vmcnt(1)
	v_fma_f64 v[2:3], v[130:131], v[126:127], v[2:3]
	ds_load_2addr_b64 v[124:127], v1 offset0:113 offset1:114
	s_waitcnt lgkmcnt(0)
	v_fma_f64 v[2:3], v[132:133], v[124:125], v[2:3]
	ds_load_b64 v[124:125], v1 offset:920
	s_waitcnt vmcnt(0)
	v_fma_f64 v[2:3], v[134:135], v[126:127], v[2:3]
	s_waitcnt lgkmcnt(0)
	s_delay_alu instid0(VALU_DEP_1) | instskip(NEXT) | instid1(VALU_DEP_1)
	v_fma_f64 v[2:3], v[136:137], v[124:125], v[2:3]
	v_add_f64 v[2:3], v[122:123], -v[2:3]
	scratch_store_b64 off, v[2:3], off offset:400
	v_cmpx_lt_u32_e32 49, v0
	s_cbranch_execz .LBB121_259
; %bb.258:
	scratch_load_b64 v[3:4], off, off offset:392
	v_mov_b32_e32 v2, v1
	scratch_store_b64 off, v[1:2], off offset:392
	s_waitcnt vmcnt(0)
	ds_store_b64 v5, v[3:4]
.LBB121_259:
	s_or_b32 exec_lo, exec_lo, s0
	s_waitcnt lgkmcnt(0)
	s_waitcnt_vscnt null, 0x0
	s_barrier
	buffer_gl0_inv
	s_clause 0x4
	scratch_load_b128 v[122:125], off, off offset:392
	scratch_load_b128 v[126:129], off, off offset:408
	;; [unrolled: 1-line block ×4, first 2 shown]
	scratch_load_b64 v[142:143], off, off offset:456
	ds_load_b128 v[138:141], v1 offset:864
	s_mov_b32 s0, exec_lo
	s_waitcnt vmcnt(4) lgkmcnt(0)
	v_fma_f64 v[2:3], v[124:125], v[138:139], 0
	s_waitcnt vmcnt(3)
	s_delay_alu instid0(VALU_DEP_1) | instskip(SKIP_4) | instid1(VALU_DEP_1)
	v_fma_f64 v[2:3], v[126:127], v[140:141], v[2:3]
	ds_load_b128 v[124:127], v1 offset:880
	s_waitcnt lgkmcnt(0)
	v_fma_f64 v[2:3], v[128:129], v[124:125], v[2:3]
	s_waitcnt vmcnt(2)
	v_fma_f64 v[2:3], v[130:131], v[126:127], v[2:3]
	ds_load_b128 v[124:127], v1 offset:896
	s_waitcnt lgkmcnt(0)
	v_fma_f64 v[2:3], v[132:133], v[124:125], v[2:3]
	s_waitcnt vmcnt(1)
	s_delay_alu instid0(VALU_DEP_1) | instskip(SKIP_4) | instid1(VALU_DEP_1)
	v_fma_f64 v[124:125], v[134:135], v[126:127], v[2:3]
	ds_load_b128 v[1:4], v1 offset:912
	s_waitcnt lgkmcnt(0)
	v_fma_f64 v[1:2], v[136:137], v[1:2], v[124:125]
	s_waitcnt vmcnt(0)
	v_fma_f64 v[1:2], v[142:143], v[3:4], v[1:2]
	s_delay_alu instid0(VALU_DEP_1)
	v_add_f64 v[1:2], v[122:123], -v[1:2]
	scratch_store_b64 off, v[1:2], off offset:392
	v_cmpx_lt_u32_e32 48, v0
	s_cbranch_execz .LBB121_261
; %bb.260:
	scratch_load_b64 v[1:2], off, off offset:384
	v_mov_b32_e32 v3, 0
	s_delay_alu instid0(VALU_DEP_1)
	v_mov_b32_e32 v4, v3
	scratch_store_b64 off, v[3:4], off offset:384
	s_waitcnt vmcnt(0)
	ds_store_b64 v5, v[1:2]
.LBB121_261:
	s_or_b32 exec_lo, exec_lo, s0
	s_waitcnt lgkmcnt(0)
	s_waitcnt_vscnt null, 0x0
	s_barrier
	buffer_gl0_inv
	s_clause 0x4
	scratch_load_b128 v[122:125], off, off offset:384
	scratch_load_b128 v[126:129], off, off offset:400
	;; [unrolled: 1-line block ×5, first 2 shown]
	v_mov_b32_e32 v1, 0
	s_mov_b32 s0, exec_lo
	ds_load_2addr_b64 v[142:145], v1 offset0:107 offset1:108
	s_waitcnt vmcnt(4) lgkmcnt(0)
	v_fma_f64 v[2:3], v[124:125], v[142:143], 0
	s_waitcnt vmcnt(3)
	s_delay_alu instid0(VALU_DEP_1) | instskip(SKIP_4) | instid1(VALU_DEP_1)
	v_fma_f64 v[2:3], v[126:127], v[144:145], v[2:3]
	ds_load_2addr_b64 v[124:127], v1 offset0:109 offset1:110
	s_waitcnt lgkmcnt(0)
	v_fma_f64 v[2:3], v[128:129], v[124:125], v[2:3]
	s_waitcnt vmcnt(2)
	v_fma_f64 v[2:3], v[130:131], v[126:127], v[2:3]
	ds_load_2addr_b64 v[124:127], v1 offset0:111 offset1:112
	s_waitcnt lgkmcnt(0)
	v_fma_f64 v[2:3], v[132:133], v[124:125], v[2:3]
	s_waitcnt vmcnt(1)
	s_delay_alu instid0(VALU_DEP_1)
	v_fma_f64 v[2:3], v[134:135], v[126:127], v[2:3]
	ds_load_2addr_b64 v[124:127], v1 offset0:113 offset1:114
	s_waitcnt lgkmcnt(0)
	v_fma_f64 v[2:3], v[136:137], v[124:125], v[2:3]
	ds_load_b64 v[124:125], v1 offset:920
	s_waitcnt vmcnt(0)
	v_fma_f64 v[2:3], v[138:139], v[126:127], v[2:3]
	s_waitcnt lgkmcnt(0)
	s_delay_alu instid0(VALU_DEP_1) | instskip(NEXT) | instid1(VALU_DEP_1)
	v_fma_f64 v[2:3], v[140:141], v[124:125], v[2:3]
	v_add_f64 v[2:3], v[122:123], -v[2:3]
	scratch_store_b64 off, v[2:3], off offset:384
	v_cmpx_lt_u32_e32 47, v0
	s_cbranch_execz .LBB121_263
; %bb.262:
	scratch_load_b64 v[3:4], off, off offset:376
	v_mov_b32_e32 v2, v1
	scratch_store_b64 off, v[1:2], off offset:376
	s_waitcnt vmcnt(0)
	ds_store_b64 v5, v[3:4]
.LBB121_263:
	s_or_b32 exec_lo, exec_lo, s0
	s_waitcnt lgkmcnt(0)
	s_waitcnt_vscnt null, 0x0
	s_barrier
	buffer_gl0_inv
	s_clause 0x4
	scratch_load_b128 v[122:125], off, off offset:376
	scratch_load_b128 v[126:129], off, off offset:392
	;; [unrolled: 1-line block ×5, first 2 shown]
	ds_load_b128 v[142:145], v1 offset:848
	ds_load_b128 v[146:149], v1 offset:864
	s_mov_b32 s0, exec_lo
	s_waitcnt vmcnt(4) lgkmcnt(1)
	v_fma_f64 v[2:3], v[124:125], v[142:143], 0
	scratch_load_b64 v[142:143], off, off offset:456
	s_waitcnt vmcnt(4)
	v_fma_f64 v[2:3], v[126:127], v[144:145], v[2:3]
	s_waitcnt lgkmcnt(0)
	s_delay_alu instid0(VALU_DEP_1) | instskip(SKIP_1) | instid1(VALU_DEP_1)
	v_fma_f64 v[2:3], v[128:129], v[146:147], v[2:3]
	s_waitcnt vmcnt(3)
	v_fma_f64 v[2:3], v[130:131], v[148:149], v[2:3]
	ds_load_b128 v[124:127], v1 offset:880
	ds_load_b128 v[128:131], v1 offset:896
	s_waitcnt lgkmcnt(1)
	v_fma_f64 v[2:3], v[132:133], v[124:125], v[2:3]
	s_waitcnt vmcnt(2)
	s_delay_alu instid0(VALU_DEP_1) | instskip(SKIP_1) | instid1(VALU_DEP_1)
	v_fma_f64 v[2:3], v[134:135], v[126:127], v[2:3]
	s_waitcnt lgkmcnt(0)
	v_fma_f64 v[2:3], v[136:137], v[128:129], v[2:3]
	s_waitcnt vmcnt(1)
	s_delay_alu instid0(VALU_DEP_1) | instskip(SKIP_4) | instid1(VALU_DEP_1)
	v_fma_f64 v[124:125], v[138:139], v[130:131], v[2:3]
	ds_load_b128 v[1:4], v1 offset:912
	s_waitcnt lgkmcnt(0)
	v_fma_f64 v[1:2], v[140:141], v[1:2], v[124:125]
	s_waitcnt vmcnt(0)
	v_fma_f64 v[1:2], v[142:143], v[3:4], v[1:2]
	s_delay_alu instid0(VALU_DEP_1)
	v_add_f64 v[1:2], v[122:123], -v[1:2]
	scratch_store_b64 off, v[1:2], off offset:376
	v_cmpx_lt_u32_e32 46, v0
	s_cbranch_execz .LBB121_265
; %bb.264:
	scratch_load_b64 v[1:2], off, off offset:368
	v_mov_b32_e32 v3, 0
	s_delay_alu instid0(VALU_DEP_1)
	v_mov_b32_e32 v4, v3
	scratch_store_b64 off, v[3:4], off offset:368
	s_waitcnt vmcnt(0)
	ds_store_b64 v5, v[1:2]
.LBB121_265:
	s_or_b32 exec_lo, exec_lo, s0
	s_waitcnt lgkmcnt(0)
	s_waitcnt_vscnt null, 0x0
	s_barrier
	buffer_gl0_inv
	s_clause 0x4
	scratch_load_b128 v[122:125], off, off offset:368
	scratch_load_b128 v[126:129], off, off offset:384
	;; [unrolled: 1-line block ×5, first 2 shown]
	v_mov_b32_e32 v1, 0
	ds_load_2addr_b64 v[142:145], v1 offset0:105 offset1:106
	ds_load_2addr_b64 v[146:149], v1 offset0:107 offset1:108
	scratch_load_b128 v[150:153], off, off offset:448
	s_mov_b32 s0, exec_lo
	s_waitcnt vmcnt(5) lgkmcnt(1)
	v_fma_f64 v[2:3], v[124:125], v[142:143], 0
	s_waitcnt vmcnt(4)
	s_delay_alu instid0(VALU_DEP_1) | instskip(SKIP_1) | instid1(VALU_DEP_1)
	v_fma_f64 v[2:3], v[126:127], v[144:145], v[2:3]
	s_waitcnt lgkmcnt(0)
	v_fma_f64 v[2:3], v[128:129], v[146:147], v[2:3]
	s_waitcnt vmcnt(3)
	s_delay_alu instid0(VALU_DEP_1)
	v_fma_f64 v[2:3], v[130:131], v[148:149], v[2:3]
	ds_load_2addr_b64 v[124:127], v1 offset0:109 offset1:110
	ds_load_2addr_b64 v[128:131], v1 offset0:111 offset1:112
	s_waitcnt lgkmcnt(1)
	v_fma_f64 v[2:3], v[132:133], v[124:125], v[2:3]
	s_waitcnt vmcnt(2)
	s_delay_alu instid0(VALU_DEP_1) | instskip(SKIP_1) | instid1(VALU_DEP_1)
	v_fma_f64 v[2:3], v[134:135], v[126:127], v[2:3]
	s_waitcnt lgkmcnt(0)
	v_fma_f64 v[2:3], v[136:137], v[128:129], v[2:3]
	ds_load_2addr_b64 v[124:127], v1 offset0:113 offset1:114
	ds_load_b64 v[128:129], v1 offset:920
	s_waitcnt vmcnt(1)
	v_fma_f64 v[2:3], v[138:139], v[130:131], v[2:3]
	s_waitcnt lgkmcnt(1)
	s_delay_alu instid0(VALU_DEP_1) | instskip(SKIP_1) | instid1(VALU_DEP_1)
	v_fma_f64 v[2:3], v[140:141], v[124:125], v[2:3]
	s_waitcnt vmcnt(0)
	v_fma_f64 v[2:3], v[150:151], v[126:127], v[2:3]
	s_waitcnt lgkmcnt(0)
	s_delay_alu instid0(VALU_DEP_1) | instskip(NEXT) | instid1(VALU_DEP_1)
	v_fma_f64 v[2:3], v[152:153], v[128:129], v[2:3]
	v_add_f64 v[2:3], v[122:123], -v[2:3]
	scratch_store_b64 off, v[2:3], off offset:368
	v_cmpx_lt_u32_e32 45, v0
	s_cbranch_execz .LBB121_267
; %bb.266:
	scratch_load_b64 v[3:4], off, off offset:360
	v_mov_b32_e32 v2, v1
	scratch_store_b64 off, v[1:2], off offset:360
	s_waitcnt vmcnt(0)
	ds_store_b64 v5, v[3:4]
.LBB121_267:
	s_or_b32 exec_lo, exec_lo, s0
	s_waitcnt lgkmcnt(0)
	s_waitcnt_vscnt null, 0x0
	s_barrier
	buffer_gl0_inv
	s_clause 0x4
	scratch_load_b128 v[122:125], off, off offset:360
	scratch_load_b128 v[126:129], off, off offset:376
	;; [unrolled: 1-line block ×5, first 2 shown]
	ds_load_b128 v[142:145], v1 offset:832
	ds_load_b128 v[146:149], v1 offset:848
	scratch_load_b128 v[150:153], off, off offset:440
	s_mov_b32 s0, exec_lo
	s_waitcnt vmcnt(5) lgkmcnt(1)
	v_fma_f64 v[2:3], v[124:125], v[142:143], 0
	scratch_load_b64 v[142:143], off, off offset:456
	s_waitcnt vmcnt(5)
	v_fma_f64 v[2:3], v[126:127], v[144:145], v[2:3]
	s_waitcnt lgkmcnt(0)
	s_delay_alu instid0(VALU_DEP_1) | instskip(SKIP_1) | instid1(VALU_DEP_1)
	v_fma_f64 v[2:3], v[128:129], v[146:147], v[2:3]
	s_waitcnt vmcnt(4)
	v_fma_f64 v[2:3], v[130:131], v[148:149], v[2:3]
	ds_load_b128 v[124:127], v1 offset:864
	ds_load_b128 v[128:131], v1 offset:880
	s_waitcnt lgkmcnt(1)
	v_fma_f64 v[2:3], v[132:133], v[124:125], v[2:3]
	s_waitcnt vmcnt(3)
	s_delay_alu instid0(VALU_DEP_1) | instskip(SKIP_1) | instid1(VALU_DEP_1)
	v_fma_f64 v[2:3], v[134:135], v[126:127], v[2:3]
	s_waitcnt lgkmcnt(0)
	v_fma_f64 v[2:3], v[136:137], v[128:129], v[2:3]
	s_waitcnt vmcnt(2)
	s_delay_alu instid0(VALU_DEP_1)
	v_fma_f64 v[128:129], v[138:139], v[130:131], v[2:3]
	ds_load_b128 v[124:127], v1 offset:896
	ds_load_b128 v[1:4], v1 offset:912
	s_waitcnt lgkmcnt(1)
	v_fma_f64 v[124:125], v[140:141], v[124:125], v[128:129]
	s_waitcnt vmcnt(1)
	s_delay_alu instid0(VALU_DEP_1) | instskip(SKIP_1) | instid1(VALU_DEP_1)
	v_fma_f64 v[124:125], v[150:151], v[126:127], v[124:125]
	s_waitcnt lgkmcnt(0)
	v_fma_f64 v[1:2], v[152:153], v[1:2], v[124:125]
	s_waitcnt vmcnt(0)
	s_delay_alu instid0(VALU_DEP_1) | instskip(NEXT) | instid1(VALU_DEP_1)
	v_fma_f64 v[1:2], v[142:143], v[3:4], v[1:2]
	v_add_f64 v[1:2], v[122:123], -v[1:2]
	scratch_store_b64 off, v[1:2], off offset:360
	v_cmpx_lt_u32_e32 44, v0
	s_cbranch_execz .LBB121_269
; %bb.268:
	scratch_load_b64 v[1:2], off, off offset:352
	v_mov_b32_e32 v3, 0
	s_delay_alu instid0(VALU_DEP_1)
	v_mov_b32_e32 v4, v3
	scratch_store_b64 off, v[3:4], off offset:352
	s_waitcnt vmcnt(0)
	ds_store_b64 v5, v[1:2]
.LBB121_269:
	s_or_b32 exec_lo, exec_lo, s0
	s_waitcnt lgkmcnt(0)
	s_waitcnt_vscnt null, 0x0
	s_barrier
	buffer_gl0_inv
	s_clause 0x4
	scratch_load_b128 v[122:125], off, off offset:352
	scratch_load_b128 v[126:129], off, off offset:368
	;; [unrolled: 1-line block ×5, first 2 shown]
	v_mov_b32_e32 v1, 0
	ds_load_2addr_b64 v[142:145], v1 offset0:103 offset1:104
	ds_load_2addr_b64 v[146:149], v1 offset0:105 offset1:106
	scratch_load_b128 v[150:153], off, off offset:432
	s_mov_b32 s0, exec_lo
	s_waitcnt vmcnt(5) lgkmcnt(1)
	v_fma_f64 v[2:3], v[124:125], v[142:143], 0
	s_waitcnt vmcnt(4)
	s_delay_alu instid0(VALU_DEP_1) | instskip(SKIP_4) | instid1(VALU_DEP_1)
	v_fma_f64 v[2:3], v[126:127], v[144:145], v[2:3]
	scratch_load_b128 v[124:127], off, off offset:448
	s_waitcnt lgkmcnt(0)
	v_fma_f64 v[2:3], v[128:129], v[146:147], v[2:3]
	s_waitcnt vmcnt(4)
	v_fma_f64 v[2:3], v[130:131], v[148:149], v[2:3]
	ds_load_2addr_b64 v[128:131], v1 offset0:107 offset1:108
	ds_load_2addr_b64 v[142:145], v1 offset0:109 offset1:110
	s_waitcnt lgkmcnt(1)
	v_fma_f64 v[2:3], v[132:133], v[128:129], v[2:3]
	s_waitcnt vmcnt(3)
	s_delay_alu instid0(VALU_DEP_1)
	v_fma_f64 v[2:3], v[134:135], v[130:131], v[2:3]
	ds_load_2addr_b64 v[128:131], v1 offset0:111 offset1:112
	ds_load_2addr_b64 v[132:135], v1 offset0:113 offset1:114
	s_waitcnt lgkmcnt(2)
	v_fma_f64 v[2:3], v[136:137], v[142:143], v[2:3]
	s_waitcnt vmcnt(2)
	s_delay_alu instid0(VALU_DEP_1) | instskip(SKIP_1) | instid1(VALU_DEP_1)
	v_fma_f64 v[2:3], v[138:139], v[144:145], v[2:3]
	s_waitcnt lgkmcnt(1)
	v_fma_f64 v[2:3], v[140:141], v[128:129], v[2:3]
	s_waitcnt vmcnt(1)
	s_delay_alu instid0(VALU_DEP_1) | instskip(SKIP_1) | instid1(VALU_DEP_1)
	v_fma_f64 v[2:3], v[150:151], v[130:131], v[2:3]
	s_waitcnt lgkmcnt(0)
	v_fma_f64 v[2:3], v[152:153], v[132:133], v[2:3]
	s_waitcnt vmcnt(0)
	s_delay_alu instid0(VALU_DEP_1) | instskip(SKIP_3) | instid1(VALU_DEP_1)
	v_fma_f64 v[2:3], v[124:125], v[134:135], v[2:3]
	ds_load_b64 v[124:125], v1 offset:920
	s_waitcnt lgkmcnt(0)
	v_fma_f64 v[2:3], v[126:127], v[124:125], v[2:3]
	v_add_f64 v[2:3], v[122:123], -v[2:3]
	scratch_store_b64 off, v[2:3], off offset:352
	v_cmpx_lt_u32_e32 43, v0
	s_cbranch_execz .LBB121_271
; %bb.270:
	scratch_load_b64 v[3:4], off, off offset:344
	v_mov_b32_e32 v2, v1
	scratch_store_b64 off, v[1:2], off offset:344
	s_waitcnt vmcnt(0)
	ds_store_b64 v5, v[3:4]
.LBB121_271:
	s_or_b32 exec_lo, exec_lo, s0
	s_waitcnt lgkmcnt(0)
	s_waitcnt_vscnt null, 0x0
	s_barrier
	buffer_gl0_inv
	s_clause 0x4
	scratch_load_b128 v[122:125], off, off offset:344
	scratch_load_b128 v[126:129], off, off offset:360
	;; [unrolled: 1-line block ×5, first 2 shown]
	ds_load_b128 v[142:145], v1 offset:816
	ds_load_b128 v[146:149], v1 offset:832
	scratch_load_b128 v[150:153], off, off offset:424
	s_mov_b32 s0, exec_lo
	s_waitcnt vmcnt(5) lgkmcnt(1)
	v_fma_f64 v[2:3], v[124:125], v[142:143], 0
	s_waitcnt vmcnt(4)
	s_delay_alu instid0(VALU_DEP_1) | instskip(SKIP_4) | instid1(VALU_DEP_1)
	v_fma_f64 v[2:3], v[126:127], v[144:145], v[2:3]
	scratch_load_b128 v[124:127], off, off offset:440
	s_waitcnt lgkmcnt(0)
	v_fma_f64 v[2:3], v[128:129], v[146:147], v[2:3]
	s_waitcnt vmcnt(4)
	v_fma_f64 v[2:3], v[130:131], v[148:149], v[2:3]
	ds_load_b128 v[128:131], v1 offset:848
	ds_load_b128 v[142:145], v1 offset:864
	scratch_load_b64 v[146:147], off, off offset:456
	s_waitcnt lgkmcnt(1)
	v_fma_f64 v[2:3], v[132:133], v[128:129], v[2:3]
	s_waitcnt vmcnt(4)
	s_delay_alu instid0(VALU_DEP_1)
	v_fma_f64 v[2:3], v[134:135], v[130:131], v[2:3]
	ds_load_b128 v[128:131], v1 offset:880
	ds_load_b128 v[132:135], v1 offset:896
	s_waitcnt lgkmcnt(2)
	v_fma_f64 v[2:3], v[136:137], v[142:143], v[2:3]
	s_waitcnt vmcnt(3)
	s_delay_alu instid0(VALU_DEP_1) | instskip(SKIP_1) | instid1(VALU_DEP_1)
	v_fma_f64 v[2:3], v[138:139], v[144:145], v[2:3]
	s_waitcnt lgkmcnt(1)
	v_fma_f64 v[2:3], v[140:141], v[128:129], v[2:3]
	s_waitcnt vmcnt(2)
	s_delay_alu instid0(VALU_DEP_1) | instskip(SKIP_1) | instid1(VALU_DEP_1)
	v_fma_f64 v[2:3], v[150:151], v[130:131], v[2:3]
	s_waitcnt lgkmcnt(0)
	v_fma_f64 v[2:3], v[152:153], v[132:133], v[2:3]
	s_waitcnt vmcnt(1)
	s_delay_alu instid0(VALU_DEP_1) | instskip(SKIP_4) | instid1(VALU_DEP_1)
	v_fma_f64 v[124:125], v[124:125], v[134:135], v[2:3]
	ds_load_b128 v[1:4], v1 offset:912
	s_waitcnt lgkmcnt(0)
	v_fma_f64 v[1:2], v[126:127], v[1:2], v[124:125]
	s_waitcnt vmcnt(0)
	v_fma_f64 v[1:2], v[146:147], v[3:4], v[1:2]
	s_delay_alu instid0(VALU_DEP_1)
	v_add_f64 v[1:2], v[122:123], -v[1:2]
	scratch_store_b64 off, v[1:2], off offset:344
	v_cmpx_lt_u32_e32 42, v0
	s_cbranch_execz .LBB121_273
; %bb.272:
	scratch_load_b64 v[1:2], off, off offset:336
	v_mov_b32_e32 v3, 0
	s_delay_alu instid0(VALU_DEP_1)
	v_mov_b32_e32 v4, v3
	scratch_store_b64 off, v[3:4], off offset:336
	s_waitcnt vmcnt(0)
	ds_store_b64 v5, v[1:2]
.LBB121_273:
	s_or_b32 exec_lo, exec_lo, s0
	s_waitcnt lgkmcnt(0)
	s_waitcnt_vscnt null, 0x0
	s_barrier
	buffer_gl0_inv
	s_clause 0x4
	scratch_load_b128 v[122:125], off, off offset:336
	scratch_load_b128 v[126:129], off, off offset:352
	;; [unrolled: 1-line block ×5, first 2 shown]
	v_mov_b32_e32 v1, 0
	ds_load_2addr_b64 v[142:145], v1 offset0:101 offset1:102
	ds_load_2addr_b64 v[146:149], v1 offset0:103 offset1:104
	scratch_load_b128 v[150:153], off, off offset:416
	s_mov_b32 s0, exec_lo
	s_waitcnt vmcnt(5) lgkmcnt(1)
	v_fma_f64 v[2:3], v[124:125], v[142:143], 0
	s_waitcnt vmcnt(4)
	s_delay_alu instid0(VALU_DEP_1) | instskip(SKIP_4) | instid1(VALU_DEP_1)
	v_fma_f64 v[2:3], v[126:127], v[144:145], v[2:3]
	scratch_load_b128 v[124:127], off, off offset:432
	s_waitcnt lgkmcnt(0)
	v_fma_f64 v[2:3], v[128:129], v[146:147], v[2:3]
	s_waitcnt vmcnt(4)
	v_fma_f64 v[2:3], v[130:131], v[148:149], v[2:3]
	ds_load_2addr_b64 v[128:131], v1 offset0:105 offset1:106
	ds_load_2addr_b64 v[142:145], v1 offset0:107 offset1:108
	scratch_load_b128 v[146:149], off, off offset:448
	s_waitcnt lgkmcnt(1)
	v_fma_f64 v[2:3], v[132:133], v[128:129], v[2:3]
	s_waitcnt vmcnt(4)
	s_delay_alu instid0(VALU_DEP_1)
	v_fma_f64 v[2:3], v[134:135], v[130:131], v[2:3]
	ds_load_2addr_b64 v[128:131], v1 offset0:109 offset1:110
	ds_load_2addr_b64 v[132:135], v1 offset0:111 offset1:112
	s_waitcnt lgkmcnt(2)
	v_fma_f64 v[2:3], v[136:137], v[142:143], v[2:3]
	s_waitcnt vmcnt(3)
	s_delay_alu instid0(VALU_DEP_1) | instskip(SKIP_1) | instid1(VALU_DEP_1)
	v_fma_f64 v[2:3], v[138:139], v[144:145], v[2:3]
	s_waitcnt lgkmcnt(1)
	v_fma_f64 v[2:3], v[140:141], v[128:129], v[2:3]
	s_waitcnt vmcnt(2)
	s_delay_alu instid0(VALU_DEP_1) | instskip(SKIP_1) | instid1(VALU_DEP_1)
	v_fma_f64 v[2:3], v[150:151], v[130:131], v[2:3]
	s_waitcnt lgkmcnt(0)
	v_fma_f64 v[2:3], v[152:153], v[132:133], v[2:3]
	s_waitcnt vmcnt(1)
	s_delay_alu instid0(VALU_DEP_1)
	v_fma_f64 v[2:3], v[124:125], v[134:135], v[2:3]
	ds_load_2addr_b64 v[128:131], v1 offset0:113 offset1:114
	ds_load_b64 v[124:125], v1 offset:920
	s_waitcnt lgkmcnt(1)
	v_fma_f64 v[2:3], v[126:127], v[128:129], v[2:3]
	s_waitcnt vmcnt(0)
	s_delay_alu instid0(VALU_DEP_1) | instskip(SKIP_1) | instid1(VALU_DEP_1)
	v_fma_f64 v[2:3], v[146:147], v[130:131], v[2:3]
	s_waitcnt lgkmcnt(0)
	v_fma_f64 v[2:3], v[148:149], v[124:125], v[2:3]
	s_delay_alu instid0(VALU_DEP_1)
	v_add_f64 v[2:3], v[122:123], -v[2:3]
	scratch_store_b64 off, v[2:3], off offset:336
	v_cmpx_lt_u32_e32 41, v0
	s_cbranch_execz .LBB121_275
; %bb.274:
	scratch_load_b64 v[3:4], off, off offset:328
	v_mov_b32_e32 v2, v1
	scratch_store_b64 off, v[1:2], off offset:328
	s_waitcnt vmcnt(0)
	ds_store_b64 v5, v[3:4]
.LBB121_275:
	s_or_b32 exec_lo, exec_lo, s0
	s_waitcnt lgkmcnt(0)
	s_waitcnt_vscnt null, 0x0
	s_barrier
	buffer_gl0_inv
	s_clause 0x4
	scratch_load_b128 v[122:125], off, off offset:328
	scratch_load_b128 v[126:129], off, off offset:344
	;; [unrolled: 1-line block ×5, first 2 shown]
	ds_load_b128 v[142:145], v1 offset:800
	ds_load_b128 v[146:149], v1 offset:816
	scratch_load_b128 v[150:153], off, off offset:408
	s_mov_b32 s0, exec_lo
	s_waitcnt vmcnt(5) lgkmcnt(1)
	v_fma_f64 v[2:3], v[124:125], v[142:143], 0
	s_waitcnt vmcnt(4)
	s_delay_alu instid0(VALU_DEP_1) | instskip(SKIP_4) | instid1(VALU_DEP_1)
	v_fma_f64 v[2:3], v[126:127], v[144:145], v[2:3]
	scratch_load_b128 v[124:127], off, off offset:424
	s_waitcnt lgkmcnt(0)
	v_fma_f64 v[2:3], v[128:129], v[146:147], v[2:3]
	s_waitcnt vmcnt(4)
	v_fma_f64 v[2:3], v[130:131], v[148:149], v[2:3]
	ds_load_b128 v[128:131], v1 offset:832
	ds_load_b128 v[142:145], v1 offset:848
	scratch_load_b128 v[146:149], off, off offset:440
	s_waitcnt lgkmcnt(1)
	v_fma_f64 v[2:3], v[132:133], v[128:129], v[2:3]
	s_waitcnt vmcnt(4)
	s_delay_alu instid0(VALU_DEP_1) | instskip(SKIP_1) | instid1(VALU_DEP_1)
	v_fma_f64 v[2:3], v[134:135], v[130:131], v[2:3]
	s_waitcnt lgkmcnt(0)
	v_fma_f64 v[2:3], v[136:137], v[142:143], v[2:3]
	scratch_load_b64 v[136:137], off, off offset:456
	ds_load_b128 v[128:131], v1 offset:864
	ds_load_b128 v[132:135], v1 offset:880
	s_waitcnt vmcnt(4)
	v_fma_f64 v[2:3], v[138:139], v[144:145], v[2:3]
	s_waitcnt lgkmcnt(1)
	s_delay_alu instid0(VALU_DEP_1) | instskip(SKIP_1) | instid1(VALU_DEP_1)
	v_fma_f64 v[2:3], v[140:141], v[128:129], v[2:3]
	s_waitcnt vmcnt(3)
	v_fma_f64 v[2:3], v[150:151], v[130:131], v[2:3]
	s_waitcnt lgkmcnt(0)
	s_delay_alu instid0(VALU_DEP_1) | instskip(SKIP_1) | instid1(VALU_DEP_1)
	v_fma_f64 v[2:3], v[152:153], v[132:133], v[2:3]
	s_waitcnt vmcnt(2)
	v_fma_f64 v[124:125], v[124:125], v[134:135], v[2:3]
	ds_load_b128 v[128:131], v1 offset:896
	ds_load_b128 v[1:4], v1 offset:912
	s_waitcnt lgkmcnt(1)
	v_fma_f64 v[124:125], v[126:127], v[128:129], v[124:125]
	s_waitcnt vmcnt(1)
	s_delay_alu instid0(VALU_DEP_1) | instskip(SKIP_1) | instid1(VALU_DEP_1)
	v_fma_f64 v[124:125], v[146:147], v[130:131], v[124:125]
	s_waitcnt lgkmcnt(0)
	v_fma_f64 v[1:2], v[148:149], v[1:2], v[124:125]
	s_waitcnt vmcnt(0)
	s_delay_alu instid0(VALU_DEP_1) | instskip(NEXT) | instid1(VALU_DEP_1)
	v_fma_f64 v[1:2], v[136:137], v[3:4], v[1:2]
	v_add_f64 v[1:2], v[122:123], -v[1:2]
	scratch_store_b64 off, v[1:2], off offset:328
	v_cmpx_lt_u32_e32 40, v0
	s_cbranch_execz .LBB121_277
; %bb.276:
	scratch_load_b64 v[1:2], off, off offset:320
	v_mov_b32_e32 v3, 0
	s_delay_alu instid0(VALU_DEP_1)
	v_mov_b32_e32 v4, v3
	scratch_store_b64 off, v[3:4], off offset:320
	s_waitcnt vmcnt(0)
	ds_store_b64 v5, v[1:2]
.LBB121_277:
	s_or_b32 exec_lo, exec_lo, s0
	s_waitcnt lgkmcnt(0)
	s_waitcnt_vscnt null, 0x0
	s_barrier
	buffer_gl0_inv
	s_clause 0x4
	scratch_load_b128 v[122:125], off, off offset:320
	scratch_load_b128 v[126:129], off, off offset:336
	;; [unrolled: 1-line block ×5, first 2 shown]
	v_mov_b32_e32 v1, 0
	ds_load_2addr_b64 v[142:145], v1 offset0:99 offset1:100
	ds_load_2addr_b64 v[146:149], v1 offset0:101 offset1:102
	scratch_load_b128 v[150:153], off, off offset:400
	s_mov_b32 s0, exec_lo
	s_waitcnt vmcnt(5) lgkmcnt(1)
	v_fma_f64 v[2:3], v[124:125], v[142:143], 0
	s_waitcnt vmcnt(4)
	s_delay_alu instid0(VALU_DEP_1) | instskip(SKIP_4) | instid1(VALU_DEP_1)
	v_fma_f64 v[2:3], v[126:127], v[144:145], v[2:3]
	scratch_load_b128 v[124:127], off, off offset:416
	s_waitcnt lgkmcnt(0)
	v_fma_f64 v[2:3], v[128:129], v[146:147], v[2:3]
	s_waitcnt vmcnt(4)
	v_fma_f64 v[2:3], v[130:131], v[148:149], v[2:3]
	ds_load_2addr_b64 v[128:131], v1 offset0:103 offset1:104
	ds_load_2addr_b64 v[142:145], v1 offset0:105 offset1:106
	scratch_load_b128 v[146:149], off, off offset:432
	s_waitcnt lgkmcnt(1)
	v_fma_f64 v[2:3], v[132:133], v[128:129], v[2:3]
	s_waitcnt vmcnt(4)
	s_delay_alu instid0(VALU_DEP_1) | instskip(SKIP_4) | instid1(VALU_DEP_1)
	v_fma_f64 v[2:3], v[134:135], v[130:131], v[2:3]
	scratch_load_b128 v[128:131], off, off offset:448
	s_waitcnt lgkmcnt(0)
	v_fma_f64 v[2:3], v[136:137], v[142:143], v[2:3]
	s_waitcnt vmcnt(4)
	v_fma_f64 v[2:3], v[138:139], v[144:145], v[2:3]
	ds_load_2addr_b64 v[132:135], v1 offset0:107 offset1:108
	ds_load_2addr_b64 v[136:139], v1 offset0:109 offset1:110
	s_waitcnt lgkmcnt(1)
	v_fma_f64 v[2:3], v[140:141], v[132:133], v[2:3]
	s_waitcnt vmcnt(3)
	s_delay_alu instid0(VALU_DEP_1) | instskip(SKIP_1) | instid1(VALU_DEP_1)
	v_fma_f64 v[2:3], v[150:151], v[134:135], v[2:3]
	s_waitcnt lgkmcnt(0)
	v_fma_f64 v[2:3], v[152:153], v[136:137], v[2:3]
	s_waitcnt vmcnt(2)
	s_delay_alu instid0(VALU_DEP_1)
	v_fma_f64 v[2:3], v[124:125], v[138:139], v[2:3]
	ds_load_2addr_b64 v[132:135], v1 offset0:111 offset1:112
	ds_load_2addr_b64 v[136:139], v1 offset0:113 offset1:114
	ds_load_b64 v[124:125], v1 offset:920
	s_waitcnt lgkmcnt(2)
	v_fma_f64 v[2:3], v[126:127], v[132:133], v[2:3]
	s_waitcnt vmcnt(1)
	s_delay_alu instid0(VALU_DEP_1) | instskip(SKIP_1) | instid1(VALU_DEP_1)
	v_fma_f64 v[2:3], v[146:147], v[134:135], v[2:3]
	s_waitcnt lgkmcnt(1)
	v_fma_f64 v[2:3], v[148:149], v[136:137], v[2:3]
	s_waitcnt vmcnt(0)
	s_delay_alu instid0(VALU_DEP_1) | instskip(SKIP_1) | instid1(VALU_DEP_1)
	v_fma_f64 v[2:3], v[128:129], v[138:139], v[2:3]
	s_waitcnt lgkmcnt(0)
	v_fma_f64 v[2:3], v[130:131], v[124:125], v[2:3]
	s_delay_alu instid0(VALU_DEP_1)
	v_add_f64 v[2:3], v[122:123], -v[2:3]
	scratch_store_b64 off, v[2:3], off offset:320
	v_cmpx_lt_u32_e32 39, v0
	s_cbranch_execz .LBB121_279
; %bb.278:
	scratch_load_b64 v[3:4], off, off offset:312
	v_mov_b32_e32 v2, v1
	scratch_store_b64 off, v[1:2], off offset:312
	s_waitcnt vmcnt(0)
	ds_store_b64 v5, v[3:4]
.LBB121_279:
	s_or_b32 exec_lo, exec_lo, s0
	s_waitcnt lgkmcnt(0)
	s_waitcnt_vscnt null, 0x0
	s_barrier
	buffer_gl0_inv
	s_clause 0x4
	scratch_load_b128 v[122:125], off, off offset:312
	scratch_load_b128 v[126:129], off, off offset:328
	;; [unrolled: 1-line block ×5, first 2 shown]
	ds_load_b128 v[142:145], v1 offset:784
	ds_load_b128 v[146:149], v1 offset:800
	scratch_load_b128 v[150:153], off, off offset:392
	s_mov_b32 s0, exec_lo
	s_waitcnt vmcnt(5) lgkmcnt(1)
	v_fma_f64 v[2:3], v[124:125], v[142:143], 0
	s_waitcnt vmcnt(4)
	s_delay_alu instid0(VALU_DEP_1) | instskip(SKIP_4) | instid1(VALU_DEP_1)
	v_fma_f64 v[2:3], v[126:127], v[144:145], v[2:3]
	scratch_load_b128 v[124:127], off, off offset:408
	s_waitcnt lgkmcnt(0)
	v_fma_f64 v[2:3], v[128:129], v[146:147], v[2:3]
	s_waitcnt vmcnt(4)
	v_fma_f64 v[2:3], v[130:131], v[148:149], v[2:3]
	ds_load_b128 v[128:131], v1 offset:816
	ds_load_b128 v[142:145], v1 offset:832
	scratch_load_b128 v[146:149], off, off offset:424
	s_waitcnt lgkmcnt(1)
	v_fma_f64 v[2:3], v[132:133], v[128:129], v[2:3]
	s_waitcnt vmcnt(4)
	s_delay_alu instid0(VALU_DEP_1) | instskip(SKIP_4) | instid1(VALU_DEP_1)
	v_fma_f64 v[2:3], v[134:135], v[130:131], v[2:3]
	scratch_load_b128 v[128:131], off, off offset:440
	s_waitcnt lgkmcnt(0)
	v_fma_f64 v[2:3], v[136:137], v[142:143], v[2:3]
	s_waitcnt vmcnt(4)
	v_fma_f64 v[2:3], v[138:139], v[144:145], v[2:3]
	ds_load_b128 v[132:135], v1 offset:848
	ds_load_b128 v[136:139], v1 offset:864
	s_waitcnt lgkmcnt(1)
	v_fma_f64 v[2:3], v[140:141], v[132:133], v[2:3]
	scratch_load_b64 v[140:141], off, off offset:456
	s_waitcnt vmcnt(4)
	v_fma_f64 v[2:3], v[150:151], v[134:135], v[2:3]
	s_waitcnt lgkmcnt(0)
	s_delay_alu instid0(VALU_DEP_1) | instskip(SKIP_1) | instid1(VALU_DEP_1)
	v_fma_f64 v[2:3], v[152:153], v[136:137], v[2:3]
	s_waitcnt vmcnt(3)
	v_fma_f64 v[2:3], v[124:125], v[138:139], v[2:3]
	ds_load_b128 v[132:135], v1 offset:880
	ds_load_b128 v[136:139], v1 offset:896
	s_waitcnt lgkmcnt(1)
	v_fma_f64 v[2:3], v[126:127], v[132:133], v[2:3]
	s_waitcnt vmcnt(2)
	s_delay_alu instid0(VALU_DEP_1) | instskip(SKIP_1) | instid1(VALU_DEP_1)
	v_fma_f64 v[2:3], v[146:147], v[134:135], v[2:3]
	s_waitcnt lgkmcnt(0)
	v_fma_f64 v[2:3], v[148:149], v[136:137], v[2:3]
	s_waitcnt vmcnt(1)
	s_delay_alu instid0(VALU_DEP_1) | instskip(SKIP_4) | instid1(VALU_DEP_1)
	v_fma_f64 v[124:125], v[128:129], v[138:139], v[2:3]
	ds_load_b128 v[1:4], v1 offset:912
	s_waitcnt lgkmcnt(0)
	v_fma_f64 v[1:2], v[130:131], v[1:2], v[124:125]
	s_waitcnt vmcnt(0)
	v_fma_f64 v[1:2], v[140:141], v[3:4], v[1:2]
	s_delay_alu instid0(VALU_DEP_1)
	v_add_f64 v[1:2], v[122:123], -v[1:2]
	scratch_store_b64 off, v[1:2], off offset:312
	v_cmpx_lt_u32_e32 38, v0
	s_cbranch_execz .LBB121_281
; %bb.280:
	scratch_load_b64 v[1:2], off, off offset:304
	v_mov_b32_e32 v3, 0
	s_delay_alu instid0(VALU_DEP_1)
	v_mov_b32_e32 v4, v3
	scratch_store_b64 off, v[3:4], off offset:304
	s_waitcnt vmcnt(0)
	ds_store_b64 v5, v[1:2]
.LBB121_281:
	s_or_b32 exec_lo, exec_lo, s0
	s_waitcnt lgkmcnt(0)
	s_waitcnt_vscnt null, 0x0
	s_barrier
	buffer_gl0_inv
	s_clause 0x4
	scratch_load_b128 v[122:125], off, off offset:304
	scratch_load_b128 v[126:129], off, off offset:320
	;; [unrolled: 1-line block ×5, first 2 shown]
	v_mov_b32_e32 v1, 0
	ds_load_2addr_b64 v[142:145], v1 offset0:97 offset1:98
	ds_load_2addr_b64 v[146:149], v1 offset0:99 offset1:100
	scratch_load_b128 v[150:153], off, off offset:384
	s_mov_b32 s0, exec_lo
	s_waitcnt vmcnt(5) lgkmcnt(1)
	v_fma_f64 v[2:3], v[124:125], v[142:143], 0
	s_waitcnt vmcnt(4)
	s_delay_alu instid0(VALU_DEP_1) | instskip(SKIP_4) | instid1(VALU_DEP_1)
	v_fma_f64 v[2:3], v[126:127], v[144:145], v[2:3]
	scratch_load_b128 v[124:127], off, off offset:400
	s_waitcnt lgkmcnt(0)
	v_fma_f64 v[2:3], v[128:129], v[146:147], v[2:3]
	s_waitcnt vmcnt(4)
	v_fma_f64 v[2:3], v[130:131], v[148:149], v[2:3]
	ds_load_2addr_b64 v[128:131], v1 offset0:101 offset1:102
	ds_load_2addr_b64 v[142:145], v1 offset0:103 offset1:104
	scratch_load_b128 v[146:149], off, off offset:416
	s_waitcnt lgkmcnt(1)
	v_fma_f64 v[2:3], v[132:133], v[128:129], v[2:3]
	s_waitcnt vmcnt(4)
	s_delay_alu instid0(VALU_DEP_1) | instskip(SKIP_4) | instid1(VALU_DEP_1)
	v_fma_f64 v[2:3], v[134:135], v[130:131], v[2:3]
	scratch_load_b128 v[128:131], off, off offset:432
	s_waitcnt lgkmcnt(0)
	v_fma_f64 v[2:3], v[136:137], v[142:143], v[2:3]
	s_waitcnt vmcnt(4)
	v_fma_f64 v[2:3], v[138:139], v[144:145], v[2:3]
	ds_load_2addr_b64 v[132:135], v1 offset0:105 offset1:106
	ds_load_2addr_b64 v[136:139], v1 offset0:107 offset1:108
	s_waitcnt lgkmcnt(1)
	v_fma_f64 v[2:3], v[140:141], v[132:133], v[2:3]
	scratch_load_b128 v[140:143], off, off offset:448
	s_waitcnt vmcnt(4)
	v_fma_f64 v[2:3], v[150:151], v[134:135], v[2:3]
	s_waitcnt lgkmcnt(0)
	s_delay_alu instid0(VALU_DEP_1) | instskip(SKIP_1) | instid1(VALU_DEP_1)
	v_fma_f64 v[2:3], v[152:153], v[136:137], v[2:3]
	s_waitcnt vmcnt(3)
	v_fma_f64 v[2:3], v[124:125], v[138:139], v[2:3]
	ds_load_2addr_b64 v[132:135], v1 offset0:109 offset1:110
	ds_load_2addr_b64 v[136:139], v1 offset0:111 offset1:112
	s_waitcnt lgkmcnt(1)
	v_fma_f64 v[2:3], v[126:127], v[132:133], v[2:3]
	s_waitcnt vmcnt(2)
	s_delay_alu instid0(VALU_DEP_1) | instskip(SKIP_1) | instid1(VALU_DEP_1)
	v_fma_f64 v[2:3], v[146:147], v[134:135], v[2:3]
	s_waitcnt lgkmcnt(0)
	v_fma_f64 v[2:3], v[148:149], v[136:137], v[2:3]
	s_waitcnt vmcnt(1)
	s_delay_alu instid0(VALU_DEP_1)
	v_fma_f64 v[2:3], v[128:129], v[138:139], v[2:3]
	ds_load_2addr_b64 v[124:127], v1 offset0:113 offset1:114
	ds_load_b64 v[128:129], v1 offset:920
	s_waitcnt lgkmcnt(1)
	v_fma_f64 v[2:3], v[130:131], v[124:125], v[2:3]
	s_waitcnt vmcnt(0)
	s_delay_alu instid0(VALU_DEP_1) | instskip(SKIP_1) | instid1(VALU_DEP_1)
	v_fma_f64 v[2:3], v[140:141], v[126:127], v[2:3]
	s_waitcnt lgkmcnt(0)
	v_fma_f64 v[2:3], v[142:143], v[128:129], v[2:3]
	s_delay_alu instid0(VALU_DEP_1)
	v_add_f64 v[2:3], v[122:123], -v[2:3]
	scratch_store_b64 off, v[2:3], off offset:304
	v_cmpx_lt_u32_e32 37, v0
	s_cbranch_execz .LBB121_283
; %bb.282:
	scratch_load_b64 v[3:4], off, off offset:296
	v_mov_b32_e32 v2, v1
	scratch_store_b64 off, v[1:2], off offset:296
	s_waitcnt vmcnt(0)
	ds_store_b64 v5, v[3:4]
.LBB121_283:
	s_or_b32 exec_lo, exec_lo, s0
	s_waitcnt lgkmcnt(0)
	s_waitcnt_vscnt null, 0x0
	s_barrier
	buffer_gl0_inv
	s_clause 0x4
	scratch_load_b128 v[122:125], off, off offset:296
	scratch_load_b128 v[126:129], off, off offset:312
	;; [unrolled: 1-line block ×5, first 2 shown]
	ds_load_b128 v[142:145], v1 offset:768
	ds_load_b128 v[146:149], v1 offset:784
	scratch_load_b128 v[150:153], off, off offset:376
	s_mov_b32 s0, exec_lo
	s_waitcnt vmcnt(5) lgkmcnt(1)
	v_fma_f64 v[2:3], v[124:125], v[142:143], 0
	s_waitcnt vmcnt(4)
	s_delay_alu instid0(VALU_DEP_1) | instskip(SKIP_4) | instid1(VALU_DEP_1)
	v_fma_f64 v[2:3], v[126:127], v[144:145], v[2:3]
	scratch_load_b128 v[124:127], off, off offset:392
	s_waitcnt lgkmcnt(0)
	v_fma_f64 v[2:3], v[128:129], v[146:147], v[2:3]
	s_waitcnt vmcnt(4)
	v_fma_f64 v[2:3], v[130:131], v[148:149], v[2:3]
	ds_load_b128 v[128:131], v1 offset:800
	ds_load_b128 v[142:145], v1 offset:816
	scratch_load_b128 v[146:149], off, off offset:408
	s_waitcnt lgkmcnt(1)
	v_fma_f64 v[2:3], v[132:133], v[128:129], v[2:3]
	s_waitcnt vmcnt(4)
	s_delay_alu instid0(VALU_DEP_1) | instskip(SKIP_4) | instid1(VALU_DEP_1)
	v_fma_f64 v[2:3], v[134:135], v[130:131], v[2:3]
	scratch_load_b128 v[128:131], off, off offset:424
	s_waitcnt lgkmcnt(0)
	v_fma_f64 v[2:3], v[136:137], v[142:143], v[2:3]
	s_waitcnt vmcnt(4)
	v_fma_f64 v[2:3], v[138:139], v[144:145], v[2:3]
	ds_load_b128 v[132:135], v1 offset:832
	ds_load_b128 v[136:139], v1 offset:848
	scratch_load_b64 v[144:145], off, off offset:456
	s_waitcnt lgkmcnt(1)
	v_fma_f64 v[2:3], v[140:141], v[132:133], v[2:3]
	scratch_load_b128 v[140:143], off, off offset:440
	s_waitcnt vmcnt(5)
	v_fma_f64 v[2:3], v[150:151], v[134:135], v[2:3]
	s_waitcnt lgkmcnt(0)
	s_delay_alu instid0(VALU_DEP_1) | instskip(SKIP_1) | instid1(VALU_DEP_1)
	v_fma_f64 v[2:3], v[152:153], v[136:137], v[2:3]
	s_waitcnt vmcnt(4)
	v_fma_f64 v[2:3], v[124:125], v[138:139], v[2:3]
	ds_load_b128 v[132:135], v1 offset:864
	ds_load_b128 v[136:139], v1 offset:880
	s_waitcnt lgkmcnt(1)
	v_fma_f64 v[2:3], v[126:127], v[132:133], v[2:3]
	s_waitcnt vmcnt(3)
	s_delay_alu instid0(VALU_DEP_1) | instskip(SKIP_1) | instid1(VALU_DEP_1)
	v_fma_f64 v[2:3], v[146:147], v[134:135], v[2:3]
	s_waitcnt lgkmcnt(0)
	v_fma_f64 v[2:3], v[148:149], v[136:137], v[2:3]
	s_waitcnt vmcnt(2)
	s_delay_alu instid0(VALU_DEP_1)
	v_fma_f64 v[128:129], v[128:129], v[138:139], v[2:3]
	ds_load_b128 v[124:127], v1 offset:896
	ds_load_b128 v[1:4], v1 offset:912
	s_waitcnt lgkmcnt(1)
	v_fma_f64 v[124:125], v[130:131], v[124:125], v[128:129]
	s_waitcnt vmcnt(0)
	s_delay_alu instid0(VALU_DEP_1) | instskip(SKIP_1) | instid1(VALU_DEP_1)
	v_fma_f64 v[124:125], v[140:141], v[126:127], v[124:125]
	s_waitcnt lgkmcnt(0)
	v_fma_f64 v[1:2], v[142:143], v[1:2], v[124:125]
	s_delay_alu instid0(VALU_DEP_1) | instskip(NEXT) | instid1(VALU_DEP_1)
	v_fma_f64 v[1:2], v[144:145], v[3:4], v[1:2]
	v_add_f64 v[1:2], v[122:123], -v[1:2]
	scratch_store_b64 off, v[1:2], off offset:296
	v_cmpx_lt_u32_e32 36, v0
	s_cbranch_execz .LBB121_285
; %bb.284:
	scratch_load_b64 v[1:2], off, off offset:288
	v_mov_b32_e32 v3, 0
	s_delay_alu instid0(VALU_DEP_1)
	v_mov_b32_e32 v4, v3
	scratch_store_b64 off, v[3:4], off offset:288
	s_waitcnt vmcnt(0)
	ds_store_b64 v5, v[1:2]
.LBB121_285:
	s_or_b32 exec_lo, exec_lo, s0
	s_waitcnt lgkmcnt(0)
	s_waitcnt_vscnt null, 0x0
	s_barrier
	buffer_gl0_inv
	s_clause 0x4
	scratch_load_b128 v[122:125], off, off offset:288
	scratch_load_b128 v[126:129], off, off offset:304
	;; [unrolled: 1-line block ×5, first 2 shown]
	v_mov_b32_e32 v1, 0
	ds_load_2addr_b64 v[142:145], v1 offset0:95 offset1:96
	ds_load_2addr_b64 v[146:149], v1 offset0:97 offset1:98
	scratch_load_b128 v[150:153], off, off offset:368
	s_mov_b32 s0, exec_lo
	s_waitcnt vmcnt(5) lgkmcnt(1)
	v_fma_f64 v[2:3], v[124:125], v[142:143], 0
	s_waitcnt vmcnt(4)
	s_delay_alu instid0(VALU_DEP_1) | instskip(SKIP_4) | instid1(VALU_DEP_1)
	v_fma_f64 v[2:3], v[126:127], v[144:145], v[2:3]
	scratch_load_b128 v[124:127], off, off offset:384
	s_waitcnt lgkmcnt(0)
	v_fma_f64 v[2:3], v[128:129], v[146:147], v[2:3]
	s_waitcnt vmcnt(4)
	v_fma_f64 v[2:3], v[130:131], v[148:149], v[2:3]
	ds_load_2addr_b64 v[128:131], v1 offset0:99 offset1:100
	ds_load_2addr_b64 v[142:145], v1 offset0:101 offset1:102
	scratch_load_b128 v[146:149], off, off offset:400
	s_waitcnt lgkmcnt(1)
	v_fma_f64 v[2:3], v[132:133], v[128:129], v[2:3]
	s_waitcnt vmcnt(4)
	s_delay_alu instid0(VALU_DEP_1) | instskip(SKIP_4) | instid1(VALU_DEP_1)
	v_fma_f64 v[2:3], v[134:135], v[130:131], v[2:3]
	scratch_load_b128 v[128:131], off, off offset:416
	s_waitcnt lgkmcnt(0)
	v_fma_f64 v[2:3], v[136:137], v[142:143], v[2:3]
	s_waitcnt vmcnt(4)
	v_fma_f64 v[2:3], v[138:139], v[144:145], v[2:3]
	ds_load_2addr_b64 v[132:135], v1 offset0:103 offset1:104
	ds_load_2addr_b64 v[136:139], v1 offset0:105 offset1:106
	s_waitcnt lgkmcnt(1)
	v_fma_f64 v[2:3], v[140:141], v[132:133], v[2:3]
	scratch_load_b128 v[140:143], off, off offset:432
	s_waitcnt vmcnt(4)
	v_fma_f64 v[2:3], v[150:151], v[134:135], v[2:3]
	scratch_load_b128 v[132:135], off, off offset:448
	s_waitcnt lgkmcnt(0)
	v_fma_f64 v[2:3], v[152:153], v[136:137], v[2:3]
	s_waitcnt vmcnt(4)
	s_delay_alu instid0(VALU_DEP_1)
	v_fma_f64 v[2:3], v[124:125], v[138:139], v[2:3]
	ds_load_2addr_b64 v[136:139], v1 offset0:107 offset1:108
	ds_load_2addr_b64 v[150:153], v1 offset0:109 offset1:110
	s_waitcnt lgkmcnt(1)
	v_fma_f64 v[2:3], v[126:127], v[136:137], v[2:3]
	s_waitcnt vmcnt(3)
	s_delay_alu instid0(VALU_DEP_1)
	v_fma_f64 v[2:3], v[146:147], v[138:139], v[2:3]
	ds_load_2addr_b64 v[124:127], v1 offset0:111 offset1:112
	ds_load_2addr_b64 v[136:139], v1 offset0:113 offset1:114
	s_waitcnt lgkmcnt(2)
	v_fma_f64 v[2:3], v[148:149], v[150:151], v[2:3]
	s_waitcnt vmcnt(2)
	s_delay_alu instid0(VALU_DEP_1) | instskip(SKIP_1) | instid1(VALU_DEP_1)
	v_fma_f64 v[2:3], v[128:129], v[152:153], v[2:3]
	s_waitcnt lgkmcnt(1)
	v_fma_f64 v[2:3], v[130:131], v[124:125], v[2:3]
	ds_load_b64 v[124:125], v1 offset:920
	s_waitcnt vmcnt(1)
	v_fma_f64 v[2:3], v[140:141], v[126:127], v[2:3]
	s_waitcnt lgkmcnt(1)
	s_delay_alu instid0(VALU_DEP_1) | instskip(SKIP_1) | instid1(VALU_DEP_1)
	v_fma_f64 v[2:3], v[142:143], v[136:137], v[2:3]
	s_waitcnt vmcnt(0)
	v_fma_f64 v[2:3], v[132:133], v[138:139], v[2:3]
	s_waitcnt lgkmcnt(0)
	s_delay_alu instid0(VALU_DEP_1) | instskip(NEXT) | instid1(VALU_DEP_1)
	v_fma_f64 v[2:3], v[134:135], v[124:125], v[2:3]
	v_add_f64 v[2:3], v[122:123], -v[2:3]
	scratch_store_b64 off, v[2:3], off offset:288
	v_cmpx_lt_u32_e32 35, v0
	s_cbranch_execz .LBB121_287
; %bb.286:
	scratch_load_b64 v[3:4], off, off offset:280
	v_mov_b32_e32 v2, v1
	scratch_store_b64 off, v[1:2], off offset:280
	s_waitcnt vmcnt(0)
	ds_store_b64 v5, v[3:4]
.LBB121_287:
	s_or_b32 exec_lo, exec_lo, s0
	s_waitcnt lgkmcnt(0)
	s_waitcnt_vscnt null, 0x0
	s_barrier
	buffer_gl0_inv
	s_clause 0x4
	scratch_load_b128 v[122:125], off, off offset:280
	scratch_load_b128 v[126:129], off, off offset:296
	;; [unrolled: 1-line block ×5, first 2 shown]
	ds_load_b128 v[142:145], v1 offset:752
	ds_load_b128 v[146:149], v1 offset:768
	scratch_load_b128 v[150:153], off, off offset:360
	s_mov_b32 s0, exec_lo
	s_waitcnt vmcnt(5) lgkmcnt(1)
	v_fma_f64 v[2:3], v[124:125], v[142:143], 0
	s_waitcnt vmcnt(4)
	s_delay_alu instid0(VALU_DEP_1) | instskip(SKIP_4) | instid1(VALU_DEP_1)
	v_fma_f64 v[2:3], v[126:127], v[144:145], v[2:3]
	scratch_load_b128 v[124:127], off, off offset:376
	s_waitcnt lgkmcnt(0)
	v_fma_f64 v[2:3], v[128:129], v[146:147], v[2:3]
	s_waitcnt vmcnt(4)
	v_fma_f64 v[2:3], v[130:131], v[148:149], v[2:3]
	ds_load_b128 v[128:131], v1 offset:784
	ds_load_b128 v[142:145], v1 offset:800
	scratch_load_b128 v[146:149], off, off offset:392
	s_waitcnt lgkmcnt(1)
	v_fma_f64 v[2:3], v[132:133], v[128:129], v[2:3]
	s_waitcnt vmcnt(4)
	s_delay_alu instid0(VALU_DEP_1) | instskip(SKIP_4) | instid1(VALU_DEP_1)
	v_fma_f64 v[2:3], v[134:135], v[130:131], v[2:3]
	scratch_load_b128 v[128:131], off, off offset:408
	s_waitcnt lgkmcnt(0)
	v_fma_f64 v[2:3], v[136:137], v[142:143], v[2:3]
	s_waitcnt vmcnt(4)
	v_fma_f64 v[2:3], v[138:139], v[144:145], v[2:3]
	ds_load_b128 v[132:135], v1 offset:816
	ds_load_b128 v[136:139], v1 offset:832
	s_waitcnt lgkmcnt(1)
	v_fma_f64 v[2:3], v[140:141], v[132:133], v[2:3]
	scratch_load_b128 v[140:143], off, off offset:424
	s_waitcnt vmcnt(4)
	v_fma_f64 v[2:3], v[150:151], v[134:135], v[2:3]
	scratch_load_b128 v[132:135], off, off offset:440
	s_waitcnt lgkmcnt(0)
	v_fma_f64 v[2:3], v[152:153], v[136:137], v[2:3]
	s_waitcnt vmcnt(4)
	s_delay_alu instid0(VALU_DEP_1)
	v_fma_f64 v[2:3], v[124:125], v[138:139], v[2:3]
	ds_load_b128 v[136:139], v1 offset:848
	ds_load_b128 v[150:153], v1 offset:864
	scratch_load_b64 v[144:145], off, off offset:456
	s_waitcnt lgkmcnt(1)
	v_fma_f64 v[2:3], v[126:127], v[136:137], v[2:3]
	s_waitcnt vmcnt(4)
	s_delay_alu instid0(VALU_DEP_1)
	v_fma_f64 v[2:3], v[146:147], v[138:139], v[2:3]
	ds_load_b128 v[124:127], v1 offset:880
	ds_load_b128 v[136:139], v1 offset:896
	s_waitcnt lgkmcnt(2)
	v_fma_f64 v[2:3], v[148:149], v[150:151], v[2:3]
	s_waitcnt vmcnt(3)
	s_delay_alu instid0(VALU_DEP_1) | instskip(SKIP_1) | instid1(VALU_DEP_1)
	v_fma_f64 v[2:3], v[128:129], v[152:153], v[2:3]
	s_waitcnt lgkmcnt(1)
	v_fma_f64 v[2:3], v[130:131], v[124:125], v[2:3]
	s_waitcnt vmcnt(2)
	s_delay_alu instid0(VALU_DEP_1) | instskip(SKIP_1) | instid1(VALU_DEP_1)
	v_fma_f64 v[2:3], v[140:141], v[126:127], v[2:3]
	s_waitcnt lgkmcnt(0)
	v_fma_f64 v[2:3], v[142:143], v[136:137], v[2:3]
	s_waitcnt vmcnt(1)
	s_delay_alu instid0(VALU_DEP_1) | instskip(SKIP_4) | instid1(VALU_DEP_1)
	v_fma_f64 v[124:125], v[132:133], v[138:139], v[2:3]
	ds_load_b128 v[1:4], v1 offset:912
	s_waitcnt lgkmcnt(0)
	v_fma_f64 v[1:2], v[134:135], v[1:2], v[124:125]
	s_waitcnt vmcnt(0)
	v_fma_f64 v[1:2], v[144:145], v[3:4], v[1:2]
	s_delay_alu instid0(VALU_DEP_1)
	v_add_f64 v[1:2], v[122:123], -v[1:2]
	scratch_store_b64 off, v[1:2], off offset:280
	v_cmpx_lt_u32_e32 34, v0
	s_cbranch_execz .LBB121_289
; %bb.288:
	scratch_load_b64 v[1:2], off, off offset:272
	v_mov_b32_e32 v3, 0
	s_delay_alu instid0(VALU_DEP_1)
	v_mov_b32_e32 v4, v3
	scratch_store_b64 off, v[3:4], off offset:272
	s_waitcnt vmcnt(0)
	ds_store_b64 v5, v[1:2]
.LBB121_289:
	s_or_b32 exec_lo, exec_lo, s0
	s_waitcnt lgkmcnt(0)
	s_waitcnt_vscnt null, 0x0
	s_barrier
	buffer_gl0_inv
	s_clause 0x4
	scratch_load_b128 v[122:125], off, off offset:272
	scratch_load_b128 v[126:129], off, off offset:288
	;; [unrolled: 1-line block ×5, first 2 shown]
	v_mov_b32_e32 v1, 0
	ds_load_2addr_b64 v[142:145], v1 offset0:93 offset1:94
	ds_load_2addr_b64 v[146:149], v1 offset0:95 offset1:96
	scratch_load_b128 v[150:153], off, off offset:352
	s_mov_b32 s0, exec_lo
	s_waitcnt vmcnt(5) lgkmcnt(1)
	v_fma_f64 v[2:3], v[124:125], v[142:143], 0
	s_waitcnt vmcnt(4)
	s_delay_alu instid0(VALU_DEP_1) | instskip(SKIP_4) | instid1(VALU_DEP_1)
	v_fma_f64 v[2:3], v[126:127], v[144:145], v[2:3]
	scratch_load_b128 v[124:127], off, off offset:368
	s_waitcnt lgkmcnt(0)
	v_fma_f64 v[2:3], v[128:129], v[146:147], v[2:3]
	s_waitcnt vmcnt(4)
	v_fma_f64 v[2:3], v[130:131], v[148:149], v[2:3]
	ds_load_2addr_b64 v[128:131], v1 offset0:97 offset1:98
	ds_load_2addr_b64 v[142:145], v1 offset0:99 offset1:100
	scratch_load_b128 v[146:149], off, off offset:384
	s_waitcnt lgkmcnt(1)
	v_fma_f64 v[2:3], v[132:133], v[128:129], v[2:3]
	s_waitcnt vmcnt(4)
	s_delay_alu instid0(VALU_DEP_1) | instskip(SKIP_4) | instid1(VALU_DEP_1)
	v_fma_f64 v[2:3], v[134:135], v[130:131], v[2:3]
	scratch_load_b128 v[128:131], off, off offset:400
	s_waitcnt lgkmcnt(0)
	v_fma_f64 v[2:3], v[136:137], v[142:143], v[2:3]
	s_waitcnt vmcnt(4)
	v_fma_f64 v[2:3], v[138:139], v[144:145], v[2:3]
	ds_load_2addr_b64 v[132:135], v1 offset0:101 offset1:102
	ds_load_2addr_b64 v[136:139], v1 offset0:103 offset1:104
	s_waitcnt lgkmcnt(1)
	v_fma_f64 v[2:3], v[140:141], v[132:133], v[2:3]
	scratch_load_b128 v[140:143], off, off offset:416
	s_waitcnt vmcnt(4)
	v_fma_f64 v[2:3], v[150:151], v[134:135], v[2:3]
	scratch_load_b128 v[132:135], off, off offset:432
	s_waitcnt lgkmcnt(0)
	v_fma_f64 v[2:3], v[152:153], v[136:137], v[2:3]
	s_waitcnt vmcnt(4)
	s_delay_alu instid0(VALU_DEP_1)
	v_fma_f64 v[2:3], v[124:125], v[138:139], v[2:3]
	ds_load_2addr_b64 v[136:139], v1 offset0:105 offset1:106
	ds_load_2addr_b64 v[150:153], v1 offset0:107 offset1:108
	s_waitcnt lgkmcnt(1)
	v_fma_f64 v[2:3], v[126:127], v[136:137], v[2:3]
	scratch_load_b128 v[124:127], off, off offset:448
	s_waitcnt vmcnt(4)
	v_fma_f64 v[2:3], v[146:147], v[138:139], v[2:3]
	ds_load_2addr_b64 v[136:139], v1 offset0:109 offset1:110
	ds_load_2addr_b64 v[144:147], v1 offset0:111 offset1:112
	s_waitcnt lgkmcnt(2)
	v_fma_f64 v[2:3], v[148:149], v[150:151], v[2:3]
	s_waitcnt vmcnt(3)
	s_delay_alu instid0(VALU_DEP_1) | instskip(SKIP_1) | instid1(VALU_DEP_1)
	v_fma_f64 v[2:3], v[128:129], v[152:153], v[2:3]
	s_waitcnt lgkmcnt(1)
	v_fma_f64 v[2:3], v[130:131], v[136:137], v[2:3]
	s_waitcnt vmcnt(2)
	s_delay_alu instid0(VALU_DEP_1) | instskip(SKIP_1) | instid1(VALU_DEP_1)
	v_fma_f64 v[2:3], v[140:141], v[138:139], v[2:3]
	s_waitcnt lgkmcnt(0)
	v_fma_f64 v[2:3], v[142:143], v[144:145], v[2:3]
	s_waitcnt vmcnt(1)
	s_delay_alu instid0(VALU_DEP_1)
	v_fma_f64 v[2:3], v[132:133], v[146:147], v[2:3]
	ds_load_2addr_b64 v[128:131], v1 offset0:113 offset1:114
	ds_load_b64 v[132:133], v1 offset:920
	s_waitcnt lgkmcnt(1)
	v_fma_f64 v[2:3], v[134:135], v[128:129], v[2:3]
	s_waitcnt vmcnt(0)
	s_delay_alu instid0(VALU_DEP_1) | instskip(SKIP_1) | instid1(VALU_DEP_1)
	v_fma_f64 v[2:3], v[124:125], v[130:131], v[2:3]
	s_waitcnt lgkmcnt(0)
	v_fma_f64 v[2:3], v[126:127], v[132:133], v[2:3]
	s_delay_alu instid0(VALU_DEP_1)
	v_add_f64 v[2:3], v[122:123], -v[2:3]
	scratch_store_b64 off, v[2:3], off offset:272
	v_cmpx_lt_u32_e32 33, v0
	s_cbranch_execz .LBB121_291
; %bb.290:
	scratch_load_b64 v[3:4], off, off offset:264
	v_mov_b32_e32 v2, v1
	scratch_store_b64 off, v[1:2], off offset:264
	s_waitcnt vmcnt(0)
	ds_store_b64 v5, v[3:4]
.LBB121_291:
	s_or_b32 exec_lo, exec_lo, s0
	s_waitcnt lgkmcnt(0)
	s_waitcnt_vscnt null, 0x0
	s_barrier
	buffer_gl0_inv
	s_clause 0x4
	scratch_load_b128 v[122:125], off, off offset:264
	scratch_load_b128 v[126:129], off, off offset:280
	;; [unrolled: 1-line block ×5, first 2 shown]
	ds_load_b128 v[142:145], v1 offset:736
	ds_load_b128 v[146:149], v1 offset:752
	scratch_load_b128 v[150:153], off, off offset:344
	s_mov_b32 s0, exec_lo
	s_waitcnt vmcnt(5) lgkmcnt(1)
	v_fma_f64 v[2:3], v[124:125], v[142:143], 0
	s_waitcnt vmcnt(4)
	s_delay_alu instid0(VALU_DEP_1) | instskip(SKIP_4) | instid1(VALU_DEP_1)
	v_fma_f64 v[2:3], v[126:127], v[144:145], v[2:3]
	scratch_load_b128 v[124:127], off, off offset:360
	s_waitcnt lgkmcnt(0)
	v_fma_f64 v[2:3], v[128:129], v[146:147], v[2:3]
	s_waitcnt vmcnt(4)
	v_fma_f64 v[2:3], v[130:131], v[148:149], v[2:3]
	ds_load_b128 v[128:131], v1 offset:768
	ds_load_b128 v[142:145], v1 offset:784
	scratch_load_b128 v[146:149], off, off offset:376
	s_waitcnt lgkmcnt(1)
	v_fma_f64 v[2:3], v[132:133], v[128:129], v[2:3]
	s_waitcnt vmcnt(4)
	s_delay_alu instid0(VALU_DEP_1) | instskip(SKIP_4) | instid1(VALU_DEP_1)
	v_fma_f64 v[2:3], v[134:135], v[130:131], v[2:3]
	scratch_load_b128 v[128:131], off, off offset:392
	s_waitcnt lgkmcnt(0)
	v_fma_f64 v[2:3], v[136:137], v[142:143], v[2:3]
	s_waitcnt vmcnt(4)
	v_fma_f64 v[2:3], v[138:139], v[144:145], v[2:3]
	ds_load_b128 v[132:135], v1 offset:800
	ds_load_b128 v[136:139], v1 offset:816
	s_waitcnt lgkmcnt(1)
	v_fma_f64 v[2:3], v[140:141], v[132:133], v[2:3]
	scratch_load_b128 v[140:143], off, off offset:408
	s_waitcnt vmcnt(4)
	v_fma_f64 v[2:3], v[150:151], v[134:135], v[2:3]
	scratch_load_b128 v[132:135], off, off offset:424
	s_waitcnt lgkmcnt(0)
	v_fma_f64 v[2:3], v[152:153], v[136:137], v[2:3]
	s_waitcnt vmcnt(4)
	s_delay_alu instid0(VALU_DEP_1)
	v_fma_f64 v[2:3], v[124:125], v[138:139], v[2:3]
	ds_load_b128 v[136:139], v1 offset:832
	ds_load_b128 v[150:153], v1 offset:848
	s_waitcnt lgkmcnt(1)
	v_fma_f64 v[2:3], v[126:127], v[136:137], v[2:3]
	scratch_load_b128 v[124:127], off, off offset:440
	s_waitcnt vmcnt(4)
	v_fma_f64 v[2:3], v[146:147], v[138:139], v[2:3]
	s_waitcnt lgkmcnt(0)
	s_delay_alu instid0(VALU_DEP_1)
	v_fma_f64 v[2:3], v[148:149], v[150:151], v[2:3]
	scratch_load_b64 v[148:149], off, off offset:456
	ds_load_b128 v[136:139], v1 offset:864
	ds_load_b128 v[144:147], v1 offset:880
	s_waitcnt vmcnt(4)
	v_fma_f64 v[2:3], v[128:129], v[152:153], v[2:3]
	s_waitcnt lgkmcnt(1)
	s_delay_alu instid0(VALU_DEP_1) | instskip(SKIP_1) | instid1(VALU_DEP_1)
	v_fma_f64 v[2:3], v[130:131], v[136:137], v[2:3]
	s_waitcnt vmcnt(3)
	v_fma_f64 v[2:3], v[140:141], v[138:139], v[2:3]
	s_waitcnt lgkmcnt(0)
	s_delay_alu instid0(VALU_DEP_1) | instskip(SKIP_1) | instid1(VALU_DEP_1)
	v_fma_f64 v[2:3], v[142:143], v[144:145], v[2:3]
	s_waitcnt vmcnt(2)
	v_fma_f64 v[132:133], v[132:133], v[146:147], v[2:3]
	ds_load_b128 v[128:131], v1 offset:896
	ds_load_b128 v[1:4], v1 offset:912
	s_waitcnt lgkmcnt(1)
	v_fma_f64 v[128:129], v[134:135], v[128:129], v[132:133]
	s_waitcnt vmcnt(1)
	s_delay_alu instid0(VALU_DEP_1) | instskip(SKIP_1) | instid1(VALU_DEP_1)
	v_fma_f64 v[124:125], v[124:125], v[130:131], v[128:129]
	s_waitcnt lgkmcnt(0)
	v_fma_f64 v[1:2], v[126:127], v[1:2], v[124:125]
	s_waitcnt vmcnt(0)
	s_delay_alu instid0(VALU_DEP_1) | instskip(NEXT) | instid1(VALU_DEP_1)
	v_fma_f64 v[1:2], v[148:149], v[3:4], v[1:2]
	v_add_f64 v[1:2], v[122:123], -v[1:2]
	scratch_store_b64 off, v[1:2], off offset:264
	v_cmpx_lt_u32_e32 32, v0
	s_cbranch_execz .LBB121_293
; %bb.292:
	scratch_load_b64 v[1:2], off, off offset:256
	v_mov_b32_e32 v3, 0
	s_delay_alu instid0(VALU_DEP_1)
	v_mov_b32_e32 v4, v3
	scratch_store_b64 off, v[3:4], off offset:256
	s_waitcnt vmcnt(0)
	ds_store_b64 v5, v[1:2]
.LBB121_293:
	s_or_b32 exec_lo, exec_lo, s0
	s_waitcnt lgkmcnt(0)
	s_waitcnt_vscnt null, 0x0
	s_barrier
	buffer_gl0_inv
	s_clause 0x4
	scratch_load_b128 v[122:125], off, off offset:256
	scratch_load_b128 v[126:129], off, off offset:272
	;; [unrolled: 1-line block ×5, first 2 shown]
	v_mov_b32_e32 v1, 0
	ds_load_2addr_b64 v[142:145], v1 offset0:91 offset1:92
	ds_load_2addr_b64 v[146:149], v1 offset0:93 offset1:94
	scratch_load_b128 v[150:153], off, off offset:336
	s_mov_b32 s0, exec_lo
	s_waitcnt vmcnt(5) lgkmcnt(1)
	v_fma_f64 v[2:3], v[124:125], v[142:143], 0
	s_waitcnt vmcnt(4)
	s_delay_alu instid0(VALU_DEP_1) | instskip(SKIP_4) | instid1(VALU_DEP_1)
	v_fma_f64 v[2:3], v[126:127], v[144:145], v[2:3]
	scratch_load_b128 v[124:127], off, off offset:352
	s_waitcnt lgkmcnt(0)
	v_fma_f64 v[2:3], v[128:129], v[146:147], v[2:3]
	s_waitcnt vmcnt(4)
	v_fma_f64 v[2:3], v[130:131], v[148:149], v[2:3]
	ds_load_2addr_b64 v[128:131], v1 offset0:95 offset1:96
	ds_load_2addr_b64 v[142:145], v1 offset0:97 offset1:98
	scratch_load_b128 v[146:149], off, off offset:368
	s_waitcnt lgkmcnt(1)
	v_fma_f64 v[2:3], v[132:133], v[128:129], v[2:3]
	s_waitcnt vmcnt(4)
	s_delay_alu instid0(VALU_DEP_1) | instskip(SKIP_4) | instid1(VALU_DEP_1)
	v_fma_f64 v[2:3], v[134:135], v[130:131], v[2:3]
	scratch_load_b128 v[128:131], off, off offset:384
	s_waitcnt lgkmcnt(0)
	v_fma_f64 v[2:3], v[136:137], v[142:143], v[2:3]
	s_waitcnt vmcnt(4)
	v_fma_f64 v[2:3], v[138:139], v[144:145], v[2:3]
	ds_load_2addr_b64 v[132:135], v1 offset0:99 offset1:100
	ds_load_2addr_b64 v[136:139], v1 offset0:101 offset1:102
	s_waitcnt lgkmcnt(1)
	v_fma_f64 v[2:3], v[140:141], v[132:133], v[2:3]
	scratch_load_b128 v[140:143], off, off offset:400
	s_waitcnt vmcnt(4)
	v_fma_f64 v[2:3], v[150:151], v[134:135], v[2:3]
	scratch_load_b128 v[132:135], off, off offset:416
	s_waitcnt lgkmcnt(0)
	v_fma_f64 v[2:3], v[152:153], v[136:137], v[2:3]
	s_waitcnt vmcnt(4)
	s_delay_alu instid0(VALU_DEP_1)
	v_fma_f64 v[2:3], v[124:125], v[138:139], v[2:3]
	ds_load_2addr_b64 v[136:139], v1 offset0:103 offset1:104
	ds_load_2addr_b64 v[150:153], v1 offset0:105 offset1:106
	s_waitcnt lgkmcnt(1)
	v_fma_f64 v[2:3], v[126:127], v[136:137], v[2:3]
	scratch_load_b128 v[124:127], off, off offset:432
	s_waitcnt vmcnt(4)
	v_fma_f64 v[2:3], v[146:147], v[138:139], v[2:3]
	scratch_load_b128 v[136:139], off, off offset:448
	s_waitcnt lgkmcnt(0)
	v_fma_f64 v[2:3], v[148:149], v[150:151], v[2:3]
	ds_load_2addr_b64 v[144:147], v1 offset0:107 offset1:108
	ds_load_2addr_b64 v[148:151], v1 offset0:109 offset1:110
	s_waitcnt vmcnt(4)
	v_fma_f64 v[2:3], v[128:129], v[152:153], v[2:3]
	s_waitcnt lgkmcnt(1)
	s_delay_alu instid0(VALU_DEP_1) | instskip(SKIP_1) | instid1(VALU_DEP_1)
	v_fma_f64 v[2:3], v[130:131], v[144:145], v[2:3]
	s_waitcnt vmcnt(3)
	v_fma_f64 v[2:3], v[140:141], v[146:147], v[2:3]
	s_waitcnt lgkmcnt(0)
	s_delay_alu instid0(VALU_DEP_1)
	v_fma_f64 v[2:3], v[142:143], v[148:149], v[2:3]
	ds_load_2addr_b64 v[128:131], v1 offset0:111 offset1:112
	ds_load_2addr_b64 v[140:143], v1 offset0:113 offset1:114
	s_waitcnt vmcnt(2)
	v_fma_f64 v[2:3], v[132:133], v[150:151], v[2:3]
	s_waitcnt lgkmcnt(1)
	s_delay_alu instid0(VALU_DEP_1) | instskip(SKIP_1) | instid1(VALU_DEP_1)
	v_fma_f64 v[2:3], v[134:135], v[128:129], v[2:3]
	s_waitcnt vmcnt(1)
	v_fma_f64 v[2:3], v[124:125], v[130:131], v[2:3]
	ds_load_b64 v[124:125], v1 offset:920
	s_waitcnt lgkmcnt(1)
	v_fma_f64 v[2:3], v[126:127], v[140:141], v[2:3]
	s_waitcnt vmcnt(0)
	s_delay_alu instid0(VALU_DEP_1) | instskip(SKIP_1) | instid1(VALU_DEP_1)
	v_fma_f64 v[2:3], v[136:137], v[142:143], v[2:3]
	s_waitcnt lgkmcnt(0)
	v_fma_f64 v[2:3], v[138:139], v[124:125], v[2:3]
	s_delay_alu instid0(VALU_DEP_1)
	v_add_f64 v[2:3], v[122:123], -v[2:3]
	scratch_store_b64 off, v[2:3], off offset:256
	v_cmpx_lt_u32_e32 31, v0
	s_cbranch_execz .LBB121_295
; %bb.294:
	scratch_load_b64 v[3:4], off, off offset:248
	v_mov_b32_e32 v2, v1
	scratch_store_b64 off, v[1:2], off offset:248
	s_waitcnt vmcnt(0)
	ds_store_b64 v5, v[3:4]
.LBB121_295:
	s_or_b32 exec_lo, exec_lo, s0
	s_waitcnt lgkmcnt(0)
	s_waitcnt_vscnt null, 0x0
	s_barrier
	buffer_gl0_inv
	s_clause 0x4
	scratch_load_b128 v[122:125], off, off offset:248
	scratch_load_b128 v[126:129], off, off offset:264
	;; [unrolled: 1-line block ×5, first 2 shown]
	ds_load_b128 v[142:145], v1 offset:720
	ds_load_b128 v[146:149], v1 offset:736
	scratch_load_b128 v[150:153], off, off offset:328
	s_mov_b32 s0, exec_lo
	s_waitcnt vmcnt(5) lgkmcnt(1)
	v_fma_f64 v[2:3], v[124:125], v[142:143], 0
	s_waitcnt vmcnt(4)
	s_delay_alu instid0(VALU_DEP_1) | instskip(SKIP_4) | instid1(VALU_DEP_1)
	v_fma_f64 v[2:3], v[126:127], v[144:145], v[2:3]
	scratch_load_b128 v[124:127], off, off offset:344
	s_waitcnt lgkmcnt(0)
	v_fma_f64 v[2:3], v[128:129], v[146:147], v[2:3]
	s_waitcnt vmcnt(4)
	v_fma_f64 v[2:3], v[130:131], v[148:149], v[2:3]
	ds_load_b128 v[128:131], v1 offset:752
	ds_load_b128 v[142:145], v1 offset:768
	scratch_load_b128 v[146:149], off, off offset:360
	s_waitcnt lgkmcnt(1)
	v_fma_f64 v[2:3], v[132:133], v[128:129], v[2:3]
	s_waitcnt vmcnt(4)
	s_delay_alu instid0(VALU_DEP_1) | instskip(SKIP_4) | instid1(VALU_DEP_1)
	v_fma_f64 v[2:3], v[134:135], v[130:131], v[2:3]
	scratch_load_b128 v[128:131], off, off offset:376
	s_waitcnt lgkmcnt(0)
	v_fma_f64 v[2:3], v[136:137], v[142:143], v[2:3]
	s_waitcnt vmcnt(4)
	v_fma_f64 v[2:3], v[138:139], v[144:145], v[2:3]
	ds_load_b128 v[132:135], v1 offset:784
	ds_load_b128 v[136:139], v1 offset:800
	s_waitcnt lgkmcnt(1)
	v_fma_f64 v[2:3], v[140:141], v[132:133], v[2:3]
	scratch_load_b128 v[140:143], off, off offset:392
	s_waitcnt vmcnt(4)
	v_fma_f64 v[2:3], v[150:151], v[134:135], v[2:3]
	scratch_load_b128 v[132:135], off, off offset:408
	s_waitcnt lgkmcnt(0)
	v_fma_f64 v[2:3], v[152:153], v[136:137], v[2:3]
	s_waitcnt vmcnt(4)
	s_delay_alu instid0(VALU_DEP_1)
	v_fma_f64 v[2:3], v[124:125], v[138:139], v[2:3]
	ds_load_b128 v[136:139], v1 offset:816
	ds_load_b128 v[150:153], v1 offset:832
	s_waitcnt lgkmcnt(1)
	v_fma_f64 v[2:3], v[126:127], v[136:137], v[2:3]
	scratch_load_b128 v[124:127], off, off offset:424
	s_waitcnt vmcnt(4)
	v_fma_f64 v[2:3], v[146:147], v[138:139], v[2:3]
	scratch_load_b128 v[136:139], off, off offset:440
	s_waitcnt lgkmcnt(0)
	v_fma_f64 v[2:3], v[148:149], v[150:151], v[2:3]
	ds_load_b128 v[144:147], v1 offset:848
	ds_load_b128 v[148:151], v1 offset:864
	s_waitcnt vmcnt(4)
	v_fma_f64 v[2:3], v[128:129], v[152:153], v[2:3]
	s_waitcnt lgkmcnt(1)
	s_delay_alu instid0(VALU_DEP_1) | instskip(SKIP_4) | instid1(VALU_DEP_1)
	v_fma_f64 v[2:3], v[130:131], v[144:145], v[2:3]
	scratch_load_b64 v[144:145], off, off offset:456
	s_waitcnt vmcnt(4)
	v_fma_f64 v[2:3], v[140:141], v[146:147], v[2:3]
	s_waitcnt lgkmcnt(0)
	v_fma_f64 v[2:3], v[142:143], v[148:149], v[2:3]
	ds_load_b128 v[128:131], v1 offset:880
	ds_load_b128 v[140:143], v1 offset:896
	s_waitcnt vmcnt(3)
	v_fma_f64 v[2:3], v[132:133], v[150:151], v[2:3]
	s_waitcnt lgkmcnt(1)
	s_delay_alu instid0(VALU_DEP_1) | instskip(SKIP_1) | instid1(VALU_DEP_1)
	v_fma_f64 v[2:3], v[134:135], v[128:129], v[2:3]
	s_waitcnt vmcnt(2)
	v_fma_f64 v[2:3], v[124:125], v[130:131], v[2:3]
	s_waitcnt lgkmcnt(0)
	s_delay_alu instid0(VALU_DEP_1) | instskip(SKIP_1) | instid1(VALU_DEP_1)
	v_fma_f64 v[2:3], v[126:127], v[140:141], v[2:3]
	s_waitcnt vmcnt(1)
	v_fma_f64 v[124:125], v[136:137], v[142:143], v[2:3]
	ds_load_b128 v[1:4], v1 offset:912
	s_waitcnt lgkmcnt(0)
	v_fma_f64 v[1:2], v[138:139], v[1:2], v[124:125]
	s_waitcnt vmcnt(0)
	s_delay_alu instid0(VALU_DEP_1) | instskip(NEXT) | instid1(VALU_DEP_1)
	v_fma_f64 v[1:2], v[144:145], v[3:4], v[1:2]
	v_add_f64 v[1:2], v[122:123], -v[1:2]
	scratch_store_b64 off, v[1:2], off offset:248
	v_cmpx_lt_u32_e32 30, v0
	s_cbranch_execz .LBB121_297
; %bb.296:
	scratch_load_b64 v[1:2], off, off offset:240
	v_mov_b32_e32 v3, 0
	s_delay_alu instid0(VALU_DEP_1)
	v_mov_b32_e32 v4, v3
	scratch_store_b64 off, v[3:4], off offset:240
	s_waitcnt vmcnt(0)
	ds_store_b64 v5, v[1:2]
.LBB121_297:
	s_or_b32 exec_lo, exec_lo, s0
	s_waitcnt lgkmcnt(0)
	s_waitcnt_vscnt null, 0x0
	s_barrier
	buffer_gl0_inv
	s_clause 0x4
	scratch_load_b128 v[122:125], off, off offset:240
	scratch_load_b128 v[126:129], off, off offset:256
	;; [unrolled: 1-line block ×5, first 2 shown]
	v_mov_b32_e32 v1, 0
	ds_load_2addr_b64 v[142:145], v1 offset0:89 offset1:90
	ds_load_2addr_b64 v[146:149], v1 offset0:91 offset1:92
	scratch_load_b128 v[150:153], off, off offset:320
	s_mov_b32 s0, exec_lo
	s_waitcnt vmcnt(5) lgkmcnt(1)
	v_fma_f64 v[2:3], v[124:125], v[142:143], 0
	s_waitcnt vmcnt(4)
	s_delay_alu instid0(VALU_DEP_1) | instskip(SKIP_4) | instid1(VALU_DEP_1)
	v_fma_f64 v[2:3], v[126:127], v[144:145], v[2:3]
	scratch_load_b128 v[124:127], off, off offset:336
	s_waitcnt lgkmcnt(0)
	v_fma_f64 v[2:3], v[128:129], v[146:147], v[2:3]
	s_waitcnt vmcnt(4)
	v_fma_f64 v[2:3], v[130:131], v[148:149], v[2:3]
	ds_load_2addr_b64 v[128:131], v1 offset0:93 offset1:94
	ds_load_2addr_b64 v[142:145], v1 offset0:95 offset1:96
	scratch_load_b128 v[146:149], off, off offset:352
	s_waitcnt lgkmcnt(1)
	v_fma_f64 v[2:3], v[132:133], v[128:129], v[2:3]
	s_waitcnt vmcnt(4)
	s_delay_alu instid0(VALU_DEP_1) | instskip(SKIP_4) | instid1(VALU_DEP_1)
	v_fma_f64 v[2:3], v[134:135], v[130:131], v[2:3]
	scratch_load_b128 v[128:131], off, off offset:368
	s_waitcnt lgkmcnt(0)
	v_fma_f64 v[2:3], v[136:137], v[142:143], v[2:3]
	s_waitcnt vmcnt(4)
	v_fma_f64 v[2:3], v[138:139], v[144:145], v[2:3]
	ds_load_2addr_b64 v[132:135], v1 offset0:97 offset1:98
	ds_load_2addr_b64 v[136:139], v1 offset0:99 offset1:100
	s_waitcnt lgkmcnt(1)
	v_fma_f64 v[2:3], v[140:141], v[132:133], v[2:3]
	scratch_load_b128 v[140:143], off, off offset:384
	s_waitcnt vmcnt(4)
	v_fma_f64 v[2:3], v[150:151], v[134:135], v[2:3]
	scratch_load_b128 v[132:135], off, off offset:400
	s_waitcnt lgkmcnt(0)
	v_fma_f64 v[2:3], v[152:153], v[136:137], v[2:3]
	s_waitcnt vmcnt(4)
	s_delay_alu instid0(VALU_DEP_1)
	v_fma_f64 v[2:3], v[124:125], v[138:139], v[2:3]
	ds_load_2addr_b64 v[136:139], v1 offset0:101 offset1:102
	ds_load_2addr_b64 v[150:153], v1 offset0:103 offset1:104
	s_waitcnt lgkmcnt(1)
	v_fma_f64 v[2:3], v[126:127], v[136:137], v[2:3]
	scratch_load_b128 v[124:127], off, off offset:416
	s_waitcnt vmcnt(4)
	v_fma_f64 v[2:3], v[146:147], v[138:139], v[2:3]
	scratch_load_b128 v[136:139], off, off offset:432
	s_waitcnt lgkmcnt(0)
	v_fma_f64 v[2:3], v[148:149], v[150:151], v[2:3]
	ds_load_2addr_b64 v[144:147], v1 offset0:105 offset1:106
	ds_load_2addr_b64 v[148:151], v1 offset0:107 offset1:108
	s_waitcnt vmcnt(4)
	v_fma_f64 v[2:3], v[128:129], v[152:153], v[2:3]
	s_waitcnt lgkmcnt(1)
	s_delay_alu instid0(VALU_DEP_1) | instskip(SKIP_4) | instid1(VALU_DEP_1)
	v_fma_f64 v[2:3], v[130:131], v[144:145], v[2:3]
	scratch_load_b128 v[128:131], off, off offset:448
	s_waitcnt vmcnt(4)
	v_fma_f64 v[2:3], v[140:141], v[146:147], v[2:3]
	s_waitcnt lgkmcnt(0)
	v_fma_f64 v[2:3], v[142:143], v[148:149], v[2:3]
	ds_load_2addr_b64 v[140:143], v1 offset0:109 offset1:110
	ds_load_2addr_b64 v[144:147], v1 offset0:111 offset1:112
	s_waitcnt vmcnt(3)
	v_fma_f64 v[2:3], v[132:133], v[150:151], v[2:3]
	s_waitcnt lgkmcnt(1)
	s_delay_alu instid0(VALU_DEP_1) | instskip(SKIP_1) | instid1(VALU_DEP_1)
	v_fma_f64 v[2:3], v[134:135], v[140:141], v[2:3]
	s_waitcnt vmcnt(2)
	v_fma_f64 v[2:3], v[124:125], v[142:143], v[2:3]
	s_waitcnt lgkmcnt(0)
	s_delay_alu instid0(VALU_DEP_1)
	v_fma_f64 v[2:3], v[126:127], v[144:145], v[2:3]
	ds_load_2addr_b64 v[124:127], v1 offset0:113 offset1:114
	ds_load_b64 v[132:133], v1 offset:920
	s_waitcnt vmcnt(1)
	v_fma_f64 v[2:3], v[136:137], v[146:147], v[2:3]
	s_waitcnt lgkmcnt(1)
	s_delay_alu instid0(VALU_DEP_1) | instskip(SKIP_1) | instid1(VALU_DEP_1)
	v_fma_f64 v[2:3], v[138:139], v[124:125], v[2:3]
	s_waitcnt vmcnt(0)
	v_fma_f64 v[2:3], v[128:129], v[126:127], v[2:3]
	s_waitcnt lgkmcnt(0)
	s_delay_alu instid0(VALU_DEP_1) | instskip(NEXT) | instid1(VALU_DEP_1)
	v_fma_f64 v[2:3], v[130:131], v[132:133], v[2:3]
	v_add_f64 v[2:3], v[122:123], -v[2:3]
	scratch_store_b64 off, v[2:3], off offset:240
	v_cmpx_lt_u32_e32 29, v0
	s_cbranch_execz .LBB121_299
; %bb.298:
	scratch_load_b64 v[3:4], off, off offset:232
	v_mov_b32_e32 v2, v1
	scratch_store_b64 off, v[1:2], off offset:232
	s_waitcnt vmcnt(0)
	ds_store_b64 v5, v[3:4]
.LBB121_299:
	s_or_b32 exec_lo, exec_lo, s0
	s_waitcnt lgkmcnt(0)
	s_waitcnt_vscnt null, 0x0
	s_barrier
	buffer_gl0_inv
	s_clause 0x4
	scratch_load_b128 v[122:125], off, off offset:232
	scratch_load_b128 v[126:129], off, off offset:248
	;; [unrolled: 1-line block ×5, first 2 shown]
	ds_load_b128 v[142:145], v1 offset:704
	ds_load_b128 v[146:149], v1 offset:720
	scratch_load_b128 v[150:153], off, off offset:312
	s_mov_b32 s0, exec_lo
	s_waitcnt vmcnt(5) lgkmcnt(1)
	v_fma_f64 v[2:3], v[124:125], v[142:143], 0
	s_waitcnt vmcnt(4)
	s_delay_alu instid0(VALU_DEP_1) | instskip(SKIP_4) | instid1(VALU_DEP_1)
	v_fma_f64 v[2:3], v[126:127], v[144:145], v[2:3]
	scratch_load_b128 v[124:127], off, off offset:328
	s_waitcnt lgkmcnt(0)
	v_fma_f64 v[2:3], v[128:129], v[146:147], v[2:3]
	s_waitcnt vmcnt(4)
	v_fma_f64 v[2:3], v[130:131], v[148:149], v[2:3]
	ds_load_b128 v[128:131], v1 offset:736
	ds_load_b128 v[142:145], v1 offset:752
	scratch_load_b128 v[146:149], off, off offset:344
	s_waitcnt lgkmcnt(1)
	v_fma_f64 v[2:3], v[132:133], v[128:129], v[2:3]
	s_waitcnt vmcnt(4)
	s_delay_alu instid0(VALU_DEP_1) | instskip(SKIP_4) | instid1(VALU_DEP_1)
	v_fma_f64 v[2:3], v[134:135], v[130:131], v[2:3]
	scratch_load_b128 v[128:131], off, off offset:360
	s_waitcnt lgkmcnt(0)
	v_fma_f64 v[2:3], v[136:137], v[142:143], v[2:3]
	s_waitcnt vmcnt(4)
	v_fma_f64 v[2:3], v[138:139], v[144:145], v[2:3]
	ds_load_b128 v[132:135], v1 offset:768
	ds_load_b128 v[136:139], v1 offset:784
	s_waitcnt lgkmcnt(1)
	v_fma_f64 v[2:3], v[140:141], v[132:133], v[2:3]
	scratch_load_b128 v[140:143], off, off offset:376
	s_waitcnt vmcnt(4)
	v_fma_f64 v[2:3], v[150:151], v[134:135], v[2:3]
	scratch_load_b128 v[132:135], off, off offset:392
	s_waitcnt lgkmcnt(0)
	v_fma_f64 v[2:3], v[152:153], v[136:137], v[2:3]
	s_waitcnt vmcnt(4)
	s_delay_alu instid0(VALU_DEP_1)
	v_fma_f64 v[2:3], v[124:125], v[138:139], v[2:3]
	ds_load_b128 v[136:139], v1 offset:800
	ds_load_b128 v[150:153], v1 offset:816
	s_waitcnt lgkmcnt(1)
	v_fma_f64 v[2:3], v[126:127], v[136:137], v[2:3]
	scratch_load_b128 v[124:127], off, off offset:408
	s_waitcnt vmcnt(4)
	v_fma_f64 v[2:3], v[146:147], v[138:139], v[2:3]
	scratch_load_b128 v[136:139], off, off offset:424
	s_waitcnt lgkmcnt(0)
	v_fma_f64 v[2:3], v[148:149], v[150:151], v[2:3]
	ds_load_b128 v[144:147], v1 offset:832
	ds_load_b128 v[148:151], v1 offset:848
	s_waitcnt vmcnt(4)
	v_fma_f64 v[2:3], v[128:129], v[152:153], v[2:3]
	s_waitcnt lgkmcnt(1)
	s_delay_alu instid0(VALU_DEP_1) | instskip(SKIP_4) | instid1(VALU_DEP_1)
	v_fma_f64 v[2:3], v[130:131], v[144:145], v[2:3]
	scratch_load_b128 v[128:131], off, off offset:440
	s_waitcnt vmcnt(4)
	v_fma_f64 v[2:3], v[140:141], v[146:147], v[2:3]
	s_waitcnt lgkmcnt(0)
	v_fma_f64 v[2:3], v[142:143], v[148:149], v[2:3]
	scratch_load_b64 v[148:149], off, off offset:456
	ds_load_b128 v[140:143], v1 offset:864
	ds_load_b128 v[144:147], v1 offset:880
	s_waitcnt vmcnt(4)
	v_fma_f64 v[2:3], v[132:133], v[150:151], v[2:3]
	s_waitcnt lgkmcnt(1)
	s_delay_alu instid0(VALU_DEP_1) | instskip(SKIP_1) | instid1(VALU_DEP_1)
	v_fma_f64 v[2:3], v[134:135], v[140:141], v[2:3]
	s_waitcnt vmcnt(3)
	v_fma_f64 v[2:3], v[124:125], v[142:143], v[2:3]
	s_waitcnt lgkmcnt(0)
	s_delay_alu instid0(VALU_DEP_1) | instskip(SKIP_1) | instid1(VALU_DEP_1)
	v_fma_f64 v[2:3], v[126:127], v[144:145], v[2:3]
	s_waitcnt vmcnt(2)
	v_fma_f64 v[132:133], v[136:137], v[146:147], v[2:3]
	ds_load_b128 v[124:127], v1 offset:896
	ds_load_b128 v[1:4], v1 offset:912
	s_waitcnt lgkmcnt(1)
	v_fma_f64 v[124:125], v[138:139], v[124:125], v[132:133]
	s_waitcnt vmcnt(1)
	s_delay_alu instid0(VALU_DEP_1) | instskip(SKIP_1) | instid1(VALU_DEP_1)
	v_fma_f64 v[124:125], v[128:129], v[126:127], v[124:125]
	s_waitcnt lgkmcnt(0)
	v_fma_f64 v[1:2], v[130:131], v[1:2], v[124:125]
	s_waitcnt vmcnt(0)
	s_delay_alu instid0(VALU_DEP_1) | instskip(NEXT) | instid1(VALU_DEP_1)
	v_fma_f64 v[1:2], v[148:149], v[3:4], v[1:2]
	v_add_f64 v[1:2], v[122:123], -v[1:2]
	scratch_store_b64 off, v[1:2], off offset:232
	v_cmpx_lt_u32_e32 28, v0
	s_cbranch_execz .LBB121_301
; %bb.300:
	scratch_load_b64 v[1:2], off, off offset:224
	v_mov_b32_e32 v3, 0
	s_delay_alu instid0(VALU_DEP_1)
	v_mov_b32_e32 v4, v3
	scratch_store_b64 off, v[3:4], off offset:224
	s_waitcnt vmcnt(0)
	ds_store_b64 v5, v[1:2]
.LBB121_301:
	s_or_b32 exec_lo, exec_lo, s0
	s_waitcnt lgkmcnt(0)
	s_waitcnt_vscnt null, 0x0
	s_barrier
	buffer_gl0_inv
	s_clause 0x4
	scratch_load_b128 v[122:125], off, off offset:224
	scratch_load_b128 v[126:129], off, off offset:240
	;; [unrolled: 1-line block ×5, first 2 shown]
	v_mov_b32_e32 v1, 0
	ds_load_2addr_b64 v[142:145], v1 offset0:87 offset1:88
	ds_load_2addr_b64 v[146:149], v1 offset0:89 offset1:90
	scratch_load_b128 v[150:153], off, off offset:304
	s_mov_b32 s0, exec_lo
	s_waitcnt vmcnt(5) lgkmcnt(1)
	v_fma_f64 v[2:3], v[124:125], v[142:143], 0
	s_waitcnt vmcnt(4)
	s_delay_alu instid0(VALU_DEP_1) | instskip(SKIP_4) | instid1(VALU_DEP_1)
	v_fma_f64 v[2:3], v[126:127], v[144:145], v[2:3]
	scratch_load_b128 v[124:127], off, off offset:320
	s_waitcnt lgkmcnt(0)
	v_fma_f64 v[2:3], v[128:129], v[146:147], v[2:3]
	s_waitcnt vmcnt(4)
	v_fma_f64 v[2:3], v[130:131], v[148:149], v[2:3]
	ds_load_2addr_b64 v[128:131], v1 offset0:91 offset1:92
	ds_load_2addr_b64 v[142:145], v1 offset0:93 offset1:94
	scratch_load_b128 v[146:149], off, off offset:336
	s_waitcnt lgkmcnt(1)
	v_fma_f64 v[2:3], v[132:133], v[128:129], v[2:3]
	s_waitcnt vmcnt(4)
	s_delay_alu instid0(VALU_DEP_1) | instskip(SKIP_4) | instid1(VALU_DEP_1)
	v_fma_f64 v[2:3], v[134:135], v[130:131], v[2:3]
	scratch_load_b128 v[128:131], off, off offset:352
	s_waitcnt lgkmcnt(0)
	v_fma_f64 v[2:3], v[136:137], v[142:143], v[2:3]
	s_waitcnt vmcnt(4)
	v_fma_f64 v[2:3], v[138:139], v[144:145], v[2:3]
	ds_load_2addr_b64 v[132:135], v1 offset0:95 offset1:96
	ds_load_2addr_b64 v[136:139], v1 offset0:97 offset1:98
	s_waitcnt lgkmcnt(1)
	v_fma_f64 v[2:3], v[140:141], v[132:133], v[2:3]
	scratch_load_b128 v[140:143], off, off offset:368
	s_waitcnt vmcnt(4)
	v_fma_f64 v[2:3], v[150:151], v[134:135], v[2:3]
	scratch_load_b128 v[132:135], off, off offset:384
	s_waitcnt lgkmcnt(0)
	v_fma_f64 v[2:3], v[152:153], v[136:137], v[2:3]
	s_waitcnt vmcnt(4)
	s_delay_alu instid0(VALU_DEP_1)
	v_fma_f64 v[2:3], v[124:125], v[138:139], v[2:3]
	ds_load_2addr_b64 v[136:139], v1 offset0:99 offset1:100
	ds_load_2addr_b64 v[150:153], v1 offset0:101 offset1:102
	s_waitcnt lgkmcnt(1)
	v_fma_f64 v[2:3], v[126:127], v[136:137], v[2:3]
	scratch_load_b128 v[124:127], off, off offset:400
	s_waitcnt vmcnt(4)
	v_fma_f64 v[2:3], v[146:147], v[138:139], v[2:3]
	scratch_load_b128 v[136:139], off, off offset:416
	s_waitcnt lgkmcnt(0)
	v_fma_f64 v[2:3], v[148:149], v[150:151], v[2:3]
	ds_load_2addr_b64 v[144:147], v1 offset0:103 offset1:104
	ds_load_2addr_b64 v[148:151], v1 offset0:105 offset1:106
	s_waitcnt vmcnt(4)
	v_fma_f64 v[2:3], v[128:129], v[152:153], v[2:3]
	s_waitcnt lgkmcnt(1)
	s_delay_alu instid0(VALU_DEP_1) | instskip(SKIP_4) | instid1(VALU_DEP_1)
	v_fma_f64 v[2:3], v[130:131], v[144:145], v[2:3]
	scratch_load_b128 v[128:131], off, off offset:432
	s_waitcnt vmcnt(4)
	v_fma_f64 v[2:3], v[140:141], v[146:147], v[2:3]
	s_waitcnt lgkmcnt(0)
	v_fma_f64 v[2:3], v[142:143], v[148:149], v[2:3]
	scratch_load_b128 v[140:143], off, off offset:448
	s_waitcnt vmcnt(4)
	v_fma_f64 v[2:3], v[132:133], v[150:151], v[2:3]
	ds_load_2addr_b64 v[144:147], v1 offset0:107 offset1:108
	ds_load_2addr_b64 v[148:151], v1 offset0:109 offset1:110
	s_waitcnt lgkmcnt(1)
	v_fma_f64 v[2:3], v[134:135], v[144:145], v[2:3]
	s_waitcnt vmcnt(3)
	s_delay_alu instid0(VALU_DEP_1) | instskip(SKIP_1) | instid1(VALU_DEP_1)
	v_fma_f64 v[2:3], v[124:125], v[146:147], v[2:3]
	s_waitcnt lgkmcnt(0)
	v_fma_f64 v[2:3], v[126:127], v[148:149], v[2:3]
	ds_load_2addr_b64 v[124:127], v1 offset0:111 offset1:112
	ds_load_2addr_b64 v[132:135], v1 offset0:113 offset1:114
	s_waitcnt vmcnt(2)
	v_fma_f64 v[2:3], v[136:137], v[150:151], v[2:3]
	s_waitcnt lgkmcnt(1)
	s_delay_alu instid0(VALU_DEP_1) | instskip(SKIP_4) | instid1(VALU_DEP_1)
	v_fma_f64 v[2:3], v[138:139], v[124:125], v[2:3]
	ds_load_b64 v[124:125], v1 offset:920
	s_waitcnt vmcnt(1)
	v_fma_f64 v[2:3], v[128:129], v[126:127], v[2:3]
	s_waitcnt lgkmcnt(1)
	v_fma_f64 v[2:3], v[130:131], v[132:133], v[2:3]
	s_waitcnt vmcnt(0)
	s_delay_alu instid0(VALU_DEP_1) | instskip(SKIP_1) | instid1(VALU_DEP_1)
	v_fma_f64 v[2:3], v[140:141], v[134:135], v[2:3]
	s_waitcnt lgkmcnt(0)
	v_fma_f64 v[2:3], v[142:143], v[124:125], v[2:3]
	s_delay_alu instid0(VALU_DEP_1)
	v_add_f64 v[2:3], v[122:123], -v[2:3]
	scratch_store_b64 off, v[2:3], off offset:224
	v_cmpx_lt_u32_e32 27, v0
	s_cbranch_execz .LBB121_303
; %bb.302:
	scratch_load_b64 v[3:4], off, off offset:216
	v_mov_b32_e32 v2, v1
	scratch_store_b64 off, v[1:2], off offset:216
	s_waitcnt vmcnt(0)
	ds_store_b64 v5, v[3:4]
.LBB121_303:
	s_or_b32 exec_lo, exec_lo, s0
	s_waitcnt lgkmcnt(0)
	s_waitcnt_vscnt null, 0x0
	s_barrier
	buffer_gl0_inv
	s_clause 0x4
	scratch_load_b128 v[122:125], off, off offset:216
	scratch_load_b128 v[126:129], off, off offset:232
	;; [unrolled: 1-line block ×5, first 2 shown]
	ds_load_b128 v[142:145], v1 offset:688
	ds_load_b128 v[146:149], v1 offset:704
	scratch_load_b128 v[150:153], off, off offset:296
	s_mov_b32 s0, exec_lo
	s_waitcnt vmcnt(5) lgkmcnt(1)
	v_fma_f64 v[2:3], v[124:125], v[142:143], 0
	s_waitcnt vmcnt(4)
	s_delay_alu instid0(VALU_DEP_1) | instskip(SKIP_4) | instid1(VALU_DEP_1)
	v_fma_f64 v[2:3], v[126:127], v[144:145], v[2:3]
	scratch_load_b128 v[124:127], off, off offset:312
	s_waitcnt lgkmcnt(0)
	v_fma_f64 v[2:3], v[128:129], v[146:147], v[2:3]
	s_waitcnt vmcnt(4)
	v_fma_f64 v[2:3], v[130:131], v[148:149], v[2:3]
	ds_load_b128 v[128:131], v1 offset:720
	ds_load_b128 v[142:145], v1 offset:736
	scratch_load_b128 v[146:149], off, off offset:328
	s_waitcnt lgkmcnt(1)
	v_fma_f64 v[2:3], v[132:133], v[128:129], v[2:3]
	s_waitcnt vmcnt(4)
	s_delay_alu instid0(VALU_DEP_1) | instskip(SKIP_4) | instid1(VALU_DEP_1)
	v_fma_f64 v[2:3], v[134:135], v[130:131], v[2:3]
	scratch_load_b128 v[128:131], off, off offset:344
	s_waitcnt lgkmcnt(0)
	v_fma_f64 v[2:3], v[136:137], v[142:143], v[2:3]
	s_waitcnt vmcnt(4)
	v_fma_f64 v[2:3], v[138:139], v[144:145], v[2:3]
	ds_load_b128 v[132:135], v1 offset:752
	ds_load_b128 v[136:139], v1 offset:768
	s_waitcnt lgkmcnt(1)
	v_fma_f64 v[2:3], v[140:141], v[132:133], v[2:3]
	scratch_load_b128 v[140:143], off, off offset:360
	s_waitcnt vmcnt(4)
	v_fma_f64 v[2:3], v[150:151], v[134:135], v[2:3]
	scratch_load_b128 v[132:135], off, off offset:376
	s_waitcnt lgkmcnt(0)
	v_fma_f64 v[2:3], v[152:153], v[136:137], v[2:3]
	s_waitcnt vmcnt(4)
	s_delay_alu instid0(VALU_DEP_1)
	v_fma_f64 v[2:3], v[124:125], v[138:139], v[2:3]
	ds_load_b128 v[136:139], v1 offset:784
	ds_load_b128 v[150:153], v1 offset:800
	s_waitcnt lgkmcnt(1)
	v_fma_f64 v[2:3], v[126:127], v[136:137], v[2:3]
	scratch_load_b128 v[124:127], off, off offset:392
	s_waitcnt vmcnt(4)
	v_fma_f64 v[2:3], v[146:147], v[138:139], v[2:3]
	scratch_load_b128 v[136:139], off, off offset:408
	s_waitcnt lgkmcnt(0)
	v_fma_f64 v[2:3], v[148:149], v[150:151], v[2:3]
	ds_load_b128 v[144:147], v1 offset:816
	ds_load_b128 v[148:151], v1 offset:832
	s_waitcnt vmcnt(4)
	v_fma_f64 v[2:3], v[128:129], v[152:153], v[2:3]
	s_waitcnt lgkmcnt(1)
	s_delay_alu instid0(VALU_DEP_1) | instskip(SKIP_4) | instid1(VALU_DEP_1)
	v_fma_f64 v[2:3], v[130:131], v[144:145], v[2:3]
	scratch_load_b128 v[128:131], off, off offset:424
	s_waitcnt vmcnt(4)
	v_fma_f64 v[2:3], v[140:141], v[146:147], v[2:3]
	s_waitcnt lgkmcnt(0)
	v_fma_f64 v[2:3], v[142:143], v[148:149], v[2:3]
	scratch_load_b128 v[140:143], off, off offset:440
	s_waitcnt vmcnt(4)
	v_fma_f64 v[2:3], v[132:133], v[150:151], v[2:3]
	ds_load_b128 v[144:147], v1 offset:848
	ds_load_b128 v[148:151], v1 offset:864
	s_waitcnt lgkmcnt(1)
	v_fma_f64 v[2:3], v[134:135], v[144:145], v[2:3]
	scratch_load_b64 v[144:145], off, off offset:456
	s_waitcnt vmcnt(4)
	v_fma_f64 v[2:3], v[124:125], v[146:147], v[2:3]
	s_waitcnt lgkmcnt(0)
	s_delay_alu instid0(VALU_DEP_1)
	v_fma_f64 v[2:3], v[126:127], v[148:149], v[2:3]
	ds_load_b128 v[124:127], v1 offset:880
	ds_load_b128 v[132:135], v1 offset:896
	s_waitcnt vmcnt(3)
	v_fma_f64 v[2:3], v[136:137], v[150:151], v[2:3]
	s_waitcnt lgkmcnt(1)
	s_delay_alu instid0(VALU_DEP_1) | instskip(SKIP_1) | instid1(VALU_DEP_1)
	v_fma_f64 v[2:3], v[138:139], v[124:125], v[2:3]
	s_waitcnt vmcnt(2)
	v_fma_f64 v[2:3], v[128:129], v[126:127], v[2:3]
	s_waitcnt lgkmcnt(0)
	s_delay_alu instid0(VALU_DEP_1) | instskip(SKIP_1) | instid1(VALU_DEP_1)
	v_fma_f64 v[2:3], v[130:131], v[132:133], v[2:3]
	s_waitcnt vmcnt(1)
	v_fma_f64 v[124:125], v[140:141], v[134:135], v[2:3]
	ds_load_b128 v[1:4], v1 offset:912
	s_waitcnt lgkmcnt(0)
	v_fma_f64 v[1:2], v[142:143], v[1:2], v[124:125]
	s_waitcnt vmcnt(0)
	s_delay_alu instid0(VALU_DEP_1) | instskip(NEXT) | instid1(VALU_DEP_1)
	v_fma_f64 v[1:2], v[144:145], v[3:4], v[1:2]
	v_add_f64 v[1:2], v[122:123], -v[1:2]
	scratch_store_b64 off, v[1:2], off offset:216
	v_cmpx_lt_u32_e32 26, v0
	s_cbranch_execz .LBB121_305
; %bb.304:
	scratch_load_b64 v[1:2], off, off offset:208
	v_mov_b32_e32 v3, 0
	s_delay_alu instid0(VALU_DEP_1)
	v_mov_b32_e32 v4, v3
	scratch_store_b64 off, v[3:4], off offset:208
	s_waitcnt vmcnt(0)
	ds_store_b64 v5, v[1:2]
.LBB121_305:
	s_or_b32 exec_lo, exec_lo, s0
	s_waitcnt lgkmcnt(0)
	s_waitcnt_vscnt null, 0x0
	s_barrier
	buffer_gl0_inv
	s_clause 0x4
	scratch_load_b128 v[122:125], off, off offset:208
	scratch_load_b128 v[126:129], off, off offset:224
	;; [unrolled: 1-line block ×5, first 2 shown]
	v_mov_b32_e32 v1, 0
	ds_load_2addr_b64 v[142:145], v1 offset0:85 offset1:86
	ds_load_2addr_b64 v[146:149], v1 offset0:87 offset1:88
	scratch_load_b128 v[150:153], off, off offset:288
	s_mov_b32 s0, exec_lo
	s_waitcnt vmcnt(5) lgkmcnt(1)
	v_fma_f64 v[2:3], v[124:125], v[142:143], 0
	s_waitcnt vmcnt(4)
	s_delay_alu instid0(VALU_DEP_1) | instskip(SKIP_4) | instid1(VALU_DEP_1)
	v_fma_f64 v[2:3], v[126:127], v[144:145], v[2:3]
	scratch_load_b128 v[124:127], off, off offset:304
	s_waitcnt lgkmcnt(0)
	v_fma_f64 v[2:3], v[128:129], v[146:147], v[2:3]
	s_waitcnt vmcnt(4)
	v_fma_f64 v[2:3], v[130:131], v[148:149], v[2:3]
	ds_load_2addr_b64 v[128:131], v1 offset0:89 offset1:90
	ds_load_2addr_b64 v[142:145], v1 offset0:91 offset1:92
	scratch_load_b128 v[146:149], off, off offset:320
	s_waitcnt lgkmcnt(1)
	v_fma_f64 v[2:3], v[132:133], v[128:129], v[2:3]
	s_waitcnt vmcnt(4)
	s_delay_alu instid0(VALU_DEP_1) | instskip(SKIP_4) | instid1(VALU_DEP_1)
	v_fma_f64 v[2:3], v[134:135], v[130:131], v[2:3]
	scratch_load_b128 v[128:131], off, off offset:336
	s_waitcnt lgkmcnt(0)
	v_fma_f64 v[2:3], v[136:137], v[142:143], v[2:3]
	s_waitcnt vmcnt(4)
	v_fma_f64 v[2:3], v[138:139], v[144:145], v[2:3]
	ds_load_2addr_b64 v[132:135], v1 offset0:93 offset1:94
	ds_load_2addr_b64 v[136:139], v1 offset0:95 offset1:96
	s_waitcnt lgkmcnt(1)
	v_fma_f64 v[2:3], v[140:141], v[132:133], v[2:3]
	scratch_load_b128 v[140:143], off, off offset:352
	s_waitcnt vmcnt(4)
	v_fma_f64 v[2:3], v[150:151], v[134:135], v[2:3]
	scratch_load_b128 v[132:135], off, off offset:368
	s_waitcnt lgkmcnt(0)
	v_fma_f64 v[2:3], v[152:153], v[136:137], v[2:3]
	s_waitcnt vmcnt(4)
	s_delay_alu instid0(VALU_DEP_1)
	v_fma_f64 v[2:3], v[124:125], v[138:139], v[2:3]
	ds_load_2addr_b64 v[136:139], v1 offset0:97 offset1:98
	ds_load_2addr_b64 v[150:153], v1 offset0:99 offset1:100
	s_waitcnt lgkmcnt(1)
	v_fma_f64 v[2:3], v[126:127], v[136:137], v[2:3]
	scratch_load_b128 v[124:127], off, off offset:384
	s_waitcnt vmcnt(4)
	v_fma_f64 v[2:3], v[146:147], v[138:139], v[2:3]
	scratch_load_b128 v[136:139], off, off offset:400
	s_waitcnt lgkmcnt(0)
	v_fma_f64 v[2:3], v[148:149], v[150:151], v[2:3]
	ds_load_2addr_b64 v[144:147], v1 offset0:101 offset1:102
	ds_load_2addr_b64 v[148:151], v1 offset0:103 offset1:104
	s_waitcnt vmcnt(4)
	v_fma_f64 v[2:3], v[128:129], v[152:153], v[2:3]
	s_waitcnt lgkmcnt(1)
	s_delay_alu instid0(VALU_DEP_1) | instskip(SKIP_4) | instid1(VALU_DEP_1)
	v_fma_f64 v[2:3], v[130:131], v[144:145], v[2:3]
	scratch_load_b128 v[128:131], off, off offset:416
	s_waitcnt vmcnt(4)
	v_fma_f64 v[2:3], v[140:141], v[146:147], v[2:3]
	s_waitcnt lgkmcnt(0)
	v_fma_f64 v[2:3], v[142:143], v[148:149], v[2:3]
	scratch_load_b128 v[140:143], off, off offset:432
	s_waitcnt vmcnt(4)
	v_fma_f64 v[2:3], v[132:133], v[150:151], v[2:3]
	ds_load_2addr_b64 v[144:147], v1 offset0:105 offset1:106
	ds_load_2addr_b64 v[148:151], v1 offset0:107 offset1:108
	s_waitcnt lgkmcnt(1)
	v_fma_f64 v[2:3], v[134:135], v[144:145], v[2:3]
	scratch_load_b128 v[132:135], off, off offset:448
	s_waitcnt vmcnt(4)
	v_fma_f64 v[2:3], v[124:125], v[146:147], v[2:3]
	s_waitcnt lgkmcnt(0)
	s_delay_alu instid0(VALU_DEP_1)
	v_fma_f64 v[2:3], v[126:127], v[148:149], v[2:3]
	ds_load_2addr_b64 v[124:127], v1 offset0:109 offset1:110
	ds_load_2addr_b64 v[144:147], v1 offset0:111 offset1:112
	s_waitcnt vmcnt(3)
	v_fma_f64 v[2:3], v[136:137], v[150:151], v[2:3]
	s_waitcnt lgkmcnt(1)
	s_delay_alu instid0(VALU_DEP_1) | instskip(SKIP_1) | instid1(VALU_DEP_1)
	v_fma_f64 v[2:3], v[138:139], v[124:125], v[2:3]
	s_waitcnt vmcnt(2)
	v_fma_f64 v[2:3], v[128:129], v[126:127], v[2:3]
	ds_load_2addr_b64 v[124:127], v1 offset0:113 offset1:114
	ds_load_b64 v[128:129], v1 offset:920
	s_waitcnt lgkmcnt(2)
	v_fma_f64 v[2:3], v[130:131], v[144:145], v[2:3]
	s_waitcnt vmcnt(1)
	s_delay_alu instid0(VALU_DEP_1) | instskip(SKIP_1) | instid1(VALU_DEP_1)
	v_fma_f64 v[2:3], v[140:141], v[146:147], v[2:3]
	s_waitcnt lgkmcnt(1)
	v_fma_f64 v[2:3], v[142:143], v[124:125], v[2:3]
	s_waitcnt vmcnt(0)
	s_delay_alu instid0(VALU_DEP_1) | instskip(SKIP_1) | instid1(VALU_DEP_1)
	v_fma_f64 v[2:3], v[132:133], v[126:127], v[2:3]
	s_waitcnt lgkmcnt(0)
	v_fma_f64 v[2:3], v[134:135], v[128:129], v[2:3]
	s_delay_alu instid0(VALU_DEP_1)
	v_add_f64 v[2:3], v[122:123], -v[2:3]
	scratch_store_b64 off, v[2:3], off offset:208
	v_cmpx_lt_u32_e32 25, v0
	s_cbranch_execz .LBB121_307
; %bb.306:
	scratch_load_b64 v[3:4], off, off offset:200
	v_mov_b32_e32 v2, v1
	scratch_store_b64 off, v[1:2], off offset:200
	s_waitcnt vmcnt(0)
	ds_store_b64 v5, v[3:4]
.LBB121_307:
	s_or_b32 exec_lo, exec_lo, s0
	s_waitcnt lgkmcnt(0)
	s_waitcnt_vscnt null, 0x0
	s_barrier
	buffer_gl0_inv
	s_clause 0x4
	scratch_load_b128 v[122:125], off, off offset:200
	scratch_load_b128 v[126:129], off, off offset:216
	;; [unrolled: 1-line block ×5, first 2 shown]
	ds_load_b128 v[142:145], v1 offset:672
	ds_load_b128 v[146:149], v1 offset:688
	scratch_load_b128 v[150:153], off, off offset:280
	s_mov_b32 s0, exec_lo
	s_waitcnt vmcnt(5) lgkmcnt(1)
	v_fma_f64 v[2:3], v[124:125], v[142:143], 0
	s_waitcnt vmcnt(4)
	s_delay_alu instid0(VALU_DEP_1) | instskip(SKIP_4) | instid1(VALU_DEP_1)
	v_fma_f64 v[2:3], v[126:127], v[144:145], v[2:3]
	scratch_load_b128 v[124:127], off, off offset:296
	s_waitcnt lgkmcnt(0)
	v_fma_f64 v[2:3], v[128:129], v[146:147], v[2:3]
	s_waitcnt vmcnt(4)
	v_fma_f64 v[2:3], v[130:131], v[148:149], v[2:3]
	ds_load_b128 v[128:131], v1 offset:704
	ds_load_b128 v[142:145], v1 offset:720
	scratch_load_b128 v[146:149], off, off offset:312
	s_waitcnt lgkmcnt(1)
	v_fma_f64 v[2:3], v[132:133], v[128:129], v[2:3]
	s_waitcnt vmcnt(4)
	s_delay_alu instid0(VALU_DEP_1) | instskip(SKIP_4) | instid1(VALU_DEP_1)
	v_fma_f64 v[2:3], v[134:135], v[130:131], v[2:3]
	scratch_load_b128 v[128:131], off, off offset:328
	s_waitcnt lgkmcnt(0)
	v_fma_f64 v[2:3], v[136:137], v[142:143], v[2:3]
	s_waitcnt vmcnt(4)
	v_fma_f64 v[2:3], v[138:139], v[144:145], v[2:3]
	ds_load_b128 v[132:135], v1 offset:736
	ds_load_b128 v[136:139], v1 offset:752
	s_waitcnt lgkmcnt(1)
	v_fma_f64 v[2:3], v[140:141], v[132:133], v[2:3]
	scratch_load_b128 v[140:143], off, off offset:344
	s_waitcnt vmcnt(4)
	v_fma_f64 v[2:3], v[150:151], v[134:135], v[2:3]
	scratch_load_b128 v[132:135], off, off offset:360
	s_waitcnt lgkmcnt(0)
	v_fma_f64 v[2:3], v[152:153], v[136:137], v[2:3]
	s_waitcnt vmcnt(4)
	s_delay_alu instid0(VALU_DEP_1)
	v_fma_f64 v[2:3], v[124:125], v[138:139], v[2:3]
	ds_load_b128 v[136:139], v1 offset:768
	ds_load_b128 v[150:153], v1 offset:784
	s_waitcnt lgkmcnt(1)
	v_fma_f64 v[2:3], v[126:127], v[136:137], v[2:3]
	scratch_load_b128 v[124:127], off, off offset:376
	s_waitcnt vmcnt(4)
	v_fma_f64 v[2:3], v[146:147], v[138:139], v[2:3]
	scratch_load_b128 v[136:139], off, off offset:392
	s_waitcnt lgkmcnt(0)
	v_fma_f64 v[2:3], v[148:149], v[150:151], v[2:3]
	ds_load_b128 v[144:147], v1 offset:800
	ds_load_b128 v[148:151], v1 offset:816
	s_waitcnt vmcnt(4)
	v_fma_f64 v[2:3], v[128:129], v[152:153], v[2:3]
	s_waitcnt lgkmcnt(1)
	s_delay_alu instid0(VALU_DEP_1) | instskip(SKIP_4) | instid1(VALU_DEP_1)
	v_fma_f64 v[2:3], v[130:131], v[144:145], v[2:3]
	scratch_load_b128 v[128:131], off, off offset:408
	s_waitcnt vmcnt(4)
	v_fma_f64 v[2:3], v[140:141], v[146:147], v[2:3]
	s_waitcnt lgkmcnt(0)
	v_fma_f64 v[2:3], v[142:143], v[148:149], v[2:3]
	scratch_load_b128 v[140:143], off, off offset:424
	s_waitcnt vmcnt(4)
	v_fma_f64 v[2:3], v[132:133], v[150:151], v[2:3]
	ds_load_b128 v[144:147], v1 offset:832
	ds_load_b128 v[148:151], v1 offset:848
	s_waitcnt lgkmcnt(1)
	v_fma_f64 v[2:3], v[134:135], v[144:145], v[2:3]
	scratch_load_b128 v[132:135], off, off offset:440
	s_waitcnt vmcnt(4)
	v_fma_f64 v[2:3], v[124:125], v[146:147], v[2:3]
	s_waitcnt lgkmcnt(0)
	s_delay_alu instid0(VALU_DEP_1)
	v_fma_f64 v[2:3], v[126:127], v[148:149], v[2:3]
	scratch_load_b64 v[148:149], off, off offset:456
	ds_load_b128 v[124:127], v1 offset:864
	ds_load_b128 v[144:147], v1 offset:880
	s_waitcnt vmcnt(4)
	v_fma_f64 v[2:3], v[136:137], v[150:151], v[2:3]
	s_waitcnt lgkmcnt(1)
	s_delay_alu instid0(VALU_DEP_1) | instskip(SKIP_1) | instid1(VALU_DEP_1)
	v_fma_f64 v[2:3], v[138:139], v[124:125], v[2:3]
	s_waitcnt vmcnt(3)
	v_fma_f64 v[2:3], v[128:129], v[126:127], v[2:3]
	s_waitcnt lgkmcnt(0)
	s_delay_alu instid0(VALU_DEP_1) | instskip(SKIP_1) | instid1(VALU_DEP_1)
	v_fma_f64 v[2:3], v[130:131], v[144:145], v[2:3]
	s_waitcnt vmcnt(2)
	v_fma_f64 v[128:129], v[140:141], v[146:147], v[2:3]
	ds_load_b128 v[124:127], v1 offset:896
	ds_load_b128 v[1:4], v1 offset:912
	s_waitcnt lgkmcnt(1)
	v_fma_f64 v[124:125], v[142:143], v[124:125], v[128:129]
	s_waitcnt vmcnt(1)
	s_delay_alu instid0(VALU_DEP_1) | instskip(SKIP_1) | instid1(VALU_DEP_1)
	v_fma_f64 v[124:125], v[132:133], v[126:127], v[124:125]
	s_waitcnt lgkmcnt(0)
	v_fma_f64 v[1:2], v[134:135], v[1:2], v[124:125]
	s_waitcnt vmcnt(0)
	s_delay_alu instid0(VALU_DEP_1) | instskip(NEXT) | instid1(VALU_DEP_1)
	v_fma_f64 v[1:2], v[148:149], v[3:4], v[1:2]
	v_add_f64 v[1:2], v[122:123], -v[1:2]
	scratch_store_b64 off, v[1:2], off offset:200
	v_cmpx_lt_u32_e32 24, v0
	s_cbranch_execz .LBB121_309
; %bb.308:
	scratch_load_b64 v[1:2], off, off offset:192
	v_mov_b32_e32 v3, 0
	s_delay_alu instid0(VALU_DEP_1)
	v_mov_b32_e32 v4, v3
	scratch_store_b64 off, v[3:4], off offset:192
	s_waitcnt vmcnt(0)
	ds_store_b64 v5, v[1:2]
.LBB121_309:
	s_or_b32 exec_lo, exec_lo, s0
	s_waitcnt lgkmcnt(0)
	s_waitcnt_vscnt null, 0x0
	s_barrier
	buffer_gl0_inv
	s_clause 0x4
	scratch_load_b128 v[122:125], off, off offset:192
	scratch_load_b128 v[126:129], off, off offset:208
	;; [unrolled: 1-line block ×5, first 2 shown]
	v_mov_b32_e32 v1, 0
	ds_load_2addr_b64 v[142:145], v1 offset0:83 offset1:84
	ds_load_2addr_b64 v[146:149], v1 offset0:85 offset1:86
	scratch_load_b128 v[150:153], off, off offset:272
	s_mov_b32 s0, exec_lo
	s_waitcnt vmcnt(5) lgkmcnt(1)
	v_fma_f64 v[2:3], v[124:125], v[142:143], 0
	s_waitcnt vmcnt(4)
	s_delay_alu instid0(VALU_DEP_1) | instskip(SKIP_4) | instid1(VALU_DEP_1)
	v_fma_f64 v[2:3], v[126:127], v[144:145], v[2:3]
	scratch_load_b128 v[124:127], off, off offset:288
	s_waitcnt lgkmcnt(0)
	v_fma_f64 v[2:3], v[128:129], v[146:147], v[2:3]
	s_waitcnt vmcnt(4)
	v_fma_f64 v[2:3], v[130:131], v[148:149], v[2:3]
	ds_load_2addr_b64 v[128:131], v1 offset0:87 offset1:88
	ds_load_2addr_b64 v[142:145], v1 offset0:89 offset1:90
	scratch_load_b128 v[146:149], off, off offset:304
	s_waitcnt lgkmcnt(1)
	v_fma_f64 v[2:3], v[132:133], v[128:129], v[2:3]
	s_waitcnt vmcnt(4)
	s_delay_alu instid0(VALU_DEP_1) | instskip(SKIP_4) | instid1(VALU_DEP_1)
	v_fma_f64 v[2:3], v[134:135], v[130:131], v[2:3]
	scratch_load_b128 v[128:131], off, off offset:320
	s_waitcnt lgkmcnt(0)
	v_fma_f64 v[2:3], v[136:137], v[142:143], v[2:3]
	s_waitcnt vmcnt(4)
	v_fma_f64 v[2:3], v[138:139], v[144:145], v[2:3]
	ds_load_2addr_b64 v[132:135], v1 offset0:91 offset1:92
	ds_load_2addr_b64 v[136:139], v1 offset0:93 offset1:94
	s_waitcnt lgkmcnt(1)
	v_fma_f64 v[2:3], v[140:141], v[132:133], v[2:3]
	scratch_load_b128 v[140:143], off, off offset:336
	s_waitcnt vmcnt(4)
	v_fma_f64 v[2:3], v[150:151], v[134:135], v[2:3]
	scratch_load_b128 v[132:135], off, off offset:352
	s_waitcnt lgkmcnt(0)
	v_fma_f64 v[2:3], v[152:153], v[136:137], v[2:3]
	s_waitcnt vmcnt(4)
	s_delay_alu instid0(VALU_DEP_1)
	v_fma_f64 v[2:3], v[124:125], v[138:139], v[2:3]
	ds_load_2addr_b64 v[136:139], v1 offset0:95 offset1:96
	ds_load_2addr_b64 v[150:153], v1 offset0:97 offset1:98
	s_waitcnt lgkmcnt(1)
	v_fma_f64 v[2:3], v[126:127], v[136:137], v[2:3]
	scratch_load_b128 v[124:127], off, off offset:368
	s_waitcnt vmcnt(4)
	v_fma_f64 v[2:3], v[146:147], v[138:139], v[2:3]
	scratch_load_b128 v[136:139], off, off offset:384
	s_waitcnt lgkmcnt(0)
	v_fma_f64 v[2:3], v[148:149], v[150:151], v[2:3]
	ds_load_2addr_b64 v[144:147], v1 offset0:99 offset1:100
	ds_load_2addr_b64 v[148:151], v1 offset0:101 offset1:102
	s_waitcnt vmcnt(4)
	v_fma_f64 v[2:3], v[128:129], v[152:153], v[2:3]
	s_waitcnt lgkmcnt(1)
	s_delay_alu instid0(VALU_DEP_1) | instskip(SKIP_4) | instid1(VALU_DEP_1)
	v_fma_f64 v[2:3], v[130:131], v[144:145], v[2:3]
	scratch_load_b128 v[128:131], off, off offset:400
	s_waitcnt vmcnt(4)
	v_fma_f64 v[2:3], v[140:141], v[146:147], v[2:3]
	s_waitcnt lgkmcnt(0)
	v_fma_f64 v[2:3], v[142:143], v[148:149], v[2:3]
	scratch_load_b128 v[140:143], off, off offset:416
	s_waitcnt vmcnt(4)
	v_fma_f64 v[2:3], v[132:133], v[150:151], v[2:3]
	ds_load_2addr_b64 v[144:147], v1 offset0:103 offset1:104
	ds_load_2addr_b64 v[148:151], v1 offset0:105 offset1:106
	s_waitcnt lgkmcnt(1)
	v_fma_f64 v[2:3], v[134:135], v[144:145], v[2:3]
	scratch_load_b128 v[132:135], off, off offset:432
	s_waitcnt vmcnt(4)
	v_fma_f64 v[2:3], v[124:125], v[146:147], v[2:3]
	s_waitcnt lgkmcnt(0)
	s_delay_alu instid0(VALU_DEP_1)
	v_fma_f64 v[2:3], v[126:127], v[148:149], v[2:3]
	scratch_load_b128 v[124:127], off, off offset:448
	s_waitcnt vmcnt(4)
	v_fma_f64 v[2:3], v[136:137], v[150:151], v[2:3]
	ds_load_2addr_b64 v[144:147], v1 offset0:107 offset1:108
	ds_load_2addr_b64 v[148:151], v1 offset0:109 offset1:110
	s_waitcnt lgkmcnt(1)
	v_fma_f64 v[2:3], v[138:139], v[144:145], v[2:3]
	s_waitcnt vmcnt(3)
	s_delay_alu instid0(VALU_DEP_1) | instskip(SKIP_1) | instid1(VALU_DEP_1)
	v_fma_f64 v[2:3], v[128:129], v[146:147], v[2:3]
	s_waitcnt lgkmcnt(0)
	v_fma_f64 v[2:3], v[130:131], v[148:149], v[2:3]
	ds_load_2addr_b64 v[128:131], v1 offset0:111 offset1:112
	ds_load_2addr_b64 v[136:139], v1 offset0:113 offset1:114
	s_waitcnt vmcnt(2)
	v_fma_f64 v[2:3], v[140:141], v[150:151], v[2:3]
	s_waitcnt lgkmcnt(1)
	s_delay_alu instid0(VALU_DEP_1) | instskip(SKIP_1) | instid1(VALU_DEP_1)
	v_fma_f64 v[2:3], v[142:143], v[128:129], v[2:3]
	s_waitcnt vmcnt(1)
	v_fma_f64 v[2:3], v[132:133], v[130:131], v[2:3]
	s_waitcnt lgkmcnt(0)
	s_delay_alu instid0(VALU_DEP_1) | instskip(SKIP_1) | instid1(VALU_DEP_1)
	v_fma_f64 v[2:3], v[134:135], v[136:137], v[2:3]
	s_waitcnt vmcnt(0)
	v_fma_f64 v[2:3], v[124:125], v[138:139], v[2:3]
	ds_load_b64 v[124:125], v1 offset:920
	s_waitcnt lgkmcnt(0)
	v_fma_f64 v[2:3], v[126:127], v[124:125], v[2:3]
	s_delay_alu instid0(VALU_DEP_1)
	v_add_f64 v[2:3], v[122:123], -v[2:3]
	scratch_store_b64 off, v[2:3], off offset:192
	v_cmpx_lt_u32_e32 23, v0
	s_cbranch_execz .LBB121_311
; %bb.310:
	scratch_load_b64 v[3:4], off, off offset:184
	v_mov_b32_e32 v2, v1
	scratch_store_b64 off, v[1:2], off offset:184
	s_waitcnt vmcnt(0)
	ds_store_b64 v5, v[3:4]
.LBB121_311:
	s_or_b32 exec_lo, exec_lo, s0
	s_waitcnt lgkmcnt(0)
	s_waitcnt_vscnt null, 0x0
	s_barrier
	buffer_gl0_inv
	s_clause 0x4
	scratch_load_b128 v[122:125], off, off offset:184
	scratch_load_b128 v[126:129], off, off offset:200
	;; [unrolled: 1-line block ×5, first 2 shown]
	ds_load_b128 v[142:145], v1 offset:656
	ds_load_b128 v[146:149], v1 offset:672
	scratch_load_b128 v[150:153], off, off offset:264
	s_mov_b32 s0, exec_lo
	s_waitcnt vmcnt(5) lgkmcnt(1)
	v_fma_f64 v[2:3], v[124:125], v[142:143], 0
	s_waitcnt vmcnt(4)
	s_delay_alu instid0(VALU_DEP_1) | instskip(SKIP_4) | instid1(VALU_DEP_1)
	v_fma_f64 v[2:3], v[126:127], v[144:145], v[2:3]
	scratch_load_b128 v[124:127], off, off offset:280
	s_waitcnt lgkmcnt(0)
	v_fma_f64 v[2:3], v[128:129], v[146:147], v[2:3]
	s_waitcnt vmcnt(4)
	v_fma_f64 v[2:3], v[130:131], v[148:149], v[2:3]
	ds_load_b128 v[128:131], v1 offset:688
	ds_load_b128 v[142:145], v1 offset:704
	scratch_load_b128 v[146:149], off, off offset:296
	s_waitcnt lgkmcnt(1)
	v_fma_f64 v[2:3], v[132:133], v[128:129], v[2:3]
	s_waitcnt vmcnt(4)
	s_delay_alu instid0(VALU_DEP_1) | instskip(SKIP_4) | instid1(VALU_DEP_1)
	v_fma_f64 v[2:3], v[134:135], v[130:131], v[2:3]
	scratch_load_b128 v[128:131], off, off offset:312
	s_waitcnt lgkmcnt(0)
	v_fma_f64 v[2:3], v[136:137], v[142:143], v[2:3]
	s_waitcnt vmcnt(4)
	v_fma_f64 v[2:3], v[138:139], v[144:145], v[2:3]
	ds_load_b128 v[132:135], v1 offset:720
	ds_load_b128 v[136:139], v1 offset:736
	s_waitcnt lgkmcnt(1)
	v_fma_f64 v[2:3], v[140:141], v[132:133], v[2:3]
	scratch_load_b128 v[140:143], off, off offset:328
	s_waitcnt vmcnt(4)
	v_fma_f64 v[2:3], v[150:151], v[134:135], v[2:3]
	scratch_load_b128 v[132:135], off, off offset:344
	s_waitcnt lgkmcnt(0)
	v_fma_f64 v[2:3], v[152:153], v[136:137], v[2:3]
	s_waitcnt vmcnt(4)
	s_delay_alu instid0(VALU_DEP_1)
	v_fma_f64 v[2:3], v[124:125], v[138:139], v[2:3]
	ds_load_b128 v[136:139], v1 offset:752
	ds_load_b128 v[150:153], v1 offset:768
	s_waitcnt lgkmcnt(1)
	v_fma_f64 v[2:3], v[126:127], v[136:137], v[2:3]
	scratch_load_b128 v[124:127], off, off offset:360
	s_waitcnt vmcnt(4)
	v_fma_f64 v[2:3], v[146:147], v[138:139], v[2:3]
	scratch_load_b128 v[136:139], off, off offset:376
	s_waitcnt lgkmcnt(0)
	v_fma_f64 v[2:3], v[148:149], v[150:151], v[2:3]
	ds_load_b128 v[144:147], v1 offset:784
	ds_load_b128 v[148:151], v1 offset:800
	s_waitcnt vmcnt(4)
	v_fma_f64 v[2:3], v[128:129], v[152:153], v[2:3]
	s_waitcnt lgkmcnt(1)
	s_delay_alu instid0(VALU_DEP_1) | instskip(SKIP_4) | instid1(VALU_DEP_1)
	v_fma_f64 v[2:3], v[130:131], v[144:145], v[2:3]
	scratch_load_b128 v[128:131], off, off offset:392
	s_waitcnt vmcnt(4)
	v_fma_f64 v[2:3], v[140:141], v[146:147], v[2:3]
	s_waitcnt lgkmcnt(0)
	v_fma_f64 v[2:3], v[142:143], v[148:149], v[2:3]
	scratch_load_b128 v[140:143], off, off offset:408
	s_waitcnt vmcnt(4)
	v_fma_f64 v[2:3], v[132:133], v[150:151], v[2:3]
	ds_load_b128 v[144:147], v1 offset:816
	ds_load_b128 v[148:151], v1 offset:832
	s_waitcnt lgkmcnt(1)
	v_fma_f64 v[2:3], v[134:135], v[144:145], v[2:3]
	scratch_load_b128 v[132:135], off, off offset:424
	s_waitcnt vmcnt(4)
	v_fma_f64 v[2:3], v[124:125], v[146:147], v[2:3]
	s_waitcnt lgkmcnt(0)
	s_delay_alu instid0(VALU_DEP_1)
	v_fma_f64 v[2:3], v[126:127], v[148:149], v[2:3]
	scratch_load_b128 v[124:127], off, off offset:440
	s_waitcnt vmcnt(4)
	v_fma_f64 v[2:3], v[136:137], v[150:151], v[2:3]
	ds_load_b128 v[144:147], v1 offset:848
	ds_load_b128 v[148:151], v1 offset:864
	s_waitcnt lgkmcnt(1)
	v_fma_f64 v[2:3], v[138:139], v[144:145], v[2:3]
	scratch_load_b64 v[144:145], off, off offset:456
	s_waitcnt vmcnt(4)
	v_fma_f64 v[2:3], v[128:129], v[146:147], v[2:3]
	s_waitcnt lgkmcnt(0)
	s_delay_alu instid0(VALU_DEP_1)
	v_fma_f64 v[2:3], v[130:131], v[148:149], v[2:3]
	ds_load_b128 v[128:131], v1 offset:880
	ds_load_b128 v[136:139], v1 offset:896
	s_waitcnt vmcnt(3)
	v_fma_f64 v[2:3], v[140:141], v[150:151], v[2:3]
	s_waitcnt lgkmcnt(1)
	s_delay_alu instid0(VALU_DEP_1) | instskip(SKIP_1) | instid1(VALU_DEP_1)
	v_fma_f64 v[2:3], v[142:143], v[128:129], v[2:3]
	s_waitcnt vmcnt(2)
	v_fma_f64 v[2:3], v[132:133], v[130:131], v[2:3]
	s_waitcnt lgkmcnt(0)
	s_delay_alu instid0(VALU_DEP_1) | instskip(SKIP_1) | instid1(VALU_DEP_1)
	v_fma_f64 v[2:3], v[134:135], v[136:137], v[2:3]
	s_waitcnt vmcnt(1)
	v_fma_f64 v[124:125], v[124:125], v[138:139], v[2:3]
	ds_load_b128 v[1:4], v1 offset:912
	s_waitcnt lgkmcnt(0)
	v_fma_f64 v[1:2], v[126:127], v[1:2], v[124:125]
	s_waitcnt vmcnt(0)
	s_delay_alu instid0(VALU_DEP_1) | instskip(NEXT) | instid1(VALU_DEP_1)
	v_fma_f64 v[1:2], v[144:145], v[3:4], v[1:2]
	v_add_f64 v[1:2], v[122:123], -v[1:2]
	scratch_store_b64 off, v[1:2], off offset:184
	v_cmpx_lt_u32_e32 22, v0
	s_cbranch_execz .LBB121_313
; %bb.312:
	scratch_load_b64 v[1:2], off, off offset:176
	v_mov_b32_e32 v3, 0
	s_delay_alu instid0(VALU_DEP_1)
	v_mov_b32_e32 v4, v3
	scratch_store_b64 off, v[3:4], off offset:176
	s_waitcnt vmcnt(0)
	ds_store_b64 v5, v[1:2]
.LBB121_313:
	s_or_b32 exec_lo, exec_lo, s0
	s_waitcnt lgkmcnt(0)
	s_waitcnt_vscnt null, 0x0
	s_barrier
	buffer_gl0_inv
	s_clause 0x4
	scratch_load_b128 v[122:125], off, off offset:176
	scratch_load_b128 v[126:129], off, off offset:192
	;; [unrolled: 1-line block ×5, first 2 shown]
	v_mov_b32_e32 v1, 0
	ds_load_2addr_b64 v[142:145], v1 offset0:81 offset1:82
	ds_load_2addr_b64 v[146:149], v1 offset0:83 offset1:84
	scratch_load_b128 v[150:153], off, off offset:256
	s_mov_b32 s0, exec_lo
	s_waitcnt vmcnt(5) lgkmcnt(1)
	v_fma_f64 v[2:3], v[124:125], v[142:143], 0
	s_waitcnt vmcnt(4)
	s_delay_alu instid0(VALU_DEP_1) | instskip(SKIP_4) | instid1(VALU_DEP_1)
	v_fma_f64 v[2:3], v[126:127], v[144:145], v[2:3]
	scratch_load_b128 v[124:127], off, off offset:272
	s_waitcnt lgkmcnt(0)
	v_fma_f64 v[2:3], v[128:129], v[146:147], v[2:3]
	s_waitcnt vmcnt(4)
	v_fma_f64 v[2:3], v[130:131], v[148:149], v[2:3]
	ds_load_2addr_b64 v[128:131], v1 offset0:85 offset1:86
	ds_load_2addr_b64 v[142:145], v1 offset0:87 offset1:88
	scratch_load_b128 v[146:149], off, off offset:288
	s_waitcnt lgkmcnt(1)
	v_fma_f64 v[2:3], v[132:133], v[128:129], v[2:3]
	s_waitcnt vmcnt(4)
	s_delay_alu instid0(VALU_DEP_1) | instskip(SKIP_4) | instid1(VALU_DEP_1)
	v_fma_f64 v[2:3], v[134:135], v[130:131], v[2:3]
	scratch_load_b128 v[128:131], off, off offset:304
	s_waitcnt lgkmcnt(0)
	v_fma_f64 v[2:3], v[136:137], v[142:143], v[2:3]
	s_waitcnt vmcnt(4)
	v_fma_f64 v[2:3], v[138:139], v[144:145], v[2:3]
	ds_load_2addr_b64 v[132:135], v1 offset0:89 offset1:90
	ds_load_2addr_b64 v[136:139], v1 offset0:91 offset1:92
	s_waitcnt lgkmcnt(1)
	v_fma_f64 v[2:3], v[140:141], v[132:133], v[2:3]
	scratch_load_b128 v[140:143], off, off offset:320
	s_waitcnt vmcnt(4)
	v_fma_f64 v[2:3], v[150:151], v[134:135], v[2:3]
	scratch_load_b128 v[132:135], off, off offset:336
	s_waitcnt lgkmcnt(0)
	v_fma_f64 v[2:3], v[152:153], v[136:137], v[2:3]
	s_waitcnt vmcnt(4)
	s_delay_alu instid0(VALU_DEP_1)
	v_fma_f64 v[2:3], v[124:125], v[138:139], v[2:3]
	ds_load_2addr_b64 v[136:139], v1 offset0:93 offset1:94
	ds_load_2addr_b64 v[150:153], v1 offset0:95 offset1:96
	s_waitcnt lgkmcnt(1)
	v_fma_f64 v[2:3], v[126:127], v[136:137], v[2:3]
	scratch_load_b128 v[124:127], off, off offset:352
	s_waitcnt vmcnt(4)
	v_fma_f64 v[2:3], v[146:147], v[138:139], v[2:3]
	scratch_load_b128 v[136:139], off, off offset:368
	s_waitcnt lgkmcnt(0)
	v_fma_f64 v[2:3], v[148:149], v[150:151], v[2:3]
	ds_load_2addr_b64 v[144:147], v1 offset0:97 offset1:98
	ds_load_2addr_b64 v[148:151], v1 offset0:99 offset1:100
	s_waitcnt vmcnt(4)
	v_fma_f64 v[2:3], v[128:129], v[152:153], v[2:3]
	s_waitcnt lgkmcnt(1)
	s_delay_alu instid0(VALU_DEP_1) | instskip(SKIP_4) | instid1(VALU_DEP_1)
	v_fma_f64 v[2:3], v[130:131], v[144:145], v[2:3]
	scratch_load_b128 v[128:131], off, off offset:384
	s_waitcnt vmcnt(4)
	v_fma_f64 v[2:3], v[140:141], v[146:147], v[2:3]
	s_waitcnt lgkmcnt(0)
	v_fma_f64 v[2:3], v[142:143], v[148:149], v[2:3]
	scratch_load_b128 v[140:143], off, off offset:400
	s_waitcnt vmcnt(4)
	v_fma_f64 v[2:3], v[132:133], v[150:151], v[2:3]
	ds_load_2addr_b64 v[144:147], v1 offset0:101 offset1:102
	ds_load_2addr_b64 v[148:151], v1 offset0:103 offset1:104
	s_waitcnt lgkmcnt(1)
	v_fma_f64 v[2:3], v[134:135], v[144:145], v[2:3]
	scratch_load_b128 v[132:135], off, off offset:416
	s_waitcnt vmcnt(4)
	v_fma_f64 v[2:3], v[124:125], v[146:147], v[2:3]
	s_waitcnt lgkmcnt(0)
	s_delay_alu instid0(VALU_DEP_1)
	v_fma_f64 v[2:3], v[126:127], v[148:149], v[2:3]
	scratch_load_b128 v[124:127], off, off offset:432
	s_waitcnt vmcnt(4)
	v_fma_f64 v[2:3], v[136:137], v[150:151], v[2:3]
	ds_load_2addr_b64 v[144:147], v1 offset0:105 offset1:106
	ds_load_2addr_b64 v[148:151], v1 offset0:107 offset1:108
	s_waitcnt lgkmcnt(1)
	v_fma_f64 v[2:3], v[138:139], v[144:145], v[2:3]
	scratch_load_b128 v[136:139], off, off offset:448
	s_waitcnt vmcnt(4)
	v_fma_f64 v[2:3], v[128:129], v[146:147], v[2:3]
	s_waitcnt lgkmcnt(0)
	s_delay_alu instid0(VALU_DEP_1)
	v_fma_f64 v[2:3], v[130:131], v[148:149], v[2:3]
	ds_load_2addr_b64 v[128:131], v1 offset0:109 offset1:110
	ds_load_2addr_b64 v[144:147], v1 offset0:111 offset1:112
	s_waitcnt vmcnt(3)
	v_fma_f64 v[2:3], v[140:141], v[150:151], v[2:3]
	s_waitcnt lgkmcnt(1)
	s_delay_alu instid0(VALU_DEP_1) | instskip(SKIP_1) | instid1(VALU_DEP_1)
	v_fma_f64 v[2:3], v[142:143], v[128:129], v[2:3]
	s_waitcnt vmcnt(2)
	v_fma_f64 v[2:3], v[132:133], v[130:131], v[2:3]
	s_waitcnt lgkmcnt(0)
	s_delay_alu instid0(VALU_DEP_1) | instskip(SKIP_1) | instid1(VALU_DEP_1)
	v_fma_f64 v[2:3], v[134:135], v[144:145], v[2:3]
	s_waitcnt vmcnt(1)
	v_fma_f64 v[2:3], v[124:125], v[146:147], v[2:3]
	ds_load_2addr_b64 v[128:131], v1 offset0:113 offset1:114
	ds_load_b64 v[124:125], v1 offset:920
	s_waitcnt lgkmcnt(1)
	v_fma_f64 v[2:3], v[126:127], v[128:129], v[2:3]
	s_waitcnt vmcnt(0)
	s_delay_alu instid0(VALU_DEP_1) | instskip(SKIP_1) | instid1(VALU_DEP_1)
	v_fma_f64 v[2:3], v[136:137], v[130:131], v[2:3]
	s_waitcnt lgkmcnt(0)
	v_fma_f64 v[2:3], v[138:139], v[124:125], v[2:3]
	s_delay_alu instid0(VALU_DEP_1)
	v_add_f64 v[2:3], v[122:123], -v[2:3]
	scratch_store_b64 off, v[2:3], off offset:176
	v_cmpx_lt_u32_e32 21, v0
	s_cbranch_execz .LBB121_315
; %bb.314:
	scratch_load_b64 v[3:4], off, off offset:168
	v_mov_b32_e32 v2, v1
	scratch_store_b64 off, v[1:2], off offset:168
	s_waitcnt vmcnt(0)
	ds_store_b64 v5, v[3:4]
.LBB121_315:
	s_or_b32 exec_lo, exec_lo, s0
	s_waitcnt lgkmcnt(0)
	s_waitcnt_vscnt null, 0x0
	s_barrier
	buffer_gl0_inv
	s_clause 0x4
	scratch_load_b128 v[122:125], off, off offset:168
	scratch_load_b128 v[126:129], off, off offset:184
	;; [unrolled: 1-line block ×5, first 2 shown]
	ds_load_b128 v[142:145], v1 offset:640
	ds_load_b128 v[146:149], v1 offset:656
	scratch_load_b128 v[150:153], off, off offset:248
	s_mov_b32 s0, exec_lo
	s_waitcnt vmcnt(5) lgkmcnt(1)
	v_fma_f64 v[2:3], v[124:125], v[142:143], 0
	s_waitcnt vmcnt(4)
	s_delay_alu instid0(VALU_DEP_1) | instskip(SKIP_4) | instid1(VALU_DEP_1)
	v_fma_f64 v[2:3], v[126:127], v[144:145], v[2:3]
	scratch_load_b128 v[124:127], off, off offset:264
	s_waitcnt lgkmcnt(0)
	v_fma_f64 v[2:3], v[128:129], v[146:147], v[2:3]
	s_waitcnt vmcnt(4)
	v_fma_f64 v[2:3], v[130:131], v[148:149], v[2:3]
	ds_load_b128 v[128:131], v1 offset:672
	ds_load_b128 v[142:145], v1 offset:688
	scratch_load_b128 v[146:149], off, off offset:280
	s_waitcnt lgkmcnt(1)
	v_fma_f64 v[2:3], v[132:133], v[128:129], v[2:3]
	s_waitcnt vmcnt(4)
	s_delay_alu instid0(VALU_DEP_1) | instskip(SKIP_4) | instid1(VALU_DEP_1)
	v_fma_f64 v[2:3], v[134:135], v[130:131], v[2:3]
	scratch_load_b128 v[128:131], off, off offset:296
	s_waitcnt lgkmcnt(0)
	v_fma_f64 v[2:3], v[136:137], v[142:143], v[2:3]
	s_waitcnt vmcnt(4)
	v_fma_f64 v[2:3], v[138:139], v[144:145], v[2:3]
	ds_load_b128 v[132:135], v1 offset:704
	ds_load_b128 v[136:139], v1 offset:720
	s_waitcnt lgkmcnt(1)
	v_fma_f64 v[2:3], v[140:141], v[132:133], v[2:3]
	scratch_load_b128 v[140:143], off, off offset:312
	s_waitcnt vmcnt(4)
	v_fma_f64 v[2:3], v[150:151], v[134:135], v[2:3]
	scratch_load_b128 v[132:135], off, off offset:328
	s_waitcnt lgkmcnt(0)
	v_fma_f64 v[2:3], v[152:153], v[136:137], v[2:3]
	s_waitcnt vmcnt(4)
	s_delay_alu instid0(VALU_DEP_1)
	v_fma_f64 v[2:3], v[124:125], v[138:139], v[2:3]
	ds_load_b128 v[136:139], v1 offset:736
	ds_load_b128 v[150:153], v1 offset:752
	s_waitcnt lgkmcnt(1)
	v_fma_f64 v[2:3], v[126:127], v[136:137], v[2:3]
	scratch_load_b128 v[124:127], off, off offset:344
	s_waitcnt vmcnt(4)
	v_fma_f64 v[2:3], v[146:147], v[138:139], v[2:3]
	scratch_load_b128 v[136:139], off, off offset:360
	s_waitcnt lgkmcnt(0)
	v_fma_f64 v[2:3], v[148:149], v[150:151], v[2:3]
	ds_load_b128 v[144:147], v1 offset:768
	ds_load_b128 v[148:151], v1 offset:784
	s_waitcnt vmcnt(4)
	v_fma_f64 v[2:3], v[128:129], v[152:153], v[2:3]
	s_waitcnt lgkmcnt(1)
	s_delay_alu instid0(VALU_DEP_1) | instskip(SKIP_4) | instid1(VALU_DEP_1)
	v_fma_f64 v[2:3], v[130:131], v[144:145], v[2:3]
	scratch_load_b128 v[128:131], off, off offset:376
	s_waitcnt vmcnt(4)
	v_fma_f64 v[2:3], v[140:141], v[146:147], v[2:3]
	s_waitcnt lgkmcnt(0)
	v_fma_f64 v[2:3], v[142:143], v[148:149], v[2:3]
	scratch_load_b128 v[140:143], off, off offset:392
	s_waitcnt vmcnt(4)
	v_fma_f64 v[2:3], v[132:133], v[150:151], v[2:3]
	ds_load_b128 v[144:147], v1 offset:800
	ds_load_b128 v[148:151], v1 offset:816
	s_waitcnt lgkmcnt(1)
	v_fma_f64 v[2:3], v[134:135], v[144:145], v[2:3]
	scratch_load_b128 v[132:135], off, off offset:408
	s_waitcnt vmcnt(4)
	v_fma_f64 v[2:3], v[124:125], v[146:147], v[2:3]
	s_waitcnt lgkmcnt(0)
	s_delay_alu instid0(VALU_DEP_1)
	v_fma_f64 v[2:3], v[126:127], v[148:149], v[2:3]
	scratch_load_b128 v[124:127], off, off offset:424
	s_waitcnt vmcnt(4)
	v_fma_f64 v[2:3], v[136:137], v[150:151], v[2:3]
	ds_load_b128 v[144:147], v1 offset:832
	ds_load_b128 v[148:151], v1 offset:848
	s_waitcnt lgkmcnt(1)
	v_fma_f64 v[2:3], v[138:139], v[144:145], v[2:3]
	scratch_load_b128 v[136:139], off, off offset:440
	s_waitcnt vmcnt(4)
	v_fma_f64 v[2:3], v[128:129], v[146:147], v[2:3]
	s_waitcnt lgkmcnt(0)
	s_delay_alu instid0(VALU_DEP_1)
	v_fma_f64 v[2:3], v[130:131], v[148:149], v[2:3]
	scratch_load_b64 v[148:149], off, off offset:456
	ds_load_b128 v[128:131], v1 offset:864
	ds_load_b128 v[144:147], v1 offset:880
	s_waitcnt vmcnt(4)
	v_fma_f64 v[2:3], v[140:141], v[150:151], v[2:3]
	s_waitcnt lgkmcnt(1)
	s_delay_alu instid0(VALU_DEP_1) | instskip(SKIP_1) | instid1(VALU_DEP_1)
	v_fma_f64 v[2:3], v[142:143], v[128:129], v[2:3]
	s_waitcnt vmcnt(3)
	v_fma_f64 v[2:3], v[132:133], v[130:131], v[2:3]
	s_waitcnt lgkmcnt(0)
	s_delay_alu instid0(VALU_DEP_1) | instskip(SKIP_1) | instid1(VALU_DEP_1)
	v_fma_f64 v[2:3], v[134:135], v[144:145], v[2:3]
	s_waitcnt vmcnt(2)
	v_fma_f64 v[124:125], v[124:125], v[146:147], v[2:3]
	ds_load_b128 v[128:131], v1 offset:896
	ds_load_b128 v[1:4], v1 offset:912
	s_waitcnt lgkmcnt(1)
	v_fma_f64 v[124:125], v[126:127], v[128:129], v[124:125]
	s_waitcnt vmcnt(1)
	s_delay_alu instid0(VALU_DEP_1) | instskip(SKIP_1) | instid1(VALU_DEP_1)
	v_fma_f64 v[124:125], v[136:137], v[130:131], v[124:125]
	s_waitcnt lgkmcnt(0)
	v_fma_f64 v[1:2], v[138:139], v[1:2], v[124:125]
	s_waitcnt vmcnt(0)
	s_delay_alu instid0(VALU_DEP_1) | instskip(NEXT) | instid1(VALU_DEP_1)
	v_fma_f64 v[1:2], v[148:149], v[3:4], v[1:2]
	v_add_f64 v[1:2], v[122:123], -v[1:2]
	scratch_store_b64 off, v[1:2], off offset:168
	v_cmpx_lt_u32_e32 20, v0
	s_cbranch_execz .LBB121_317
; %bb.316:
	scratch_load_b64 v[1:2], off, off offset:160
	v_mov_b32_e32 v3, 0
	s_delay_alu instid0(VALU_DEP_1)
	v_mov_b32_e32 v4, v3
	scratch_store_b64 off, v[3:4], off offset:160
	s_waitcnt vmcnt(0)
	ds_store_b64 v5, v[1:2]
.LBB121_317:
	s_or_b32 exec_lo, exec_lo, s0
	s_waitcnt lgkmcnt(0)
	s_waitcnt_vscnt null, 0x0
	s_barrier
	buffer_gl0_inv
	s_clause 0x4
	scratch_load_b128 v[122:125], off, off offset:160
	scratch_load_b128 v[126:129], off, off offset:176
	;; [unrolled: 1-line block ×5, first 2 shown]
	v_mov_b32_e32 v1, 0
	ds_load_2addr_b64 v[142:145], v1 offset0:79 offset1:80
	ds_load_2addr_b64 v[146:149], v1 offset0:81 offset1:82
	scratch_load_b128 v[150:153], off, off offset:240
	s_mov_b32 s0, exec_lo
	s_waitcnt vmcnt(5) lgkmcnt(1)
	v_fma_f64 v[2:3], v[124:125], v[142:143], 0
	s_waitcnt vmcnt(4)
	s_delay_alu instid0(VALU_DEP_1) | instskip(SKIP_4) | instid1(VALU_DEP_1)
	v_fma_f64 v[2:3], v[126:127], v[144:145], v[2:3]
	scratch_load_b128 v[124:127], off, off offset:256
	s_waitcnt lgkmcnt(0)
	v_fma_f64 v[2:3], v[128:129], v[146:147], v[2:3]
	s_waitcnt vmcnt(4)
	v_fma_f64 v[2:3], v[130:131], v[148:149], v[2:3]
	ds_load_2addr_b64 v[128:131], v1 offset0:83 offset1:84
	ds_load_2addr_b64 v[142:145], v1 offset0:85 offset1:86
	scratch_load_b128 v[146:149], off, off offset:272
	s_waitcnt lgkmcnt(1)
	v_fma_f64 v[2:3], v[132:133], v[128:129], v[2:3]
	s_waitcnt vmcnt(4)
	s_delay_alu instid0(VALU_DEP_1) | instskip(SKIP_4) | instid1(VALU_DEP_1)
	v_fma_f64 v[2:3], v[134:135], v[130:131], v[2:3]
	scratch_load_b128 v[128:131], off, off offset:288
	s_waitcnt lgkmcnt(0)
	v_fma_f64 v[2:3], v[136:137], v[142:143], v[2:3]
	s_waitcnt vmcnt(4)
	v_fma_f64 v[2:3], v[138:139], v[144:145], v[2:3]
	ds_load_2addr_b64 v[132:135], v1 offset0:87 offset1:88
	ds_load_2addr_b64 v[136:139], v1 offset0:89 offset1:90
	s_waitcnt lgkmcnt(1)
	v_fma_f64 v[2:3], v[140:141], v[132:133], v[2:3]
	scratch_load_b128 v[140:143], off, off offset:304
	s_waitcnt vmcnt(4)
	v_fma_f64 v[2:3], v[150:151], v[134:135], v[2:3]
	scratch_load_b128 v[132:135], off, off offset:320
	s_waitcnt lgkmcnt(0)
	v_fma_f64 v[2:3], v[152:153], v[136:137], v[2:3]
	s_waitcnt vmcnt(4)
	s_delay_alu instid0(VALU_DEP_1)
	v_fma_f64 v[2:3], v[124:125], v[138:139], v[2:3]
	ds_load_2addr_b64 v[136:139], v1 offset0:91 offset1:92
	ds_load_2addr_b64 v[150:153], v1 offset0:93 offset1:94
	s_waitcnt lgkmcnt(1)
	v_fma_f64 v[2:3], v[126:127], v[136:137], v[2:3]
	scratch_load_b128 v[124:127], off, off offset:336
	s_waitcnt vmcnt(4)
	v_fma_f64 v[2:3], v[146:147], v[138:139], v[2:3]
	scratch_load_b128 v[136:139], off, off offset:352
	s_waitcnt lgkmcnt(0)
	v_fma_f64 v[2:3], v[148:149], v[150:151], v[2:3]
	ds_load_2addr_b64 v[144:147], v1 offset0:95 offset1:96
	ds_load_2addr_b64 v[148:151], v1 offset0:97 offset1:98
	s_waitcnt vmcnt(4)
	v_fma_f64 v[2:3], v[128:129], v[152:153], v[2:3]
	s_waitcnt lgkmcnt(1)
	s_delay_alu instid0(VALU_DEP_1) | instskip(SKIP_4) | instid1(VALU_DEP_1)
	v_fma_f64 v[2:3], v[130:131], v[144:145], v[2:3]
	scratch_load_b128 v[128:131], off, off offset:368
	s_waitcnt vmcnt(4)
	v_fma_f64 v[2:3], v[140:141], v[146:147], v[2:3]
	s_waitcnt lgkmcnt(0)
	v_fma_f64 v[2:3], v[142:143], v[148:149], v[2:3]
	scratch_load_b128 v[140:143], off, off offset:384
	s_waitcnt vmcnt(4)
	v_fma_f64 v[2:3], v[132:133], v[150:151], v[2:3]
	ds_load_2addr_b64 v[144:147], v1 offset0:99 offset1:100
	ds_load_2addr_b64 v[148:151], v1 offset0:101 offset1:102
	s_waitcnt lgkmcnt(1)
	v_fma_f64 v[2:3], v[134:135], v[144:145], v[2:3]
	scratch_load_b128 v[132:135], off, off offset:400
	s_waitcnt vmcnt(4)
	v_fma_f64 v[2:3], v[124:125], v[146:147], v[2:3]
	s_waitcnt lgkmcnt(0)
	s_delay_alu instid0(VALU_DEP_1)
	v_fma_f64 v[2:3], v[126:127], v[148:149], v[2:3]
	scratch_load_b128 v[124:127], off, off offset:416
	s_waitcnt vmcnt(4)
	v_fma_f64 v[2:3], v[136:137], v[150:151], v[2:3]
	ds_load_2addr_b64 v[144:147], v1 offset0:103 offset1:104
	ds_load_2addr_b64 v[148:151], v1 offset0:105 offset1:106
	s_waitcnt lgkmcnt(1)
	v_fma_f64 v[2:3], v[138:139], v[144:145], v[2:3]
	scratch_load_b128 v[136:139], off, off offset:432
	s_waitcnt vmcnt(4)
	v_fma_f64 v[2:3], v[128:129], v[146:147], v[2:3]
	s_waitcnt lgkmcnt(0)
	s_delay_alu instid0(VALU_DEP_1)
	v_fma_f64 v[2:3], v[130:131], v[148:149], v[2:3]
	scratch_load_b128 v[128:131], off, off offset:448
	s_waitcnt vmcnt(4)
	v_fma_f64 v[2:3], v[140:141], v[150:151], v[2:3]
	ds_load_2addr_b64 v[144:147], v1 offset0:107 offset1:108
	ds_load_2addr_b64 v[148:151], v1 offset0:109 offset1:110
	s_waitcnt lgkmcnt(1)
	v_fma_f64 v[2:3], v[142:143], v[144:145], v[2:3]
	s_waitcnt vmcnt(3)
	s_delay_alu instid0(VALU_DEP_1) | instskip(SKIP_1) | instid1(VALU_DEP_1)
	v_fma_f64 v[2:3], v[132:133], v[146:147], v[2:3]
	s_waitcnt lgkmcnt(0)
	v_fma_f64 v[2:3], v[134:135], v[148:149], v[2:3]
	ds_load_2addr_b64 v[132:135], v1 offset0:111 offset1:112
	ds_load_2addr_b64 v[140:143], v1 offset0:113 offset1:114
	s_waitcnt vmcnt(2)
	v_fma_f64 v[2:3], v[124:125], v[150:151], v[2:3]
	ds_load_b64 v[124:125], v1 offset:920
	s_waitcnt lgkmcnt(2)
	v_fma_f64 v[2:3], v[126:127], v[132:133], v[2:3]
	s_waitcnt vmcnt(1)
	s_delay_alu instid0(VALU_DEP_1) | instskip(SKIP_1) | instid1(VALU_DEP_1)
	v_fma_f64 v[2:3], v[136:137], v[134:135], v[2:3]
	s_waitcnt lgkmcnt(1)
	v_fma_f64 v[2:3], v[138:139], v[140:141], v[2:3]
	s_waitcnt vmcnt(0)
	s_delay_alu instid0(VALU_DEP_1) | instskip(SKIP_1) | instid1(VALU_DEP_1)
	v_fma_f64 v[2:3], v[128:129], v[142:143], v[2:3]
	s_waitcnt lgkmcnt(0)
	v_fma_f64 v[2:3], v[130:131], v[124:125], v[2:3]
	s_delay_alu instid0(VALU_DEP_1)
	v_add_f64 v[2:3], v[122:123], -v[2:3]
	scratch_store_b64 off, v[2:3], off offset:160
	v_cmpx_lt_u32_e32 19, v0
	s_cbranch_execz .LBB121_319
; %bb.318:
	scratch_load_b64 v[3:4], off, off offset:152
	v_mov_b32_e32 v2, v1
	scratch_store_b64 off, v[1:2], off offset:152
	s_waitcnt vmcnt(0)
	ds_store_b64 v5, v[3:4]
.LBB121_319:
	s_or_b32 exec_lo, exec_lo, s0
	s_waitcnt lgkmcnt(0)
	s_waitcnt_vscnt null, 0x0
	s_barrier
	buffer_gl0_inv
	s_clause 0x4
	scratch_load_b128 v[122:125], off, off offset:152
	scratch_load_b128 v[126:129], off, off offset:168
	;; [unrolled: 1-line block ×5, first 2 shown]
	ds_load_b128 v[142:145], v1 offset:624
	ds_load_b128 v[146:149], v1 offset:640
	scratch_load_b128 v[150:153], off, off offset:232
	s_mov_b32 s0, exec_lo
	s_waitcnt vmcnt(5) lgkmcnt(1)
	v_fma_f64 v[2:3], v[124:125], v[142:143], 0
	s_waitcnt vmcnt(4)
	s_delay_alu instid0(VALU_DEP_1) | instskip(SKIP_4) | instid1(VALU_DEP_1)
	v_fma_f64 v[2:3], v[126:127], v[144:145], v[2:3]
	scratch_load_b128 v[124:127], off, off offset:248
	s_waitcnt lgkmcnt(0)
	v_fma_f64 v[2:3], v[128:129], v[146:147], v[2:3]
	s_waitcnt vmcnt(4)
	v_fma_f64 v[2:3], v[130:131], v[148:149], v[2:3]
	ds_load_b128 v[128:131], v1 offset:656
	ds_load_b128 v[142:145], v1 offset:672
	scratch_load_b128 v[146:149], off, off offset:264
	s_waitcnt lgkmcnt(1)
	v_fma_f64 v[2:3], v[132:133], v[128:129], v[2:3]
	s_waitcnt vmcnt(4)
	s_delay_alu instid0(VALU_DEP_1) | instskip(SKIP_4) | instid1(VALU_DEP_1)
	v_fma_f64 v[2:3], v[134:135], v[130:131], v[2:3]
	scratch_load_b128 v[128:131], off, off offset:280
	s_waitcnt lgkmcnt(0)
	v_fma_f64 v[2:3], v[136:137], v[142:143], v[2:3]
	s_waitcnt vmcnt(4)
	v_fma_f64 v[2:3], v[138:139], v[144:145], v[2:3]
	ds_load_b128 v[132:135], v1 offset:688
	ds_load_b128 v[136:139], v1 offset:704
	s_waitcnt lgkmcnt(1)
	v_fma_f64 v[2:3], v[140:141], v[132:133], v[2:3]
	scratch_load_b128 v[140:143], off, off offset:296
	s_waitcnt vmcnt(4)
	v_fma_f64 v[2:3], v[150:151], v[134:135], v[2:3]
	scratch_load_b128 v[132:135], off, off offset:312
	s_waitcnt lgkmcnt(0)
	v_fma_f64 v[2:3], v[152:153], v[136:137], v[2:3]
	s_waitcnt vmcnt(4)
	s_delay_alu instid0(VALU_DEP_1)
	v_fma_f64 v[2:3], v[124:125], v[138:139], v[2:3]
	ds_load_b128 v[136:139], v1 offset:720
	ds_load_b128 v[150:153], v1 offset:736
	s_waitcnt lgkmcnt(1)
	v_fma_f64 v[2:3], v[126:127], v[136:137], v[2:3]
	scratch_load_b128 v[124:127], off, off offset:328
	s_waitcnt vmcnt(4)
	v_fma_f64 v[2:3], v[146:147], v[138:139], v[2:3]
	scratch_load_b128 v[136:139], off, off offset:344
	s_waitcnt lgkmcnt(0)
	v_fma_f64 v[2:3], v[148:149], v[150:151], v[2:3]
	ds_load_b128 v[144:147], v1 offset:752
	ds_load_b128 v[148:151], v1 offset:768
	s_waitcnt vmcnt(4)
	v_fma_f64 v[2:3], v[128:129], v[152:153], v[2:3]
	s_waitcnt lgkmcnt(1)
	s_delay_alu instid0(VALU_DEP_1) | instskip(SKIP_4) | instid1(VALU_DEP_1)
	v_fma_f64 v[2:3], v[130:131], v[144:145], v[2:3]
	scratch_load_b128 v[128:131], off, off offset:360
	s_waitcnt vmcnt(4)
	v_fma_f64 v[2:3], v[140:141], v[146:147], v[2:3]
	s_waitcnt lgkmcnt(0)
	v_fma_f64 v[2:3], v[142:143], v[148:149], v[2:3]
	scratch_load_b128 v[140:143], off, off offset:376
	s_waitcnt vmcnt(4)
	v_fma_f64 v[2:3], v[132:133], v[150:151], v[2:3]
	ds_load_b128 v[144:147], v1 offset:784
	ds_load_b128 v[148:151], v1 offset:800
	s_waitcnt lgkmcnt(1)
	v_fma_f64 v[2:3], v[134:135], v[144:145], v[2:3]
	scratch_load_b128 v[132:135], off, off offset:392
	s_waitcnt vmcnt(4)
	v_fma_f64 v[2:3], v[124:125], v[146:147], v[2:3]
	s_waitcnt lgkmcnt(0)
	s_delay_alu instid0(VALU_DEP_1)
	v_fma_f64 v[2:3], v[126:127], v[148:149], v[2:3]
	scratch_load_b128 v[124:127], off, off offset:408
	s_waitcnt vmcnt(4)
	v_fma_f64 v[2:3], v[136:137], v[150:151], v[2:3]
	ds_load_b128 v[144:147], v1 offset:816
	ds_load_b128 v[148:151], v1 offset:832
	s_waitcnt lgkmcnt(1)
	v_fma_f64 v[2:3], v[138:139], v[144:145], v[2:3]
	scratch_load_b128 v[136:139], off, off offset:424
	s_waitcnt vmcnt(4)
	v_fma_f64 v[2:3], v[128:129], v[146:147], v[2:3]
	s_waitcnt lgkmcnt(0)
	s_delay_alu instid0(VALU_DEP_1)
	v_fma_f64 v[2:3], v[130:131], v[148:149], v[2:3]
	scratch_load_b128 v[128:131], off, off offset:440
	s_waitcnt vmcnt(4)
	v_fma_f64 v[2:3], v[140:141], v[150:151], v[2:3]
	ds_load_b128 v[144:147], v1 offset:848
	ds_load_b128 v[148:151], v1 offset:864
	s_waitcnt lgkmcnt(1)
	v_fma_f64 v[2:3], v[142:143], v[144:145], v[2:3]
	scratch_load_b64 v[144:145], off, off offset:456
	s_waitcnt vmcnt(4)
	v_fma_f64 v[2:3], v[132:133], v[146:147], v[2:3]
	s_waitcnt lgkmcnt(0)
	s_delay_alu instid0(VALU_DEP_1)
	v_fma_f64 v[2:3], v[134:135], v[148:149], v[2:3]
	ds_load_b128 v[132:135], v1 offset:880
	ds_load_b128 v[140:143], v1 offset:896
	s_waitcnt vmcnt(3)
	v_fma_f64 v[2:3], v[124:125], v[150:151], v[2:3]
	s_waitcnt lgkmcnt(1)
	s_delay_alu instid0(VALU_DEP_1) | instskip(SKIP_1) | instid1(VALU_DEP_1)
	v_fma_f64 v[2:3], v[126:127], v[132:133], v[2:3]
	s_waitcnt vmcnt(2)
	v_fma_f64 v[2:3], v[136:137], v[134:135], v[2:3]
	s_waitcnt lgkmcnt(0)
	s_delay_alu instid0(VALU_DEP_1) | instskip(SKIP_1) | instid1(VALU_DEP_1)
	v_fma_f64 v[2:3], v[138:139], v[140:141], v[2:3]
	s_waitcnt vmcnt(1)
	v_fma_f64 v[124:125], v[128:129], v[142:143], v[2:3]
	ds_load_b128 v[1:4], v1 offset:912
	s_waitcnt lgkmcnt(0)
	v_fma_f64 v[1:2], v[130:131], v[1:2], v[124:125]
	s_waitcnt vmcnt(0)
	s_delay_alu instid0(VALU_DEP_1) | instskip(NEXT) | instid1(VALU_DEP_1)
	v_fma_f64 v[1:2], v[144:145], v[3:4], v[1:2]
	v_add_f64 v[1:2], v[122:123], -v[1:2]
	scratch_store_b64 off, v[1:2], off offset:152
	v_cmpx_lt_u32_e32 18, v0
	s_cbranch_execz .LBB121_321
; %bb.320:
	scratch_load_b64 v[1:2], off, off offset:144
	v_mov_b32_e32 v3, 0
	s_delay_alu instid0(VALU_DEP_1)
	v_mov_b32_e32 v4, v3
	scratch_store_b64 off, v[3:4], off offset:144
	s_waitcnt vmcnt(0)
	ds_store_b64 v5, v[1:2]
.LBB121_321:
	s_or_b32 exec_lo, exec_lo, s0
	s_waitcnt lgkmcnt(0)
	s_waitcnt_vscnt null, 0x0
	s_barrier
	buffer_gl0_inv
	s_clause 0x4
	scratch_load_b128 v[122:125], off, off offset:144
	scratch_load_b128 v[126:129], off, off offset:160
	;; [unrolled: 1-line block ×5, first 2 shown]
	v_mov_b32_e32 v1, 0
	ds_load_2addr_b64 v[142:145], v1 offset0:77 offset1:78
	ds_load_2addr_b64 v[146:149], v1 offset0:79 offset1:80
	scratch_load_b128 v[150:153], off, off offset:224
	s_mov_b32 s0, exec_lo
	s_waitcnt vmcnt(5) lgkmcnt(1)
	v_fma_f64 v[2:3], v[124:125], v[142:143], 0
	s_waitcnt vmcnt(4)
	s_delay_alu instid0(VALU_DEP_1) | instskip(SKIP_4) | instid1(VALU_DEP_1)
	v_fma_f64 v[2:3], v[126:127], v[144:145], v[2:3]
	scratch_load_b128 v[124:127], off, off offset:240
	s_waitcnt lgkmcnt(0)
	v_fma_f64 v[2:3], v[128:129], v[146:147], v[2:3]
	s_waitcnt vmcnt(4)
	v_fma_f64 v[2:3], v[130:131], v[148:149], v[2:3]
	ds_load_2addr_b64 v[128:131], v1 offset0:81 offset1:82
	ds_load_2addr_b64 v[142:145], v1 offset0:83 offset1:84
	scratch_load_b128 v[146:149], off, off offset:256
	s_waitcnt lgkmcnt(1)
	v_fma_f64 v[2:3], v[132:133], v[128:129], v[2:3]
	s_waitcnt vmcnt(4)
	s_delay_alu instid0(VALU_DEP_1) | instskip(SKIP_4) | instid1(VALU_DEP_1)
	v_fma_f64 v[2:3], v[134:135], v[130:131], v[2:3]
	scratch_load_b128 v[128:131], off, off offset:272
	s_waitcnt lgkmcnt(0)
	v_fma_f64 v[2:3], v[136:137], v[142:143], v[2:3]
	s_waitcnt vmcnt(4)
	v_fma_f64 v[2:3], v[138:139], v[144:145], v[2:3]
	ds_load_2addr_b64 v[132:135], v1 offset0:85 offset1:86
	ds_load_2addr_b64 v[136:139], v1 offset0:87 offset1:88
	s_waitcnt lgkmcnt(1)
	v_fma_f64 v[2:3], v[140:141], v[132:133], v[2:3]
	scratch_load_b128 v[140:143], off, off offset:288
	s_waitcnt vmcnt(4)
	v_fma_f64 v[2:3], v[150:151], v[134:135], v[2:3]
	scratch_load_b128 v[132:135], off, off offset:304
	s_waitcnt lgkmcnt(0)
	v_fma_f64 v[2:3], v[152:153], v[136:137], v[2:3]
	s_waitcnt vmcnt(4)
	s_delay_alu instid0(VALU_DEP_1)
	v_fma_f64 v[2:3], v[124:125], v[138:139], v[2:3]
	ds_load_2addr_b64 v[136:139], v1 offset0:89 offset1:90
	ds_load_2addr_b64 v[150:153], v1 offset0:91 offset1:92
	s_waitcnt lgkmcnt(1)
	v_fma_f64 v[2:3], v[126:127], v[136:137], v[2:3]
	scratch_load_b128 v[124:127], off, off offset:320
	s_waitcnt vmcnt(4)
	v_fma_f64 v[2:3], v[146:147], v[138:139], v[2:3]
	scratch_load_b128 v[136:139], off, off offset:336
	s_waitcnt lgkmcnt(0)
	v_fma_f64 v[2:3], v[148:149], v[150:151], v[2:3]
	ds_load_2addr_b64 v[144:147], v1 offset0:93 offset1:94
	ds_load_2addr_b64 v[148:151], v1 offset0:95 offset1:96
	s_waitcnt vmcnt(4)
	v_fma_f64 v[2:3], v[128:129], v[152:153], v[2:3]
	s_waitcnt lgkmcnt(1)
	s_delay_alu instid0(VALU_DEP_1) | instskip(SKIP_4) | instid1(VALU_DEP_1)
	v_fma_f64 v[2:3], v[130:131], v[144:145], v[2:3]
	scratch_load_b128 v[128:131], off, off offset:352
	s_waitcnt vmcnt(4)
	v_fma_f64 v[2:3], v[140:141], v[146:147], v[2:3]
	s_waitcnt lgkmcnt(0)
	v_fma_f64 v[2:3], v[142:143], v[148:149], v[2:3]
	scratch_load_b128 v[140:143], off, off offset:368
	s_waitcnt vmcnt(4)
	v_fma_f64 v[2:3], v[132:133], v[150:151], v[2:3]
	ds_load_2addr_b64 v[144:147], v1 offset0:97 offset1:98
	ds_load_2addr_b64 v[148:151], v1 offset0:99 offset1:100
	s_waitcnt lgkmcnt(1)
	v_fma_f64 v[2:3], v[134:135], v[144:145], v[2:3]
	scratch_load_b128 v[132:135], off, off offset:384
	s_waitcnt vmcnt(4)
	v_fma_f64 v[2:3], v[124:125], v[146:147], v[2:3]
	s_waitcnt lgkmcnt(0)
	s_delay_alu instid0(VALU_DEP_1)
	v_fma_f64 v[2:3], v[126:127], v[148:149], v[2:3]
	scratch_load_b128 v[124:127], off, off offset:400
	s_waitcnt vmcnt(4)
	v_fma_f64 v[2:3], v[136:137], v[150:151], v[2:3]
	ds_load_2addr_b64 v[144:147], v1 offset0:101 offset1:102
	ds_load_2addr_b64 v[148:151], v1 offset0:103 offset1:104
	s_waitcnt lgkmcnt(1)
	v_fma_f64 v[2:3], v[138:139], v[144:145], v[2:3]
	scratch_load_b128 v[136:139], off, off offset:416
	s_waitcnt vmcnt(4)
	v_fma_f64 v[2:3], v[128:129], v[146:147], v[2:3]
	s_waitcnt lgkmcnt(0)
	s_delay_alu instid0(VALU_DEP_1)
	;; [unrolled: 13-line block ×3, first 2 shown]
	v_fma_f64 v[2:3], v[134:135], v[148:149], v[2:3]
	ds_load_2addr_b64 v[132:135], v1 offset0:109 offset1:110
	ds_load_2addr_b64 v[144:147], v1 offset0:111 offset1:112
	s_waitcnt vmcnt(3)
	v_fma_f64 v[2:3], v[124:125], v[150:151], v[2:3]
	s_waitcnt lgkmcnt(1)
	s_delay_alu instid0(VALU_DEP_1) | instskip(SKIP_1) | instid1(VALU_DEP_1)
	v_fma_f64 v[2:3], v[126:127], v[132:133], v[2:3]
	s_waitcnt vmcnt(2)
	v_fma_f64 v[2:3], v[136:137], v[134:135], v[2:3]
	s_waitcnt lgkmcnt(0)
	s_delay_alu instid0(VALU_DEP_1) | instskip(SKIP_1) | instid1(VALU_DEP_1)
	v_fma_f64 v[2:3], v[138:139], v[144:145], v[2:3]
	s_waitcnt vmcnt(1)
	v_fma_f64 v[2:3], v[128:129], v[146:147], v[2:3]
	ds_load_2addr_b64 v[124:127], v1 offset0:113 offset1:114
	ds_load_b64 v[128:129], v1 offset:920
	s_waitcnt lgkmcnt(1)
	v_fma_f64 v[2:3], v[130:131], v[124:125], v[2:3]
	s_waitcnt vmcnt(0)
	s_delay_alu instid0(VALU_DEP_1) | instskip(SKIP_1) | instid1(VALU_DEP_1)
	v_fma_f64 v[2:3], v[140:141], v[126:127], v[2:3]
	s_waitcnt lgkmcnt(0)
	v_fma_f64 v[2:3], v[142:143], v[128:129], v[2:3]
	s_delay_alu instid0(VALU_DEP_1)
	v_add_f64 v[2:3], v[122:123], -v[2:3]
	scratch_store_b64 off, v[2:3], off offset:144
	v_cmpx_lt_u32_e32 17, v0
	s_cbranch_execz .LBB121_323
; %bb.322:
	scratch_load_b64 v[3:4], off, off offset:136
	v_mov_b32_e32 v2, v1
	scratch_store_b64 off, v[1:2], off offset:136
	s_waitcnt vmcnt(0)
	ds_store_b64 v5, v[3:4]
.LBB121_323:
	s_or_b32 exec_lo, exec_lo, s0
	s_waitcnt lgkmcnt(0)
	s_waitcnt_vscnt null, 0x0
	s_barrier
	buffer_gl0_inv
	s_clause 0x4
	scratch_load_b128 v[122:125], off, off offset:136
	scratch_load_b128 v[126:129], off, off offset:152
	;; [unrolled: 1-line block ×5, first 2 shown]
	ds_load_b128 v[142:145], v1 offset:608
	ds_load_b128 v[146:149], v1 offset:624
	scratch_load_b128 v[150:153], off, off offset:216
	s_mov_b32 s0, exec_lo
	s_waitcnt vmcnt(5) lgkmcnt(1)
	v_fma_f64 v[2:3], v[124:125], v[142:143], 0
	s_waitcnt vmcnt(4)
	s_delay_alu instid0(VALU_DEP_1) | instskip(SKIP_4) | instid1(VALU_DEP_1)
	v_fma_f64 v[2:3], v[126:127], v[144:145], v[2:3]
	scratch_load_b128 v[124:127], off, off offset:232
	s_waitcnt lgkmcnt(0)
	v_fma_f64 v[2:3], v[128:129], v[146:147], v[2:3]
	s_waitcnt vmcnt(4)
	v_fma_f64 v[2:3], v[130:131], v[148:149], v[2:3]
	ds_load_b128 v[128:131], v1 offset:640
	ds_load_b128 v[142:145], v1 offset:656
	scratch_load_b128 v[146:149], off, off offset:248
	s_waitcnt lgkmcnt(1)
	v_fma_f64 v[2:3], v[132:133], v[128:129], v[2:3]
	s_waitcnt vmcnt(4)
	s_delay_alu instid0(VALU_DEP_1) | instskip(SKIP_4) | instid1(VALU_DEP_1)
	v_fma_f64 v[2:3], v[134:135], v[130:131], v[2:3]
	scratch_load_b128 v[128:131], off, off offset:264
	s_waitcnt lgkmcnt(0)
	v_fma_f64 v[2:3], v[136:137], v[142:143], v[2:3]
	s_waitcnt vmcnt(4)
	v_fma_f64 v[2:3], v[138:139], v[144:145], v[2:3]
	ds_load_b128 v[132:135], v1 offset:672
	ds_load_b128 v[136:139], v1 offset:688
	s_waitcnt lgkmcnt(1)
	v_fma_f64 v[2:3], v[140:141], v[132:133], v[2:3]
	scratch_load_b128 v[140:143], off, off offset:280
	s_waitcnt vmcnt(4)
	v_fma_f64 v[2:3], v[150:151], v[134:135], v[2:3]
	scratch_load_b128 v[132:135], off, off offset:296
	s_waitcnt lgkmcnt(0)
	v_fma_f64 v[2:3], v[152:153], v[136:137], v[2:3]
	s_waitcnt vmcnt(4)
	s_delay_alu instid0(VALU_DEP_1)
	v_fma_f64 v[2:3], v[124:125], v[138:139], v[2:3]
	ds_load_b128 v[136:139], v1 offset:704
	ds_load_b128 v[150:153], v1 offset:720
	s_waitcnt lgkmcnt(1)
	v_fma_f64 v[2:3], v[126:127], v[136:137], v[2:3]
	scratch_load_b128 v[124:127], off, off offset:312
	s_waitcnt vmcnt(4)
	v_fma_f64 v[2:3], v[146:147], v[138:139], v[2:3]
	scratch_load_b128 v[136:139], off, off offset:328
	s_waitcnt lgkmcnt(0)
	v_fma_f64 v[2:3], v[148:149], v[150:151], v[2:3]
	ds_load_b128 v[144:147], v1 offset:736
	ds_load_b128 v[148:151], v1 offset:752
	s_waitcnt vmcnt(4)
	v_fma_f64 v[2:3], v[128:129], v[152:153], v[2:3]
	s_waitcnt lgkmcnt(1)
	s_delay_alu instid0(VALU_DEP_1) | instskip(SKIP_4) | instid1(VALU_DEP_1)
	v_fma_f64 v[2:3], v[130:131], v[144:145], v[2:3]
	scratch_load_b128 v[128:131], off, off offset:344
	s_waitcnt vmcnt(4)
	v_fma_f64 v[2:3], v[140:141], v[146:147], v[2:3]
	s_waitcnt lgkmcnt(0)
	v_fma_f64 v[2:3], v[142:143], v[148:149], v[2:3]
	scratch_load_b128 v[140:143], off, off offset:360
	s_waitcnt vmcnt(4)
	v_fma_f64 v[2:3], v[132:133], v[150:151], v[2:3]
	ds_load_b128 v[144:147], v1 offset:768
	ds_load_b128 v[148:151], v1 offset:784
	s_waitcnt lgkmcnt(1)
	v_fma_f64 v[2:3], v[134:135], v[144:145], v[2:3]
	scratch_load_b128 v[132:135], off, off offset:376
	s_waitcnt vmcnt(4)
	v_fma_f64 v[2:3], v[124:125], v[146:147], v[2:3]
	s_waitcnt lgkmcnt(0)
	s_delay_alu instid0(VALU_DEP_1)
	v_fma_f64 v[2:3], v[126:127], v[148:149], v[2:3]
	scratch_load_b128 v[124:127], off, off offset:392
	s_waitcnt vmcnt(4)
	v_fma_f64 v[2:3], v[136:137], v[150:151], v[2:3]
	ds_load_b128 v[144:147], v1 offset:800
	ds_load_b128 v[148:151], v1 offset:816
	s_waitcnt lgkmcnt(1)
	v_fma_f64 v[2:3], v[138:139], v[144:145], v[2:3]
	scratch_load_b128 v[136:139], off, off offset:408
	s_waitcnt vmcnt(4)
	v_fma_f64 v[2:3], v[128:129], v[146:147], v[2:3]
	s_waitcnt lgkmcnt(0)
	s_delay_alu instid0(VALU_DEP_1)
	v_fma_f64 v[2:3], v[130:131], v[148:149], v[2:3]
	scratch_load_b128 v[128:131], off, off offset:424
	s_waitcnt vmcnt(4)
	v_fma_f64 v[2:3], v[140:141], v[150:151], v[2:3]
	ds_load_b128 v[144:147], v1 offset:832
	ds_load_b128 v[148:151], v1 offset:848
	s_waitcnt lgkmcnt(1)
	v_fma_f64 v[2:3], v[142:143], v[144:145], v[2:3]
	scratch_load_b128 v[140:143], off, off offset:440
	s_waitcnt vmcnt(4)
	v_fma_f64 v[2:3], v[132:133], v[146:147], v[2:3]
	s_waitcnt lgkmcnt(0)
	s_delay_alu instid0(VALU_DEP_1)
	v_fma_f64 v[2:3], v[134:135], v[148:149], v[2:3]
	scratch_load_b64 v[148:149], off, off offset:456
	ds_load_b128 v[132:135], v1 offset:864
	ds_load_b128 v[144:147], v1 offset:880
	s_waitcnt vmcnt(4)
	v_fma_f64 v[2:3], v[124:125], v[150:151], v[2:3]
	s_waitcnt lgkmcnt(1)
	s_delay_alu instid0(VALU_DEP_1) | instskip(SKIP_1) | instid1(VALU_DEP_1)
	v_fma_f64 v[2:3], v[126:127], v[132:133], v[2:3]
	s_waitcnt vmcnt(3)
	v_fma_f64 v[2:3], v[136:137], v[134:135], v[2:3]
	s_waitcnt lgkmcnt(0)
	s_delay_alu instid0(VALU_DEP_1) | instskip(SKIP_1) | instid1(VALU_DEP_1)
	v_fma_f64 v[2:3], v[138:139], v[144:145], v[2:3]
	s_waitcnt vmcnt(2)
	v_fma_f64 v[128:129], v[128:129], v[146:147], v[2:3]
	ds_load_b128 v[124:127], v1 offset:896
	ds_load_b128 v[1:4], v1 offset:912
	s_waitcnt lgkmcnt(1)
	v_fma_f64 v[124:125], v[130:131], v[124:125], v[128:129]
	s_waitcnt vmcnt(1)
	s_delay_alu instid0(VALU_DEP_1) | instskip(SKIP_1) | instid1(VALU_DEP_1)
	v_fma_f64 v[124:125], v[140:141], v[126:127], v[124:125]
	s_waitcnt lgkmcnt(0)
	v_fma_f64 v[1:2], v[142:143], v[1:2], v[124:125]
	s_waitcnt vmcnt(0)
	s_delay_alu instid0(VALU_DEP_1) | instskip(NEXT) | instid1(VALU_DEP_1)
	v_fma_f64 v[1:2], v[148:149], v[3:4], v[1:2]
	v_add_f64 v[1:2], v[122:123], -v[1:2]
	scratch_store_b64 off, v[1:2], off offset:136
	v_cmpx_lt_u32_e32 16, v0
	s_cbranch_execz .LBB121_325
; %bb.324:
	scratch_load_b64 v[1:2], off, off offset:128
	v_mov_b32_e32 v3, 0
	s_delay_alu instid0(VALU_DEP_1)
	v_mov_b32_e32 v4, v3
	scratch_store_b64 off, v[3:4], off offset:128
	s_waitcnt vmcnt(0)
	ds_store_b64 v5, v[1:2]
.LBB121_325:
	s_or_b32 exec_lo, exec_lo, s0
	s_waitcnt lgkmcnt(0)
	s_waitcnt_vscnt null, 0x0
	s_barrier
	buffer_gl0_inv
	s_clause 0x4
	scratch_load_b128 v[122:125], off, off offset:128
	scratch_load_b128 v[126:129], off, off offset:144
	;; [unrolled: 1-line block ×5, first 2 shown]
	v_mov_b32_e32 v1, 0
	ds_load_2addr_b64 v[142:145], v1 offset0:75 offset1:76
	ds_load_2addr_b64 v[146:149], v1 offset0:77 offset1:78
	scratch_load_b128 v[150:153], off, off offset:208
	s_mov_b32 s0, exec_lo
	s_waitcnt vmcnt(5) lgkmcnt(1)
	v_fma_f64 v[2:3], v[124:125], v[142:143], 0
	s_waitcnt vmcnt(4)
	s_delay_alu instid0(VALU_DEP_1) | instskip(SKIP_4) | instid1(VALU_DEP_1)
	v_fma_f64 v[2:3], v[126:127], v[144:145], v[2:3]
	scratch_load_b128 v[124:127], off, off offset:224
	s_waitcnt lgkmcnt(0)
	v_fma_f64 v[2:3], v[128:129], v[146:147], v[2:3]
	s_waitcnt vmcnt(4)
	v_fma_f64 v[2:3], v[130:131], v[148:149], v[2:3]
	ds_load_2addr_b64 v[128:131], v1 offset0:79 offset1:80
	ds_load_2addr_b64 v[142:145], v1 offset0:81 offset1:82
	scratch_load_b128 v[146:149], off, off offset:240
	s_waitcnt lgkmcnt(1)
	v_fma_f64 v[2:3], v[132:133], v[128:129], v[2:3]
	s_waitcnt vmcnt(4)
	s_delay_alu instid0(VALU_DEP_1) | instskip(SKIP_4) | instid1(VALU_DEP_1)
	v_fma_f64 v[2:3], v[134:135], v[130:131], v[2:3]
	scratch_load_b128 v[128:131], off, off offset:256
	s_waitcnt lgkmcnt(0)
	v_fma_f64 v[2:3], v[136:137], v[142:143], v[2:3]
	s_waitcnt vmcnt(4)
	v_fma_f64 v[2:3], v[138:139], v[144:145], v[2:3]
	ds_load_2addr_b64 v[132:135], v1 offset0:83 offset1:84
	ds_load_2addr_b64 v[136:139], v1 offset0:85 offset1:86
	s_waitcnt lgkmcnt(1)
	v_fma_f64 v[2:3], v[140:141], v[132:133], v[2:3]
	scratch_load_b128 v[140:143], off, off offset:272
	s_waitcnt vmcnt(4)
	v_fma_f64 v[2:3], v[150:151], v[134:135], v[2:3]
	scratch_load_b128 v[132:135], off, off offset:288
	s_waitcnt lgkmcnt(0)
	v_fma_f64 v[2:3], v[152:153], v[136:137], v[2:3]
	s_waitcnt vmcnt(4)
	s_delay_alu instid0(VALU_DEP_1)
	v_fma_f64 v[2:3], v[124:125], v[138:139], v[2:3]
	ds_load_2addr_b64 v[136:139], v1 offset0:87 offset1:88
	ds_load_2addr_b64 v[150:153], v1 offset0:89 offset1:90
	s_waitcnt lgkmcnt(1)
	v_fma_f64 v[2:3], v[126:127], v[136:137], v[2:3]
	scratch_load_b128 v[124:127], off, off offset:304
	s_waitcnt vmcnt(4)
	v_fma_f64 v[2:3], v[146:147], v[138:139], v[2:3]
	scratch_load_b128 v[136:139], off, off offset:320
	s_waitcnt lgkmcnt(0)
	v_fma_f64 v[2:3], v[148:149], v[150:151], v[2:3]
	ds_load_2addr_b64 v[144:147], v1 offset0:91 offset1:92
	ds_load_2addr_b64 v[148:151], v1 offset0:93 offset1:94
	s_waitcnt vmcnt(4)
	v_fma_f64 v[2:3], v[128:129], v[152:153], v[2:3]
	s_waitcnt lgkmcnt(1)
	s_delay_alu instid0(VALU_DEP_1) | instskip(SKIP_4) | instid1(VALU_DEP_1)
	v_fma_f64 v[2:3], v[130:131], v[144:145], v[2:3]
	scratch_load_b128 v[128:131], off, off offset:336
	s_waitcnt vmcnt(4)
	v_fma_f64 v[2:3], v[140:141], v[146:147], v[2:3]
	s_waitcnt lgkmcnt(0)
	v_fma_f64 v[2:3], v[142:143], v[148:149], v[2:3]
	scratch_load_b128 v[140:143], off, off offset:352
	s_waitcnt vmcnt(4)
	v_fma_f64 v[2:3], v[132:133], v[150:151], v[2:3]
	ds_load_2addr_b64 v[144:147], v1 offset0:95 offset1:96
	ds_load_2addr_b64 v[148:151], v1 offset0:97 offset1:98
	s_waitcnt lgkmcnt(1)
	v_fma_f64 v[2:3], v[134:135], v[144:145], v[2:3]
	scratch_load_b128 v[132:135], off, off offset:368
	s_waitcnt vmcnt(4)
	v_fma_f64 v[2:3], v[124:125], v[146:147], v[2:3]
	s_waitcnt lgkmcnt(0)
	s_delay_alu instid0(VALU_DEP_1)
	v_fma_f64 v[2:3], v[126:127], v[148:149], v[2:3]
	scratch_load_b128 v[124:127], off, off offset:384
	s_waitcnt vmcnt(4)
	v_fma_f64 v[2:3], v[136:137], v[150:151], v[2:3]
	ds_load_2addr_b64 v[144:147], v1 offset0:99 offset1:100
	ds_load_2addr_b64 v[148:151], v1 offset0:101 offset1:102
	s_waitcnt lgkmcnt(1)
	v_fma_f64 v[2:3], v[138:139], v[144:145], v[2:3]
	scratch_load_b128 v[136:139], off, off offset:400
	s_waitcnt vmcnt(4)
	v_fma_f64 v[2:3], v[128:129], v[146:147], v[2:3]
	s_waitcnt lgkmcnt(0)
	s_delay_alu instid0(VALU_DEP_1)
	;; [unrolled: 13-line block ×3, first 2 shown]
	v_fma_f64 v[2:3], v[134:135], v[148:149], v[2:3]
	scratch_load_b128 v[132:135], off, off offset:448
	s_waitcnt vmcnt(4)
	v_fma_f64 v[2:3], v[124:125], v[150:151], v[2:3]
	ds_load_2addr_b64 v[144:147], v1 offset0:107 offset1:108
	ds_load_2addr_b64 v[148:151], v1 offset0:109 offset1:110
	s_waitcnt lgkmcnt(1)
	v_fma_f64 v[2:3], v[126:127], v[144:145], v[2:3]
	s_waitcnt vmcnt(3)
	s_delay_alu instid0(VALU_DEP_1) | instskip(SKIP_1) | instid1(VALU_DEP_1)
	v_fma_f64 v[2:3], v[136:137], v[146:147], v[2:3]
	s_waitcnt lgkmcnt(0)
	v_fma_f64 v[2:3], v[138:139], v[148:149], v[2:3]
	ds_load_2addr_b64 v[124:127], v1 offset0:111 offset1:112
	ds_load_2addr_b64 v[136:139], v1 offset0:113 offset1:114
	s_waitcnt vmcnt(2)
	v_fma_f64 v[2:3], v[128:129], v[150:151], v[2:3]
	s_waitcnt lgkmcnt(1)
	s_delay_alu instid0(VALU_DEP_1) | instskip(SKIP_4) | instid1(VALU_DEP_1)
	v_fma_f64 v[2:3], v[130:131], v[124:125], v[2:3]
	ds_load_b64 v[124:125], v1 offset:920
	s_waitcnt vmcnt(1)
	v_fma_f64 v[2:3], v[140:141], v[126:127], v[2:3]
	s_waitcnt lgkmcnt(1)
	v_fma_f64 v[2:3], v[142:143], v[136:137], v[2:3]
	s_waitcnt vmcnt(0)
	s_delay_alu instid0(VALU_DEP_1) | instskip(SKIP_1) | instid1(VALU_DEP_1)
	v_fma_f64 v[2:3], v[132:133], v[138:139], v[2:3]
	s_waitcnt lgkmcnt(0)
	v_fma_f64 v[2:3], v[134:135], v[124:125], v[2:3]
	s_delay_alu instid0(VALU_DEP_1)
	v_add_f64 v[2:3], v[122:123], -v[2:3]
	scratch_store_b64 off, v[2:3], off offset:128
	v_cmpx_lt_u32_e32 15, v0
	s_cbranch_execz .LBB121_327
; %bb.326:
	scratch_load_b64 v[3:4], off, off offset:120
	v_mov_b32_e32 v2, v1
	scratch_store_b64 off, v[1:2], off offset:120
	s_waitcnt vmcnt(0)
	ds_store_b64 v5, v[3:4]
.LBB121_327:
	s_or_b32 exec_lo, exec_lo, s0
	s_waitcnt lgkmcnt(0)
	s_waitcnt_vscnt null, 0x0
	s_barrier
	buffer_gl0_inv
	s_clause 0x4
	scratch_load_b128 v[122:125], off, off offset:120
	scratch_load_b128 v[126:129], off, off offset:136
	;; [unrolled: 1-line block ×5, first 2 shown]
	ds_load_b128 v[142:145], v1 offset:592
	ds_load_b128 v[146:149], v1 offset:608
	scratch_load_b128 v[150:153], off, off offset:200
	s_mov_b32 s0, exec_lo
	s_waitcnt vmcnt(5) lgkmcnt(1)
	v_fma_f64 v[2:3], v[124:125], v[142:143], 0
	s_waitcnt vmcnt(4)
	s_delay_alu instid0(VALU_DEP_1) | instskip(SKIP_4) | instid1(VALU_DEP_1)
	v_fma_f64 v[2:3], v[126:127], v[144:145], v[2:3]
	scratch_load_b128 v[124:127], off, off offset:216
	s_waitcnt lgkmcnt(0)
	v_fma_f64 v[2:3], v[128:129], v[146:147], v[2:3]
	s_waitcnt vmcnt(4)
	v_fma_f64 v[2:3], v[130:131], v[148:149], v[2:3]
	ds_load_b128 v[128:131], v1 offset:624
	ds_load_b128 v[142:145], v1 offset:640
	scratch_load_b128 v[146:149], off, off offset:232
	s_waitcnt lgkmcnt(1)
	v_fma_f64 v[2:3], v[132:133], v[128:129], v[2:3]
	s_waitcnt vmcnt(4)
	s_delay_alu instid0(VALU_DEP_1) | instskip(SKIP_4) | instid1(VALU_DEP_1)
	v_fma_f64 v[2:3], v[134:135], v[130:131], v[2:3]
	scratch_load_b128 v[128:131], off, off offset:248
	s_waitcnt lgkmcnt(0)
	v_fma_f64 v[2:3], v[136:137], v[142:143], v[2:3]
	s_waitcnt vmcnt(4)
	v_fma_f64 v[2:3], v[138:139], v[144:145], v[2:3]
	ds_load_b128 v[132:135], v1 offset:656
	ds_load_b128 v[136:139], v1 offset:672
	s_waitcnt lgkmcnt(1)
	v_fma_f64 v[2:3], v[140:141], v[132:133], v[2:3]
	scratch_load_b128 v[140:143], off, off offset:264
	s_waitcnt vmcnt(4)
	v_fma_f64 v[2:3], v[150:151], v[134:135], v[2:3]
	scratch_load_b128 v[132:135], off, off offset:280
	s_waitcnt lgkmcnt(0)
	v_fma_f64 v[2:3], v[152:153], v[136:137], v[2:3]
	s_waitcnt vmcnt(4)
	s_delay_alu instid0(VALU_DEP_1)
	v_fma_f64 v[2:3], v[124:125], v[138:139], v[2:3]
	ds_load_b128 v[136:139], v1 offset:688
	ds_load_b128 v[150:153], v1 offset:704
	s_waitcnt lgkmcnt(1)
	v_fma_f64 v[2:3], v[126:127], v[136:137], v[2:3]
	scratch_load_b128 v[124:127], off, off offset:296
	s_waitcnt vmcnt(4)
	v_fma_f64 v[2:3], v[146:147], v[138:139], v[2:3]
	scratch_load_b128 v[136:139], off, off offset:312
	s_waitcnt lgkmcnt(0)
	v_fma_f64 v[2:3], v[148:149], v[150:151], v[2:3]
	ds_load_b128 v[144:147], v1 offset:720
	ds_load_b128 v[148:151], v1 offset:736
	s_waitcnt vmcnt(4)
	v_fma_f64 v[2:3], v[128:129], v[152:153], v[2:3]
	s_waitcnt lgkmcnt(1)
	s_delay_alu instid0(VALU_DEP_1) | instskip(SKIP_4) | instid1(VALU_DEP_1)
	v_fma_f64 v[2:3], v[130:131], v[144:145], v[2:3]
	scratch_load_b128 v[128:131], off, off offset:328
	s_waitcnt vmcnt(4)
	v_fma_f64 v[2:3], v[140:141], v[146:147], v[2:3]
	s_waitcnt lgkmcnt(0)
	v_fma_f64 v[2:3], v[142:143], v[148:149], v[2:3]
	scratch_load_b128 v[140:143], off, off offset:344
	s_waitcnt vmcnt(4)
	v_fma_f64 v[2:3], v[132:133], v[150:151], v[2:3]
	ds_load_b128 v[144:147], v1 offset:752
	ds_load_b128 v[148:151], v1 offset:768
	s_waitcnt lgkmcnt(1)
	v_fma_f64 v[2:3], v[134:135], v[144:145], v[2:3]
	scratch_load_b128 v[132:135], off, off offset:360
	s_waitcnt vmcnt(4)
	v_fma_f64 v[2:3], v[124:125], v[146:147], v[2:3]
	s_waitcnt lgkmcnt(0)
	s_delay_alu instid0(VALU_DEP_1)
	v_fma_f64 v[2:3], v[126:127], v[148:149], v[2:3]
	scratch_load_b128 v[124:127], off, off offset:376
	s_waitcnt vmcnt(4)
	v_fma_f64 v[2:3], v[136:137], v[150:151], v[2:3]
	ds_load_b128 v[144:147], v1 offset:784
	ds_load_b128 v[148:151], v1 offset:800
	s_waitcnt lgkmcnt(1)
	v_fma_f64 v[2:3], v[138:139], v[144:145], v[2:3]
	scratch_load_b128 v[136:139], off, off offset:392
	s_waitcnt vmcnt(4)
	v_fma_f64 v[2:3], v[128:129], v[146:147], v[2:3]
	s_waitcnt lgkmcnt(0)
	s_delay_alu instid0(VALU_DEP_1)
	;; [unrolled: 13-line block ×3, first 2 shown]
	v_fma_f64 v[2:3], v[134:135], v[148:149], v[2:3]
	scratch_load_b128 v[132:135], off, off offset:440
	s_waitcnt vmcnt(4)
	v_fma_f64 v[2:3], v[124:125], v[150:151], v[2:3]
	ds_load_b128 v[144:147], v1 offset:848
	ds_load_b128 v[148:151], v1 offset:864
	s_waitcnt lgkmcnt(1)
	v_fma_f64 v[2:3], v[126:127], v[144:145], v[2:3]
	scratch_load_b64 v[144:145], off, off offset:456
	s_waitcnt vmcnt(4)
	v_fma_f64 v[2:3], v[136:137], v[146:147], v[2:3]
	s_waitcnt lgkmcnt(0)
	s_delay_alu instid0(VALU_DEP_1)
	v_fma_f64 v[2:3], v[138:139], v[148:149], v[2:3]
	ds_load_b128 v[124:127], v1 offset:880
	ds_load_b128 v[136:139], v1 offset:896
	s_waitcnt vmcnt(3)
	v_fma_f64 v[2:3], v[128:129], v[150:151], v[2:3]
	s_waitcnt lgkmcnt(1)
	s_delay_alu instid0(VALU_DEP_1) | instskip(SKIP_1) | instid1(VALU_DEP_1)
	v_fma_f64 v[2:3], v[130:131], v[124:125], v[2:3]
	s_waitcnt vmcnt(2)
	v_fma_f64 v[2:3], v[140:141], v[126:127], v[2:3]
	s_waitcnt lgkmcnt(0)
	s_delay_alu instid0(VALU_DEP_1) | instskip(SKIP_1) | instid1(VALU_DEP_1)
	v_fma_f64 v[2:3], v[142:143], v[136:137], v[2:3]
	s_waitcnt vmcnt(1)
	v_fma_f64 v[124:125], v[132:133], v[138:139], v[2:3]
	ds_load_b128 v[1:4], v1 offset:912
	s_waitcnt lgkmcnt(0)
	v_fma_f64 v[1:2], v[134:135], v[1:2], v[124:125]
	s_waitcnt vmcnt(0)
	s_delay_alu instid0(VALU_DEP_1) | instskip(NEXT) | instid1(VALU_DEP_1)
	v_fma_f64 v[1:2], v[144:145], v[3:4], v[1:2]
	v_add_f64 v[1:2], v[122:123], -v[1:2]
	scratch_store_b64 off, v[1:2], off offset:120
	v_cmpx_lt_u32_e32 14, v0
	s_cbranch_execz .LBB121_329
; %bb.328:
	scratch_load_b64 v[1:2], off, off offset:112
	v_mov_b32_e32 v3, 0
	s_delay_alu instid0(VALU_DEP_1)
	v_mov_b32_e32 v4, v3
	scratch_store_b64 off, v[3:4], off offset:112
	s_waitcnt vmcnt(0)
	ds_store_b64 v5, v[1:2]
.LBB121_329:
	s_or_b32 exec_lo, exec_lo, s0
	s_waitcnt lgkmcnt(0)
	s_waitcnt_vscnt null, 0x0
	s_barrier
	buffer_gl0_inv
	s_clause 0x4
	scratch_load_b128 v[122:125], off, off offset:112
	scratch_load_b128 v[126:129], off, off offset:128
	;; [unrolled: 1-line block ×5, first 2 shown]
	v_mov_b32_e32 v1, 0
	ds_load_2addr_b64 v[142:145], v1 offset0:73 offset1:74
	ds_load_2addr_b64 v[146:149], v1 offset0:75 offset1:76
	scratch_load_b128 v[150:153], off, off offset:192
	s_mov_b32 s0, exec_lo
	s_waitcnt vmcnt(5) lgkmcnt(1)
	v_fma_f64 v[2:3], v[124:125], v[142:143], 0
	s_waitcnt vmcnt(4)
	s_delay_alu instid0(VALU_DEP_1) | instskip(SKIP_4) | instid1(VALU_DEP_1)
	v_fma_f64 v[2:3], v[126:127], v[144:145], v[2:3]
	scratch_load_b128 v[124:127], off, off offset:208
	s_waitcnt lgkmcnt(0)
	v_fma_f64 v[2:3], v[128:129], v[146:147], v[2:3]
	s_waitcnt vmcnt(4)
	v_fma_f64 v[2:3], v[130:131], v[148:149], v[2:3]
	ds_load_2addr_b64 v[128:131], v1 offset0:77 offset1:78
	ds_load_2addr_b64 v[142:145], v1 offset0:79 offset1:80
	scratch_load_b128 v[146:149], off, off offset:224
	s_waitcnt lgkmcnt(1)
	v_fma_f64 v[2:3], v[132:133], v[128:129], v[2:3]
	s_waitcnt vmcnt(4)
	s_delay_alu instid0(VALU_DEP_1) | instskip(SKIP_4) | instid1(VALU_DEP_1)
	v_fma_f64 v[2:3], v[134:135], v[130:131], v[2:3]
	scratch_load_b128 v[128:131], off, off offset:240
	s_waitcnt lgkmcnt(0)
	v_fma_f64 v[2:3], v[136:137], v[142:143], v[2:3]
	s_waitcnt vmcnt(4)
	v_fma_f64 v[2:3], v[138:139], v[144:145], v[2:3]
	ds_load_2addr_b64 v[132:135], v1 offset0:81 offset1:82
	ds_load_2addr_b64 v[136:139], v1 offset0:83 offset1:84
	s_waitcnt lgkmcnt(1)
	v_fma_f64 v[2:3], v[140:141], v[132:133], v[2:3]
	scratch_load_b128 v[140:143], off, off offset:256
	s_waitcnt vmcnt(4)
	v_fma_f64 v[2:3], v[150:151], v[134:135], v[2:3]
	scratch_load_b128 v[132:135], off, off offset:272
	s_waitcnt lgkmcnt(0)
	v_fma_f64 v[2:3], v[152:153], v[136:137], v[2:3]
	s_waitcnt vmcnt(4)
	s_delay_alu instid0(VALU_DEP_1)
	v_fma_f64 v[2:3], v[124:125], v[138:139], v[2:3]
	ds_load_2addr_b64 v[136:139], v1 offset0:85 offset1:86
	ds_load_2addr_b64 v[150:153], v1 offset0:87 offset1:88
	s_waitcnt lgkmcnt(1)
	v_fma_f64 v[2:3], v[126:127], v[136:137], v[2:3]
	scratch_load_b128 v[124:127], off, off offset:288
	s_waitcnt vmcnt(4)
	v_fma_f64 v[2:3], v[146:147], v[138:139], v[2:3]
	scratch_load_b128 v[136:139], off, off offset:304
	s_waitcnt lgkmcnt(0)
	v_fma_f64 v[2:3], v[148:149], v[150:151], v[2:3]
	ds_load_2addr_b64 v[144:147], v1 offset0:89 offset1:90
	ds_load_2addr_b64 v[148:151], v1 offset0:91 offset1:92
	s_waitcnt vmcnt(4)
	v_fma_f64 v[2:3], v[128:129], v[152:153], v[2:3]
	s_waitcnt lgkmcnt(1)
	s_delay_alu instid0(VALU_DEP_1) | instskip(SKIP_4) | instid1(VALU_DEP_1)
	v_fma_f64 v[2:3], v[130:131], v[144:145], v[2:3]
	scratch_load_b128 v[128:131], off, off offset:320
	s_waitcnt vmcnt(4)
	v_fma_f64 v[2:3], v[140:141], v[146:147], v[2:3]
	s_waitcnt lgkmcnt(0)
	v_fma_f64 v[2:3], v[142:143], v[148:149], v[2:3]
	scratch_load_b128 v[140:143], off, off offset:336
	s_waitcnt vmcnt(4)
	v_fma_f64 v[2:3], v[132:133], v[150:151], v[2:3]
	ds_load_2addr_b64 v[144:147], v1 offset0:93 offset1:94
	ds_load_2addr_b64 v[148:151], v1 offset0:95 offset1:96
	s_waitcnt lgkmcnt(1)
	v_fma_f64 v[2:3], v[134:135], v[144:145], v[2:3]
	scratch_load_b128 v[132:135], off, off offset:352
	s_waitcnt vmcnt(4)
	v_fma_f64 v[2:3], v[124:125], v[146:147], v[2:3]
	s_waitcnt lgkmcnt(0)
	s_delay_alu instid0(VALU_DEP_1)
	v_fma_f64 v[2:3], v[126:127], v[148:149], v[2:3]
	scratch_load_b128 v[124:127], off, off offset:368
	s_waitcnt vmcnt(4)
	v_fma_f64 v[2:3], v[136:137], v[150:151], v[2:3]
	ds_load_2addr_b64 v[144:147], v1 offset0:97 offset1:98
	ds_load_2addr_b64 v[148:151], v1 offset0:99 offset1:100
	s_waitcnt lgkmcnt(1)
	v_fma_f64 v[2:3], v[138:139], v[144:145], v[2:3]
	scratch_load_b128 v[136:139], off, off offset:384
	s_waitcnt vmcnt(4)
	v_fma_f64 v[2:3], v[128:129], v[146:147], v[2:3]
	s_waitcnt lgkmcnt(0)
	s_delay_alu instid0(VALU_DEP_1)
	;; [unrolled: 13-line block ×4, first 2 shown]
	v_fma_f64 v[2:3], v[138:139], v[148:149], v[2:3]
	ds_load_2addr_b64 v[136:139], v1 offset0:109 offset1:110
	ds_load_2addr_b64 v[144:147], v1 offset0:111 offset1:112
	s_waitcnt vmcnt(3)
	v_fma_f64 v[2:3], v[128:129], v[150:151], v[2:3]
	s_waitcnt lgkmcnt(1)
	s_delay_alu instid0(VALU_DEP_1) | instskip(SKIP_1) | instid1(VALU_DEP_1)
	v_fma_f64 v[2:3], v[130:131], v[136:137], v[2:3]
	s_waitcnt vmcnt(2)
	v_fma_f64 v[2:3], v[140:141], v[138:139], v[2:3]
	s_waitcnt lgkmcnt(0)
	s_delay_alu instid0(VALU_DEP_1) | instskip(SKIP_1) | instid1(VALU_DEP_1)
	v_fma_f64 v[2:3], v[142:143], v[144:145], v[2:3]
	s_waitcnt vmcnt(1)
	v_fma_f64 v[2:3], v[132:133], v[146:147], v[2:3]
	ds_load_2addr_b64 v[128:131], v1 offset0:113 offset1:114
	ds_load_b64 v[132:133], v1 offset:920
	s_waitcnt lgkmcnt(1)
	v_fma_f64 v[2:3], v[134:135], v[128:129], v[2:3]
	s_waitcnt vmcnt(0)
	s_delay_alu instid0(VALU_DEP_1) | instskip(SKIP_1) | instid1(VALU_DEP_1)
	v_fma_f64 v[2:3], v[124:125], v[130:131], v[2:3]
	s_waitcnt lgkmcnt(0)
	v_fma_f64 v[2:3], v[126:127], v[132:133], v[2:3]
	s_delay_alu instid0(VALU_DEP_1)
	v_add_f64 v[2:3], v[122:123], -v[2:3]
	scratch_store_b64 off, v[2:3], off offset:112
	v_cmpx_lt_u32_e32 13, v0
	s_cbranch_execz .LBB121_331
; %bb.330:
	scratch_load_b64 v[3:4], off, off offset:104
	v_mov_b32_e32 v2, v1
	scratch_store_b64 off, v[1:2], off offset:104
	s_waitcnt vmcnt(0)
	ds_store_b64 v5, v[3:4]
.LBB121_331:
	s_or_b32 exec_lo, exec_lo, s0
	s_waitcnt lgkmcnt(0)
	s_waitcnt_vscnt null, 0x0
	s_barrier
	buffer_gl0_inv
	s_clause 0x4
	scratch_load_b128 v[122:125], off, off offset:104
	scratch_load_b128 v[126:129], off, off offset:120
	;; [unrolled: 1-line block ×5, first 2 shown]
	ds_load_b128 v[142:145], v1 offset:576
	ds_load_b128 v[146:149], v1 offset:592
	scratch_load_b128 v[150:153], off, off offset:184
	s_mov_b32 s0, exec_lo
	s_waitcnt vmcnt(5) lgkmcnt(1)
	v_fma_f64 v[2:3], v[124:125], v[142:143], 0
	s_waitcnt vmcnt(4)
	s_delay_alu instid0(VALU_DEP_1) | instskip(SKIP_4) | instid1(VALU_DEP_1)
	v_fma_f64 v[2:3], v[126:127], v[144:145], v[2:3]
	scratch_load_b128 v[124:127], off, off offset:200
	s_waitcnt lgkmcnt(0)
	v_fma_f64 v[2:3], v[128:129], v[146:147], v[2:3]
	s_waitcnt vmcnt(4)
	v_fma_f64 v[2:3], v[130:131], v[148:149], v[2:3]
	ds_load_b128 v[128:131], v1 offset:608
	ds_load_b128 v[142:145], v1 offset:624
	scratch_load_b128 v[146:149], off, off offset:216
	s_waitcnt lgkmcnt(1)
	v_fma_f64 v[2:3], v[132:133], v[128:129], v[2:3]
	s_waitcnt vmcnt(4)
	s_delay_alu instid0(VALU_DEP_1) | instskip(SKIP_4) | instid1(VALU_DEP_1)
	v_fma_f64 v[2:3], v[134:135], v[130:131], v[2:3]
	scratch_load_b128 v[128:131], off, off offset:232
	s_waitcnt lgkmcnt(0)
	v_fma_f64 v[2:3], v[136:137], v[142:143], v[2:3]
	s_waitcnt vmcnt(4)
	v_fma_f64 v[2:3], v[138:139], v[144:145], v[2:3]
	ds_load_b128 v[132:135], v1 offset:640
	ds_load_b128 v[136:139], v1 offset:656
	s_waitcnt lgkmcnt(1)
	v_fma_f64 v[2:3], v[140:141], v[132:133], v[2:3]
	scratch_load_b128 v[140:143], off, off offset:248
	s_waitcnt vmcnt(4)
	v_fma_f64 v[2:3], v[150:151], v[134:135], v[2:3]
	scratch_load_b128 v[132:135], off, off offset:264
	s_waitcnt lgkmcnt(0)
	v_fma_f64 v[2:3], v[152:153], v[136:137], v[2:3]
	s_waitcnt vmcnt(4)
	s_delay_alu instid0(VALU_DEP_1)
	v_fma_f64 v[2:3], v[124:125], v[138:139], v[2:3]
	ds_load_b128 v[136:139], v1 offset:672
	ds_load_b128 v[150:153], v1 offset:688
	s_waitcnt lgkmcnt(1)
	v_fma_f64 v[2:3], v[126:127], v[136:137], v[2:3]
	scratch_load_b128 v[124:127], off, off offset:280
	s_waitcnt vmcnt(4)
	v_fma_f64 v[2:3], v[146:147], v[138:139], v[2:3]
	scratch_load_b128 v[136:139], off, off offset:296
	s_waitcnt lgkmcnt(0)
	v_fma_f64 v[2:3], v[148:149], v[150:151], v[2:3]
	ds_load_b128 v[144:147], v1 offset:704
	ds_load_b128 v[148:151], v1 offset:720
	s_waitcnt vmcnt(4)
	v_fma_f64 v[2:3], v[128:129], v[152:153], v[2:3]
	s_waitcnt lgkmcnt(1)
	s_delay_alu instid0(VALU_DEP_1) | instskip(SKIP_4) | instid1(VALU_DEP_1)
	v_fma_f64 v[2:3], v[130:131], v[144:145], v[2:3]
	scratch_load_b128 v[128:131], off, off offset:312
	s_waitcnt vmcnt(4)
	v_fma_f64 v[2:3], v[140:141], v[146:147], v[2:3]
	s_waitcnt lgkmcnt(0)
	v_fma_f64 v[2:3], v[142:143], v[148:149], v[2:3]
	scratch_load_b128 v[140:143], off, off offset:328
	s_waitcnt vmcnt(4)
	v_fma_f64 v[2:3], v[132:133], v[150:151], v[2:3]
	ds_load_b128 v[144:147], v1 offset:736
	ds_load_b128 v[148:151], v1 offset:752
	s_waitcnt lgkmcnt(1)
	v_fma_f64 v[2:3], v[134:135], v[144:145], v[2:3]
	scratch_load_b128 v[132:135], off, off offset:344
	s_waitcnt vmcnt(4)
	v_fma_f64 v[2:3], v[124:125], v[146:147], v[2:3]
	s_waitcnt lgkmcnt(0)
	s_delay_alu instid0(VALU_DEP_1)
	v_fma_f64 v[2:3], v[126:127], v[148:149], v[2:3]
	scratch_load_b128 v[124:127], off, off offset:360
	s_waitcnt vmcnt(4)
	v_fma_f64 v[2:3], v[136:137], v[150:151], v[2:3]
	ds_load_b128 v[144:147], v1 offset:768
	ds_load_b128 v[148:151], v1 offset:784
	s_waitcnt lgkmcnt(1)
	v_fma_f64 v[2:3], v[138:139], v[144:145], v[2:3]
	scratch_load_b128 v[136:139], off, off offset:376
	s_waitcnt vmcnt(4)
	v_fma_f64 v[2:3], v[128:129], v[146:147], v[2:3]
	s_waitcnt lgkmcnt(0)
	s_delay_alu instid0(VALU_DEP_1)
	;; [unrolled: 13-line block ×4, first 2 shown]
	v_fma_f64 v[2:3], v[138:139], v[148:149], v[2:3]
	scratch_load_b64 v[148:149], off, off offset:456
	ds_load_b128 v[136:139], v1 offset:864
	ds_load_b128 v[144:147], v1 offset:880
	s_waitcnt vmcnt(4)
	v_fma_f64 v[2:3], v[128:129], v[150:151], v[2:3]
	s_waitcnt lgkmcnt(1)
	s_delay_alu instid0(VALU_DEP_1) | instskip(SKIP_1) | instid1(VALU_DEP_1)
	v_fma_f64 v[2:3], v[130:131], v[136:137], v[2:3]
	s_waitcnt vmcnt(3)
	v_fma_f64 v[2:3], v[140:141], v[138:139], v[2:3]
	s_waitcnt lgkmcnt(0)
	s_delay_alu instid0(VALU_DEP_1) | instskip(SKIP_1) | instid1(VALU_DEP_1)
	v_fma_f64 v[2:3], v[142:143], v[144:145], v[2:3]
	s_waitcnt vmcnt(2)
	v_fma_f64 v[132:133], v[132:133], v[146:147], v[2:3]
	ds_load_b128 v[128:131], v1 offset:896
	ds_load_b128 v[1:4], v1 offset:912
	s_waitcnt lgkmcnt(1)
	v_fma_f64 v[128:129], v[134:135], v[128:129], v[132:133]
	s_waitcnt vmcnt(1)
	s_delay_alu instid0(VALU_DEP_1) | instskip(SKIP_1) | instid1(VALU_DEP_1)
	v_fma_f64 v[124:125], v[124:125], v[130:131], v[128:129]
	s_waitcnt lgkmcnt(0)
	v_fma_f64 v[1:2], v[126:127], v[1:2], v[124:125]
	s_waitcnt vmcnt(0)
	s_delay_alu instid0(VALU_DEP_1) | instskip(NEXT) | instid1(VALU_DEP_1)
	v_fma_f64 v[1:2], v[148:149], v[3:4], v[1:2]
	v_add_f64 v[1:2], v[122:123], -v[1:2]
	scratch_store_b64 off, v[1:2], off offset:104
	v_cmpx_lt_u32_e32 12, v0
	s_cbranch_execz .LBB121_333
; %bb.332:
	scratch_load_b64 v[1:2], off, off offset:96
	v_mov_b32_e32 v3, 0
	s_delay_alu instid0(VALU_DEP_1)
	v_mov_b32_e32 v4, v3
	scratch_store_b64 off, v[3:4], off offset:96
	s_waitcnt vmcnt(0)
	ds_store_b64 v5, v[1:2]
.LBB121_333:
	s_or_b32 exec_lo, exec_lo, s0
	s_waitcnt lgkmcnt(0)
	s_waitcnt_vscnt null, 0x0
	s_barrier
	buffer_gl0_inv
	s_clause 0x4
	scratch_load_b128 v[1:4], off, off offset:96
	scratch_load_b128 v[123:126], off, off offset:112
	;; [unrolled: 1-line block ×5, first 2 shown]
	v_mov_b32_e32 v122, 0
	ds_load_2addr_b64 v[139:142], v122 offset0:71 offset1:72
	ds_load_2addr_b64 v[143:146], v122 offset0:73 offset1:74
	scratch_load_b128 v[147:150], off, off offset:176
	s_mov_b32 s0, exec_lo
	s_waitcnt vmcnt(5) lgkmcnt(1)
	v_fma_f64 v[3:4], v[3:4], v[139:140], 0
	s_waitcnt vmcnt(4)
	s_delay_alu instid0(VALU_DEP_1) | instskip(SKIP_1) | instid1(VALU_DEP_1)
	v_fma_f64 v[3:4], v[123:124], v[141:142], v[3:4]
	s_waitcnt lgkmcnt(0)
	v_fma_f64 v[3:4], v[125:126], v[143:144], v[3:4]
	scratch_load_b128 v[123:126], off, off offset:192
	s_waitcnt vmcnt(4)
	v_fma_f64 v[3:4], v[127:128], v[145:146], v[3:4]
	ds_load_2addr_b64 v[139:142], v122 offset0:75 offset1:76
	ds_load_2addr_b64 v[143:146], v122 offset0:77 offset1:78
	s_waitcnt lgkmcnt(1)
	v_fma_f64 v[3:4], v[129:130], v[139:140], v[3:4]
	scratch_load_b128 v[127:130], off, off offset:208
	s_waitcnt vmcnt(4)
	v_fma_f64 v[3:4], v[131:132], v[141:142], v[3:4]
	s_waitcnt lgkmcnt(0)
	s_delay_alu instid0(VALU_DEP_1)
	v_fma_f64 v[3:4], v[133:134], v[143:144], v[3:4]
	scratch_load_b128 v[131:134], off, off offset:224
	s_waitcnt vmcnt(4)
	v_fma_f64 v[3:4], v[135:136], v[145:146], v[3:4]
	ds_load_2addr_b64 v[139:142], v122 offset0:79 offset1:80
	ds_load_2addr_b64 v[143:146], v122 offset0:81 offset1:82
	s_waitcnt lgkmcnt(1)
	v_fma_f64 v[3:4], v[137:138], v[139:140], v[3:4]
	scratch_load_b128 v[135:138], off, off offset:240
	s_waitcnt vmcnt(4)
	v_fma_f64 v[3:4], v[147:148], v[141:142], v[3:4]
	scratch_load_b128 v[139:142], off, off offset:256
	s_waitcnt lgkmcnt(0)
	v_fma_f64 v[3:4], v[149:150], v[143:144], v[3:4]
	s_waitcnt vmcnt(4)
	s_delay_alu instid0(VALU_DEP_1)
	v_fma_f64 v[3:4], v[123:124], v[145:146], v[3:4]
	ds_load_2addr_b64 v[143:146], v122 offset0:83 offset1:84
	ds_load_2addr_b64 v[147:150], v122 offset0:85 offset1:86
	s_waitcnt lgkmcnt(1)
	v_fma_f64 v[3:4], v[125:126], v[143:144], v[3:4]
	scratch_load_b128 v[123:126], off, off offset:272
	s_waitcnt vmcnt(4)
	v_fma_f64 v[3:4], v[127:128], v[145:146], v[3:4]
	s_waitcnt lgkmcnt(0)
	s_delay_alu instid0(VALU_DEP_1)
	v_fma_f64 v[3:4], v[129:130], v[147:148], v[3:4]
	scratch_load_b128 v[127:130], off, off offset:288
	s_waitcnt vmcnt(4)
	v_fma_f64 v[3:4], v[131:132], v[149:150], v[3:4]
	ds_load_2addr_b64 v[143:146], v122 offset0:87 offset1:88
	ds_load_2addr_b64 v[147:150], v122 offset0:89 offset1:90
	s_waitcnt lgkmcnt(1)
	v_fma_f64 v[3:4], v[133:134], v[143:144], v[3:4]
	scratch_load_b128 v[131:134], off, off offset:304
	s_waitcnt vmcnt(4)
	v_fma_f64 v[3:4], v[135:136], v[145:146], v[3:4]
	s_waitcnt lgkmcnt(0)
	s_delay_alu instid0(VALU_DEP_1)
	v_fma_f64 v[3:4], v[137:138], v[147:148], v[3:4]
	scratch_load_b128 v[135:138], off, off offset:320
	s_waitcnt vmcnt(4)
	;; [unrolled: 13-line block ×6, first 2 shown]
	v_fma_f64 v[3:4], v[131:132], v[149:150], v[3:4]
	ds_load_2addr_b64 v[143:146], v122 offset0:107 offset1:108
	ds_load_2addr_b64 v[147:150], v122 offset0:109 offset1:110
	s_waitcnt lgkmcnt(1)
	v_fma_f64 v[3:4], v[133:134], v[143:144], v[3:4]
	s_waitcnt vmcnt(3)
	s_delay_alu instid0(VALU_DEP_1) | instskip(SKIP_1) | instid1(VALU_DEP_1)
	v_fma_f64 v[3:4], v[135:136], v[145:146], v[3:4]
	s_waitcnt lgkmcnt(0)
	v_fma_f64 v[3:4], v[137:138], v[147:148], v[3:4]
	ds_load_2addr_b64 v[131:134], v122 offset0:111 offset1:112
	ds_load_2addr_b64 v[135:138], v122 offset0:113 offset1:114
	s_waitcnt vmcnt(2)
	v_fma_f64 v[3:4], v[139:140], v[149:150], v[3:4]
	s_waitcnt lgkmcnt(1)
	s_delay_alu instid0(VALU_DEP_1) | instskip(SKIP_1) | instid1(VALU_DEP_1)
	v_fma_f64 v[3:4], v[141:142], v[131:132], v[3:4]
	s_waitcnt vmcnt(1)
	v_fma_f64 v[3:4], v[123:124], v[133:134], v[3:4]
	ds_load_b64 v[123:124], v122 offset:920
	s_waitcnt lgkmcnt(1)
	v_fma_f64 v[3:4], v[125:126], v[135:136], v[3:4]
	s_waitcnt vmcnt(0)
	s_delay_alu instid0(VALU_DEP_1) | instskip(SKIP_1) | instid1(VALU_DEP_1)
	v_fma_f64 v[3:4], v[127:128], v[137:138], v[3:4]
	s_waitcnt lgkmcnt(0)
	v_fma_f64 v[3:4], v[129:130], v[123:124], v[3:4]
	s_delay_alu instid0(VALU_DEP_1)
	v_add_f64 v[1:2], v[1:2], -v[3:4]
	scratch_store_b64 off, v[1:2], off offset:96
	v_cmpx_lt_u32_e32 11, v0
	s_cbranch_execz .LBB121_335
; %bb.334:
	scratch_load_b64 v[1:2], off, off offset:88
	v_mov_b32_e32 v123, v122
	scratch_store_b64 off, v[122:123], off offset:88
	s_waitcnt vmcnt(0)
	ds_store_b64 v5, v[1:2]
.LBB121_335:
	s_or_b32 exec_lo, exec_lo, s0
	s_waitcnt lgkmcnt(0)
	s_waitcnt_vscnt null, 0x0
	s_barrier
	buffer_gl0_inv
	s_clause 0x4
	scratch_load_b128 v[1:4], off, off offset:88
	scratch_load_b128 v[123:126], off, off offset:104
	;; [unrolled: 1-line block ×5, first 2 shown]
	ds_load_b128 v[139:142], v122 offset:560
	ds_load_b128 v[143:146], v122 offset:576
	scratch_load_b128 v[147:150], off, off offset:168
	s_mov_b32 s0, exec_lo
	s_waitcnt vmcnt(5) lgkmcnt(1)
	v_fma_f64 v[3:4], v[3:4], v[139:140], 0
	s_waitcnt vmcnt(4)
	s_delay_alu instid0(VALU_DEP_1) | instskip(SKIP_1) | instid1(VALU_DEP_1)
	v_fma_f64 v[3:4], v[123:124], v[141:142], v[3:4]
	s_waitcnt lgkmcnt(0)
	v_fma_f64 v[3:4], v[125:126], v[143:144], v[3:4]
	scratch_load_b128 v[123:126], off, off offset:184
	s_waitcnt vmcnt(4)
	v_fma_f64 v[3:4], v[127:128], v[145:146], v[3:4]
	ds_load_b128 v[139:142], v122 offset:592
	ds_load_b128 v[143:146], v122 offset:608
	s_waitcnt lgkmcnt(1)
	v_fma_f64 v[3:4], v[129:130], v[139:140], v[3:4]
	scratch_load_b128 v[127:130], off, off offset:200
	s_waitcnt vmcnt(4)
	v_fma_f64 v[3:4], v[131:132], v[141:142], v[3:4]
	s_waitcnt lgkmcnt(0)
	s_delay_alu instid0(VALU_DEP_1)
	v_fma_f64 v[3:4], v[133:134], v[143:144], v[3:4]
	scratch_load_b128 v[131:134], off, off offset:216
	s_waitcnt vmcnt(4)
	v_fma_f64 v[3:4], v[135:136], v[145:146], v[3:4]
	ds_load_b128 v[139:142], v122 offset:624
	ds_load_b128 v[143:146], v122 offset:640
	s_waitcnt lgkmcnt(1)
	v_fma_f64 v[3:4], v[137:138], v[139:140], v[3:4]
	scratch_load_b128 v[135:138], off, off offset:232
	s_waitcnt vmcnt(4)
	v_fma_f64 v[3:4], v[147:148], v[141:142], v[3:4]
	scratch_load_b128 v[139:142], off, off offset:248
	s_waitcnt lgkmcnt(0)
	v_fma_f64 v[3:4], v[149:150], v[143:144], v[3:4]
	s_waitcnt vmcnt(4)
	s_delay_alu instid0(VALU_DEP_1)
	v_fma_f64 v[3:4], v[123:124], v[145:146], v[3:4]
	ds_load_b128 v[143:146], v122 offset:656
	ds_load_b128 v[147:150], v122 offset:672
	s_waitcnt lgkmcnt(1)
	v_fma_f64 v[3:4], v[125:126], v[143:144], v[3:4]
	scratch_load_b128 v[123:126], off, off offset:264
	s_waitcnt vmcnt(4)
	v_fma_f64 v[3:4], v[127:128], v[145:146], v[3:4]
	s_waitcnt lgkmcnt(0)
	s_delay_alu instid0(VALU_DEP_1)
	v_fma_f64 v[3:4], v[129:130], v[147:148], v[3:4]
	scratch_load_b128 v[127:130], off, off offset:280
	s_waitcnt vmcnt(4)
	v_fma_f64 v[3:4], v[131:132], v[149:150], v[3:4]
	ds_load_b128 v[143:146], v122 offset:688
	ds_load_b128 v[147:150], v122 offset:704
	s_waitcnt lgkmcnt(1)
	v_fma_f64 v[3:4], v[133:134], v[143:144], v[3:4]
	scratch_load_b128 v[131:134], off, off offset:296
	s_waitcnt vmcnt(4)
	v_fma_f64 v[3:4], v[135:136], v[145:146], v[3:4]
	s_waitcnt lgkmcnt(0)
	s_delay_alu instid0(VALU_DEP_1)
	v_fma_f64 v[3:4], v[137:138], v[147:148], v[3:4]
	scratch_load_b128 v[135:138], off, off offset:312
	s_waitcnt vmcnt(4)
	;; [unrolled: 13-line block ×6, first 2 shown]
	v_fma_f64 v[3:4], v[131:132], v[149:150], v[3:4]
	ds_load_b128 v[143:146], v122 offset:848
	ds_load_b128 v[147:150], v122 offset:864
	s_waitcnt lgkmcnt(1)
	v_fma_f64 v[3:4], v[133:134], v[143:144], v[3:4]
	scratch_load_b64 v[143:144], off, off offset:456
	s_waitcnt vmcnt(4)
	v_fma_f64 v[3:4], v[135:136], v[145:146], v[3:4]
	s_waitcnt lgkmcnt(0)
	s_delay_alu instid0(VALU_DEP_1)
	v_fma_f64 v[3:4], v[137:138], v[147:148], v[3:4]
	ds_load_b128 v[131:134], v122 offset:880
	ds_load_b128 v[135:138], v122 offset:896
	s_waitcnt vmcnt(3)
	v_fma_f64 v[3:4], v[139:140], v[149:150], v[3:4]
	s_waitcnt lgkmcnt(1)
	s_delay_alu instid0(VALU_DEP_1) | instskip(SKIP_1) | instid1(VALU_DEP_1)
	v_fma_f64 v[3:4], v[141:142], v[131:132], v[3:4]
	s_waitcnt vmcnt(2)
	v_fma_f64 v[3:4], v[123:124], v[133:134], v[3:4]
	s_waitcnt lgkmcnt(0)
	s_delay_alu instid0(VALU_DEP_1) | instskip(SKIP_4) | instid1(VALU_DEP_1)
	v_fma_f64 v[3:4], v[125:126], v[135:136], v[3:4]
	ds_load_b128 v[122:125], v122 offset:912
	s_waitcnt vmcnt(1)
	v_fma_f64 v[3:4], v[127:128], v[137:138], v[3:4]
	s_waitcnt lgkmcnt(0)
	v_fma_f64 v[3:4], v[129:130], v[122:123], v[3:4]
	s_waitcnt vmcnt(0)
	s_delay_alu instid0(VALU_DEP_1) | instskip(NEXT) | instid1(VALU_DEP_1)
	v_fma_f64 v[3:4], v[143:144], v[124:125], v[3:4]
	v_add_f64 v[1:2], v[1:2], -v[3:4]
	scratch_store_b64 off, v[1:2], off offset:88
	v_cmpx_lt_u32_e32 10, v0
	s_cbranch_execz .LBB121_337
; %bb.336:
	scratch_load_b64 v[1:2], off, off offset:80
	v_mov_b32_e32 v3, 0
	s_delay_alu instid0(VALU_DEP_1)
	v_mov_b32_e32 v4, v3
	scratch_store_b64 off, v[3:4], off offset:80
	s_waitcnt vmcnt(0)
	ds_store_b64 v5, v[1:2]
.LBB121_337:
	s_or_b32 exec_lo, exec_lo, s0
	s_waitcnt lgkmcnt(0)
	s_waitcnt_vscnt null, 0x0
	s_barrier
	buffer_gl0_inv
	s_clause 0x4
	scratch_load_b128 v[1:4], off, off offset:80
	scratch_load_b128 v[123:126], off, off offset:96
	scratch_load_b128 v[127:130], off, off offset:112
	scratch_load_b128 v[131:134], off, off offset:128
	scratch_load_b128 v[135:138], off, off offset:144
	v_mov_b32_e32 v122, 0
	ds_load_2addr_b64 v[139:142], v122 offset0:69 offset1:70
	ds_load_2addr_b64 v[143:146], v122 offset0:71 offset1:72
	scratch_load_b128 v[147:150], off, off offset:160
	s_mov_b32 s0, exec_lo
	s_waitcnt vmcnt(5) lgkmcnt(1)
	v_fma_f64 v[3:4], v[3:4], v[139:140], 0
	s_waitcnt vmcnt(4)
	s_delay_alu instid0(VALU_DEP_1) | instskip(SKIP_1) | instid1(VALU_DEP_1)
	v_fma_f64 v[3:4], v[123:124], v[141:142], v[3:4]
	s_waitcnt lgkmcnt(0)
	v_fma_f64 v[3:4], v[125:126], v[143:144], v[3:4]
	scratch_load_b128 v[123:126], off, off offset:176
	s_waitcnt vmcnt(4)
	v_fma_f64 v[3:4], v[127:128], v[145:146], v[3:4]
	ds_load_2addr_b64 v[139:142], v122 offset0:73 offset1:74
	ds_load_2addr_b64 v[143:146], v122 offset0:75 offset1:76
	s_waitcnt lgkmcnt(1)
	v_fma_f64 v[3:4], v[129:130], v[139:140], v[3:4]
	scratch_load_b128 v[127:130], off, off offset:192
	s_waitcnt vmcnt(4)
	v_fma_f64 v[3:4], v[131:132], v[141:142], v[3:4]
	s_waitcnt lgkmcnt(0)
	s_delay_alu instid0(VALU_DEP_1)
	v_fma_f64 v[3:4], v[133:134], v[143:144], v[3:4]
	scratch_load_b128 v[131:134], off, off offset:208
	s_waitcnt vmcnt(4)
	v_fma_f64 v[3:4], v[135:136], v[145:146], v[3:4]
	ds_load_2addr_b64 v[139:142], v122 offset0:77 offset1:78
	ds_load_2addr_b64 v[143:146], v122 offset0:79 offset1:80
	s_waitcnt lgkmcnt(1)
	v_fma_f64 v[3:4], v[137:138], v[139:140], v[3:4]
	scratch_load_b128 v[135:138], off, off offset:224
	s_waitcnt vmcnt(4)
	v_fma_f64 v[3:4], v[147:148], v[141:142], v[3:4]
	scratch_load_b128 v[139:142], off, off offset:240
	s_waitcnt lgkmcnt(0)
	v_fma_f64 v[3:4], v[149:150], v[143:144], v[3:4]
	s_waitcnt vmcnt(4)
	s_delay_alu instid0(VALU_DEP_1)
	v_fma_f64 v[3:4], v[123:124], v[145:146], v[3:4]
	ds_load_2addr_b64 v[143:146], v122 offset0:81 offset1:82
	ds_load_2addr_b64 v[147:150], v122 offset0:83 offset1:84
	s_waitcnt lgkmcnt(1)
	v_fma_f64 v[3:4], v[125:126], v[143:144], v[3:4]
	scratch_load_b128 v[123:126], off, off offset:256
	s_waitcnt vmcnt(4)
	v_fma_f64 v[3:4], v[127:128], v[145:146], v[3:4]
	s_waitcnt lgkmcnt(0)
	s_delay_alu instid0(VALU_DEP_1)
	v_fma_f64 v[3:4], v[129:130], v[147:148], v[3:4]
	scratch_load_b128 v[127:130], off, off offset:272
	s_waitcnt vmcnt(4)
	v_fma_f64 v[3:4], v[131:132], v[149:150], v[3:4]
	ds_load_2addr_b64 v[143:146], v122 offset0:85 offset1:86
	ds_load_2addr_b64 v[147:150], v122 offset0:87 offset1:88
	s_waitcnt lgkmcnt(1)
	v_fma_f64 v[3:4], v[133:134], v[143:144], v[3:4]
	scratch_load_b128 v[131:134], off, off offset:288
	s_waitcnt vmcnt(4)
	v_fma_f64 v[3:4], v[135:136], v[145:146], v[3:4]
	s_waitcnt lgkmcnt(0)
	s_delay_alu instid0(VALU_DEP_1)
	v_fma_f64 v[3:4], v[137:138], v[147:148], v[3:4]
	scratch_load_b128 v[135:138], off, off offset:304
	s_waitcnt vmcnt(4)
	;; [unrolled: 13-line block ×6, first 2 shown]
	v_fma_f64 v[3:4], v[131:132], v[149:150], v[3:4]
	ds_load_2addr_b64 v[143:146], v122 offset0:105 offset1:106
	ds_load_2addr_b64 v[147:150], v122 offset0:107 offset1:108
	s_waitcnt lgkmcnt(1)
	v_fma_f64 v[3:4], v[133:134], v[143:144], v[3:4]
	scratch_load_b128 v[131:134], off, off offset:448
	s_waitcnt vmcnt(4)
	v_fma_f64 v[3:4], v[135:136], v[145:146], v[3:4]
	s_waitcnt lgkmcnt(0)
	s_delay_alu instid0(VALU_DEP_1)
	v_fma_f64 v[3:4], v[137:138], v[147:148], v[3:4]
	ds_load_2addr_b64 v[135:138], v122 offset0:109 offset1:110
	ds_load_2addr_b64 v[143:146], v122 offset0:111 offset1:112
	s_waitcnt vmcnt(3)
	v_fma_f64 v[3:4], v[139:140], v[149:150], v[3:4]
	s_waitcnt lgkmcnt(1)
	s_delay_alu instid0(VALU_DEP_1) | instskip(SKIP_1) | instid1(VALU_DEP_1)
	v_fma_f64 v[3:4], v[141:142], v[135:136], v[3:4]
	s_waitcnt vmcnt(2)
	v_fma_f64 v[3:4], v[123:124], v[137:138], v[3:4]
	s_waitcnt lgkmcnt(0)
	s_delay_alu instid0(VALU_DEP_1) | instskip(SKIP_1) | instid1(VALU_DEP_1)
	v_fma_f64 v[3:4], v[125:126], v[143:144], v[3:4]
	s_waitcnt vmcnt(1)
	v_fma_f64 v[3:4], v[127:128], v[145:146], v[3:4]
	ds_load_2addr_b64 v[123:126], v122 offset0:113 offset1:114
	ds_load_b64 v[127:128], v122 offset:920
	s_waitcnt lgkmcnt(1)
	v_fma_f64 v[3:4], v[129:130], v[123:124], v[3:4]
	s_waitcnt vmcnt(0)
	s_delay_alu instid0(VALU_DEP_1) | instskip(SKIP_1) | instid1(VALU_DEP_1)
	v_fma_f64 v[3:4], v[131:132], v[125:126], v[3:4]
	s_waitcnt lgkmcnt(0)
	v_fma_f64 v[3:4], v[133:134], v[127:128], v[3:4]
	s_delay_alu instid0(VALU_DEP_1)
	v_add_f64 v[1:2], v[1:2], -v[3:4]
	scratch_store_b64 off, v[1:2], off offset:80
	v_cmpx_lt_u32_e32 9, v0
	s_cbranch_execz .LBB121_339
; %bb.338:
	scratch_load_b64 v[1:2], off, off offset:72
	v_mov_b32_e32 v123, v122
	scratch_store_b64 off, v[122:123], off offset:72
	s_waitcnt vmcnt(0)
	ds_store_b64 v5, v[1:2]
.LBB121_339:
	s_or_b32 exec_lo, exec_lo, s0
	s_waitcnt lgkmcnt(0)
	s_waitcnt_vscnt null, 0x0
	s_barrier
	buffer_gl0_inv
	s_clause 0x4
	scratch_load_b128 v[1:4], off, off offset:72
	scratch_load_b128 v[123:126], off, off offset:88
	;; [unrolled: 1-line block ×5, first 2 shown]
	ds_load_b128 v[139:142], v122 offset:544
	ds_load_b128 v[143:146], v122 offset:560
	scratch_load_b128 v[147:150], off, off offset:152
	s_mov_b32 s0, exec_lo
	s_waitcnt vmcnt(5) lgkmcnt(1)
	v_fma_f64 v[3:4], v[3:4], v[139:140], 0
	s_waitcnt vmcnt(4)
	s_delay_alu instid0(VALU_DEP_1) | instskip(SKIP_1) | instid1(VALU_DEP_1)
	v_fma_f64 v[3:4], v[123:124], v[141:142], v[3:4]
	s_waitcnt lgkmcnt(0)
	v_fma_f64 v[3:4], v[125:126], v[143:144], v[3:4]
	scratch_load_b128 v[123:126], off, off offset:168
	s_waitcnt vmcnt(4)
	v_fma_f64 v[3:4], v[127:128], v[145:146], v[3:4]
	ds_load_b128 v[139:142], v122 offset:576
	ds_load_b128 v[143:146], v122 offset:592
	s_waitcnt lgkmcnt(1)
	v_fma_f64 v[3:4], v[129:130], v[139:140], v[3:4]
	scratch_load_b128 v[127:130], off, off offset:184
	s_waitcnt vmcnt(4)
	v_fma_f64 v[3:4], v[131:132], v[141:142], v[3:4]
	s_waitcnt lgkmcnt(0)
	s_delay_alu instid0(VALU_DEP_1)
	v_fma_f64 v[3:4], v[133:134], v[143:144], v[3:4]
	scratch_load_b128 v[131:134], off, off offset:200
	s_waitcnt vmcnt(4)
	v_fma_f64 v[3:4], v[135:136], v[145:146], v[3:4]
	ds_load_b128 v[139:142], v122 offset:608
	ds_load_b128 v[143:146], v122 offset:624
	s_waitcnt lgkmcnt(1)
	v_fma_f64 v[3:4], v[137:138], v[139:140], v[3:4]
	scratch_load_b128 v[135:138], off, off offset:216
	s_waitcnt vmcnt(4)
	v_fma_f64 v[3:4], v[147:148], v[141:142], v[3:4]
	scratch_load_b128 v[139:142], off, off offset:232
	s_waitcnt lgkmcnt(0)
	v_fma_f64 v[3:4], v[149:150], v[143:144], v[3:4]
	s_waitcnt vmcnt(4)
	s_delay_alu instid0(VALU_DEP_1)
	v_fma_f64 v[3:4], v[123:124], v[145:146], v[3:4]
	ds_load_b128 v[143:146], v122 offset:640
	ds_load_b128 v[147:150], v122 offset:656
	s_waitcnt lgkmcnt(1)
	v_fma_f64 v[3:4], v[125:126], v[143:144], v[3:4]
	scratch_load_b128 v[123:126], off, off offset:248
	s_waitcnt vmcnt(4)
	v_fma_f64 v[3:4], v[127:128], v[145:146], v[3:4]
	s_waitcnt lgkmcnt(0)
	s_delay_alu instid0(VALU_DEP_1)
	v_fma_f64 v[3:4], v[129:130], v[147:148], v[3:4]
	scratch_load_b128 v[127:130], off, off offset:264
	s_waitcnt vmcnt(4)
	v_fma_f64 v[3:4], v[131:132], v[149:150], v[3:4]
	ds_load_b128 v[143:146], v122 offset:672
	ds_load_b128 v[147:150], v122 offset:688
	s_waitcnt lgkmcnt(1)
	v_fma_f64 v[3:4], v[133:134], v[143:144], v[3:4]
	scratch_load_b128 v[131:134], off, off offset:280
	s_waitcnt vmcnt(4)
	v_fma_f64 v[3:4], v[135:136], v[145:146], v[3:4]
	s_waitcnt lgkmcnt(0)
	s_delay_alu instid0(VALU_DEP_1)
	v_fma_f64 v[3:4], v[137:138], v[147:148], v[3:4]
	scratch_load_b128 v[135:138], off, off offset:296
	s_waitcnt vmcnt(4)
	;; [unrolled: 13-line block ×6, first 2 shown]
	v_fma_f64 v[3:4], v[131:132], v[149:150], v[3:4]
	ds_load_b128 v[143:146], v122 offset:832
	ds_load_b128 v[147:150], v122 offset:848
	s_waitcnt lgkmcnt(1)
	v_fma_f64 v[3:4], v[133:134], v[143:144], v[3:4]
	scratch_load_b128 v[131:134], off, off offset:440
	s_waitcnt vmcnt(4)
	v_fma_f64 v[3:4], v[135:136], v[145:146], v[3:4]
	s_waitcnt lgkmcnt(0)
	s_delay_alu instid0(VALU_DEP_1)
	v_fma_f64 v[3:4], v[137:138], v[147:148], v[3:4]
	scratch_load_b64 v[147:148], off, off offset:456
	ds_load_b128 v[135:138], v122 offset:864
	ds_load_b128 v[143:146], v122 offset:880
	s_waitcnt vmcnt(4)
	v_fma_f64 v[3:4], v[139:140], v[149:150], v[3:4]
	s_waitcnt lgkmcnt(1)
	s_delay_alu instid0(VALU_DEP_1) | instskip(SKIP_1) | instid1(VALU_DEP_1)
	v_fma_f64 v[3:4], v[141:142], v[135:136], v[3:4]
	s_waitcnt vmcnt(3)
	v_fma_f64 v[3:4], v[123:124], v[137:138], v[3:4]
	s_waitcnt lgkmcnt(0)
	s_delay_alu instid0(VALU_DEP_1)
	v_fma_f64 v[3:4], v[125:126], v[143:144], v[3:4]
	ds_load_b128 v[123:126], v122 offset:896
	ds_load_b128 v[135:138], v122 offset:912
	s_waitcnt vmcnt(2)
	v_fma_f64 v[3:4], v[127:128], v[145:146], v[3:4]
	s_waitcnt lgkmcnt(1)
	s_delay_alu instid0(VALU_DEP_1) | instskip(SKIP_1) | instid1(VALU_DEP_1)
	v_fma_f64 v[3:4], v[129:130], v[123:124], v[3:4]
	s_waitcnt vmcnt(1)
	v_fma_f64 v[3:4], v[131:132], v[125:126], v[3:4]
	s_waitcnt lgkmcnt(0)
	s_delay_alu instid0(VALU_DEP_1) | instskip(SKIP_1) | instid1(VALU_DEP_1)
	v_fma_f64 v[3:4], v[133:134], v[135:136], v[3:4]
	s_waitcnt vmcnt(0)
	v_fma_f64 v[3:4], v[147:148], v[137:138], v[3:4]
	s_delay_alu instid0(VALU_DEP_1)
	v_add_f64 v[1:2], v[1:2], -v[3:4]
	scratch_store_b64 off, v[1:2], off offset:72
	v_cmpx_lt_u32_e32 8, v0
	s_cbranch_execz .LBB121_341
; %bb.340:
	scratch_load_b64 v[1:2], off, off offset:64
	v_mov_b32_e32 v3, 0
	s_delay_alu instid0(VALU_DEP_1)
	v_mov_b32_e32 v4, v3
	scratch_store_b64 off, v[3:4], off offset:64
	s_waitcnt vmcnt(0)
	ds_store_b64 v5, v[1:2]
.LBB121_341:
	s_or_b32 exec_lo, exec_lo, s0
	s_waitcnt lgkmcnt(0)
	s_waitcnt_vscnt null, 0x0
	s_barrier
	buffer_gl0_inv
	s_clause 0x4
	scratch_load_b128 v[1:4], off, off offset:64
	scratch_load_b128 v[123:126], off, off offset:80
	;; [unrolled: 1-line block ×5, first 2 shown]
	v_mov_b32_e32 v122, 0
	ds_load_2addr_b64 v[139:142], v122 offset0:67 offset1:68
	ds_load_2addr_b64 v[143:146], v122 offset0:69 offset1:70
	scratch_load_b128 v[147:150], off, off offset:144
	s_mov_b32 s0, exec_lo
	s_waitcnt vmcnt(5) lgkmcnt(1)
	v_fma_f64 v[3:4], v[3:4], v[139:140], 0
	s_waitcnt vmcnt(4)
	s_delay_alu instid0(VALU_DEP_1) | instskip(SKIP_1) | instid1(VALU_DEP_1)
	v_fma_f64 v[3:4], v[123:124], v[141:142], v[3:4]
	s_waitcnt lgkmcnt(0)
	v_fma_f64 v[3:4], v[125:126], v[143:144], v[3:4]
	scratch_load_b128 v[123:126], off, off offset:160
	s_waitcnt vmcnt(4)
	v_fma_f64 v[3:4], v[127:128], v[145:146], v[3:4]
	ds_load_2addr_b64 v[139:142], v122 offset0:71 offset1:72
	ds_load_2addr_b64 v[143:146], v122 offset0:73 offset1:74
	s_waitcnt lgkmcnt(1)
	v_fma_f64 v[3:4], v[129:130], v[139:140], v[3:4]
	scratch_load_b128 v[127:130], off, off offset:176
	s_waitcnt vmcnt(4)
	v_fma_f64 v[3:4], v[131:132], v[141:142], v[3:4]
	s_waitcnt lgkmcnt(0)
	s_delay_alu instid0(VALU_DEP_1)
	v_fma_f64 v[3:4], v[133:134], v[143:144], v[3:4]
	scratch_load_b128 v[131:134], off, off offset:192
	s_waitcnt vmcnt(4)
	v_fma_f64 v[3:4], v[135:136], v[145:146], v[3:4]
	ds_load_2addr_b64 v[139:142], v122 offset0:75 offset1:76
	ds_load_2addr_b64 v[143:146], v122 offset0:77 offset1:78
	s_waitcnt lgkmcnt(1)
	v_fma_f64 v[3:4], v[137:138], v[139:140], v[3:4]
	scratch_load_b128 v[135:138], off, off offset:208
	s_waitcnt vmcnt(4)
	v_fma_f64 v[3:4], v[147:148], v[141:142], v[3:4]
	scratch_load_b128 v[139:142], off, off offset:224
	s_waitcnt lgkmcnt(0)
	v_fma_f64 v[3:4], v[149:150], v[143:144], v[3:4]
	s_waitcnt vmcnt(4)
	s_delay_alu instid0(VALU_DEP_1)
	v_fma_f64 v[3:4], v[123:124], v[145:146], v[3:4]
	ds_load_2addr_b64 v[143:146], v122 offset0:79 offset1:80
	ds_load_2addr_b64 v[147:150], v122 offset0:81 offset1:82
	s_waitcnt lgkmcnt(1)
	v_fma_f64 v[3:4], v[125:126], v[143:144], v[3:4]
	scratch_load_b128 v[123:126], off, off offset:240
	s_waitcnt vmcnt(4)
	v_fma_f64 v[3:4], v[127:128], v[145:146], v[3:4]
	s_waitcnt lgkmcnt(0)
	s_delay_alu instid0(VALU_DEP_1)
	v_fma_f64 v[3:4], v[129:130], v[147:148], v[3:4]
	scratch_load_b128 v[127:130], off, off offset:256
	s_waitcnt vmcnt(4)
	v_fma_f64 v[3:4], v[131:132], v[149:150], v[3:4]
	ds_load_2addr_b64 v[143:146], v122 offset0:83 offset1:84
	ds_load_2addr_b64 v[147:150], v122 offset0:85 offset1:86
	s_waitcnt lgkmcnt(1)
	v_fma_f64 v[3:4], v[133:134], v[143:144], v[3:4]
	scratch_load_b128 v[131:134], off, off offset:272
	s_waitcnt vmcnt(4)
	v_fma_f64 v[3:4], v[135:136], v[145:146], v[3:4]
	s_waitcnt lgkmcnt(0)
	s_delay_alu instid0(VALU_DEP_1)
	v_fma_f64 v[3:4], v[137:138], v[147:148], v[3:4]
	scratch_load_b128 v[135:138], off, off offset:288
	s_waitcnt vmcnt(4)
	;; [unrolled: 13-line block ×7, first 2 shown]
	v_fma_f64 v[3:4], v[139:140], v[149:150], v[3:4]
	ds_load_2addr_b64 v[143:146], v122 offset0:107 offset1:108
	ds_load_2addr_b64 v[147:150], v122 offset0:109 offset1:110
	s_waitcnt lgkmcnt(1)
	v_fma_f64 v[3:4], v[141:142], v[143:144], v[3:4]
	s_waitcnt vmcnt(3)
	s_delay_alu instid0(VALU_DEP_1) | instskip(SKIP_1) | instid1(VALU_DEP_1)
	v_fma_f64 v[3:4], v[123:124], v[145:146], v[3:4]
	s_waitcnt lgkmcnt(0)
	v_fma_f64 v[3:4], v[125:126], v[147:148], v[3:4]
	ds_load_2addr_b64 v[123:126], v122 offset0:111 offset1:112
	ds_load_2addr_b64 v[139:142], v122 offset0:113 offset1:114
	s_waitcnt vmcnt(2)
	v_fma_f64 v[3:4], v[127:128], v[149:150], v[3:4]
	s_waitcnt lgkmcnt(1)
	s_delay_alu instid0(VALU_DEP_1) | instskip(SKIP_4) | instid1(VALU_DEP_1)
	v_fma_f64 v[3:4], v[129:130], v[123:124], v[3:4]
	ds_load_b64 v[123:124], v122 offset:920
	s_waitcnt vmcnt(1)
	v_fma_f64 v[3:4], v[131:132], v[125:126], v[3:4]
	s_waitcnt lgkmcnt(1)
	v_fma_f64 v[3:4], v[133:134], v[139:140], v[3:4]
	s_waitcnt vmcnt(0)
	s_delay_alu instid0(VALU_DEP_1) | instskip(SKIP_1) | instid1(VALU_DEP_1)
	v_fma_f64 v[3:4], v[135:136], v[141:142], v[3:4]
	s_waitcnt lgkmcnt(0)
	v_fma_f64 v[3:4], v[137:138], v[123:124], v[3:4]
	s_delay_alu instid0(VALU_DEP_1)
	v_add_f64 v[1:2], v[1:2], -v[3:4]
	scratch_store_b64 off, v[1:2], off offset:64
	v_cmpx_lt_u32_e32 7, v0
	s_cbranch_execz .LBB121_343
; %bb.342:
	scratch_load_b64 v[1:2], off, off offset:56
	v_mov_b32_e32 v123, v122
	scratch_store_b64 off, v[122:123], off offset:56
	s_waitcnt vmcnt(0)
	ds_store_b64 v5, v[1:2]
.LBB121_343:
	s_or_b32 exec_lo, exec_lo, s0
	s_waitcnt lgkmcnt(0)
	s_waitcnt_vscnt null, 0x0
	s_barrier
	buffer_gl0_inv
	s_clause 0x4
	scratch_load_b128 v[1:4], off, off offset:56
	scratch_load_b128 v[123:126], off, off offset:72
	;; [unrolled: 1-line block ×5, first 2 shown]
	ds_load_b128 v[139:142], v122 offset:528
	ds_load_b128 v[143:146], v122 offset:544
	scratch_load_b128 v[147:150], off, off offset:136
	s_mov_b32 s0, exec_lo
	s_waitcnt vmcnt(5) lgkmcnt(1)
	v_fma_f64 v[3:4], v[3:4], v[139:140], 0
	s_waitcnt vmcnt(4)
	s_delay_alu instid0(VALU_DEP_1) | instskip(SKIP_1) | instid1(VALU_DEP_1)
	v_fma_f64 v[3:4], v[123:124], v[141:142], v[3:4]
	s_waitcnt lgkmcnt(0)
	v_fma_f64 v[3:4], v[125:126], v[143:144], v[3:4]
	scratch_load_b128 v[123:126], off, off offset:152
	s_waitcnt vmcnt(4)
	v_fma_f64 v[3:4], v[127:128], v[145:146], v[3:4]
	ds_load_b128 v[139:142], v122 offset:560
	ds_load_b128 v[143:146], v122 offset:576
	s_waitcnt lgkmcnt(1)
	v_fma_f64 v[3:4], v[129:130], v[139:140], v[3:4]
	scratch_load_b128 v[127:130], off, off offset:168
	s_waitcnt vmcnt(4)
	v_fma_f64 v[3:4], v[131:132], v[141:142], v[3:4]
	s_waitcnt lgkmcnt(0)
	s_delay_alu instid0(VALU_DEP_1)
	v_fma_f64 v[3:4], v[133:134], v[143:144], v[3:4]
	scratch_load_b128 v[131:134], off, off offset:184
	s_waitcnt vmcnt(4)
	v_fma_f64 v[3:4], v[135:136], v[145:146], v[3:4]
	ds_load_b128 v[139:142], v122 offset:592
	ds_load_b128 v[143:146], v122 offset:608
	s_waitcnt lgkmcnt(1)
	v_fma_f64 v[3:4], v[137:138], v[139:140], v[3:4]
	scratch_load_b128 v[135:138], off, off offset:200
	s_waitcnt vmcnt(4)
	v_fma_f64 v[3:4], v[147:148], v[141:142], v[3:4]
	scratch_load_b128 v[139:142], off, off offset:216
	s_waitcnt lgkmcnt(0)
	v_fma_f64 v[3:4], v[149:150], v[143:144], v[3:4]
	s_waitcnt vmcnt(4)
	s_delay_alu instid0(VALU_DEP_1)
	v_fma_f64 v[3:4], v[123:124], v[145:146], v[3:4]
	ds_load_b128 v[143:146], v122 offset:624
	ds_load_b128 v[147:150], v122 offset:640
	s_waitcnt lgkmcnt(1)
	v_fma_f64 v[3:4], v[125:126], v[143:144], v[3:4]
	scratch_load_b128 v[123:126], off, off offset:232
	s_waitcnt vmcnt(4)
	v_fma_f64 v[3:4], v[127:128], v[145:146], v[3:4]
	s_waitcnt lgkmcnt(0)
	s_delay_alu instid0(VALU_DEP_1)
	v_fma_f64 v[3:4], v[129:130], v[147:148], v[3:4]
	scratch_load_b128 v[127:130], off, off offset:248
	s_waitcnt vmcnt(4)
	v_fma_f64 v[3:4], v[131:132], v[149:150], v[3:4]
	ds_load_b128 v[143:146], v122 offset:656
	ds_load_b128 v[147:150], v122 offset:672
	s_waitcnt lgkmcnt(1)
	v_fma_f64 v[3:4], v[133:134], v[143:144], v[3:4]
	scratch_load_b128 v[131:134], off, off offset:264
	s_waitcnt vmcnt(4)
	v_fma_f64 v[3:4], v[135:136], v[145:146], v[3:4]
	s_waitcnt lgkmcnt(0)
	s_delay_alu instid0(VALU_DEP_1)
	v_fma_f64 v[3:4], v[137:138], v[147:148], v[3:4]
	scratch_load_b128 v[135:138], off, off offset:280
	s_waitcnt vmcnt(4)
	;; [unrolled: 13-line block ×7, first 2 shown]
	v_fma_f64 v[3:4], v[139:140], v[149:150], v[3:4]
	ds_load_b128 v[143:146], v122 offset:848
	ds_load_b128 v[147:150], v122 offset:864
	s_waitcnt lgkmcnt(1)
	v_fma_f64 v[3:4], v[141:142], v[143:144], v[3:4]
	scratch_load_b64 v[143:144], off, off offset:456
	s_waitcnt vmcnt(4)
	v_fma_f64 v[3:4], v[123:124], v[145:146], v[3:4]
	s_waitcnt lgkmcnt(0)
	s_delay_alu instid0(VALU_DEP_1)
	v_fma_f64 v[3:4], v[125:126], v[147:148], v[3:4]
	ds_load_b128 v[123:126], v122 offset:880
	ds_load_b128 v[139:142], v122 offset:896
	s_waitcnt vmcnt(3)
	v_fma_f64 v[3:4], v[127:128], v[149:150], v[3:4]
	s_waitcnt lgkmcnt(1)
	s_delay_alu instid0(VALU_DEP_1) | instskip(SKIP_1) | instid1(VALU_DEP_1)
	v_fma_f64 v[3:4], v[129:130], v[123:124], v[3:4]
	s_waitcnt vmcnt(2)
	v_fma_f64 v[3:4], v[131:132], v[125:126], v[3:4]
	ds_load_b128 v[122:125], v122 offset:912
	s_waitcnt lgkmcnt(1)
	v_fma_f64 v[3:4], v[133:134], v[139:140], v[3:4]
	s_waitcnt vmcnt(1)
	s_delay_alu instid0(VALU_DEP_1) | instskip(SKIP_1) | instid1(VALU_DEP_1)
	v_fma_f64 v[3:4], v[135:136], v[141:142], v[3:4]
	s_waitcnt lgkmcnt(0)
	v_fma_f64 v[3:4], v[137:138], v[122:123], v[3:4]
	s_waitcnt vmcnt(0)
	s_delay_alu instid0(VALU_DEP_1) | instskip(NEXT) | instid1(VALU_DEP_1)
	v_fma_f64 v[3:4], v[143:144], v[124:125], v[3:4]
	v_add_f64 v[1:2], v[1:2], -v[3:4]
	scratch_store_b64 off, v[1:2], off offset:56
	v_cmpx_lt_u32_e32 6, v0
	s_cbranch_execz .LBB121_345
; %bb.344:
	scratch_load_b64 v[1:2], off, off offset:48
	v_mov_b32_e32 v3, 0
	s_delay_alu instid0(VALU_DEP_1)
	v_mov_b32_e32 v4, v3
	scratch_store_b64 off, v[3:4], off offset:48
	s_waitcnt vmcnt(0)
	ds_store_b64 v5, v[1:2]
.LBB121_345:
	s_or_b32 exec_lo, exec_lo, s0
	s_waitcnt lgkmcnt(0)
	s_waitcnt_vscnt null, 0x0
	s_barrier
	buffer_gl0_inv
	s_clause 0x4
	scratch_load_b128 v[1:4], off, off offset:48
	scratch_load_b128 v[123:126], off, off offset:64
	;; [unrolled: 1-line block ×5, first 2 shown]
	v_mov_b32_e32 v122, 0
	ds_load_2addr_b64 v[139:142], v122 offset0:65 offset1:66
	ds_load_2addr_b64 v[143:146], v122 offset0:67 offset1:68
	scratch_load_b128 v[147:150], off, off offset:128
	s_mov_b32 s0, exec_lo
	s_waitcnt vmcnt(5) lgkmcnt(1)
	v_fma_f64 v[3:4], v[3:4], v[139:140], 0
	s_waitcnt vmcnt(4)
	s_delay_alu instid0(VALU_DEP_1) | instskip(SKIP_1) | instid1(VALU_DEP_1)
	v_fma_f64 v[3:4], v[123:124], v[141:142], v[3:4]
	s_waitcnt lgkmcnt(0)
	v_fma_f64 v[3:4], v[125:126], v[143:144], v[3:4]
	scratch_load_b128 v[123:126], off, off offset:144
	s_waitcnt vmcnt(4)
	v_fma_f64 v[3:4], v[127:128], v[145:146], v[3:4]
	ds_load_2addr_b64 v[139:142], v122 offset0:69 offset1:70
	ds_load_2addr_b64 v[143:146], v122 offset0:71 offset1:72
	s_waitcnt lgkmcnt(1)
	v_fma_f64 v[3:4], v[129:130], v[139:140], v[3:4]
	scratch_load_b128 v[127:130], off, off offset:160
	s_waitcnt vmcnt(4)
	v_fma_f64 v[3:4], v[131:132], v[141:142], v[3:4]
	s_waitcnt lgkmcnt(0)
	s_delay_alu instid0(VALU_DEP_1)
	v_fma_f64 v[3:4], v[133:134], v[143:144], v[3:4]
	scratch_load_b128 v[131:134], off, off offset:176
	s_waitcnt vmcnt(4)
	v_fma_f64 v[3:4], v[135:136], v[145:146], v[3:4]
	ds_load_2addr_b64 v[139:142], v122 offset0:73 offset1:74
	ds_load_2addr_b64 v[143:146], v122 offset0:75 offset1:76
	s_waitcnt lgkmcnt(1)
	v_fma_f64 v[3:4], v[137:138], v[139:140], v[3:4]
	scratch_load_b128 v[135:138], off, off offset:192
	s_waitcnt vmcnt(4)
	v_fma_f64 v[3:4], v[147:148], v[141:142], v[3:4]
	scratch_load_b128 v[139:142], off, off offset:208
	s_waitcnt lgkmcnt(0)
	v_fma_f64 v[3:4], v[149:150], v[143:144], v[3:4]
	s_waitcnt vmcnt(4)
	s_delay_alu instid0(VALU_DEP_1)
	v_fma_f64 v[3:4], v[123:124], v[145:146], v[3:4]
	ds_load_2addr_b64 v[143:146], v122 offset0:77 offset1:78
	ds_load_2addr_b64 v[147:150], v122 offset0:79 offset1:80
	s_waitcnt lgkmcnt(1)
	v_fma_f64 v[3:4], v[125:126], v[143:144], v[3:4]
	scratch_load_b128 v[123:126], off, off offset:224
	s_waitcnt vmcnt(4)
	v_fma_f64 v[3:4], v[127:128], v[145:146], v[3:4]
	s_waitcnt lgkmcnt(0)
	s_delay_alu instid0(VALU_DEP_1)
	v_fma_f64 v[3:4], v[129:130], v[147:148], v[3:4]
	scratch_load_b128 v[127:130], off, off offset:240
	s_waitcnt vmcnt(4)
	v_fma_f64 v[3:4], v[131:132], v[149:150], v[3:4]
	ds_load_2addr_b64 v[143:146], v122 offset0:81 offset1:82
	ds_load_2addr_b64 v[147:150], v122 offset0:83 offset1:84
	s_waitcnt lgkmcnt(1)
	v_fma_f64 v[3:4], v[133:134], v[143:144], v[3:4]
	scratch_load_b128 v[131:134], off, off offset:256
	s_waitcnt vmcnt(4)
	v_fma_f64 v[3:4], v[135:136], v[145:146], v[3:4]
	s_waitcnt lgkmcnt(0)
	s_delay_alu instid0(VALU_DEP_1)
	v_fma_f64 v[3:4], v[137:138], v[147:148], v[3:4]
	scratch_load_b128 v[135:138], off, off offset:272
	s_waitcnt vmcnt(4)
	v_fma_f64 v[3:4], v[139:140], v[149:150], v[3:4]
	ds_load_2addr_b64 v[143:146], v122 offset0:85 offset1:86
	ds_load_2addr_b64 v[147:150], v122 offset0:87 offset1:88
	s_waitcnt lgkmcnt(1)
	v_fma_f64 v[3:4], v[141:142], v[143:144], v[3:4]
	scratch_load_b128 v[139:142], off, off offset:288
	s_waitcnt vmcnt(4)
	v_fma_f64 v[3:4], v[123:124], v[145:146], v[3:4]
	s_waitcnt lgkmcnt(0)
	s_delay_alu instid0(VALU_DEP_1)
	v_fma_f64 v[3:4], v[125:126], v[147:148], v[3:4]
	scratch_load_b128 v[123:126], off, off offset:304
	s_waitcnt vmcnt(4)
	v_fma_f64 v[3:4], v[127:128], v[149:150], v[3:4]
	ds_load_2addr_b64 v[143:146], v122 offset0:89 offset1:90
	ds_load_2addr_b64 v[147:150], v122 offset0:91 offset1:92
	s_waitcnt lgkmcnt(1)
	v_fma_f64 v[3:4], v[129:130], v[143:144], v[3:4]
	scratch_load_b128 v[127:130], off, off offset:320
	s_waitcnt vmcnt(4)
	v_fma_f64 v[3:4], v[131:132], v[145:146], v[3:4]
	s_waitcnt lgkmcnt(0)
	s_delay_alu instid0(VALU_DEP_1)
	v_fma_f64 v[3:4], v[133:134], v[147:148], v[3:4]
	scratch_load_b128 v[131:134], off, off offset:336
	s_waitcnt vmcnt(4)
	v_fma_f64 v[3:4], v[135:136], v[149:150], v[3:4]
	ds_load_2addr_b64 v[143:146], v122 offset0:93 offset1:94
	ds_load_2addr_b64 v[147:150], v122 offset0:95 offset1:96
	s_waitcnt lgkmcnt(1)
	v_fma_f64 v[3:4], v[137:138], v[143:144], v[3:4]
	scratch_load_b128 v[135:138], off, off offset:352
	s_waitcnt vmcnt(4)
	v_fma_f64 v[3:4], v[139:140], v[145:146], v[3:4]
	s_waitcnt lgkmcnt(0)
	s_delay_alu instid0(VALU_DEP_1)
	v_fma_f64 v[3:4], v[141:142], v[147:148], v[3:4]
	scratch_load_b128 v[139:142], off, off offset:368
	s_waitcnt vmcnt(4)
	v_fma_f64 v[3:4], v[123:124], v[149:150], v[3:4]
	ds_load_2addr_b64 v[143:146], v122 offset0:97 offset1:98
	ds_load_2addr_b64 v[147:150], v122 offset0:99 offset1:100
	s_waitcnt lgkmcnt(1)
	v_fma_f64 v[3:4], v[125:126], v[143:144], v[3:4]
	scratch_load_b128 v[123:126], off, off offset:384
	s_waitcnt vmcnt(4)
	v_fma_f64 v[3:4], v[127:128], v[145:146], v[3:4]
	s_waitcnt lgkmcnt(0)
	s_delay_alu instid0(VALU_DEP_1)
	v_fma_f64 v[3:4], v[129:130], v[147:148], v[3:4]
	scratch_load_b128 v[127:130], off, off offset:400
	s_waitcnt vmcnt(4)
	v_fma_f64 v[3:4], v[131:132], v[149:150], v[3:4]
	ds_load_2addr_b64 v[143:146], v122 offset0:101 offset1:102
	ds_load_2addr_b64 v[147:150], v122 offset0:103 offset1:104
	s_waitcnt lgkmcnt(1)
	v_fma_f64 v[3:4], v[133:134], v[143:144], v[3:4]
	scratch_load_b128 v[131:134], off, off offset:416
	s_waitcnt vmcnt(4)
	v_fma_f64 v[3:4], v[135:136], v[145:146], v[3:4]
	s_waitcnt lgkmcnt(0)
	s_delay_alu instid0(VALU_DEP_1)
	v_fma_f64 v[3:4], v[137:138], v[147:148], v[3:4]
	scratch_load_b128 v[135:138], off, off offset:432
	s_waitcnt vmcnt(4)
	v_fma_f64 v[3:4], v[139:140], v[149:150], v[3:4]
	ds_load_2addr_b64 v[143:146], v122 offset0:105 offset1:106
	ds_load_2addr_b64 v[147:150], v122 offset0:107 offset1:108
	s_waitcnt lgkmcnt(1)
	v_fma_f64 v[3:4], v[141:142], v[143:144], v[3:4]
	scratch_load_b128 v[139:142], off, off offset:448
	s_waitcnt vmcnt(4)
	v_fma_f64 v[3:4], v[123:124], v[145:146], v[3:4]
	s_waitcnt lgkmcnt(0)
	s_delay_alu instid0(VALU_DEP_1)
	v_fma_f64 v[3:4], v[125:126], v[147:148], v[3:4]
	ds_load_2addr_b64 v[123:126], v122 offset0:109 offset1:110
	ds_load_2addr_b64 v[143:146], v122 offset0:111 offset1:112
	s_waitcnt vmcnt(3)
	v_fma_f64 v[3:4], v[127:128], v[149:150], v[3:4]
	s_waitcnt lgkmcnt(1)
	s_delay_alu instid0(VALU_DEP_1) | instskip(SKIP_1) | instid1(VALU_DEP_1)
	v_fma_f64 v[3:4], v[129:130], v[123:124], v[3:4]
	s_waitcnt vmcnt(2)
	v_fma_f64 v[3:4], v[131:132], v[125:126], v[3:4]
	ds_load_2addr_b64 v[123:126], v122 offset0:113 offset1:114
	ds_load_b64 v[127:128], v122 offset:920
	s_waitcnt lgkmcnt(2)
	v_fma_f64 v[3:4], v[133:134], v[143:144], v[3:4]
	s_waitcnt vmcnt(1)
	s_delay_alu instid0(VALU_DEP_1) | instskip(SKIP_1) | instid1(VALU_DEP_1)
	v_fma_f64 v[3:4], v[135:136], v[145:146], v[3:4]
	s_waitcnt lgkmcnt(1)
	v_fma_f64 v[3:4], v[137:138], v[123:124], v[3:4]
	s_waitcnt vmcnt(0)
	s_delay_alu instid0(VALU_DEP_1) | instskip(SKIP_1) | instid1(VALU_DEP_1)
	v_fma_f64 v[3:4], v[139:140], v[125:126], v[3:4]
	s_waitcnt lgkmcnt(0)
	v_fma_f64 v[3:4], v[141:142], v[127:128], v[3:4]
	s_delay_alu instid0(VALU_DEP_1)
	v_add_f64 v[1:2], v[1:2], -v[3:4]
	scratch_store_b64 off, v[1:2], off offset:48
	v_cmpx_lt_u32_e32 5, v0
	s_cbranch_execz .LBB121_347
; %bb.346:
	scratch_load_b64 v[1:2], off, off offset:40
	v_mov_b32_e32 v123, v122
	scratch_store_b64 off, v[122:123], off offset:40
	s_waitcnt vmcnt(0)
	ds_store_b64 v5, v[1:2]
.LBB121_347:
	s_or_b32 exec_lo, exec_lo, s0
	s_waitcnt lgkmcnt(0)
	s_waitcnt_vscnt null, 0x0
	s_barrier
	buffer_gl0_inv
	s_clause 0x4
	scratch_load_b128 v[1:4], off, off offset:40
	scratch_load_b128 v[123:126], off, off offset:56
	;; [unrolled: 1-line block ×5, first 2 shown]
	ds_load_b128 v[139:142], v122 offset:512
	ds_load_b128 v[143:146], v122 offset:528
	scratch_load_b128 v[147:150], off, off offset:120
	s_mov_b32 s0, exec_lo
	s_waitcnt vmcnt(5) lgkmcnt(1)
	v_fma_f64 v[3:4], v[3:4], v[139:140], 0
	s_waitcnt vmcnt(4)
	s_delay_alu instid0(VALU_DEP_1) | instskip(SKIP_1) | instid1(VALU_DEP_1)
	v_fma_f64 v[3:4], v[123:124], v[141:142], v[3:4]
	s_waitcnt lgkmcnt(0)
	v_fma_f64 v[3:4], v[125:126], v[143:144], v[3:4]
	scratch_load_b128 v[123:126], off, off offset:136
	s_waitcnt vmcnt(4)
	v_fma_f64 v[3:4], v[127:128], v[145:146], v[3:4]
	ds_load_b128 v[139:142], v122 offset:544
	ds_load_b128 v[143:146], v122 offset:560
	s_waitcnt lgkmcnt(1)
	v_fma_f64 v[3:4], v[129:130], v[139:140], v[3:4]
	scratch_load_b128 v[127:130], off, off offset:152
	s_waitcnt vmcnt(4)
	v_fma_f64 v[3:4], v[131:132], v[141:142], v[3:4]
	s_waitcnt lgkmcnt(0)
	s_delay_alu instid0(VALU_DEP_1)
	v_fma_f64 v[3:4], v[133:134], v[143:144], v[3:4]
	scratch_load_b128 v[131:134], off, off offset:168
	s_waitcnt vmcnt(4)
	v_fma_f64 v[3:4], v[135:136], v[145:146], v[3:4]
	ds_load_b128 v[139:142], v122 offset:576
	ds_load_b128 v[143:146], v122 offset:592
	s_waitcnt lgkmcnt(1)
	v_fma_f64 v[3:4], v[137:138], v[139:140], v[3:4]
	scratch_load_b128 v[135:138], off, off offset:184
	s_waitcnt vmcnt(4)
	v_fma_f64 v[3:4], v[147:148], v[141:142], v[3:4]
	scratch_load_b128 v[139:142], off, off offset:200
	s_waitcnt lgkmcnt(0)
	v_fma_f64 v[3:4], v[149:150], v[143:144], v[3:4]
	s_waitcnt vmcnt(4)
	s_delay_alu instid0(VALU_DEP_1)
	v_fma_f64 v[3:4], v[123:124], v[145:146], v[3:4]
	ds_load_b128 v[143:146], v122 offset:608
	ds_load_b128 v[147:150], v122 offset:624
	s_waitcnt lgkmcnt(1)
	v_fma_f64 v[3:4], v[125:126], v[143:144], v[3:4]
	scratch_load_b128 v[123:126], off, off offset:216
	s_waitcnt vmcnt(4)
	v_fma_f64 v[3:4], v[127:128], v[145:146], v[3:4]
	s_waitcnt lgkmcnt(0)
	s_delay_alu instid0(VALU_DEP_1)
	v_fma_f64 v[3:4], v[129:130], v[147:148], v[3:4]
	scratch_load_b128 v[127:130], off, off offset:232
	s_waitcnt vmcnt(4)
	v_fma_f64 v[3:4], v[131:132], v[149:150], v[3:4]
	ds_load_b128 v[143:146], v122 offset:640
	ds_load_b128 v[147:150], v122 offset:656
	s_waitcnt lgkmcnt(1)
	v_fma_f64 v[3:4], v[133:134], v[143:144], v[3:4]
	scratch_load_b128 v[131:134], off, off offset:248
	s_waitcnt vmcnt(4)
	v_fma_f64 v[3:4], v[135:136], v[145:146], v[3:4]
	s_waitcnt lgkmcnt(0)
	s_delay_alu instid0(VALU_DEP_1)
	v_fma_f64 v[3:4], v[137:138], v[147:148], v[3:4]
	scratch_load_b128 v[135:138], off, off offset:264
	s_waitcnt vmcnt(4)
	;; [unrolled: 13-line block ×7, first 2 shown]
	v_fma_f64 v[3:4], v[139:140], v[149:150], v[3:4]
	ds_load_b128 v[143:146], v122 offset:832
	ds_load_b128 v[147:150], v122 offset:848
	s_waitcnt lgkmcnt(1)
	v_fma_f64 v[3:4], v[141:142], v[143:144], v[3:4]
	scratch_load_b128 v[139:142], off, off offset:440
	s_waitcnt vmcnt(4)
	v_fma_f64 v[3:4], v[123:124], v[145:146], v[3:4]
	s_waitcnt lgkmcnt(0)
	s_delay_alu instid0(VALU_DEP_1)
	v_fma_f64 v[3:4], v[125:126], v[147:148], v[3:4]
	scratch_load_b64 v[147:148], off, off offset:456
	ds_load_b128 v[123:126], v122 offset:864
	ds_load_b128 v[143:146], v122 offset:880
	s_waitcnt vmcnt(4)
	v_fma_f64 v[3:4], v[127:128], v[149:150], v[3:4]
	s_waitcnt lgkmcnt(1)
	s_delay_alu instid0(VALU_DEP_1) | instskip(SKIP_1) | instid1(VALU_DEP_1)
	v_fma_f64 v[3:4], v[129:130], v[123:124], v[3:4]
	s_waitcnt vmcnt(3)
	v_fma_f64 v[3:4], v[131:132], v[125:126], v[3:4]
	ds_load_b128 v[123:126], v122 offset:896
	ds_load_b128 v[127:130], v122 offset:912
	s_waitcnt lgkmcnt(2)
	v_fma_f64 v[3:4], v[133:134], v[143:144], v[3:4]
	s_waitcnt vmcnt(2)
	s_delay_alu instid0(VALU_DEP_1) | instskip(SKIP_1) | instid1(VALU_DEP_1)
	v_fma_f64 v[3:4], v[135:136], v[145:146], v[3:4]
	s_waitcnt lgkmcnt(1)
	v_fma_f64 v[3:4], v[137:138], v[123:124], v[3:4]
	s_waitcnt vmcnt(1)
	s_delay_alu instid0(VALU_DEP_1) | instskip(SKIP_1) | instid1(VALU_DEP_1)
	v_fma_f64 v[3:4], v[139:140], v[125:126], v[3:4]
	s_waitcnt lgkmcnt(0)
	v_fma_f64 v[3:4], v[141:142], v[127:128], v[3:4]
	s_waitcnt vmcnt(0)
	s_delay_alu instid0(VALU_DEP_1) | instskip(NEXT) | instid1(VALU_DEP_1)
	v_fma_f64 v[3:4], v[147:148], v[129:130], v[3:4]
	v_add_f64 v[1:2], v[1:2], -v[3:4]
	scratch_store_b64 off, v[1:2], off offset:40
	v_cmpx_lt_u32_e32 4, v0
	s_cbranch_execz .LBB121_349
; %bb.348:
	scratch_load_b64 v[1:2], off, off offset:32
	v_mov_b32_e32 v3, 0
	s_delay_alu instid0(VALU_DEP_1)
	v_mov_b32_e32 v4, v3
	scratch_store_b64 off, v[3:4], off offset:32
	s_waitcnt vmcnt(0)
	ds_store_b64 v5, v[1:2]
.LBB121_349:
	s_or_b32 exec_lo, exec_lo, s0
	s_waitcnt lgkmcnt(0)
	s_waitcnt_vscnt null, 0x0
	s_barrier
	buffer_gl0_inv
	s_clause 0x4
	scratch_load_b128 v[1:4], off, off offset:32
	scratch_load_b128 v[123:126], off, off offset:48
	;; [unrolled: 1-line block ×5, first 2 shown]
	v_mov_b32_e32 v122, 0
	ds_load_2addr_b64 v[139:142], v122 offset0:63 offset1:64
	ds_load_2addr_b64 v[143:146], v122 offset0:65 offset1:66
	scratch_load_b128 v[147:150], off, off offset:112
	s_mov_b32 s0, exec_lo
	s_waitcnt vmcnt(5) lgkmcnt(1)
	v_fma_f64 v[3:4], v[3:4], v[139:140], 0
	s_waitcnt vmcnt(4)
	s_delay_alu instid0(VALU_DEP_1) | instskip(SKIP_1) | instid1(VALU_DEP_1)
	v_fma_f64 v[3:4], v[123:124], v[141:142], v[3:4]
	s_waitcnt lgkmcnt(0)
	v_fma_f64 v[3:4], v[125:126], v[143:144], v[3:4]
	scratch_load_b128 v[123:126], off, off offset:128
	s_waitcnt vmcnt(4)
	v_fma_f64 v[3:4], v[127:128], v[145:146], v[3:4]
	ds_load_2addr_b64 v[139:142], v122 offset0:67 offset1:68
	ds_load_2addr_b64 v[143:146], v122 offset0:69 offset1:70
	s_waitcnt lgkmcnt(1)
	v_fma_f64 v[3:4], v[129:130], v[139:140], v[3:4]
	scratch_load_b128 v[127:130], off, off offset:144
	s_waitcnt vmcnt(4)
	v_fma_f64 v[3:4], v[131:132], v[141:142], v[3:4]
	s_waitcnt lgkmcnt(0)
	s_delay_alu instid0(VALU_DEP_1)
	v_fma_f64 v[3:4], v[133:134], v[143:144], v[3:4]
	scratch_load_b128 v[131:134], off, off offset:160
	s_waitcnt vmcnt(4)
	v_fma_f64 v[3:4], v[135:136], v[145:146], v[3:4]
	ds_load_2addr_b64 v[139:142], v122 offset0:71 offset1:72
	ds_load_2addr_b64 v[143:146], v122 offset0:73 offset1:74
	s_waitcnt lgkmcnt(1)
	v_fma_f64 v[3:4], v[137:138], v[139:140], v[3:4]
	scratch_load_b128 v[135:138], off, off offset:176
	s_waitcnt vmcnt(4)
	v_fma_f64 v[3:4], v[147:148], v[141:142], v[3:4]
	scratch_load_b128 v[139:142], off, off offset:192
	s_waitcnt lgkmcnt(0)
	v_fma_f64 v[3:4], v[149:150], v[143:144], v[3:4]
	s_waitcnt vmcnt(4)
	s_delay_alu instid0(VALU_DEP_1)
	v_fma_f64 v[3:4], v[123:124], v[145:146], v[3:4]
	ds_load_2addr_b64 v[143:146], v122 offset0:75 offset1:76
	ds_load_2addr_b64 v[147:150], v122 offset0:77 offset1:78
	s_waitcnt lgkmcnt(1)
	v_fma_f64 v[3:4], v[125:126], v[143:144], v[3:4]
	scratch_load_b128 v[123:126], off, off offset:208
	s_waitcnt vmcnt(4)
	v_fma_f64 v[3:4], v[127:128], v[145:146], v[3:4]
	s_waitcnt lgkmcnt(0)
	s_delay_alu instid0(VALU_DEP_1)
	v_fma_f64 v[3:4], v[129:130], v[147:148], v[3:4]
	scratch_load_b128 v[127:130], off, off offset:224
	s_waitcnt vmcnt(4)
	v_fma_f64 v[3:4], v[131:132], v[149:150], v[3:4]
	ds_load_2addr_b64 v[143:146], v122 offset0:79 offset1:80
	ds_load_2addr_b64 v[147:150], v122 offset0:81 offset1:82
	s_waitcnt lgkmcnt(1)
	v_fma_f64 v[3:4], v[133:134], v[143:144], v[3:4]
	scratch_load_b128 v[131:134], off, off offset:240
	s_waitcnt vmcnt(4)
	v_fma_f64 v[3:4], v[135:136], v[145:146], v[3:4]
	s_waitcnt lgkmcnt(0)
	s_delay_alu instid0(VALU_DEP_1)
	v_fma_f64 v[3:4], v[137:138], v[147:148], v[3:4]
	scratch_load_b128 v[135:138], off, off offset:256
	s_waitcnt vmcnt(4)
	;; [unrolled: 13-line block ×8, first 2 shown]
	v_fma_f64 v[3:4], v[127:128], v[149:150], v[3:4]
	ds_load_2addr_b64 v[143:146], v122 offset0:107 offset1:108
	ds_load_2addr_b64 v[147:150], v122 offset0:109 offset1:110
	s_waitcnt lgkmcnt(1)
	v_fma_f64 v[3:4], v[129:130], v[143:144], v[3:4]
	s_waitcnt vmcnt(3)
	s_delay_alu instid0(VALU_DEP_1) | instskip(SKIP_1) | instid1(VALU_DEP_1)
	v_fma_f64 v[3:4], v[131:132], v[145:146], v[3:4]
	s_waitcnt lgkmcnt(0)
	v_fma_f64 v[3:4], v[133:134], v[147:148], v[3:4]
	ds_load_2addr_b64 v[127:130], v122 offset0:111 offset1:112
	ds_load_2addr_b64 v[131:134], v122 offset0:113 offset1:114
	s_waitcnt vmcnt(2)
	v_fma_f64 v[3:4], v[135:136], v[149:150], v[3:4]
	s_waitcnt lgkmcnt(1)
	s_delay_alu instid0(VALU_DEP_1) | instskip(SKIP_1) | instid1(VALU_DEP_1)
	v_fma_f64 v[3:4], v[137:138], v[127:128], v[3:4]
	s_waitcnt vmcnt(1)
	v_fma_f64 v[3:4], v[139:140], v[129:130], v[3:4]
	s_waitcnt lgkmcnt(0)
	s_delay_alu instid0(VALU_DEP_1) | instskip(SKIP_1) | instid1(VALU_DEP_1)
	v_fma_f64 v[3:4], v[141:142], v[131:132], v[3:4]
	s_waitcnt vmcnt(0)
	v_fma_f64 v[3:4], v[123:124], v[133:134], v[3:4]
	ds_load_b64 v[123:124], v122 offset:920
	s_waitcnt lgkmcnt(0)
	v_fma_f64 v[3:4], v[125:126], v[123:124], v[3:4]
	s_delay_alu instid0(VALU_DEP_1)
	v_add_f64 v[1:2], v[1:2], -v[3:4]
	scratch_store_b64 off, v[1:2], off offset:32
	v_cmpx_lt_u32_e32 3, v0
	s_cbranch_execz .LBB121_351
; %bb.350:
	scratch_load_b64 v[1:2], off, off offset:24
	v_mov_b32_e32 v123, v122
	scratch_store_b64 off, v[122:123], off offset:24
	s_waitcnt vmcnt(0)
	ds_store_b64 v5, v[1:2]
.LBB121_351:
	s_or_b32 exec_lo, exec_lo, s0
	s_waitcnt lgkmcnt(0)
	s_waitcnt_vscnt null, 0x0
	s_barrier
	buffer_gl0_inv
	s_clause 0x4
	scratch_load_b128 v[1:4], off, off offset:24
	scratch_load_b128 v[123:126], off, off offset:40
	;; [unrolled: 1-line block ×5, first 2 shown]
	ds_load_b128 v[139:142], v122 offset:496
	ds_load_b128 v[143:146], v122 offset:512
	scratch_load_b128 v[147:150], off, off offset:104
	s_mov_b32 s0, exec_lo
	s_waitcnt vmcnt(5) lgkmcnt(1)
	v_fma_f64 v[3:4], v[3:4], v[139:140], 0
	s_waitcnt vmcnt(4)
	s_delay_alu instid0(VALU_DEP_1) | instskip(SKIP_1) | instid1(VALU_DEP_1)
	v_fma_f64 v[3:4], v[123:124], v[141:142], v[3:4]
	s_waitcnt lgkmcnt(0)
	v_fma_f64 v[3:4], v[125:126], v[143:144], v[3:4]
	scratch_load_b128 v[123:126], off, off offset:120
	s_waitcnt vmcnt(4)
	v_fma_f64 v[3:4], v[127:128], v[145:146], v[3:4]
	ds_load_b128 v[139:142], v122 offset:528
	ds_load_b128 v[143:146], v122 offset:544
	s_waitcnt lgkmcnt(1)
	v_fma_f64 v[3:4], v[129:130], v[139:140], v[3:4]
	scratch_load_b128 v[127:130], off, off offset:136
	s_waitcnt vmcnt(4)
	v_fma_f64 v[3:4], v[131:132], v[141:142], v[3:4]
	s_waitcnt lgkmcnt(0)
	s_delay_alu instid0(VALU_DEP_1)
	v_fma_f64 v[3:4], v[133:134], v[143:144], v[3:4]
	scratch_load_b128 v[131:134], off, off offset:152
	s_waitcnt vmcnt(4)
	v_fma_f64 v[3:4], v[135:136], v[145:146], v[3:4]
	ds_load_b128 v[139:142], v122 offset:560
	ds_load_b128 v[143:146], v122 offset:576
	s_waitcnt lgkmcnt(1)
	v_fma_f64 v[3:4], v[137:138], v[139:140], v[3:4]
	scratch_load_b128 v[135:138], off, off offset:168
	s_waitcnt vmcnt(4)
	v_fma_f64 v[3:4], v[147:148], v[141:142], v[3:4]
	scratch_load_b128 v[139:142], off, off offset:184
	s_waitcnt lgkmcnt(0)
	v_fma_f64 v[3:4], v[149:150], v[143:144], v[3:4]
	s_waitcnt vmcnt(4)
	s_delay_alu instid0(VALU_DEP_1)
	v_fma_f64 v[3:4], v[123:124], v[145:146], v[3:4]
	ds_load_b128 v[143:146], v122 offset:592
	ds_load_b128 v[147:150], v122 offset:608
	s_waitcnt lgkmcnt(1)
	v_fma_f64 v[3:4], v[125:126], v[143:144], v[3:4]
	scratch_load_b128 v[123:126], off, off offset:200
	s_waitcnt vmcnt(4)
	v_fma_f64 v[3:4], v[127:128], v[145:146], v[3:4]
	s_waitcnt lgkmcnt(0)
	s_delay_alu instid0(VALU_DEP_1)
	v_fma_f64 v[3:4], v[129:130], v[147:148], v[3:4]
	scratch_load_b128 v[127:130], off, off offset:216
	s_waitcnt vmcnt(4)
	v_fma_f64 v[3:4], v[131:132], v[149:150], v[3:4]
	ds_load_b128 v[143:146], v122 offset:624
	ds_load_b128 v[147:150], v122 offset:640
	s_waitcnt lgkmcnt(1)
	v_fma_f64 v[3:4], v[133:134], v[143:144], v[3:4]
	scratch_load_b128 v[131:134], off, off offset:232
	s_waitcnt vmcnt(4)
	v_fma_f64 v[3:4], v[135:136], v[145:146], v[3:4]
	s_waitcnt lgkmcnt(0)
	s_delay_alu instid0(VALU_DEP_1)
	v_fma_f64 v[3:4], v[137:138], v[147:148], v[3:4]
	scratch_load_b128 v[135:138], off, off offset:248
	s_waitcnt vmcnt(4)
	;; [unrolled: 13-line block ×8, first 2 shown]
	v_fma_f64 v[3:4], v[127:128], v[149:150], v[3:4]
	ds_load_b128 v[143:146], v122 offset:848
	ds_load_b128 v[147:150], v122 offset:864
	s_waitcnt lgkmcnt(1)
	v_fma_f64 v[3:4], v[129:130], v[143:144], v[3:4]
	scratch_load_b64 v[143:144], off, off offset:456
	s_waitcnt vmcnt(4)
	v_fma_f64 v[3:4], v[131:132], v[145:146], v[3:4]
	s_waitcnt lgkmcnt(0)
	s_delay_alu instid0(VALU_DEP_1)
	v_fma_f64 v[3:4], v[133:134], v[147:148], v[3:4]
	ds_load_b128 v[127:130], v122 offset:880
	ds_load_b128 v[131:134], v122 offset:896
	s_waitcnt vmcnt(3)
	v_fma_f64 v[3:4], v[135:136], v[149:150], v[3:4]
	s_waitcnt lgkmcnt(1)
	s_delay_alu instid0(VALU_DEP_1) | instskip(SKIP_1) | instid1(VALU_DEP_1)
	v_fma_f64 v[3:4], v[137:138], v[127:128], v[3:4]
	s_waitcnt vmcnt(2)
	v_fma_f64 v[3:4], v[139:140], v[129:130], v[3:4]
	ds_load_b128 v[127:130], v122 offset:912
	s_waitcnt lgkmcnt(1)
	v_fma_f64 v[3:4], v[141:142], v[131:132], v[3:4]
	s_waitcnt vmcnt(1)
	s_delay_alu instid0(VALU_DEP_1) | instskip(SKIP_1) | instid1(VALU_DEP_1)
	v_fma_f64 v[3:4], v[123:124], v[133:134], v[3:4]
	s_waitcnt lgkmcnt(0)
	v_fma_f64 v[3:4], v[125:126], v[127:128], v[3:4]
	s_waitcnt vmcnt(0)
	s_delay_alu instid0(VALU_DEP_1) | instskip(NEXT) | instid1(VALU_DEP_1)
	v_fma_f64 v[3:4], v[143:144], v[129:130], v[3:4]
	v_add_f64 v[1:2], v[1:2], -v[3:4]
	scratch_store_b64 off, v[1:2], off offset:24
	v_cmpx_lt_u32_e32 2, v0
	s_cbranch_execz .LBB121_353
; %bb.352:
	scratch_load_b64 v[1:2], off, off offset:16
	v_mov_b32_e32 v3, 0
	s_delay_alu instid0(VALU_DEP_1)
	v_mov_b32_e32 v4, v3
	scratch_store_b64 off, v[3:4], off offset:16
	s_waitcnt vmcnt(0)
	ds_store_b64 v5, v[1:2]
.LBB121_353:
	s_or_b32 exec_lo, exec_lo, s0
	s_waitcnt lgkmcnt(0)
	s_waitcnt_vscnt null, 0x0
	s_barrier
	buffer_gl0_inv
	s_clause 0x4
	scratch_load_b128 v[1:4], off, off offset:16
	scratch_load_b128 v[123:126], off, off offset:32
	;; [unrolled: 1-line block ×5, first 2 shown]
	v_mov_b32_e32 v122, 0
	ds_load_2addr_b64 v[139:142], v122 offset0:61 offset1:62
	ds_load_2addr_b64 v[143:146], v122 offset0:63 offset1:64
	scratch_load_b128 v[147:150], off, off offset:96
	s_mov_b32 s0, exec_lo
	s_waitcnt vmcnt(5) lgkmcnt(1)
	v_fma_f64 v[3:4], v[3:4], v[139:140], 0
	s_waitcnt vmcnt(4)
	s_delay_alu instid0(VALU_DEP_1) | instskip(SKIP_1) | instid1(VALU_DEP_1)
	v_fma_f64 v[3:4], v[123:124], v[141:142], v[3:4]
	s_waitcnt lgkmcnt(0)
	v_fma_f64 v[3:4], v[125:126], v[143:144], v[3:4]
	scratch_load_b128 v[123:126], off, off offset:112
	s_waitcnt vmcnt(4)
	v_fma_f64 v[3:4], v[127:128], v[145:146], v[3:4]
	ds_load_2addr_b64 v[139:142], v122 offset0:65 offset1:66
	ds_load_2addr_b64 v[143:146], v122 offset0:67 offset1:68
	s_waitcnt lgkmcnt(1)
	v_fma_f64 v[3:4], v[129:130], v[139:140], v[3:4]
	scratch_load_b128 v[127:130], off, off offset:128
	s_waitcnt vmcnt(4)
	v_fma_f64 v[3:4], v[131:132], v[141:142], v[3:4]
	s_waitcnt lgkmcnt(0)
	s_delay_alu instid0(VALU_DEP_1)
	v_fma_f64 v[3:4], v[133:134], v[143:144], v[3:4]
	scratch_load_b128 v[131:134], off, off offset:144
	s_waitcnt vmcnt(4)
	v_fma_f64 v[3:4], v[135:136], v[145:146], v[3:4]
	ds_load_2addr_b64 v[139:142], v122 offset0:69 offset1:70
	ds_load_2addr_b64 v[143:146], v122 offset0:71 offset1:72
	s_waitcnt lgkmcnt(1)
	v_fma_f64 v[3:4], v[137:138], v[139:140], v[3:4]
	scratch_load_b128 v[135:138], off, off offset:160
	s_waitcnt vmcnt(4)
	v_fma_f64 v[3:4], v[147:148], v[141:142], v[3:4]
	scratch_load_b128 v[139:142], off, off offset:176
	s_waitcnt lgkmcnt(0)
	v_fma_f64 v[3:4], v[149:150], v[143:144], v[3:4]
	s_waitcnt vmcnt(4)
	s_delay_alu instid0(VALU_DEP_1)
	v_fma_f64 v[3:4], v[123:124], v[145:146], v[3:4]
	ds_load_2addr_b64 v[143:146], v122 offset0:73 offset1:74
	ds_load_2addr_b64 v[147:150], v122 offset0:75 offset1:76
	s_waitcnt lgkmcnt(1)
	v_fma_f64 v[3:4], v[125:126], v[143:144], v[3:4]
	scratch_load_b128 v[123:126], off, off offset:192
	s_waitcnt vmcnt(4)
	v_fma_f64 v[3:4], v[127:128], v[145:146], v[3:4]
	s_waitcnt lgkmcnt(0)
	s_delay_alu instid0(VALU_DEP_1)
	v_fma_f64 v[3:4], v[129:130], v[147:148], v[3:4]
	scratch_load_b128 v[127:130], off, off offset:208
	s_waitcnt vmcnt(4)
	v_fma_f64 v[3:4], v[131:132], v[149:150], v[3:4]
	ds_load_2addr_b64 v[143:146], v122 offset0:77 offset1:78
	ds_load_2addr_b64 v[147:150], v122 offset0:79 offset1:80
	s_waitcnt lgkmcnt(1)
	v_fma_f64 v[3:4], v[133:134], v[143:144], v[3:4]
	scratch_load_b128 v[131:134], off, off offset:224
	s_waitcnt vmcnt(4)
	v_fma_f64 v[3:4], v[135:136], v[145:146], v[3:4]
	s_waitcnt lgkmcnt(0)
	s_delay_alu instid0(VALU_DEP_1)
	v_fma_f64 v[3:4], v[137:138], v[147:148], v[3:4]
	scratch_load_b128 v[135:138], off, off offset:240
	s_waitcnt vmcnt(4)
	;; [unrolled: 13-line block ×8, first 2 shown]
	v_fma_f64 v[3:4], v[127:128], v[149:150], v[3:4]
	ds_load_2addr_b64 v[143:146], v122 offset0:105 offset1:106
	ds_load_2addr_b64 v[147:150], v122 offset0:107 offset1:108
	s_waitcnt lgkmcnt(1)
	v_fma_f64 v[3:4], v[129:130], v[143:144], v[3:4]
	scratch_load_b128 v[127:130], off, off offset:448
	s_waitcnt vmcnt(4)
	v_fma_f64 v[3:4], v[131:132], v[145:146], v[3:4]
	s_waitcnt lgkmcnt(0)
	s_delay_alu instid0(VALU_DEP_1)
	v_fma_f64 v[3:4], v[133:134], v[147:148], v[3:4]
	ds_load_2addr_b64 v[131:134], v122 offset0:109 offset1:110
	ds_load_2addr_b64 v[143:146], v122 offset0:111 offset1:112
	s_waitcnt vmcnt(3)
	v_fma_f64 v[3:4], v[135:136], v[149:150], v[3:4]
	s_waitcnt lgkmcnt(1)
	s_delay_alu instid0(VALU_DEP_1) | instskip(SKIP_1) | instid1(VALU_DEP_1)
	v_fma_f64 v[3:4], v[137:138], v[131:132], v[3:4]
	s_waitcnt vmcnt(2)
	v_fma_f64 v[3:4], v[139:140], v[133:134], v[3:4]
	s_waitcnt lgkmcnt(0)
	s_delay_alu instid0(VALU_DEP_1) | instskip(SKIP_1) | instid1(VALU_DEP_1)
	v_fma_f64 v[3:4], v[141:142], v[143:144], v[3:4]
	s_waitcnt vmcnt(1)
	v_fma_f64 v[3:4], v[123:124], v[145:146], v[3:4]
	ds_load_2addr_b64 v[131:134], v122 offset0:113 offset1:114
	ds_load_b64 v[123:124], v122 offset:920
	s_waitcnt lgkmcnt(1)
	v_fma_f64 v[3:4], v[125:126], v[131:132], v[3:4]
	s_waitcnt vmcnt(0)
	s_delay_alu instid0(VALU_DEP_1) | instskip(SKIP_1) | instid1(VALU_DEP_1)
	v_fma_f64 v[3:4], v[127:128], v[133:134], v[3:4]
	s_waitcnt lgkmcnt(0)
	v_fma_f64 v[3:4], v[129:130], v[123:124], v[3:4]
	s_delay_alu instid0(VALU_DEP_1)
	v_add_f64 v[1:2], v[1:2], -v[3:4]
	scratch_store_b64 off, v[1:2], off offset:16
	v_cmpx_lt_u32_e32 1, v0
	s_cbranch_execz .LBB121_355
; %bb.354:
	scratch_load_b64 v[1:2], off, off offset:8
	v_mov_b32_e32 v123, v122
	scratch_store_b64 off, v[122:123], off offset:8
	s_waitcnt vmcnt(0)
	ds_store_b64 v5, v[1:2]
.LBB121_355:
	s_or_b32 exec_lo, exec_lo, s0
	s_waitcnt lgkmcnt(0)
	s_waitcnt_vscnt null, 0x0
	s_barrier
	buffer_gl0_inv
	s_clause 0x4
	scratch_load_b128 v[1:4], off, off offset:8
	scratch_load_b128 v[123:126], off, off offset:24
	;; [unrolled: 1-line block ×5, first 2 shown]
	ds_load_b128 v[139:142], v122 offset:480
	ds_load_b128 v[143:146], v122 offset:496
	scratch_load_b128 v[147:150], off, off offset:88
	s_mov_b32 s0, exec_lo
	s_waitcnt vmcnt(5) lgkmcnt(1)
	v_fma_f64 v[3:4], v[3:4], v[139:140], 0
	s_waitcnt vmcnt(4)
	s_delay_alu instid0(VALU_DEP_1) | instskip(SKIP_1) | instid1(VALU_DEP_1)
	v_fma_f64 v[3:4], v[123:124], v[141:142], v[3:4]
	s_waitcnt lgkmcnt(0)
	v_fma_f64 v[3:4], v[125:126], v[143:144], v[3:4]
	scratch_load_b128 v[123:126], off, off offset:104
	s_waitcnt vmcnt(4)
	v_fma_f64 v[3:4], v[127:128], v[145:146], v[3:4]
	ds_load_b128 v[139:142], v122 offset:512
	ds_load_b128 v[143:146], v122 offset:528
	s_waitcnt lgkmcnt(1)
	v_fma_f64 v[3:4], v[129:130], v[139:140], v[3:4]
	scratch_load_b128 v[127:130], off, off offset:120
	s_waitcnt vmcnt(4)
	v_fma_f64 v[3:4], v[131:132], v[141:142], v[3:4]
	s_waitcnt lgkmcnt(0)
	s_delay_alu instid0(VALU_DEP_1)
	v_fma_f64 v[3:4], v[133:134], v[143:144], v[3:4]
	scratch_load_b128 v[131:134], off, off offset:136
	s_waitcnt vmcnt(4)
	v_fma_f64 v[3:4], v[135:136], v[145:146], v[3:4]
	ds_load_b128 v[139:142], v122 offset:544
	ds_load_b128 v[143:146], v122 offset:560
	s_waitcnt lgkmcnt(1)
	v_fma_f64 v[3:4], v[137:138], v[139:140], v[3:4]
	scratch_load_b128 v[135:138], off, off offset:152
	s_waitcnt vmcnt(4)
	v_fma_f64 v[3:4], v[147:148], v[141:142], v[3:4]
	scratch_load_b128 v[139:142], off, off offset:168
	s_waitcnt lgkmcnt(0)
	v_fma_f64 v[3:4], v[149:150], v[143:144], v[3:4]
	s_waitcnt vmcnt(4)
	s_delay_alu instid0(VALU_DEP_1)
	v_fma_f64 v[3:4], v[123:124], v[145:146], v[3:4]
	ds_load_b128 v[143:146], v122 offset:576
	ds_load_b128 v[147:150], v122 offset:592
	s_waitcnt lgkmcnt(1)
	v_fma_f64 v[3:4], v[125:126], v[143:144], v[3:4]
	scratch_load_b128 v[123:126], off, off offset:184
	s_waitcnt vmcnt(4)
	v_fma_f64 v[3:4], v[127:128], v[145:146], v[3:4]
	s_waitcnt lgkmcnt(0)
	s_delay_alu instid0(VALU_DEP_1)
	v_fma_f64 v[3:4], v[129:130], v[147:148], v[3:4]
	scratch_load_b128 v[127:130], off, off offset:200
	s_waitcnt vmcnt(4)
	v_fma_f64 v[3:4], v[131:132], v[149:150], v[3:4]
	ds_load_b128 v[143:146], v122 offset:608
	ds_load_b128 v[147:150], v122 offset:624
	s_waitcnt lgkmcnt(1)
	v_fma_f64 v[3:4], v[133:134], v[143:144], v[3:4]
	scratch_load_b128 v[131:134], off, off offset:216
	s_waitcnt vmcnt(4)
	v_fma_f64 v[3:4], v[135:136], v[145:146], v[3:4]
	s_waitcnt lgkmcnt(0)
	s_delay_alu instid0(VALU_DEP_1)
	v_fma_f64 v[3:4], v[137:138], v[147:148], v[3:4]
	scratch_load_b128 v[135:138], off, off offset:232
	s_waitcnt vmcnt(4)
	;; [unrolled: 13-line block ×8, first 2 shown]
	v_fma_f64 v[3:4], v[127:128], v[149:150], v[3:4]
	ds_load_b128 v[143:146], v122 offset:832
	ds_load_b128 v[147:150], v122 offset:848
	s_waitcnt lgkmcnt(1)
	v_fma_f64 v[3:4], v[129:130], v[143:144], v[3:4]
	scratch_load_b128 v[127:130], off, off offset:440
	s_waitcnt vmcnt(4)
	v_fma_f64 v[3:4], v[131:132], v[145:146], v[3:4]
	s_waitcnt lgkmcnt(0)
	s_delay_alu instid0(VALU_DEP_1)
	v_fma_f64 v[3:4], v[133:134], v[147:148], v[3:4]
	scratch_load_b64 v[147:148], off, off offset:456
	ds_load_b128 v[131:134], v122 offset:864
	ds_load_b128 v[143:146], v122 offset:880
	s_waitcnt vmcnt(4)
	v_fma_f64 v[3:4], v[135:136], v[149:150], v[3:4]
	s_waitcnt lgkmcnt(1)
	s_delay_alu instid0(VALU_DEP_1) | instskip(SKIP_1) | instid1(VALU_DEP_1)
	v_fma_f64 v[3:4], v[137:138], v[131:132], v[3:4]
	s_waitcnt vmcnt(3)
	v_fma_f64 v[3:4], v[139:140], v[133:134], v[3:4]
	ds_load_b128 v[131:134], v122 offset:896
	ds_load_b128 v[135:138], v122 offset:912
	s_waitcnt lgkmcnt(2)
	v_fma_f64 v[3:4], v[141:142], v[143:144], v[3:4]
	s_waitcnt vmcnt(2)
	s_delay_alu instid0(VALU_DEP_1) | instskip(SKIP_1) | instid1(VALU_DEP_1)
	v_fma_f64 v[3:4], v[123:124], v[145:146], v[3:4]
	s_waitcnt lgkmcnt(1)
	v_fma_f64 v[3:4], v[125:126], v[131:132], v[3:4]
	s_waitcnt vmcnt(1)
	s_delay_alu instid0(VALU_DEP_1) | instskip(SKIP_1) | instid1(VALU_DEP_1)
	v_fma_f64 v[3:4], v[127:128], v[133:134], v[3:4]
	s_waitcnt lgkmcnt(0)
	v_fma_f64 v[3:4], v[129:130], v[135:136], v[3:4]
	s_waitcnt vmcnt(0)
	s_delay_alu instid0(VALU_DEP_1) | instskip(NEXT) | instid1(VALU_DEP_1)
	v_fma_f64 v[3:4], v[147:148], v[137:138], v[3:4]
	v_add_f64 v[1:2], v[1:2], -v[3:4]
	scratch_store_b64 off, v[1:2], off offset:8
	v_cmpx_ne_u32_e32 0, v0
	s_cbranch_execz .LBB121_357
; %bb.356:
	scratch_load_b64 v[0:1], off, off
	v_mov_b32_e32 v2, 0
	s_delay_alu instid0(VALU_DEP_1)
	v_mov_b32_e32 v3, v2
	scratch_store_b64 off, v[2:3], off
	s_waitcnt vmcnt(0)
	ds_store_b64 v5, v[0:1]
.LBB121_357:
	s_or_b32 exec_lo, exec_lo, s0
	s_waitcnt lgkmcnt(0)
	s_waitcnt_vscnt null, 0x0
	s_barrier
	buffer_gl0_inv
	s_clause 0x4
	scratch_load_b128 v[0:3], off, off
	scratch_load_b128 v[123:126], off, off offset:16
	scratch_load_b128 v[127:130], off, off offset:32
	;; [unrolled: 1-line block ×4, first 2 shown]
	v_mov_b32_e32 v122, 0
	ds_load_2addr_b64 v[139:142], v122 offset0:59 offset1:60
	ds_load_2addr_b64 v[143:146], v122 offset0:61 offset1:62
	s_and_b32 vcc_lo, exec_lo, s12
	s_waitcnt vmcnt(4) lgkmcnt(1)
	v_fma_f64 v[139:140], v[2:3], v[139:140], 0
	scratch_load_b128 v[2:5], off, off offset:80
	s_waitcnt vmcnt(4)
	v_fma_f64 v[123:124], v[123:124], v[141:142], v[139:140]
	s_waitcnt lgkmcnt(0)
	s_delay_alu instid0(VALU_DEP_1)
	v_fma_f64 v[139:140], v[125:126], v[143:144], v[123:124]
	scratch_load_b128 v[123:126], off, off offset:96
	s_waitcnt vmcnt(4)
	v_fma_f64 v[127:128], v[127:128], v[145:146], v[139:140]
	ds_load_2addr_b64 v[139:142], v122 offset0:63 offset1:64
	ds_load_2addr_b64 v[143:146], v122 offset0:65 offset1:66
	s_waitcnt lgkmcnt(1)
	v_fma_f64 v[139:140], v[129:130], v[139:140], v[127:128]
	scratch_load_b128 v[127:130], off, off offset:112
	s_waitcnt vmcnt(4)
	v_fma_f64 v[131:132], v[131:132], v[141:142], v[139:140]
	s_waitcnt lgkmcnt(0)
	s_delay_alu instid0(VALU_DEP_1)
	v_fma_f64 v[139:140], v[133:134], v[143:144], v[131:132]
	scratch_load_b128 v[131:134], off, off offset:128
	s_waitcnt vmcnt(4)
	v_fma_f64 v[135:136], v[135:136], v[145:146], v[139:140]
	ds_load_2addr_b64 v[139:142], v122 offset0:67 offset1:68
	ds_load_2addr_b64 v[143:146], v122 offset0:69 offset1:70
	s_waitcnt lgkmcnt(1)
	;; [unrolled: 13-line block ×9, first 2 shown]
	v_fma_f64 v[139:140], v[133:134], v[139:140], v[131:132]
	scratch_load_b128 v[131:134], off, off offset:368
	s_waitcnt vmcnt(4)
	v_fma_f64 v[135:136], v[135:136], v[141:142], v[139:140]
	s_waitcnt lgkmcnt(0)
	s_delay_alu instid0(VALU_DEP_1)
	v_fma_f64 v[139:140], v[137:138], v[143:144], v[135:136]
	scratch_load_b128 v[135:138], off, off offset:384
	s_waitcnt vmcnt(4)
	v_fma_f64 v[2:3], v[2:3], v[145:146], v[139:140]
	ds_load_2addr_b64 v[139:142], v122 offset0:99 offset1:100
	ds_load_2addr_b64 v[143:146], v122 offset0:101 offset1:102
	scratch_load_b128 v[147:150], off, off offset:400
	s_waitcnt lgkmcnt(1)
	v_fma_f64 v[2:3], v[4:5], v[139:140], v[2:3]
	s_waitcnt vmcnt(4)
	s_delay_alu instid0(VALU_DEP_1) | instskip(SKIP_1) | instid1(VALU_DEP_1)
	v_fma_f64 v[2:3], v[123:124], v[141:142], v[2:3]
	s_waitcnt lgkmcnt(0)
	v_fma_f64 v[2:3], v[125:126], v[143:144], v[2:3]
	scratch_load_b128 v[123:126], off, off offset:416
	s_waitcnt vmcnt(4)
	v_fma_f64 v[127:128], v[127:128], v[145:146], v[2:3]
	ds_load_2addr_b64 v[2:5], v122 offset0:103 offset1:104
	ds_load_2addr_b64 v[139:142], v122 offset0:105 offset1:106
	s_waitcnt lgkmcnt(1)
	v_fma_f64 v[2:3], v[129:130], v[2:3], v[127:128]
	scratch_load_b128 v[127:130], off, off offset:432
	s_waitcnt vmcnt(4)
	v_fma_f64 v[2:3], v[131:132], v[4:5], v[2:3]
	s_waitcnt lgkmcnt(0)
	s_delay_alu instid0(VALU_DEP_1)
	v_fma_f64 v[131:132], v[133:134], v[139:140], v[2:3]
	scratch_load_b128 v[2:5], off, off offset:448
	s_waitcnt vmcnt(4)
	v_fma_f64 v[135:136], v[135:136], v[141:142], v[131:132]
	ds_load_2addr_b64 v[131:134], v122 offset0:107 offset1:108
	ds_load_2addr_b64 v[139:142], v122 offset0:109 offset1:110
	s_waitcnt lgkmcnt(1)
	v_fma_f64 v[131:132], v[137:138], v[131:132], v[135:136]
	s_waitcnt vmcnt(3)
	s_delay_alu instid0(VALU_DEP_1) | instskip(SKIP_1) | instid1(VALU_DEP_1)
	v_fma_f64 v[131:132], v[147:148], v[133:134], v[131:132]
	s_waitcnt lgkmcnt(0)
	v_fma_f64 v[131:132], v[149:150], v[139:140], v[131:132]
	s_waitcnt vmcnt(2)
	s_delay_alu instid0(VALU_DEP_1)
	v_fma_f64 v[123:124], v[123:124], v[141:142], v[131:132]
	ds_load_2addr_b64 v[131:134], v122 offset0:111 offset1:112
	ds_load_2addr_b64 v[135:138], v122 offset0:113 offset1:114
	s_waitcnt lgkmcnt(1)
	v_fma_f64 v[123:124], v[125:126], v[131:132], v[123:124]
	ds_load_b64 v[125:126], v122 offset:920
	s_waitcnt vmcnt(1)
	v_fma_f64 v[123:124], v[127:128], v[133:134], v[123:124]
	s_waitcnt lgkmcnt(1)
	s_delay_alu instid0(VALU_DEP_1) | instskip(SKIP_1) | instid1(VALU_DEP_1)
	v_fma_f64 v[123:124], v[129:130], v[135:136], v[123:124]
	s_waitcnt vmcnt(0)
	v_fma_f64 v[123:124], v[2:3], v[137:138], v[123:124]
	s_waitcnt lgkmcnt(0)
	s_delay_alu instid0(VALU_DEP_1) | instskip(NEXT) | instid1(VALU_DEP_1)
	v_fma_f64 v[4:5], v[4:5], v[125:126], v[123:124]
	v_add_f64 v[0:1], v[0:1], -v[4:5]
	scratch_store_b64 off, v[0:1], off
	s_cbranch_vccz .LBB121_473
; %bb.358:
	v_dual_mov_b32 v0, s2 :: v_dual_mov_b32 v1, s3
	s_mov_b32 s0, exec_lo
	flat_load_b32 v0, v[0:1] offset:224
	s_waitcnt vmcnt(0) lgkmcnt(0)
	v_cmpx_ne_u32_e32 57, v0
	s_cbranch_execz .LBB121_360
; %bb.359:
	v_lshl_add_u32 v4, v0, 3, 0
	scratch_load_b64 v[0:1], v4, off offset:-8
	s_waitcnt vmcnt(0)
	scratch_store_b64 off, v[0:1], off offset:448
	scratch_store_b64 v4, v[2:3], off offset:-8
.LBB121_360:
	s_or_b32 exec_lo, exec_lo, s0
	v_dual_mov_b32 v0, s2 :: v_dual_mov_b32 v1, s3
	s_mov_b32 s0, exec_lo
	flat_load_b32 v0, v[0:1] offset:220
	s_waitcnt vmcnt(0) lgkmcnt(0)
	v_cmpx_ne_u32_e32 56, v0
	s_cbranch_execz .LBB121_362
; %bb.361:
	v_lshl_add_u32 v4, v0, 3, 0
	scratch_load_b64 v[0:1], v4, off offset:-8
	scratch_load_b64 v[2:3], off, off offset:440
	s_waitcnt vmcnt(1)
	scratch_store_b64 off, v[0:1], off offset:440
	s_waitcnt vmcnt(0)
	scratch_store_b64 v4, v[2:3], off offset:-8
.LBB121_362:
	s_or_b32 exec_lo, exec_lo, s0
	v_dual_mov_b32 v0, s2 :: v_dual_mov_b32 v1, s3
	s_mov_b32 s0, exec_lo
	flat_load_b32 v0, v[0:1] offset:216
	s_waitcnt vmcnt(0) lgkmcnt(0)
	v_cmpx_ne_u32_e32 55, v0
	s_cbranch_execz .LBB121_364
; %bb.363:
	v_lshl_add_u32 v4, v0, 3, 0
	scratch_load_b64 v[0:1], v4, off offset:-8
	scratch_load_b64 v[2:3], off, off offset:432
	s_waitcnt vmcnt(1)
	scratch_store_b64 off, v[0:1], off offset:432
	s_waitcnt vmcnt(0)
	scratch_store_b64 v4, v[2:3], off offset:-8
.LBB121_364:
	;; [unrolled: 16-line block ×55, first 2 shown]
	s_or_b32 exec_lo, exec_lo, s0
	v_dual_mov_b32 v0, s2 :: v_dual_mov_b32 v1, s3
	s_mov_b32 s0, exec_lo
	flat_load_b32 v2, v[0:1]
	scratch_load_b64 v[0:1], off, off
	s_waitcnt vmcnt(1) lgkmcnt(0)
	v_cmpx_ne_u32_e32 1, v2
	s_cbranch_execz .LBB121_472
; %bb.471:
	v_lshl_add_u32 v4, v2, 3, 0
	scratch_load_b64 v[2:3], v4, off offset:-8
	s_waitcnt vmcnt(0)
	scratch_store_b64 off, v[2:3], off
	scratch_store_b64 v4, v[0:1], off offset:-8
	scratch_load_b64 v[0:1], off, off
.LBB121_472:
	s_or_b32 exec_lo, exec_lo, s0
.LBB121_473:
	s_clause 0xa
	scratch_load_b128 v[2:5], off, off offset:8
	scratch_load_b128 v[122:125], off, off offset:24
	;; [unrolled: 1-line block ×11, first 2 shown]
	s_waitcnt vmcnt(11)
	global_store_b64 v[44:45], v[0:1], off
	s_clause 0x2
	scratch_load_b128 v[162:165], off, off offset:184
	scratch_load_b128 v[166:169], off, off offset:216
	;; [unrolled: 1-line block ×3, first 2 shown]
	s_waitcnt vmcnt(13)
	s_clause 0x1
	global_store_b64 v[40:41], v[2:3], off
	global_store_b64 v[34:35], v[4:5], off
	s_waitcnt vmcnt(12)
	global_store_b64 v[38:39], v[122:123], off
	scratch_load_b128 v[38:41], off, off offset:232
	global_store_b64 v[32:33], v[124:125], off
	s_waitcnt vmcnt(12)
	s_clause 0x1
	global_store_b64 v[24:25], v[126:127], off
	global_store_b64 v[28:29], v[128:129], off
	s_waitcnt vmcnt(11)
	s_clause 0x1
	global_store_b64 v[26:27], v[130:131], off
	;; [unrolled: 4-line block ×6, first 2 shown]
	global_store_b64 v[42:43], v[148:149], off
	s_clause 0xd
	scratch_load_b128 v[0:3], off, off offset:200
	scratch_load_b128 v[32:35], off, off offset:248
	;; [unrolled: 1-line block ×13, first 2 shown]
	scratch_load_b64 v[8:9], off, off offset:456
	s_waitcnt vmcnt(20)
	s_clause 0x1
	global_store_b64 v[30:31], v[150:151], off
	global_store_b64 v[36:37], v[152:153], off
	s_waitcnt vmcnt(19)
	s_clause 0x1
	global_store_b64 v[46:47], v[154:155], off
	global_store_b64 v[48:49], v[156:157], off
	;; [unrolled: 4-line block ×5, first 2 shown]
	global_store_b64 v[62:63], v[166:167], off
	global_store_b64 v[64:65], v[168:169], off
	;; [unrolled: 1-line block ×4, first 2 shown]
	s_waitcnt vmcnt(12)
	s_clause 0x1
	global_store_b64 v[70:71], v[32:33], off
	global_store_b64 v[72:73], v[34:35], off
	s_waitcnt vmcnt(11)
	s_clause 0x1
	global_store_b64 v[74:75], v[122:123], off
	global_store_b64 v[76:77], v[124:125], off
	;; [unrolled: 4-line block ×5, first 2 shown]
	global_store_b64 v[90:91], v[170:171], off
	global_store_b64 v[92:93], v[172:173], off
	s_waitcnt vmcnt(7)
	s_clause 0x1
	global_store_b64 v[94:95], v[18:19], off
	global_store_b64 v[96:97], v[20:21], off
	s_waitcnt vmcnt(6)
	s_clause 0x1
	;; [unrolled: 4-line block ×7, first 2 shown]
	global_store_b64 v[118:119], v[42:43], off
	global_store_b64 v[120:121], v[44:45], off
	s_waitcnt vmcnt(0)
	global_store_b64 v[22:23], v[8:9], off
	s_endpgm
	.section	.rodata,"a",@progbits
	.p2align	6, 0x0
	.amdhsa_kernel _ZN9rocsolver6v33100L18getri_kernel_smallILi58EdPKPdEEvT1_iilPiilS6_bb
		.amdhsa_group_segment_fixed_size 936
		.amdhsa_private_segment_fixed_size 480
		.amdhsa_kernarg_size 60
		.amdhsa_user_sgpr_count 15
		.amdhsa_user_sgpr_dispatch_ptr 0
		.amdhsa_user_sgpr_queue_ptr 0
		.amdhsa_user_sgpr_kernarg_segment_ptr 1
		.amdhsa_user_sgpr_dispatch_id 0
		.amdhsa_user_sgpr_private_segment_size 0
		.amdhsa_wavefront_size32 1
		.amdhsa_uses_dynamic_stack 0
		.amdhsa_enable_private_segment 1
		.amdhsa_system_sgpr_workgroup_id_x 1
		.amdhsa_system_sgpr_workgroup_id_y 0
		.amdhsa_system_sgpr_workgroup_id_z 0
		.amdhsa_system_sgpr_workgroup_info 0
		.amdhsa_system_vgpr_workitem_id 0
		.amdhsa_next_free_vgpr 174
		.amdhsa_next_free_sgpr 17
		.amdhsa_reserve_vcc 1
		.amdhsa_float_round_mode_32 0
		.amdhsa_float_round_mode_16_64 0
		.amdhsa_float_denorm_mode_32 3
		.amdhsa_float_denorm_mode_16_64 3
		.amdhsa_dx10_clamp 1
		.amdhsa_ieee_mode 1
		.amdhsa_fp16_overflow 0
		.amdhsa_workgroup_processor_mode 1
		.amdhsa_memory_ordered 1
		.amdhsa_forward_progress 0
		.amdhsa_shared_vgpr_count 0
		.amdhsa_exception_fp_ieee_invalid_op 0
		.amdhsa_exception_fp_denorm_src 0
		.amdhsa_exception_fp_ieee_div_zero 0
		.amdhsa_exception_fp_ieee_overflow 0
		.amdhsa_exception_fp_ieee_underflow 0
		.amdhsa_exception_fp_ieee_inexact 0
		.amdhsa_exception_int_div_zero 0
	.end_amdhsa_kernel
	.section	.text._ZN9rocsolver6v33100L18getri_kernel_smallILi58EdPKPdEEvT1_iilPiilS6_bb,"axG",@progbits,_ZN9rocsolver6v33100L18getri_kernel_smallILi58EdPKPdEEvT1_iilPiilS6_bb,comdat
.Lfunc_end121:
	.size	_ZN9rocsolver6v33100L18getri_kernel_smallILi58EdPKPdEEvT1_iilPiilS6_bb, .Lfunc_end121-_ZN9rocsolver6v33100L18getri_kernel_smallILi58EdPKPdEEvT1_iilPiilS6_bb
                                        ; -- End function
	.section	.AMDGPU.csdata,"",@progbits
; Kernel info:
; codeLenInByte = 60756
; NumSgprs: 19
; NumVgprs: 174
; ScratchSize: 480
; MemoryBound: 0
; FloatMode: 240
; IeeeMode: 1
; LDSByteSize: 936 bytes/workgroup (compile time only)
; SGPRBlocks: 2
; VGPRBlocks: 21
; NumSGPRsForWavesPerEU: 19
; NumVGPRsForWavesPerEU: 174
; Occupancy: 8
; WaveLimiterHint : 1
; COMPUTE_PGM_RSRC2:SCRATCH_EN: 1
; COMPUTE_PGM_RSRC2:USER_SGPR: 15
; COMPUTE_PGM_RSRC2:TRAP_HANDLER: 0
; COMPUTE_PGM_RSRC2:TGID_X_EN: 1
; COMPUTE_PGM_RSRC2:TGID_Y_EN: 0
; COMPUTE_PGM_RSRC2:TGID_Z_EN: 0
; COMPUTE_PGM_RSRC2:TIDIG_COMP_CNT: 0
	.section	.text._ZN9rocsolver6v33100L18getri_kernel_smallILi59EdPKPdEEvT1_iilPiilS6_bb,"axG",@progbits,_ZN9rocsolver6v33100L18getri_kernel_smallILi59EdPKPdEEvT1_iilPiilS6_bb,comdat
	.globl	_ZN9rocsolver6v33100L18getri_kernel_smallILi59EdPKPdEEvT1_iilPiilS6_bb ; -- Begin function _ZN9rocsolver6v33100L18getri_kernel_smallILi59EdPKPdEEvT1_iilPiilS6_bb
	.p2align	8
	.type	_ZN9rocsolver6v33100L18getri_kernel_smallILi59EdPKPdEEvT1_iilPiilS6_bb,@function
_ZN9rocsolver6v33100L18getri_kernel_smallILi59EdPKPdEEvT1_iilPiilS6_bb: ; @_ZN9rocsolver6v33100L18getri_kernel_smallILi59EdPKPdEEvT1_iilPiilS6_bb
; %bb.0:
	s_mov_b32 s2, exec_lo
	v_cmpx_gt_u32_e32 59, v0
	s_cbranch_execz .LBB122_246
; %bb.1:
	s_clause 0x1
	s_load_b32 s13, s[0:1], 0x38
	s_load_b64 s[2:3], s[0:1], 0x0
	s_mov_b32 s8, s15
	s_load_b128 s[4:7], s[0:1], 0x28
	s_waitcnt lgkmcnt(0)
	s_bitcmp1_b32 s13, 8
	s_cselect_b32 s12, -1, 0
	s_ashr_i32 s9, s15, 31
	s_delay_alu instid0(SALU_CYCLE_1) | instskip(NEXT) | instid1(SALU_CYCLE_1)
	s_lshl_b64 s[10:11], s[8:9], 3
	s_add_u32 s2, s2, s10
	s_addc_u32 s3, s3, s11
	s_load_b64 s[10:11], s[2:3], 0x0
	s_bfe_u32 s2, s13, 0x10008
	s_delay_alu instid0(SALU_CYCLE_1)
	s_cmp_eq_u32 s2, 0
                                        ; implicit-def: $sgpr2_sgpr3
	s_cbranch_scc1 .LBB122_3
; %bb.2:
	s_clause 0x1
	s_load_b32 s2, s[0:1], 0x20
	s_load_b64 s[14:15], s[0:1], 0x18
	s_mul_i32 s3, s8, s5
	s_mul_hi_u32 s5, s8, s4
	s_mul_i32 s16, s9, s4
	s_add_i32 s3, s5, s3
	s_mul_i32 s4, s8, s4
	s_add_i32 s5, s3, s16
	s_delay_alu instid0(SALU_CYCLE_1)
	s_lshl_b64 s[4:5], s[4:5], 2
	s_waitcnt lgkmcnt(0)
	s_ashr_i32 s3, s2, 31
	s_add_u32 s4, s14, s4
	s_addc_u32 s5, s15, s5
	s_lshl_b64 s[2:3], s[2:3], 2
	s_delay_alu instid0(SALU_CYCLE_1)
	s_add_u32 s2, s4, s2
	s_addc_u32 s3, s5, s3
.LBB122_3:
	s_load_b64 s[0:1], s[0:1], 0x8
	v_lshlrev_b32_e32 v3, 3, v0
	s_waitcnt lgkmcnt(0)
	v_add3_u32 v1, s1, s1, v0
	s_ashr_i32 s5, s0, 31
	s_mov_b32 s4, s0
	s_mov_b32 s14, s1
	s_lshl_b64 s[4:5], s[4:5], 3
	v_add_nc_u32_e32 v4, s1, v1
	v_ashrrev_i32_e32 v2, 31, v1
	s_add_u32 s4, s10, s4
	s_addc_u32 s5, s11, s5
	v_add_co_u32 v46, s0, s4, v3
	v_add_nc_u32_e32 v6, s1, v4
	s_ashr_i32 s15, s1, 31
	v_add_co_ci_u32_e64 v47, null, s5, 0, s0
	v_ashrrev_i32_e32 v5, 31, v4
	v_lshlrev_b64 v[1:2], 3, v[1:2]
	s_lshl_b64 s[10:11], s[14:15], 3
	v_add_nc_u32_e32 v8, s1, v6
	v_add_co_u32 v36, vcc_lo, v46, s10
	v_add_co_ci_u32_e32 v37, vcc_lo, s11, v47, vcc_lo
	v_lshlrev_b64 v[4:5], 3, v[4:5]
	v_ashrrev_i32_e32 v7, 31, v6
	v_add_co_u32 v40, vcc_lo, s4, v1
	v_add_nc_u32_e32 v1, s1, v8
	v_add_co_ci_u32_e32 v41, vcc_lo, s5, v2, vcc_lo
	s_delay_alu instid0(VALU_DEP_4) | instskip(SKIP_4) | instid1(VALU_DEP_4)
	v_lshlrev_b64 v[6:7], 3, v[6:7]
	v_ashrrev_i32_e32 v9, 31, v8
	v_add_co_u32 v32, vcc_lo, s4, v4
	v_add_nc_u32_e32 v4, s1, v1
	v_add_co_ci_u32_e32 v33, vcc_lo, s5, v5, vcc_lo
	v_lshlrev_b64 v[8:9], 3, v[8:9]
	v_add_co_u32 v38, vcc_lo, s4, v6
	s_delay_alu instid0(VALU_DEP_4)
	v_add_nc_u32_e32 v6, s1, v4
	s_clause 0x1
	global_load_b64 v[52:53], v3, s[4:5]
	global_load_b64 v[54:55], v[36:37], off
	v_ashrrev_i32_e32 v2, 31, v1
	v_add_co_ci_u32_e32 v39, vcc_lo, s5, v7, vcc_lo
	v_add_co_u32 v24, vcc_lo, s4, v8
	v_add_nc_u32_e32 v8, s1, v6
	s_delay_alu instid0(VALU_DEP_4) | instskip(SKIP_4) | instid1(VALU_DEP_4)
	v_lshlrev_b64 v[1:2], 3, v[1:2]
	v_ashrrev_i32_e32 v5, 31, v4
	v_ashrrev_i32_e32 v7, 31, v6
	v_add_co_ci_u32_e32 v25, vcc_lo, s5, v9, vcc_lo
	v_add_nc_u32_e32 v10, s1, v8
	v_lshlrev_b64 v[4:5], 3, v[4:5]
	v_add_co_u32 v34, vcc_lo, s4, v1
	v_add_co_ci_u32_e32 v35, vcc_lo, s5, v2, vcc_lo
	v_lshlrev_b64 v[1:2], 3, v[6:7]
	v_ashrrev_i32_e32 v9, 31, v8
	v_add_nc_u32_e32 v6, s1, v10
	s_clause 0x2
	global_load_b64 v[60:61], v[40:41], off
	global_load_b64 v[62:63], v[32:33], off
	;; [unrolled: 1-line block ×3, first 2 shown]
	v_add_co_u32 v26, vcc_lo, s4, v4
	global_load_b64 v[66:67], v[24:25], off
	v_add_co_ci_u32_e32 v27, vcc_lo, s5, v5, vcc_lo
	v_lshlrev_b64 v[4:5], 3, v[8:9]
	v_ashrrev_i32_e32 v11, 31, v10
	v_add_nc_u32_e32 v8, s1, v6
	v_add_co_u32 v30, vcc_lo, s4, v1
	v_add_co_ci_u32_e32 v31, vcc_lo, s5, v2, vcc_lo
	s_delay_alu instid0(VALU_DEP_4) | instskip(NEXT) | instid1(VALU_DEP_4)
	v_lshlrev_b64 v[1:2], 3, v[10:11]
	v_add_nc_u32_e32 v10, s1, v8
	v_ashrrev_i32_e32 v7, 31, v6
	v_add_co_u32 v16, vcc_lo, s4, v4
	v_add_co_ci_u32_e32 v17, vcc_lo, s5, v5, vcc_lo
	s_delay_alu instid0(VALU_DEP_4)
	v_add_nc_u32_e32 v4, s1, v10
	v_ashrrev_i32_e32 v9, 31, v8
	v_lshlrev_b64 v[5:6], 3, v[6:7]
	s_clause 0x2
	global_load_b64 v[68:69], v[34:35], off
	global_load_b64 v[70:71], v[26:27], off
	global_load_b64 v[72:73], v[30:31], off
	v_add_co_u32 v28, vcc_lo, s4, v1
	global_load_b64 v[74:75], v[16:17], off
	v_add_nc_u32_e32 v12, s1, v4
	v_add_co_ci_u32_e32 v29, vcc_lo, s5, v2, vcc_lo
	v_lshlrev_b64 v[1:2], 3, v[8:9]
	v_ashrrev_i32_e32 v11, 31, v10
	v_add_co_u32 v18, vcc_lo, s4, v5
	v_ashrrev_i32_e32 v5, 31, v4
	v_add_nc_u32_e32 v14, s1, v12
	v_add_co_ci_u32_e32 v19, vcc_lo, s5, v6, vcc_lo
	v_lshlrev_b64 v[6:7], 3, v[10:11]
	v_add_co_u32 v20, vcc_lo, s4, v1
	v_ashrrev_i32_e32 v13, 31, v12
	v_add_co_ci_u32_e32 v21, vcc_lo, s5, v2, vcc_lo
	v_lshlrev_b64 v[1:2], 3, v[4:5]
	v_add_nc_u32_e32 v42, s1, v14
	v_add_co_u32 v8, vcc_lo, s4, v6
	v_lshlrev_b64 v[5:6], 3, v[12:13]
	v_ashrrev_i32_e32 v15, 31, v14
	v_add_co_ci_u32_e32 v9, vcc_lo, s5, v7, vcc_lo
	v_add_co_u32 v22, vcc_lo, s4, v1
	v_ashrrev_i32_e32 v43, 31, v42
	v_add_co_ci_u32_e32 v23, vcc_lo, s5, v2, vcc_lo
	v_lshlrev_b64 v[1:2], 3, v[14:15]
	s_clause 0x2
	global_load_b64 v[76:77], v[28:29], off
	global_load_b64 v[78:79], v[18:19], off
	;; [unrolled: 1-line block ×3, first 2 shown]
	v_add_co_u32 v10, vcc_lo, s4, v5
	global_load_b64 v[82:83], v[8:9], off
	v_add_co_ci_u32_e32 v11, vcc_lo, s5, v6, vcc_lo
	v_lshlrev_b64 v[6:7], 3, v[42:43]
	v_add_co_u32 v12, vcc_lo, s4, v1
	v_add_co_ci_u32_e32 v13, vcc_lo, s5, v2, vcc_lo
	s_clause 0x2
	global_load_b64 v[84:85], v[22:23], off
	global_load_b64 v[86:87], v[10:11], off
	;; [unrolled: 1-line block ×3, first 2 shown]
	v_add_co_u32 v6, vcc_lo, s4, v6
	v_add_co_ci_u32_e32 v7, vcc_lo, s5, v7, vcc_lo
	v_add_nc_u32_e32 v4, s1, v42
	s_bitcmp0_b32 s13, 0
	global_load_b64 v[90:91], v[6:7], off
	v_add_nc_u32_e32 v44, s1, v4
	v_ashrrev_i32_e32 v5, 31, v4
	s_delay_alu instid0(VALU_DEP_2) | instskip(SKIP_1) | instid1(VALU_DEP_3)
	v_add_nc_u32_e32 v48, s1, v44
	v_ashrrev_i32_e32 v45, 31, v44
	v_lshlrev_b64 v[4:5], 3, v[4:5]
	s_delay_alu instid0(VALU_DEP_3) | instskip(SKIP_1) | instid1(VALU_DEP_4)
	v_add_nc_u32_e32 v14, s1, v48
	v_ashrrev_i32_e32 v49, 31, v48
	v_lshlrev_b64 v[42:43], 3, v[44:45]
	s_delay_alu instid0(VALU_DEP_4) | instskip(NEXT) | instid1(VALU_DEP_4)
	v_add_co_u32 v44, vcc_lo, s4, v4
	v_add_nc_u32_e32 v50, s1, v14
	v_ashrrev_i32_e32 v15, 31, v14
	v_add_co_ci_u32_e32 v45, vcc_lo, s5, v5, vcc_lo
	v_lshlrev_b64 v[4:5], 3, v[48:49]
	s_delay_alu instid0(VALU_DEP_4) | instskip(SKIP_3) | instid1(VALU_DEP_4)
	v_add_nc_u32_e32 v1, s1, v50
	v_add_co_u32 v42, vcc_lo, s4, v42
	v_lshlrev_b64 v[94:95], 3, v[14:15]
	v_ashrrev_i32_e32 v51, 31, v50
	v_add_nc_u32_e32 v56, s1, v1
	v_add_co_ci_u32_e32 v43, vcc_lo, s5, v43, vcc_lo
	v_add_co_u32 v48, vcc_lo, s4, v4
	s_delay_alu instid0(VALU_DEP_3) | instskip(SKIP_3) | instid1(VALU_DEP_4)
	v_add_nc_u32_e32 v58, s1, v56
	v_ashrrev_i32_e32 v2, 31, v1
	v_add_co_ci_u32_e32 v49, vcc_lo, s5, v5, vcc_lo
	v_lshlrev_b64 v[4:5], 3, v[50:51]
	v_add_nc_u32_e32 v100, s1, v58
	s_delay_alu instid0(VALU_DEP_4) | instskip(SKIP_2) | instid1(VALU_DEP_4)
	v_lshlrev_b64 v[1:2], 3, v[1:2]
	v_ashrrev_i32_e32 v57, 31, v56
	v_ashrrev_i32_e32 v59, 31, v58
	v_add_nc_u32_e32 v108, s1, v100
	v_ashrrev_i32_e32 v101, 31, v100
	s_delay_alu instid0(VALU_DEP_2) | instskip(SKIP_1) | instid1(VALU_DEP_2)
	v_add_nc_u32_e32 v110, s1, v108
	v_ashrrev_i32_e32 v109, 31, v108
	v_add_nc_u32_e32 v112, s1, v110
	v_ashrrev_i32_e32 v111, 31, v110
	s_delay_alu instid0(VALU_DEP_2) | instskip(SKIP_1) | instid1(VALU_DEP_2)
	v_add_nc_u32_e32 v114, s1, v112
	;; [unrolled: 5-line block ×15, first 2 shown]
	v_ashrrev_i32_e32 v167, 31, v166
	v_add_nc_u32_e32 v170, s1, v168
	v_ashrrev_i32_e32 v169, 31, v168
	s_delay_alu instid0(VALU_DEP_2) | instskip(SKIP_2) | instid1(VALU_DEP_2)
	v_add_nc_u32_e32 v92, s1, v170
	v_ashrrev_i32_e32 v171, 31, v170
	s_mov_b32 s1, -1
	v_ashrrev_i32_e32 v93, 31, v92
	s_delay_alu instid0(VALU_DEP_1) | instskip(NEXT) | instid1(VALU_DEP_1)
	v_lshlrev_b64 v[14:15], 3, v[92:93]
	v_add_co_u32 v14, vcc_lo, s4, v14
	s_delay_alu instid0(VALU_DEP_2)
	v_add_co_ci_u32_e32 v15, vcc_lo, s5, v15, vcc_lo
	v_add_co_u32 v50, vcc_lo, s4, v94
	v_add_co_ci_u32_e32 v51, vcc_lo, s5, v95, vcc_lo
	global_load_b64 v[172:173], v[14:15], off
	s_waitcnt vmcnt(17)
	scratch_store_b128 off, v[52:55], off
	v_add_co_u32 v52, vcc_lo, s4, v4
	v_add_co_ci_u32_e32 v53, vcc_lo, s5, v5, vcc_lo
	v_lshlrev_b64 v[4:5], 3, v[56:57]
	v_add_co_u32 v54, vcc_lo, s4, v1
	s_clause 0x2
	global_load_b64 v[92:93], v[44:45], off
	global_load_b64 v[94:95], v[42:43], off
	;; [unrolled: 1-line block ×3, first 2 shown]
	v_add_co_ci_u32_e32 v55, vcc_lo, s5, v2, vcc_lo
	v_lshlrev_b64 v[1:2], 3, v[58:59]
	global_load_b64 v[98:99], v[50:51], off
	v_add_co_u32 v56, vcc_lo, s4, v4
	v_add_co_ci_u32_e32 v57, vcc_lo, s5, v5, vcc_lo
	v_lshlrev_b64 v[4:5], 3, v[100:101]
	v_add_co_u32 v58, vcc_lo, s4, v1
	v_add_co_ci_u32_e32 v59, vcc_lo, s5, v2, vcc_lo
	v_lshlrev_b64 v[1:2], 3, v[108:109]
	s_waitcnt vmcnt(19)
	scratch_store_b128 off, v[60:63], off offset:16
	s_waitcnt vmcnt(17)
	scratch_store_b128 off, v[64:67], off offset:32
	v_add_co_u32 v60, vcc_lo, s4, v4
	v_add_co_ci_u32_e32 v61, vcc_lo, s5, v5, vcc_lo
	v_lshlrev_b64 v[4:5], 3, v[110:111]
	v_add_co_u32 v62, vcc_lo, s4, v1
	s_clause 0x3
	global_load_b64 v[100:101], v[52:53], off
	global_load_b64 v[102:103], v[54:55], off
	;; [unrolled: 1-line block ×4, first 2 shown]
	v_add_co_ci_u32_e32 v63, vcc_lo, s5, v2, vcc_lo
	v_lshlrev_b64 v[1:2], 3, v[112:113]
	v_add_co_u32 v64, vcc_lo, s4, v4
	v_add_co_ci_u32_e32 v65, vcc_lo, s5, v5, vcc_lo
	v_lshlrev_b64 v[4:5], 3, v[114:115]
	s_delay_alu instid0(VALU_DEP_4)
	v_add_co_u32 v66, vcc_lo, s4, v1
	v_add_co_ci_u32_e32 v67, vcc_lo, s5, v2, vcc_lo
	v_lshlrev_b64 v[1:2], 3, v[116:117]
	s_waitcnt vmcnt(19)
	scratch_store_b128 off, v[68:71], off offset:48
	s_waitcnt vmcnt(17)
	scratch_store_b128 off, v[72:75], off offset:64
	v_add_co_u32 v68, vcc_lo, s4, v4
	v_add_co_ci_u32_e32 v69, vcc_lo, s5, v5, vcc_lo
	v_lshlrev_b64 v[4:5], 3, v[118:119]
	v_add_co_u32 v70, vcc_lo, s4, v1
	s_clause 0x3
	global_load_b64 v[108:109], v[60:61], off
	global_load_b64 v[110:111], v[62:63], off
	;; [unrolled: 1-line block ×4, first 2 shown]
	v_add_co_ci_u32_e32 v71, vcc_lo, s5, v2, vcc_lo
	v_lshlrev_b64 v[1:2], 3, v[120:121]
	v_add_co_u32 v72, vcc_lo, s4, v4
	v_add_co_ci_u32_e32 v73, vcc_lo, s5, v5, vcc_lo
	v_lshlrev_b64 v[4:5], 3, v[126:127]
	s_delay_alu instid0(VALU_DEP_4)
	v_add_co_u32 v74, vcc_lo, s4, v1
	v_add_co_ci_u32_e32 v75, vcc_lo, s5, v2, vcc_lo
	v_lshlrev_b64 v[1:2], 3, v[124:125]
	s_waitcnt vmcnt(19)
	scratch_store_b128 off, v[76:79], off offset:80
	s_waitcnt vmcnt(17)
	scratch_store_b128 off, v[80:83], off offset:96
	v_add_co_u32 v76, vcc_lo, s4, v1
	s_clause 0x3
	global_load_b64 v[116:117], v[68:69], off
	global_load_b64 v[118:119], v[70:71], off
	;; [unrolled: 1-line block ×4, first 2 shown]
	v_add_co_ci_u32_e32 v77, vcc_lo, s5, v2, vcc_lo
	v_lshlrev_b64 v[1:2], 3, v[128:129]
	v_add_co_u32 v78, vcc_lo, s4, v4
	v_add_co_ci_u32_e32 v79, vcc_lo, s5, v5, vcc_lo
	v_lshlrev_b64 v[4:5], 3, v[130:131]
	s_delay_alu instid0(VALU_DEP_4)
	v_add_co_u32 v80, vcc_lo, s4, v1
	v_add_co_ci_u32_e32 v81, vcc_lo, s5, v2, vcc_lo
	s_waitcnt vmcnt(19)
	scratch_store_b128 off, v[84:87], off offset:112
	s_waitcnt vmcnt(17)
	scratch_store_b128 off, v[88:91], off offset:128
	v_add_co_u32 v82, vcc_lo, s4, v4
	v_add_co_ci_u32_e32 v83, vcc_lo, s5, v5, vcc_lo
	s_clause 0x3
	global_load_b64 v[124:125], v[76:77], off
	global_load_b64 v[126:127], v[78:79], off
	;; [unrolled: 1-line block ×4, first 2 shown]
	v_lshlrev_b64 v[1:2], 3, v[132:133]
	v_lshlrev_b64 v[4:5], 3, v[134:135]
	s_waitcnt vmcnt(18)
	scratch_store_b128 off, v[92:95], off offset:144
	s_waitcnt vmcnt(16)
	scratch_store_b128 off, v[96:99], off offset:160
	v_add_co_u32 v84, vcc_lo, s4, v1
	v_add_co_ci_u32_e32 v85, vcc_lo, s5, v2, vcc_lo
	v_lshlrev_b64 v[1:2], 3, v[136:137]
	v_add_co_u32 v86, vcc_lo, s4, v4
	v_add_co_ci_u32_e32 v87, vcc_lo, s5, v5, vcc_lo
	v_lshlrev_b64 v[4:5], 3, v[138:139]
	s_delay_alu instid0(VALU_DEP_4) | instskip(SKIP_2) | instid1(VALU_DEP_4)
	v_add_co_u32 v88, vcc_lo, s4, v1
	v_add_co_ci_u32_e32 v89, vcc_lo, s5, v2, vcc_lo
	v_lshlrev_b64 v[1:2], 3, v[140:141]
	v_add_co_u32 v90, vcc_lo, s4, v4
	v_add_co_ci_u32_e32 v91, vcc_lo, s5, v5, vcc_lo
	v_lshlrev_b64 v[4:5], 3, v[142:143]
	s_delay_alu instid0(VALU_DEP_4) | instskip(SKIP_2) | instid1(VALU_DEP_4)
	;; [unrolled: 7-line block ×3, first 2 shown]
	v_add_co_u32 v96, vcc_lo, s4, v1
	v_add_co_ci_u32_e32 v97, vcc_lo, s5, v2, vcc_lo
	v_lshlrev_b64 v[1:2], 3, v[148:149]
	v_add_co_u32 v98, vcc_lo, s4, v4
	v_add_co_ci_u32_e32 v99, vcc_lo, s5, v5, vcc_lo
	v_lshlrev_b64 v[4:5], 3, v[150:151]
	s_clause 0x2
	global_load_b64 v[132:133], v[84:85], off
	global_load_b64 v[134:135], v[86:87], off
	;; [unrolled: 1-line block ×3, first 2 shown]
	s_waitcnt vmcnt(17)
	scratch_store_b128 off, v[100:103], off offset:176
	s_waitcnt vmcnt(15)
	scratch_store_b128 off, v[104:107], off offset:192
	v_add_co_u32 v100, vcc_lo, s4, v1
	v_add_co_ci_u32_e32 v101, vcc_lo, s5, v2, vcc_lo
	v_lshlrev_b64 v[1:2], 3, v[152:153]
	v_add_co_u32 v102, vcc_lo, s4, v4
	v_add_co_ci_u32_e32 v103, vcc_lo, s5, v5, vcc_lo
	v_lshlrev_b64 v[4:5], 3, v[154:155]
	s_delay_alu instid0(VALU_DEP_4) | instskip(SKIP_2) | instid1(VALU_DEP_4)
	v_add_co_u32 v104, vcc_lo, s4, v1
	v_add_co_ci_u32_e32 v105, vcc_lo, s5, v2, vcc_lo
	v_lshlrev_b64 v[1:2], 3, v[156:157]
	v_add_co_u32 v106, vcc_lo, s4, v4
	v_add_co_ci_u32_e32 v107, vcc_lo, s5, v5, vcc_lo
	v_lshlrev_b64 v[4:5], 3, v[158:159]
	s_clause 0x3
	global_load_b64 v[138:139], v[90:91], off
	global_load_b64 v[140:141], v[92:93], off
	;; [unrolled: 1-line block ×4, first 2 shown]
	s_waitcnt vmcnt(17)
	scratch_store_b128 off, v[108:111], off offset:208
	s_waitcnt vmcnt(15)
	scratch_store_b128 off, v[112:115], off offset:224
	v_add_co_u32 v108, vcc_lo, s4, v1
	v_add_co_ci_u32_e32 v109, vcc_lo, s5, v2, vcc_lo
	v_lshlrev_b64 v[1:2], 3, v[160:161]
	v_add_co_u32 v110, vcc_lo, s4, v4
	v_add_co_ci_u32_e32 v111, vcc_lo, s5, v5, vcc_lo
	v_lshlrev_b64 v[4:5], 3, v[162:163]
	s_delay_alu instid0(VALU_DEP_4) | instskip(SKIP_2) | instid1(VALU_DEP_4)
	v_add_co_u32 v112, vcc_lo, s4, v1
	v_add_co_ci_u32_e32 v113, vcc_lo, s5, v2, vcc_lo
	v_lshlrev_b64 v[1:2], 3, v[164:165]
	v_add_co_u32 v114, vcc_lo, s4, v4
	v_add_co_ci_u32_e32 v115, vcc_lo, s5, v5, vcc_lo
	v_lshlrev_b64 v[4:5], 3, v[166:167]
	s_clause 0x3
	global_load_b64 v[146:147], v[98:99], off
	global_load_b64 v[148:149], v[100:101], off
	;; [unrolled: 1-line block ×4, first 2 shown]
	s_waitcnt vmcnt(17)
	scratch_store_b128 off, v[116:119], off offset:240
	s_waitcnt vmcnt(15)
	scratch_store_b128 off, v[120:123], off offset:256
	v_add_co_u32 v116, vcc_lo, s4, v1
	v_add_co_ci_u32_e32 v117, vcc_lo, s5, v2, vcc_lo
	v_lshlrev_b64 v[1:2], 3, v[168:169]
	v_add_co_u32 v120, vcc_lo, s4, v4
	v_add_co_ci_u32_e32 v121, vcc_lo, s5, v5, vcc_lo
	v_lshlrev_b64 v[4:5], 3, v[170:171]
	s_delay_alu instid0(VALU_DEP_4)
	v_add_co_u32 v122, vcc_lo, s4, v1
	v_add_co_ci_u32_e32 v123, vcc_lo, s5, v2, vcc_lo
	s_clause 0x3
	global_load_b64 v[154:155], v[106:107], off
	global_load_b64 v[156:157], v[108:109], off
	;; [unrolled: 1-line block ×4, first 2 shown]
	v_add_co_u32 v118, vcc_lo, s4, v4
	v_add_co_ci_u32_e32 v119, vcc_lo, s5, v5, vcc_lo
	s_waitcnt vmcnt(17)
	scratch_store_b128 off, v[124:127], off offset:272
	s_waitcnt vmcnt(15)
	scratch_store_b128 off, v[128:131], off offset:288
	s_clause 0x4
	global_load_b64 v[162:163], v[114:115], off
	global_load_b64 v[124:125], v[116:117], off
	;; [unrolled: 1-line block ×5, first 2 shown]
	s_waitcnt vmcnt(18)
	scratch_store_b128 off, v[132:135], off offset:304
	s_waitcnt vmcnt(16)
	scratch_store_b128 off, v[136:139], off offset:320
	;; [unrolled: 2-line block ×9, first 2 shown]
	s_waitcnt vmcnt(0)
	s_clause 0x1
	scratch_store_b128 off, v[128:131], off offset:448
	scratch_store_b64 off, v[172:173], off offset:464
	s_cbranch_scc1 .LBB122_244
; %bb.4:
	v_cmp_eq_u32_e64 s0, 0, v0
	s_delay_alu instid0(VALU_DEP_1)
	s_and_saveexec_b32 s1, s0
	s_cbranch_execz .LBB122_6
; %bb.5:
	v_mov_b32_e32 v1, 0
	ds_store_b32 v1, v1 offset:472
.LBB122_6:
	s_or_b32 exec_lo, exec_lo, s1
	s_waitcnt lgkmcnt(0)
	s_waitcnt_vscnt null, 0x0
	s_barrier
	buffer_gl0_inv
	scratch_load_b64 v[1:2], v3, off
	s_mov_b32 s4, exec_lo
	s_waitcnt vmcnt(0)
	v_cmpx_eq_f64_e32 0, v[1:2]
	s_cbranch_execz .LBB122_10
; %bb.7:
	v_mov_b32_e32 v1, 0
	s_mov_b32 s5, 0
	ds_load_b32 v2, v1 offset:472
	s_waitcnt lgkmcnt(0)
	v_readfirstlane_b32 s1, v2
	v_add_nc_u32_e32 v2, 1, v0
	s_delay_alu instid0(VALU_DEP_2) | instskip(NEXT) | instid1(VALU_DEP_1)
	s_cmp_eq_u32 s1, 0
	v_cmp_gt_i32_e32 vcc_lo, s1, v2
	s_cselect_b32 s10, -1, 0
	s_delay_alu instid0(SALU_CYCLE_1) | instskip(NEXT) | instid1(SALU_CYCLE_1)
	s_or_b32 s10, s10, vcc_lo
	s_and_b32 exec_lo, exec_lo, s10
	s_cbranch_execz .LBB122_10
; %bb.8:
	v_mov_b32_e32 v4, s1
.LBB122_9:                              ; =>This Inner Loop Header: Depth=1
	ds_cmpstore_rtn_b32 v4, v1, v2, v4 offset:472
	s_waitcnt lgkmcnt(0)
	v_cmp_ne_u32_e32 vcc_lo, 0, v4
	v_cmp_le_i32_e64 s1, v4, v2
	s_delay_alu instid0(VALU_DEP_1) | instskip(NEXT) | instid1(SALU_CYCLE_1)
	s_and_b32 s1, vcc_lo, s1
	s_and_b32 s1, exec_lo, s1
	s_delay_alu instid0(SALU_CYCLE_1) | instskip(NEXT) | instid1(SALU_CYCLE_1)
	s_or_b32 s5, s1, s5
	s_and_not1_b32 exec_lo, exec_lo, s5
	s_cbranch_execnz .LBB122_9
.LBB122_10:
	s_or_b32 exec_lo, exec_lo, s4
	v_mov_b32_e32 v1, 0
	s_barrier
	buffer_gl0_inv
	ds_load_b32 v2, v1 offset:472
	s_and_saveexec_b32 s1, s0
	s_cbranch_execz .LBB122_12
; %bb.11:
	s_lshl_b64 s[4:5], s[8:9], 2
	s_delay_alu instid0(SALU_CYCLE_1)
	s_add_u32 s4, s6, s4
	s_addc_u32 s5, s7, s5
	s_waitcnt lgkmcnt(0)
	global_store_b32 v1, v2, s[4:5]
.LBB122_12:
	s_or_b32 exec_lo, exec_lo, s1
	s_waitcnt lgkmcnt(0)
	v_cmp_ne_u32_e32 vcc_lo, 0, v2
	s_mov_b32 s1, 0
	s_cbranch_vccnz .LBB122_244
; %bb.13:
	v_add_nc_u32_e32 v4, 0, v3
	v_add_nc_u32_e32 v5, 0x1e0, v3
	scratch_load_b64 v[1:2], v4, off
	s_waitcnt vmcnt(0)
	v_div_scale_f64 v[124:125], null, v[1:2], v[1:2], 1.0
	v_div_scale_f64 v[130:131], vcc_lo, 1.0, v[1:2], 1.0
	s_delay_alu instid0(VALU_DEP_2) | instskip(SKIP_2) | instid1(VALU_DEP_1)
	v_rcp_f64_e32 v[126:127], v[124:125]
	s_waitcnt_depctr 0xfff
	v_fma_f64 v[128:129], -v[124:125], v[126:127], 1.0
	v_fma_f64 v[126:127], v[126:127], v[128:129], v[126:127]
	s_delay_alu instid0(VALU_DEP_1) | instskip(NEXT) | instid1(VALU_DEP_1)
	v_fma_f64 v[128:129], -v[124:125], v[126:127], 1.0
	v_fma_f64 v[126:127], v[126:127], v[128:129], v[126:127]
	s_delay_alu instid0(VALU_DEP_1) | instskip(NEXT) | instid1(VALU_DEP_1)
	v_mul_f64 v[128:129], v[130:131], v[126:127]
	v_fma_f64 v[124:125], -v[124:125], v[128:129], v[130:131]
	s_delay_alu instid0(VALU_DEP_1) | instskip(NEXT) | instid1(VALU_DEP_1)
	v_div_fmas_f64 v[124:125], v[124:125], v[126:127], v[128:129]
	v_div_fixup_f64 v[1:2], v[124:125], v[1:2], 1.0
	scratch_store_b64 v4, v[1:2], off
	scratch_load_b64 v[124:125], off, off offset:8
	v_xor_b32_e32 v2, 0x80000000, v2
	s_waitcnt vmcnt(0)
	ds_store_2addr_b64 v3, v[1:2], v[124:125] offset1:60
	s_waitcnt lgkmcnt(0)
	s_waitcnt_vscnt null, 0x0
	s_barrier
	buffer_gl0_inv
	s_and_saveexec_b32 s1, s0
	s_cbranch_execz .LBB122_15
; %bb.14:
	scratch_load_b64 v[1:2], v4, off
	ds_load_b64 v[124:125], v5
	s_waitcnt vmcnt(0) lgkmcnt(0)
	v_fma_f64 v[1:2], v[1:2], v[124:125], 0
	v_mov_b32_e32 v124, 0
	ds_load_b64 v[124:125], v124 offset:8
	s_waitcnt lgkmcnt(0)
	v_mul_f64 v[1:2], v[1:2], v[124:125]
	scratch_store_b64 off, v[1:2], off offset:8
.LBB122_15:
	s_or_b32 exec_lo, exec_lo, s1
	s_waitcnt_vscnt null, 0x0
	s_barrier
	buffer_gl0_inv
	scratch_load_b64 v[1:2], off, off offset:16
	s_mov_b32 s1, exec_lo
	s_waitcnt vmcnt(0)
	ds_store_b64 v5, v[1:2]
	s_waitcnt lgkmcnt(0)
	s_barrier
	buffer_gl0_inv
	v_cmpx_gt_u32_e32 2, v0
	s_cbranch_execz .LBB122_19
; %bb.16:
	scratch_load_b64 v[1:2], v4, off
	ds_load_b64 v[124:125], v5
	s_waitcnt vmcnt(0) lgkmcnt(0)
	v_fma_f64 v[1:2], v[1:2], v[124:125], 0
	s_and_saveexec_b32 s4, s0
	s_cbranch_execz .LBB122_18
; %bb.17:
	scratch_load_b64 v[124:125], off, off offset:8
	v_mov_b32_e32 v126, 0
	ds_load_b64 v[126:127], v126 offset:488
	s_waitcnt vmcnt(0) lgkmcnt(0)
	v_fma_f64 v[1:2], v[124:125], v[126:127], v[1:2]
.LBB122_18:
	s_or_b32 exec_lo, exec_lo, s4
	v_mov_b32_e32 v124, 0
	ds_load_b64 v[124:125], v124 offset:16
	s_waitcnt lgkmcnt(0)
	v_mul_f64 v[1:2], v[1:2], v[124:125]
	scratch_store_b64 off, v[1:2], off offset:16
.LBB122_19:
	s_or_b32 exec_lo, exec_lo, s1
	s_waitcnt_vscnt null, 0x0
	s_barrier
	buffer_gl0_inv
	scratch_load_b64 v[1:2], off, off offset:24
	v_add_nc_u32_e32 v124, -1, v0
	s_mov_b32 s0, exec_lo
	s_waitcnt vmcnt(0)
	ds_store_b64 v5, v[1:2]
	s_waitcnt lgkmcnt(0)
	s_barrier
	buffer_gl0_inv
	v_cmpx_gt_u32_e32 3, v0
	s_cbranch_execz .LBB122_23
; %bb.20:
	v_dual_mov_b32 v1, 0 :: v_dual_add_nc_u32 v126, 0x1e0, v3
	v_dual_mov_b32 v2, 0 :: v_dual_add_nc_u32 v125, -1, v0
	v_add_nc_u32_e32 v127, 0, v3
	s_mov_b32 s1, 0
.LBB122_21:                             ; =>This Inner Loop Header: Depth=1
	scratch_load_b64 v[128:129], v127, off
	ds_load_b64 v[130:131], v126
	v_add_nc_u32_e32 v125, 1, v125
	v_add_nc_u32_e32 v126, 8, v126
	v_add_nc_u32_e32 v127, 8, v127
	s_delay_alu instid0(VALU_DEP_3)
	v_cmp_lt_u32_e32 vcc_lo, 1, v125
	s_or_b32 s1, vcc_lo, s1
	s_waitcnt vmcnt(0) lgkmcnt(0)
	v_fma_f64 v[1:2], v[128:129], v[130:131], v[1:2]
	s_and_not1_b32 exec_lo, exec_lo, s1
	s_cbranch_execnz .LBB122_21
; %bb.22:
	s_or_b32 exec_lo, exec_lo, s1
	v_mov_b32_e32 v125, 0
	ds_load_b64 v[125:126], v125 offset:24
	s_waitcnt lgkmcnt(0)
	v_mul_f64 v[1:2], v[1:2], v[125:126]
	scratch_store_b64 off, v[1:2], off offset:24
.LBB122_23:
	s_or_b32 exec_lo, exec_lo, s0
	s_waitcnt_vscnt null, 0x0
	s_barrier
	buffer_gl0_inv
	scratch_load_b64 v[1:2], off, off offset:32
	s_mov_b32 s0, exec_lo
	s_waitcnt vmcnt(0)
	ds_store_b64 v5, v[1:2]
	s_waitcnt lgkmcnt(0)
	s_barrier
	buffer_gl0_inv
	v_cmpx_gt_u32_e32 4, v0
	s_cbranch_execz .LBB122_27
; %bb.24:
	v_dual_mov_b32 v1, 0 :: v_dual_add_nc_u32 v126, 0x1e0, v3
	v_dual_mov_b32 v2, 0 :: v_dual_add_nc_u32 v125, -1, v0
	v_add_nc_u32_e32 v127, 0, v3
	s_mov_b32 s1, 0
.LBB122_25:                             ; =>This Inner Loop Header: Depth=1
	scratch_load_b64 v[128:129], v127, off
	ds_load_b64 v[130:131], v126
	v_add_nc_u32_e32 v125, 1, v125
	v_add_nc_u32_e32 v126, 8, v126
	v_add_nc_u32_e32 v127, 8, v127
	s_delay_alu instid0(VALU_DEP_3)
	v_cmp_lt_u32_e32 vcc_lo, 2, v125
	s_or_b32 s1, vcc_lo, s1
	s_waitcnt vmcnt(0) lgkmcnt(0)
	v_fma_f64 v[1:2], v[128:129], v[130:131], v[1:2]
	s_and_not1_b32 exec_lo, exec_lo, s1
	s_cbranch_execnz .LBB122_25
; %bb.26:
	s_or_b32 exec_lo, exec_lo, s1
	v_mov_b32_e32 v125, 0
	ds_load_b64 v[125:126], v125 offset:32
	s_waitcnt lgkmcnt(0)
	v_mul_f64 v[1:2], v[1:2], v[125:126]
	scratch_store_b64 off, v[1:2], off offset:32
.LBB122_27:
	s_or_b32 exec_lo, exec_lo, s0
	s_waitcnt_vscnt null, 0x0
	s_barrier
	buffer_gl0_inv
	scratch_load_b64 v[1:2], off, off offset:40
	;; [unrolled: 39-line block ×20, first 2 shown]
	s_mov_b32 s0, exec_lo
	s_waitcnt vmcnt(0)
	ds_store_b64 v5, v[1:2]
	s_waitcnt lgkmcnt(0)
	s_barrier
	buffer_gl0_inv
	v_cmpx_gt_u32_e32 23, v0
	s_cbranch_execz .LBB122_103
; %bb.100:
	v_dual_mov_b32 v1, 0 :: v_dual_add_nc_u32 v126, 0x1e0, v3
	v_dual_mov_b32 v2, 0 :: v_dual_add_nc_u32 v125, -1, v0
	v_add_nc_u32_e32 v127, 0, v3
	s_mov_b32 s1, 0
.LBB122_101:                            ; =>This Inner Loop Header: Depth=1
	scratch_load_b64 v[128:129], v127, off
	ds_load_b64 v[130:131], v126
	v_add_nc_u32_e32 v125, 1, v125
	v_add_nc_u32_e32 v126, 8, v126
	v_add_nc_u32_e32 v127, 8, v127
	s_delay_alu instid0(VALU_DEP_3)
	v_cmp_lt_u32_e32 vcc_lo, 21, v125
	s_or_b32 s1, vcc_lo, s1
	s_waitcnt vmcnt(0) lgkmcnt(0)
	v_fma_f64 v[1:2], v[128:129], v[130:131], v[1:2]
	s_and_not1_b32 exec_lo, exec_lo, s1
	s_cbranch_execnz .LBB122_101
; %bb.102:
	s_or_b32 exec_lo, exec_lo, s1
	v_mov_b32_e32 v125, 0
	ds_load_b64 v[125:126], v125 offset:184
	s_waitcnt lgkmcnt(0)
	v_mul_f64 v[1:2], v[1:2], v[125:126]
	scratch_store_b64 off, v[1:2], off offset:184
.LBB122_103:
	s_or_b32 exec_lo, exec_lo, s0
	s_waitcnt_vscnt null, 0x0
	s_barrier
	buffer_gl0_inv
	scratch_load_b64 v[1:2], off, off offset:192
	s_mov_b32 s0, exec_lo
	s_waitcnt vmcnt(0)
	ds_store_b64 v5, v[1:2]
	s_waitcnt lgkmcnt(0)
	s_barrier
	buffer_gl0_inv
	v_cmpx_gt_u32_e32 24, v0
	s_cbranch_execz .LBB122_107
; %bb.104:
	v_dual_mov_b32 v1, 0 :: v_dual_add_nc_u32 v126, 0x1e0, v3
	v_dual_mov_b32 v2, 0 :: v_dual_add_nc_u32 v125, -1, v0
	v_add_nc_u32_e32 v127, 0, v3
	s_mov_b32 s1, 0
.LBB122_105:                            ; =>This Inner Loop Header: Depth=1
	scratch_load_b64 v[128:129], v127, off
	ds_load_b64 v[130:131], v126
	v_add_nc_u32_e32 v125, 1, v125
	v_add_nc_u32_e32 v126, 8, v126
	v_add_nc_u32_e32 v127, 8, v127
	s_delay_alu instid0(VALU_DEP_3)
	v_cmp_lt_u32_e32 vcc_lo, 22, v125
	s_or_b32 s1, vcc_lo, s1
	s_waitcnt vmcnt(0) lgkmcnt(0)
	v_fma_f64 v[1:2], v[128:129], v[130:131], v[1:2]
	s_and_not1_b32 exec_lo, exec_lo, s1
	s_cbranch_execnz .LBB122_105
; %bb.106:
	s_or_b32 exec_lo, exec_lo, s1
	v_mov_b32_e32 v125, 0
	ds_load_b64 v[125:126], v125 offset:192
	s_waitcnt lgkmcnt(0)
	v_mul_f64 v[1:2], v[1:2], v[125:126]
	scratch_store_b64 off, v[1:2], off offset:192
.LBB122_107:
	s_or_b32 exec_lo, exec_lo, s0
	s_waitcnt_vscnt null, 0x0
	s_barrier
	buffer_gl0_inv
	scratch_load_b64 v[1:2], off, off offset:200
	;; [unrolled: 39-line block ×35, first 2 shown]
	s_mov_b32 s0, exec_lo
	s_waitcnt vmcnt(0)
	ds_store_b64 v5, v[1:2]
	s_waitcnt lgkmcnt(0)
	s_barrier
	buffer_gl0_inv
	v_cmpx_ne_u32_e32 58, v0
	s_cbranch_execz .LBB122_243
; %bb.240:
	v_mov_b32_e32 v1, 0
	v_mov_b32_e32 v2, 0
	s_mov_b32 s1, 0
.LBB122_241:                            ; =>This Inner Loop Header: Depth=1
	scratch_load_b64 v[125:126], v4, off
	ds_load_b64 v[127:128], v5
	v_add_nc_u32_e32 v124, 1, v124
	v_add_nc_u32_e32 v5, 8, v5
	;; [unrolled: 1-line block ×3, first 2 shown]
	s_delay_alu instid0(VALU_DEP_3)
	v_cmp_lt_u32_e32 vcc_lo, 56, v124
	s_or_b32 s1, vcc_lo, s1
	s_waitcnt vmcnt(0) lgkmcnt(0)
	v_fma_f64 v[1:2], v[125:126], v[127:128], v[1:2]
	s_and_not1_b32 exec_lo, exec_lo, s1
	s_cbranch_execnz .LBB122_241
; %bb.242:
	s_or_b32 exec_lo, exec_lo, s1
	v_mov_b32_e32 v3, 0
	ds_load_b64 v[3:4], v3 offset:464
	s_waitcnt lgkmcnt(0)
	v_mul_f64 v[1:2], v[1:2], v[3:4]
	scratch_store_b64 off, v[1:2], off offset:464
.LBB122_243:
	s_or_b32 exec_lo, exec_lo, s0
	s_mov_b32 s1, -1
	s_waitcnt_vscnt null, 0x0
	s_barrier
	buffer_gl0_inv
.LBB122_244:
	s_and_b32 vcc_lo, exec_lo, s1
	s_cbranch_vccz .LBB122_246
; %bb.245:
	s_lshl_b64 s[0:1], s[8:9], 2
	v_mov_b32_e32 v1, 0
	s_add_u32 s0, s6, s0
	s_addc_u32 s1, s7, s1
	global_load_b32 v1, v1, s[0:1]
	s_waitcnt vmcnt(0)
	v_cmp_ne_u32_e32 vcc_lo, 0, v1
	s_cbranch_vccz .LBB122_247
.LBB122_246:
	s_endpgm
.LBB122_247:
	v_lshl_add_u32 v5, v0, 3, 0x1e0
	s_mov_b32 s0, exec_lo
	v_cmpx_eq_u32_e32 58, v0
	s_cbranch_execz .LBB122_249
; %bb.248:
	scratch_load_b64 v[1:2], off, off offset:456
	v_mov_b32_e32 v3, 0
	s_delay_alu instid0(VALU_DEP_1)
	v_mov_b32_e32 v4, v3
	scratch_store_b64 off, v[3:4], off offset:456
	s_waitcnt vmcnt(0)
	ds_store_b64 v5, v[1:2]
.LBB122_249:
	s_or_b32 exec_lo, exec_lo, s0
	s_waitcnt lgkmcnt(0)
	s_waitcnt_vscnt null, 0x0
	s_barrier
	buffer_gl0_inv
	scratch_load_b128 v[124:127], off, off offset:456
	v_mov_b32_e32 v1, 0
	s_mov_b32 s0, exec_lo
	ds_load_b64 v[2:3], v1 offset:944
	s_waitcnt vmcnt(0) lgkmcnt(0)
	v_fma_f64 v[2:3], v[126:127], v[2:3], 0
	s_delay_alu instid0(VALU_DEP_1)
	v_add_f64 v[2:3], v[124:125], -v[2:3]
	scratch_store_b64 off, v[2:3], off offset:456
	v_cmpx_lt_u32_e32 56, v0
	s_cbranch_execz .LBB122_251
; %bb.250:
	scratch_load_b64 v[3:4], off, off offset:448
	v_mov_b32_e32 v2, v1
	scratch_store_b64 off, v[1:2], off offset:448
	s_waitcnt vmcnt(0)
	ds_store_b64 v5, v[3:4]
.LBB122_251:
	s_or_b32 exec_lo, exec_lo, s0
	s_waitcnt lgkmcnt(0)
	s_waitcnt_vscnt null, 0x0
	s_barrier
	buffer_gl0_inv
	s_clause 0x1
	scratch_load_b128 v[124:127], off, off offset:448
	scratch_load_b64 v[128:129], off, off offset:464
	ds_load_2addr_b64 v[1:4], v1 offset0:117 offset1:118
	s_mov_b32 s0, exec_lo
	s_waitcnt vmcnt(1) lgkmcnt(0)
	v_fma_f64 v[1:2], v[126:127], v[1:2], 0
	s_waitcnt vmcnt(0)
	s_delay_alu instid0(VALU_DEP_1) | instskip(NEXT) | instid1(VALU_DEP_1)
	v_fma_f64 v[1:2], v[128:129], v[3:4], v[1:2]
	v_add_f64 v[1:2], v[124:125], -v[1:2]
	scratch_store_b64 off, v[1:2], off offset:448
	v_cmpx_lt_u32_e32 55, v0
	s_cbranch_execz .LBB122_253
; %bb.252:
	scratch_load_b64 v[1:2], off, off offset:440
	v_mov_b32_e32 v3, 0
	s_delay_alu instid0(VALU_DEP_1)
	v_mov_b32_e32 v4, v3
	scratch_store_b64 off, v[3:4], off offset:440
	s_waitcnt vmcnt(0)
	ds_store_b64 v5, v[1:2]
.LBB122_253:
	s_or_b32 exec_lo, exec_lo, s0
	s_waitcnt lgkmcnt(0)
	s_waitcnt_vscnt null, 0x0
	s_barrier
	buffer_gl0_inv
	s_clause 0x1
	scratch_load_b128 v[124:127], off, off offset:440
	scratch_load_b128 v[128:131], off, off offset:456
	v_mov_b32_e32 v1, 0
	ds_load_b128 v[132:135], v1 offset:928
	ds_load_b64 v[2:3], v1 offset:944
	s_mov_b32 s0, exec_lo
	s_waitcnt vmcnt(1) lgkmcnt(1)
	v_fma_f64 v[126:127], v[126:127], v[132:133], 0
	s_waitcnt vmcnt(0)
	s_delay_alu instid0(VALU_DEP_1) | instskip(SKIP_1) | instid1(VALU_DEP_1)
	v_fma_f64 v[126:127], v[128:129], v[134:135], v[126:127]
	s_waitcnt lgkmcnt(0)
	v_fma_f64 v[2:3], v[130:131], v[2:3], v[126:127]
	s_delay_alu instid0(VALU_DEP_1)
	v_add_f64 v[2:3], v[124:125], -v[2:3]
	scratch_store_b64 off, v[2:3], off offset:440
	v_cmpx_lt_u32_e32 54, v0
	s_cbranch_execz .LBB122_255
; %bb.254:
	scratch_load_b64 v[3:4], off, off offset:432
	v_mov_b32_e32 v2, v1
	scratch_store_b64 off, v[1:2], off offset:432
	s_waitcnt vmcnt(0)
	ds_store_b64 v5, v[3:4]
.LBB122_255:
	s_or_b32 exec_lo, exec_lo, s0
	s_waitcnt lgkmcnt(0)
	s_waitcnt_vscnt null, 0x0
	s_barrier
	buffer_gl0_inv
	s_clause 0x2
	scratch_load_b128 v[124:127], off, off offset:432
	scratch_load_b128 v[128:131], off, off offset:448
	scratch_load_b64 v[136:137], off, off offset:464
	ds_load_2addr_b64 v[132:135], v1 offset0:115 offset1:116
	ds_load_2addr_b64 v[1:4], v1 offset0:117 offset1:118
	s_mov_b32 s0, exec_lo
	s_waitcnt vmcnt(2) lgkmcnt(1)
	v_fma_f64 v[126:127], v[126:127], v[132:133], 0
	s_waitcnt vmcnt(1)
	s_delay_alu instid0(VALU_DEP_1) | instskip(SKIP_1) | instid1(VALU_DEP_1)
	v_fma_f64 v[126:127], v[128:129], v[134:135], v[126:127]
	s_waitcnt lgkmcnt(0)
	v_fma_f64 v[1:2], v[130:131], v[1:2], v[126:127]
	s_waitcnt vmcnt(0)
	s_delay_alu instid0(VALU_DEP_1) | instskip(NEXT) | instid1(VALU_DEP_1)
	v_fma_f64 v[1:2], v[136:137], v[3:4], v[1:2]
	v_add_f64 v[1:2], v[124:125], -v[1:2]
	scratch_store_b64 off, v[1:2], off offset:432
	v_cmpx_lt_u32_e32 53, v0
	s_cbranch_execz .LBB122_257
; %bb.256:
	scratch_load_b64 v[1:2], off, off offset:424
	v_mov_b32_e32 v3, 0
	s_delay_alu instid0(VALU_DEP_1)
	v_mov_b32_e32 v4, v3
	scratch_store_b64 off, v[3:4], off offset:424
	s_waitcnt vmcnt(0)
	ds_store_b64 v5, v[1:2]
.LBB122_257:
	s_or_b32 exec_lo, exec_lo, s0
	s_waitcnt lgkmcnt(0)
	s_waitcnt_vscnt null, 0x0
	s_barrier
	buffer_gl0_inv
	s_clause 0x2
	scratch_load_b128 v[124:127], off, off offset:424
	scratch_load_b128 v[128:131], off, off offset:440
	;; [unrolled: 1-line block ×3, first 2 shown]
	v_mov_b32_e32 v1, 0
	ds_load_b128 v[136:139], v1 offset:912
	ds_load_b128 v[140:143], v1 offset:928
	s_mov_b32 s0, exec_lo
	s_waitcnt vmcnt(2) lgkmcnt(1)
	v_fma_f64 v[2:3], v[126:127], v[136:137], 0
	ds_load_b64 v[126:127], v1 offset:944
	s_waitcnt vmcnt(1)
	v_fma_f64 v[2:3], v[128:129], v[138:139], v[2:3]
	s_waitcnt lgkmcnt(1)
	s_delay_alu instid0(VALU_DEP_1) | instskip(SKIP_1) | instid1(VALU_DEP_1)
	v_fma_f64 v[2:3], v[130:131], v[140:141], v[2:3]
	s_waitcnt vmcnt(0)
	v_fma_f64 v[2:3], v[132:133], v[142:143], v[2:3]
	s_waitcnt lgkmcnt(0)
	s_delay_alu instid0(VALU_DEP_1) | instskip(NEXT) | instid1(VALU_DEP_1)
	v_fma_f64 v[2:3], v[134:135], v[126:127], v[2:3]
	v_add_f64 v[2:3], v[124:125], -v[2:3]
	scratch_store_b64 off, v[2:3], off offset:424
	v_cmpx_lt_u32_e32 52, v0
	s_cbranch_execz .LBB122_259
; %bb.258:
	scratch_load_b64 v[3:4], off, off offset:416
	v_mov_b32_e32 v2, v1
	scratch_store_b64 off, v[1:2], off offset:416
	s_waitcnt vmcnt(0)
	ds_store_b64 v5, v[3:4]
.LBB122_259:
	s_or_b32 exec_lo, exec_lo, s0
	s_waitcnt lgkmcnt(0)
	s_waitcnt_vscnt null, 0x0
	s_barrier
	buffer_gl0_inv
	s_clause 0x3
	scratch_load_b128 v[124:127], off, off offset:416
	scratch_load_b128 v[128:131], off, off offset:432
	scratch_load_b128 v[132:135], off, off offset:448
	scratch_load_b64 v[140:141], off, off offset:464
	ds_load_2addr_b64 v[136:139], v1 offset0:113 offset1:114
	s_mov_b32 s0, exec_lo
	s_waitcnt vmcnt(3) lgkmcnt(0)
	v_fma_f64 v[2:3], v[126:127], v[136:137], 0
	s_waitcnt vmcnt(2)
	s_delay_alu instid0(VALU_DEP_1) | instskip(SKIP_4) | instid1(VALU_DEP_1)
	v_fma_f64 v[2:3], v[128:129], v[138:139], v[2:3]
	ds_load_2addr_b64 v[126:129], v1 offset0:115 offset1:116
	s_waitcnt lgkmcnt(0)
	v_fma_f64 v[2:3], v[130:131], v[126:127], v[2:3]
	s_waitcnt vmcnt(1)
	v_fma_f64 v[126:127], v[132:133], v[128:129], v[2:3]
	ds_load_2addr_b64 v[1:4], v1 offset0:117 offset1:118
	s_waitcnt lgkmcnt(0)
	v_fma_f64 v[1:2], v[134:135], v[1:2], v[126:127]
	s_waitcnt vmcnt(0)
	s_delay_alu instid0(VALU_DEP_1) | instskip(NEXT) | instid1(VALU_DEP_1)
	v_fma_f64 v[1:2], v[140:141], v[3:4], v[1:2]
	v_add_f64 v[1:2], v[124:125], -v[1:2]
	scratch_store_b64 off, v[1:2], off offset:416
	v_cmpx_lt_u32_e32 51, v0
	s_cbranch_execz .LBB122_261
; %bb.260:
	scratch_load_b64 v[1:2], off, off offset:408
	v_mov_b32_e32 v3, 0
	s_delay_alu instid0(VALU_DEP_1)
	v_mov_b32_e32 v4, v3
	scratch_store_b64 off, v[3:4], off offset:408
	s_waitcnt vmcnt(0)
	ds_store_b64 v5, v[1:2]
.LBB122_261:
	s_or_b32 exec_lo, exec_lo, s0
	s_waitcnt lgkmcnt(0)
	s_waitcnt_vscnt null, 0x0
	s_barrier
	buffer_gl0_inv
	s_clause 0x3
	scratch_load_b128 v[124:127], off, off offset:408
	scratch_load_b128 v[128:131], off, off offset:424
	;; [unrolled: 1-line block ×4, first 2 shown]
	v_mov_b32_e32 v1, 0
	s_mov_b32 s0, exec_lo
	ds_load_b128 v[140:143], v1 offset:896
	s_waitcnt vmcnt(3) lgkmcnt(0)
	v_fma_f64 v[2:3], v[126:127], v[140:141], 0
	s_waitcnt vmcnt(2)
	s_delay_alu instid0(VALU_DEP_1) | instskip(SKIP_4) | instid1(VALU_DEP_1)
	v_fma_f64 v[2:3], v[128:129], v[142:143], v[2:3]
	ds_load_b128 v[126:129], v1 offset:912
	s_waitcnt lgkmcnt(0)
	v_fma_f64 v[2:3], v[130:131], v[126:127], v[2:3]
	s_waitcnt vmcnt(1)
	v_fma_f64 v[2:3], v[132:133], v[128:129], v[2:3]
	ds_load_b128 v[126:129], v1 offset:928
	s_waitcnt lgkmcnt(0)
	v_fma_f64 v[2:3], v[134:135], v[126:127], v[2:3]
	ds_load_b64 v[126:127], v1 offset:944
	s_waitcnt vmcnt(0)
	v_fma_f64 v[2:3], v[136:137], v[128:129], v[2:3]
	s_waitcnt lgkmcnt(0)
	s_delay_alu instid0(VALU_DEP_1) | instskip(NEXT) | instid1(VALU_DEP_1)
	v_fma_f64 v[2:3], v[138:139], v[126:127], v[2:3]
	v_add_f64 v[2:3], v[124:125], -v[2:3]
	scratch_store_b64 off, v[2:3], off offset:408
	v_cmpx_lt_u32_e32 50, v0
	s_cbranch_execz .LBB122_263
; %bb.262:
	scratch_load_b64 v[3:4], off, off offset:400
	v_mov_b32_e32 v2, v1
	scratch_store_b64 off, v[1:2], off offset:400
	s_waitcnt vmcnt(0)
	ds_store_b64 v5, v[3:4]
.LBB122_263:
	s_or_b32 exec_lo, exec_lo, s0
	s_waitcnt lgkmcnt(0)
	s_waitcnt_vscnt null, 0x0
	s_barrier
	buffer_gl0_inv
	s_clause 0x4
	scratch_load_b128 v[124:127], off, off offset:400
	scratch_load_b128 v[128:131], off, off offset:416
	;; [unrolled: 1-line block ×4, first 2 shown]
	scratch_load_b64 v[144:145], off, off offset:464
	ds_load_2addr_b64 v[140:143], v1 offset0:111 offset1:112
	s_mov_b32 s0, exec_lo
	s_waitcnt vmcnt(4) lgkmcnt(0)
	v_fma_f64 v[2:3], v[126:127], v[140:141], 0
	s_waitcnt vmcnt(3)
	s_delay_alu instid0(VALU_DEP_1) | instskip(SKIP_4) | instid1(VALU_DEP_1)
	v_fma_f64 v[2:3], v[128:129], v[142:143], v[2:3]
	ds_load_2addr_b64 v[126:129], v1 offset0:113 offset1:114
	s_waitcnt lgkmcnt(0)
	v_fma_f64 v[2:3], v[130:131], v[126:127], v[2:3]
	s_waitcnt vmcnt(2)
	v_fma_f64 v[2:3], v[132:133], v[128:129], v[2:3]
	ds_load_2addr_b64 v[126:129], v1 offset0:115 offset1:116
	s_waitcnt lgkmcnt(0)
	v_fma_f64 v[2:3], v[134:135], v[126:127], v[2:3]
	s_waitcnt vmcnt(1)
	s_delay_alu instid0(VALU_DEP_1) | instskip(SKIP_4) | instid1(VALU_DEP_1)
	v_fma_f64 v[126:127], v[136:137], v[128:129], v[2:3]
	ds_load_2addr_b64 v[1:4], v1 offset0:117 offset1:118
	s_waitcnt lgkmcnt(0)
	v_fma_f64 v[1:2], v[138:139], v[1:2], v[126:127]
	s_waitcnt vmcnt(0)
	v_fma_f64 v[1:2], v[144:145], v[3:4], v[1:2]
	s_delay_alu instid0(VALU_DEP_1)
	v_add_f64 v[1:2], v[124:125], -v[1:2]
	scratch_store_b64 off, v[1:2], off offset:400
	v_cmpx_lt_u32_e32 49, v0
	s_cbranch_execz .LBB122_265
; %bb.264:
	scratch_load_b64 v[1:2], off, off offset:392
	v_mov_b32_e32 v3, 0
	s_delay_alu instid0(VALU_DEP_1)
	v_mov_b32_e32 v4, v3
	scratch_store_b64 off, v[3:4], off offset:392
	s_waitcnt vmcnt(0)
	ds_store_b64 v5, v[1:2]
.LBB122_265:
	s_or_b32 exec_lo, exec_lo, s0
	s_waitcnt lgkmcnt(0)
	s_waitcnt_vscnt null, 0x0
	s_barrier
	buffer_gl0_inv
	s_clause 0x4
	scratch_load_b128 v[124:127], off, off offset:392
	scratch_load_b128 v[128:131], off, off offset:408
	;; [unrolled: 1-line block ×5, first 2 shown]
	v_mov_b32_e32 v1, 0
	ds_load_b128 v[144:147], v1 offset:880
	ds_load_b128 v[148:151], v1 offset:896
	s_mov_b32 s0, exec_lo
	s_waitcnt vmcnt(4) lgkmcnt(1)
	v_fma_f64 v[2:3], v[126:127], v[144:145], 0
	s_waitcnt vmcnt(3)
	s_delay_alu instid0(VALU_DEP_1) | instskip(SKIP_1) | instid1(VALU_DEP_1)
	v_fma_f64 v[2:3], v[128:129], v[146:147], v[2:3]
	s_waitcnt lgkmcnt(0)
	v_fma_f64 v[2:3], v[130:131], v[148:149], v[2:3]
	s_waitcnt vmcnt(2)
	s_delay_alu instid0(VALU_DEP_1)
	v_fma_f64 v[2:3], v[132:133], v[150:151], v[2:3]
	ds_load_b128 v[126:129], v1 offset:912
	ds_load_b128 v[130:133], v1 offset:928
	s_waitcnt lgkmcnt(1)
	v_fma_f64 v[2:3], v[134:135], v[126:127], v[2:3]
	ds_load_b64 v[126:127], v1 offset:944
	s_waitcnt vmcnt(1)
	v_fma_f64 v[2:3], v[136:137], v[128:129], v[2:3]
	s_waitcnt lgkmcnt(1)
	s_delay_alu instid0(VALU_DEP_1) | instskip(SKIP_1) | instid1(VALU_DEP_1)
	v_fma_f64 v[2:3], v[138:139], v[130:131], v[2:3]
	s_waitcnt vmcnt(0)
	v_fma_f64 v[2:3], v[140:141], v[132:133], v[2:3]
	s_waitcnt lgkmcnt(0)
	s_delay_alu instid0(VALU_DEP_1) | instskip(NEXT) | instid1(VALU_DEP_1)
	v_fma_f64 v[2:3], v[142:143], v[126:127], v[2:3]
	v_add_f64 v[2:3], v[124:125], -v[2:3]
	scratch_store_b64 off, v[2:3], off offset:392
	v_cmpx_lt_u32_e32 48, v0
	s_cbranch_execz .LBB122_267
; %bb.266:
	scratch_load_b64 v[3:4], off, off offset:384
	v_mov_b32_e32 v2, v1
	scratch_store_b64 off, v[1:2], off offset:384
	s_waitcnt vmcnt(0)
	ds_store_b64 v5, v[3:4]
.LBB122_267:
	s_or_b32 exec_lo, exec_lo, s0
	s_waitcnt lgkmcnt(0)
	s_waitcnt_vscnt null, 0x0
	s_barrier
	buffer_gl0_inv
	s_clause 0x4
	scratch_load_b128 v[124:127], off, off offset:384
	scratch_load_b128 v[128:131], off, off offset:400
	;; [unrolled: 1-line block ×5, first 2 shown]
	ds_load_2addr_b64 v[144:147], v1 offset0:109 offset1:110
	ds_load_2addr_b64 v[148:151], v1 offset0:111 offset1:112
	s_mov_b32 s0, exec_lo
	s_waitcnt vmcnt(4) lgkmcnt(1)
	v_fma_f64 v[2:3], v[126:127], v[144:145], 0
	scratch_load_b64 v[144:145], off, off offset:464
	s_waitcnt vmcnt(4)
	v_fma_f64 v[2:3], v[128:129], v[146:147], v[2:3]
	s_waitcnt lgkmcnt(0)
	s_delay_alu instid0(VALU_DEP_1) | instskip(SKIP_1) | instid1(VALU_DEP_1)
	v_fma_f64 v[2:3], v[130:131], v[148:149], v[2:3]
	s_waitcnt vmcnt(3)
	v_fma_f64 v[2:3], v[132:133], v[150:151], v[2:3]
	ds_load_2addr_b64 v[126:129], v1 offset0:113 offset1:114
	ds_load_2addr_b64 v[130:133], v1 offset0:115 offset1:116
	s_waitcnt lgkmcnt(1)
	v_fma_f64 v[2:3], v[134:135], v[126:127], v[2:3]
	s_waitcnt vmcnt(2)
	s_delay_alu instid0(VALU_DEP_1) | instskip(SKIP_1) | instid1(VALU_DEP_1)
	v_fma_f64 v[2:3], v[136:137], v[128:129], v[2:3]
	s_waitcnt lgkmcnt(0)
	v_fma_f64 v[2:3], v[138:139], v[130:131], v[2:3]
	s_waitcnt vmcnt(1)
	s_delay_alu instid0(VALU_DEP_1) | instskip(SKIP_4) | instid1(VALU_DEP_1)
	v_fma_f64 v[126:127], v[140:141], v[132:133], v[2:3]
	ds_load_2addr_b64 v[1:4], v1 offset0:117 offset1:118
	s_waitcnt lgkmcnt(0)
	v_fma_f64 v[1:2], v[142:143], v[1:2], v[126:127]
	s_waitcnt vmcnt(0)
	v_fma_f64 v[1:2], v[144:145], v[3:4], v[1:2]
	s_delay_alu instid0(VALU_DEP_1)
	v_add_f64 v[1:2], v[124:125], -v[1:2]
	scratch_store_b64 off, v[1:2], off offset:384
	v_cmpx_lt_u32_e32 47, v0
	s_cbranch_execz .LBB122_269
; %bb.268:
	scratch_load_b64 v[1:2], off, off offset:376
	v_mov_b32_e32 v3, 0
	s_delay_alu instid0(VALU_DEP_1)
	v_mov_b32_e32 v4, v3
	scratch_store_b64 off, v[3:4], off offset:376
	s_waitcnt vmcnt(0)
	ds_store_b64 v5, v[1:2]
.LBB122_269:
	s_or_b32 exec_lo, exec_lo, s0
	s_waitcnt lgkmcnt(0)
	s_waitcnt_vscnt null, 0x0
	s_barrier
	buffer_gl0_inv
	s_clause 0x4
	scratch_load_b128 v[124:127], off, off offset:376
	scratch_load_b128 v[128:131], off, off offset:392
	;; [unrolled: 1-line block ×5, first 2 shown]
	v_mov_b32_e32 v1, 0
	ds_load_b128 v[144:147], v1 offset:864
	ds_load_b128 v[148:151], v1 offset:880
	scratch_load_b128 v[152:155], off, off offset:456
	s_mov_b32 s0, exec_lo
	s_waitcnt vmcnt(5) lgkmcnt(1)
	v_fma_f64 v[2:3], v[126:127], v[144:145], 0
	s_waitcnt vmcnt(4)
	s_delay_alu instid0(VALU_DEP_1) | instskip(SKIP_1) | instid1(VALU_DEP_1)
	v_fma_f64 v[2:3], v[128:129], v[146:147], v[2:3]
	s_waitcnt lgkmcnt(0)
	v_fma_f64 v[2:3], v[130:131], v[148:149], v[2:3]
	s_waitcnt vmcnt(3)
	s_delay_alu instid0(VALU_DEP_1)
	v_fma_f64 v[2:3], v[132:133], v[150:151], v[2:3]
	ds_load_b128 v[126:129], v1 offset:896
	ds_load_b128 v[130:133], v1 offset:912
	s_waitcnt lgkmcnt(1)
	v_fma_f64 v[2:3], v[134:135], v[126:127], v[2:3]
	s_waitcnt vmcnt(2)
	s_delay_alu instid0(VALU_DEP_1) | instskip(SKIP_1) | instid1(VALU_DEP_1)
	v_fma_f64 v[2:3], v[136:137], v[128:129], v[2:3]
	s_waitcnt lgkmcnt(0)
	v_fma_f64 v[2:3], v[138:139], v[130:131], v[2:3]
	ds_load_b128 v[126:129], v1 offset:928
	ds_load_b64 v[130:131], v1 offset:944
	s_waitcnt vmcnt(1)
	v_fma_f64 v[2:3], v[140:141], v[132:133], v[2:3]
	s_waitcnt lgkmcnt(1)
	s_delay_alu instid0(VALU_DEP_1) | instskip(SKIP_1) | instid1(VALU_DEP_1)
	v_fma_f64 v[2:3], v[142:143], v[126:127], v[2:3]
	s_waitcnt vmcnt(0)
	v_fma_f64 v[2:3], v[152:153], v[128:129], v[2:3]
	s_waitcnt lgkmcnt(0)
	s_delay_alu instid0(VALU_DEP_1) | instskip(NEXT) | instid1(VALU_DEP_1)
	v_fma_f64 v[2:3], v[154:155], v[130:131], v[2:3]
	v_add_f64 v[2:3], v[124:125], -v[2:3]
	scratch_store_b64 off, v[2:3], off offset:376
	v_cmpx_lt_u32_e32 46, v0
	s_cbranch_execz .LBB122_271
; %bb.270:
	scratch_load_b64 v[3:4], off, off offset:368
	v_mov_b32_e32 v2, v1
	scratch_store_b64 off, v[1:2], off offset:368
	s_waitcnt vmcnt(0)
	ds_store_b64 v5, v[3:4]
.LBB122_271:
	s_or_b32 exec_lo, exec_lo, s0
	s_waitcnt lgkmcnt(0)
	s_waitcnt_vscnt null, 0x0
	s_barrier
	buffer_gl0_inv
	s_clause 0x4
	scratch_load_b128 v[124:127], off, off offset:368
	scratch_load_b128 v[128:131], off, off offset:384
	;; [unrolled: 1-line block ×5, first 2 shown]
	ds_load_2addr_b64 v[144:147], v1 offset0:107 offset1:108
	ds_load_2addr_b64 v[148:151], v1 offset0:109 offset1:110
	scratch_load_b128 v[152:155], off, off offset:448
	s_mov_b32 s0, exec_lo
	s_waitcnt vmcnt(5) lgkmcnt(1)
	v_fma_f64 v[2:3], v[126:127], v[144:145], 0
	scratch_load_b64 v[144:145], off, off offset:464
	s_waitcnt vmcnt(5)
	v_fma_f64 v[2:3], v[128:129], v[146:147], v[2:3]
	s_waitcnt lgkmcnt(0)
	s_delay_alu instid0(VALU_DEP_1) | instskip(SKIP_1) | instid1(VALU_DEP_1)
	v_fma_f64 v[2:3], v[130:131], v[148:149], v[2:3]
	s_waitcnt vmcnt(4)
	v_fma_f64 v[2:3], v[132:133], v[150:151], v[2:3]
	ds_load_2addr_b64 v[126:129], v1 offset0:111 offset1:112
	ds_load_2addr_b64 v[130:133], v1 offset0:113 offset1:114
	s_waitcnt lgkmcnt(1)
	v_fma_f64 v[2:3], v[134:135], v[126:127], v[2:3]
	s_waitcnt vmcnt(3)
	s_delay_alu instid0(VALU_DEP_1) | instskip(SKIP_1) | instid1(VALU_DEP_1)
	v_fma_f64 v[2:3], v[136:137], v[128:129], v[2:3]
	s_waitcnt lgkmcnt(0)
	v_fma_f64 v[2:3], v[138:139], v[130:131], v[2:3]
	s_waitcnt vmcnt(2)
	s_delay_alu instid0(VALU_DEP_1)
	v_fma_f64 v[130:131], v[140:141], v[132:133], v[2:3]
	ds_load_2addr_b64 v[126:129], v1 offset0:115 offset1:116
	ds_load_2addr_b64 v[1:4], v1 offset0:117 offset1:118
	s_waitcnt lgkmcnt(1)
	v_fma_f64 v[126:127], v[142:143], v[126:127], v[130:131]
	s_waitcnt vmcnt(1)
	s_delay_alu instid0(VALU_DEP_1) | instskip(SKIP_1) | instid1(VALU_DEP_1)
	v_fma_f64 v[126:127], v[152:153], v[128:129], v[126:127]
	s_waitcnt lgkmcnt(0)
	v_fma_f64 v[1:2], v[154:155], v[1:2], v[126:127]
	s_waitcnt vmcnt(0)
	s_delay_alu instid0(VALU_DEP_1) | instskip(NEXT) | instid1(VALU_DEP_1)
	v_fma_f64 v[1:2], v[144:145], v[3:4], v[1:2]
	v_add_f64 v[1:2], v[124:125], -v[1:2]
	scratch_store_b64 off, v[1:2], off offset:368
	v_cmpx_lt_u32_e32 45, v0
	s_cbranch_execz .LBB122_273
; %bb.272:
	scratch_load_b64 v[1:2], off, off offset:360
	v_mov_b32_e32 v3, 0
	s_delay_alu instid0(VALU_DEP_1)
	v_mov_b32_e32 v4, v3
	scratch_store_b64 off, v[3:4], off offset:360
	s_waitcnt vmcnt(0)
	ds_store_b64 v5, v[1:2]
.LBB122_273:
	s_or_b32 exec_lo, exec_lo, s0
	s_waitcnt lgkmcnt(0)
	s_waitcnt_vscnt null, 0x0
	s_barrier
	buffer_gl0_inv
	s_clause 0x4
	scratch_load_b128 v[124:127], off, off offset:360
	scratch_load_b128 v[128:131], off, off offset:376
	;; [unrolled: 1-line block ×5, first 2 shown]
	v_mov_b32_e32 v1, 0
	ds_load_b128 v[144:147], v1 offset:848
	ds_load_b128 v[148:151], v1 offset:864
	scratch_load_b128 v[152:155], off, off offset:440
	s_mov_b32 s0, exec_lo
	s_waitcnt vmcnt(5) lgkmcnt(1)
	v_fma_f64 v[2:3], v[126:127], v[144:145], 0
	s_waitcnt vmcnt(4)
	s_delay_alu instid0(VALU_DEP_1) | instskip(SKIP_4) | instid1(VALU_DEP_1)
	v_fma_f64 v[2:3], v[128:129], v[146:147], v[2:3]
	scratch_load_b128 v[126:129], off, off offset:456
	s_waitcnt lgkmcnt(0)
	v_fma_f64 v[2:3], v[130:131], v[148:149], v[2:3]
	s_waitcnt vmcnt(4)
	v_fma_f64 v[2:3], v[132:133], v[150:151], v[2:3]
	ds_load_b128 v[130:133], v1 offset:880
	ds_load_b128 v[144:147], v1 offset:896
	s_waitcnt lgkmcnt(1)
	v_fma_f64 v[2:3], v[134:135], v[130:131], v[2:3]
	s_waitcnt vmcnt(3)
	s_delay_alu instid0(VALU_DEP_1)
	v_fma_f64 v[2:3], v[136:137], v[132:133], v[2:3]
	ds_load_b128 v[130:133], v1 offset:912
	ds_load_b128 v[134:137], v1 offset:928
	s_waitcnt lgkmcnt(2)
	v_fma_f64 v[2:3], v[138:139], v[144:145], v[2:3]
	s_waitcnt vmcnt(2)
	s_delay_alu instid0(VALU_DEP_1) | instskip(SKIP_1) | instid1(VALU_DEP_1)
	v_fma_f64 v[2:3], v[140:141], v[146:147], v[2:3]
	s_waitcnt lgkmcnt(1)
	v_fma_f64 v[2:3], v[142:143], v[130:131], v[2:3]
	s_waitcnt vmcnt(1)
	s_delay_alu instid0(VALU_DEP_1) | instskip(SKIP_1) | instid1(VALU_DEP_1)
	v_fma_f64 v[2:3], v[152:153], v[132:133], v[2:3]
	s_waitcnt lgkmcnt(0)
	v_fma_f64 v[2:3], v[154:155], v[134:135], v[2:3]
	s_waitcnt vmcnt(0)
	s_delay_alu instid0(VALU_DEP_1) | instskip(SKIP_3) | instid1(VALU_DEP_1)
	v_fma_f64 v[2:3], v[126:127], v[136:137], v[2:3]
	ds_load_b64 v[126:127], v1 offset:944
	s_waitcnt lgkmcnt(0)
	v_fma_f64 v[2:3], v[128:129], v[126:127], v[2:3]
	v_add_f64 v[2:3], v[124:125], -v[2:3]
	scratch_store_b64 off, v[2:3], off offset:360
	v_cmpx_lt_u32_e32 44, v0
	s_cbranch_execz .LBB122_275
; %bb.274:
	scratch_load_b64 v[3:4], off, off offset:352
	v_mov_b32_e32 v2, v1
	scratch_store_b64 off, v[1:2], off offset:352
	s_waitcnt vmcnt(0)
	ds_store_b64 v5, v[3:4]
.LBB122_275:
	s_or_b32 exec_lo, exec_lo, s0
	s_waitcnt lgkmcnt(0)
	s_waitcnt_vscnt null, 0x0
	s_barrier
	buffer_gl0_inv
	s_clause 0x4
	scratch_load_b128 v[124:127], off, off offset:352
	scratch_load_b128 v[128:131], off, off offset:368
	;; [unrolled: 1-line block ×5, first 2 shown]
	ds_load_2addr_b64 v[144:147], v1 offset0:105 offset1:106
	ds_load_2addr_b64 v[148:151], v1 offset0:107 offset1:108
	scratch_load_b128 v[152:155], off, off offset:432
	s_mov_b32 s0, exec_lo
	s_waitcnt vmcnt(5) lgkmcnt(1)
	v_fma_f64 v[2:3], v[126:127], v[144:145], 0
	s_waitcnt vmcnt(4)
	s_delay_alu instid0(VALU_DEP_1) | instskip(SKIP_4) | instid1(VALU_DEP_1)
	v_fma_f64 v[2:3], v[128:129], v[146:147], v[2:3]
	scratch_load_b128 v[126:129], off, off offset:448
	s_waitcnt lgkmcnt(0)
	v_fma_f64 v[2:3], v[130:131], v[148:149], v[2:3]
	s_waitcnt vmcnt(4)
	v_fma_f64 v[2:3], v[132:133], v[150:151], v[2:3]
	ds_load_2addr_b64 v[130:133], v1 offset0:109 offset1:110
	ds_load_2addr_b64 v[144:147], v1 offset0:111 offset1:112
	scratch_load_b64 v[148:149], off, off offset:464
	s_waitcnt lgkmcnt(1)
	v_fma_f64 v[2:3], v[134:135], v[130:131], v[2:3]
	s_waitcnt vmcnt(4)
	s_delay_alu instid0(VALU_DEP_1)
	v_fma_f64 v[2:3], v[136:137], v[132:133], v[2:3]
	ds_load_2addr_b64 v[130:133], v1 offset0:113 offset1:114
	ds_load_2addr_b64 v[134:137], v1 offset0:115 offset1:116
	s_waitcnt lgkmcnt(2)
	v_fma_f64 v[2:3], v[138:139], v[144:145], v[2:3]
	s_waitcnt vmcnt(3)
	s_delay_alu instid0(VALU_DEP_1) | instskip(SKIP_1) | instid1(VALU_DEP_1)
	v_fma_f64 v[2:3], v[140:141], v[146:147], v[2:3]
	s_waitcnt lgkmcnt(1)
	v_fma_f64 v[2:3], v[142:143], v[130:131], v[2:3]
	s_waitcnt vmcnt(2)
	s_delay_alu instid0(VALU_DEP_1) | instskip(SKIP_1) | instid1(VALU_DEP_1)
	v_fma_f64 v[2:3], v[152:153], v[132:133], v[2:3]
	s_waitcnt lgkmcnt(0)
	v_fma_f64 v[2:3], v[154:155], v[134:135], v[2:3]
	s_waitcnt vmcnt(1)
	s_delay_alu instid0(VALU_DEP_1) | instskip(SKIP_4) | instid1(VALU_DEP_1)
	v_fma_f64 v[126:127], v[126:127], v[136:137], v[2:3]
	ds_load_2addr_b64 v[1:4], v1 offset0:117 offset1:118
	s_waitcnt lgkmcnt(0)
	v_fma_f64 v[1:2], v[128:129], v[1:2], v[126:127]
	s_waitcnt vmcnt(0)
	v_fma_f64 v[1:2], v[148:149], v[3:4], v[1:2]
	s_delay_alu instid0(VALU_DEP_1)
	v_add_f64 v[1:2], v[124:125], -v[1:2]
	scratch_store_b64 off, v[1:2], off offset:352
	v_cmpx_lt_u32_e32 43, v0
	s_cbranch_execz .LBB122_277
; %bb.276:
	scratch_load_b64 v[1:2], off, off offset:344
	v_mov_b32_e32 v3, 0
	s_delay_alu instid0(VALU_DEP_1)
	v_mov_b32_e32 v4, v3
	scratch_store_b64 off, v[3:4], off offset:344
	s_waitcnt vmcnt(0)
	ds_store_b64 v5, v[1:2]
.LBB122_277:
	s_or_b32 exec_lo, exec_lo, s0
	s_waitcnt lgkmcnt(0)
	s_waitcnt_vscnt null, 0x0
	s_barrier
	buffer_gl0_inv
	s_clause 0x4
	scratch_load_b128 v[124:127], off, off offset:344
	scratch_load_b128 v[128:131], off, off offset:360
	;; [unrolled: 1-line block ×5, first 2 shown]
	v_mov_b32_e32 v1, 0
	ds_load_b128 v[144:147], v1 offset:832
	ds_load_b128 v[148:151], v1 offset:848
	scratch_load_b128 v[152:155], off, off offset:424
	s_mov_b32 s0, exec_lo
	s_waitcnt vmcnt(5) lgkmcnt(1)
	v_fma_f64 v[2:3], v[126:127], v[144:145], 0
	s_waitcnt vmcnt(4)
	s_delay_alu instid0(VALU_DEP_1) | instskip(SKIP_4) | instid1(VALU_DEP_1)
	v_fma_f64 v[2:3], v[128:129], v[146:147], v[2:3]
	scratch_load_b128 v[126:129], off, off offset:440
	s_waitcnt lgkmcnt(0)
	v_fma_f64 v[2:3], v[130:131], v[148:149], v[2:3]
	s_waitcnt vmcnt(4)
	v_fma_f64 v[2:3], v[132:133], v[150:151], v[2:3]
	ds_load_b128 v[130:133], v1 offset:864
	ds_load_b128 v[144:147], v1 offset:880
	scratch_load_b128 v[148:151], off, off offset:456
	s_waitcnt lgkmcnt(1)
	v_fma_f64 v[2:3], v[134:135], v[130:131], v[2:3]
	s_waitcnt vmcnt(4)
	s_delay_alu instid0(VALU_DEP_1)
	v_fma_f64 v[2:3], v[136:137], v[132:133], v[2:3]
	ds_load_b128 v[130:133], v1 offset:896
	ds_load_b128 v[134:137], v1 offset:912
	s_waitcnt lgkmcnt(2)
	v_fma_f64 v[2:3], v[138:139], v[144:145], v[2:3]
	s_waitcnt vmcnt(3)
	s_delay_alu instid0(VALU_DEP_1) | instskip(SKIP_1) | instid1(VALU_DEP_1)
	v_fma_f64 v[2:3], v[140:141], v[146:147], v[2:3]
	s_waitcnt lgkmcnt(1)
	v_fma_f64 v[2:3], v[142:143], v[130:131], v[2:3]
	s_waitcnt vmcnt(2)
	s_delay_alu instid0(VALU_DEP_1) | instskip(SKIP_1) | instid1(VALU_DEP_1)
	v_fma_f64 v[2:3], v[152:153], v[132:133], v[2:3]
	s_waitcnt lgkmcnt(0)
	v_fma_f64 v[2:3], v[154:155], v[134:135], v[2:3]
	s_waitcnt vmcnt(1)
	s_delay_alu instid0(VALU_DEP_1)
	v_fma_f64 v[2:3], v[126:127], v[136:137], v[2:3]
	ds_load_b128 v[130:133], v1 offset:928
	ds_load_b64 v[126:127], v1 offset:944
	s_waitcnt lgkmcnt(1)
	v_fma_f64 v[2:3], v[128:129], v[130:131], v[2:3]
	s_waitcnt vmcnt(0)
	s_delay_alu instid0(VALU_DEP_1) | instskip(SKIP_1) | instid1(VALU_DEP_1)
	v_fma_f64 v[2:3], v[148:149], v[132:133], v[2:3]
	s_waitcnt lgkmcnt(0)
	v_fma_f64 v[2:3], v[150:151], v[126:127], v[2:3]
	s_delay_alu instid0(VALU_DEP_1)
	v_add_f64 v[2:3], v[124:125], -v[2:3]
	scratch_store_b64 off, v[2:3], off offset:344
	v_cmpx_lt_u32_e32 42, v0
	s_cbranch_execz .LBB122_279
; %bb.278:
	scratch_load_b64 v[3:4], off, off offset:336
	v_mov_b32_e32 v2, v1
	scratch_store_b64 off, v[1:2], off offset:336
	s_waitcnt vmcnt(0)
	ds_store_b64 v5, v[3:4]
.LBB122_279:
	s_or_b32 exec_lo, exec_lo, s0
	s_waitcnt lgkmcnt(0)
	s_waitcnt_vscnt null, 0x0
	s_barrier
	buffer_gl0_inv
	s_clause 0x4
	scratch_load_b128 v[124:127], off, off offset:336
	scratch_load_b128 v[128:131], off, off offset:352
	;; [unrolled: 1-line block ×5, first 2 shown]
	ds_load_2addr_b64 v[144:147], v1 offset0:103 offset1:104
	ds_load_2addr_b64 v[148:151], v1 offset0:105 offset1:106
	scratch_load_b128 v[152:155], off, off offset:416
	s_mov_b32 s0, exec_lo
	s_waitcnt vmcnt(5) lgkmcnt(1)
	v_fma_f64 v[2:3], v[126:127], v[144:145], 0
	s_waitcnt vmcnt(4)
	s_delay_alu instid0(VALU_DEP_1) | instskip(SKIP_4) | instid1(VALU_DEP_1)
	v_fma_f64 v[2:3], v[128:129], v[146:147], v[2:3]
	scratch_load_b128 v[126:129], off, off offset:432
	s_waitcnt lgkmcnt(0)
	v_fma_f64 v[2:3], v[130:131], v[148:149], v[2:3]
	s_waitcnt vmcnt(4)
	v_fma_f64 v[2:3], v[132:133], v[150:151], v[2:3]
	ds_load_2addr_b64 v[130:133], v1 offset0:107 offset1:108
	ds_load_2addr_b64 v[144:147], v1 offset0:109 offset1:110
	scratch_load_b128 v[148:151], off, off offset:448
	s_waitcnt lgkmcnt(1)
	v_fma_f64 v[2:3], v[134:135], v[130:131], v[2:3]
	s_waitcnt vmcnt(4)
	s_delay_alu instid0(VALU_DEP_1) | instskip(SKIP_1) | instid1(VALU_DEP_1)
	v_fma_f64 v[2:3], v[136:137], v[132:133], v[2:3]
	s_waitcnt lgkmcnt(0)
	v_fma_f64 v[2:3], v[138:139], v[144:145], v[2:3]
	scratch_load_b64 v[138:139], off, off offset:464
	ds_load_2addr_b64 v[130:133], v1 offset0:111 offset1:112
	ds_load_2addr_b64 v[134:137], v1 offset0:113 offset1:114
	s_waitcnt vmcnt(4)
	v_fma_f64 v[2:3], v[140:141], v[146:147], v[2:3]
	s_waitcnt lgkmcnt(1)
	s_delay_alu instid0(VALU_DEP_1) | instskip(SKIP_1) | instid1(VALU_DEP_1)
	v_fma_f64 v[2:3], v[142:143], v[130:131], v[2:3]
	s_waitcnt vmcnt(3)
	v_fma_f64 v[2:3], v[152:153], v[132:133], v[2:3]
	s_waitcnt lgkmcnt(0)
	s_delay_alu instid0(VALU_DEP_1) | instskip(SKIP_1) | instid1(VALU_DEP_1)
	v_fma_f64 v[2:3], v[154:155], v[134:135], v[2:3]
	s_waitcnt vmcnt(2)
	v_fma_f64 v[126:127], v[126:127], v[136:137], v[2:3]
	ds_load_2addr_b64 v[130:133], v1 offset0:115 offset1:116
	ds_load_2addr_b64 v[1:4], v1 offset0:117 offset1:118
	s_waitcnt lgkmcnt(1)
	v_fma_f64 v[126:127], v[128:129], v[130:131], v[126:127]
	s_waitcnt vmcnt(1)
	s_delay_alu instid0(VALU_DEP_1) | instskip(SKIP_1) | instid1(VALU_DEP_1)
	v_fma_f64 v[126:127], v[148:149], v[132:133], v[126:127]
	s_waitcnt lgkmcnt(0)
	v_fma_f64 v[1:2], v[150:151], v[1:2], v[126:127]
	s_waitcnt vmcnt(0)
	s_delay_alu instid0(VALU_DEP_1) | instskip(NEXT) | instid1(VALU_DEP_1)
	v_fma_f64 v[1:2], v[138:139], v[3:4], v[1:2]
	v_add_f64 v[1:2], v[124:125], -v[1:2]
	scratch_store_b64 off, v[1:2], off offset:336
	v_cmpx_lt_u32_e32 41, v0
	s_cbranch_execz .LBB122_281
; %bb.280:
	scratch_load_b64 v[1:2], off, off offset:328
	v_mov_b32_e32 v3, 0
	s_delay_alu instid0(VALU_DEP_1)
	v_mov_b32_e32 v4, v3
	scratch_store_b64 off, v[3:4], off offset:328
	s_waitcnt vmcnt(0)
	ds_store_b64 v5, v[1:2]
.LBB122_281:
	s_or_b32 exec_lo, exec_lo, s0
	s_waitcnt lgkmcnt(0)
	s_waitcnt_vscnt null, 0x0
	s_barrier
	buffer_gl0_inv
	s_clause 0x4
	scratch_load_b128 v[124:127], off, off offset:328
	scratch_load_b128 v[128:131], off, off offset:344
	;; [unrolled: 1-line block ×5, first 2 shown]
	v_mov_b32_e32 v1, 0
	ds_load_b128 v[144:147], v1 offset:816
	ds_load_b128 v[148:151], v1 offset:832
	scratch_load_b128 v[152:155], off, off offset:408
	s_mov_b32 s0, exec_lo
	s_waitcnt vmcnt(5) lgkmcnt(1)
	v_fma_f64 v[2:3], v[126:127], v[144:145], 0
	s_waitcnt vmcnt(4)
	s_delay_alu instid0(VALU_DEP_1) | instskip(SKIP_4) | instid1(VALU_DEP_1)
	v_fma_f64 v[2:3], v[128:129], v[146:147], v[2:3]
	scratch_load_b128 v[126:129], off, off offset:424
	s_waitcnt lgkmcnt(0)
	v_fma_f64 v[2:3], v[130:131], v[148:149], v[2:3]
	s_waitcnt vmcnt(4)
	v_fma_f64 v[2:3], v[132:133], v[150:151], v[2:3]
	ds_load_b128 v[130:133], v1 offset:848
	ds_load_b128 v[144:147], v1 offset:864
	scratch_load_b128 v[148:151], off, off offset:440
	s_waitcnt lgkmcnt(1)
	v_fma_f64 v[2:3], v[134:135], v[130:131], v[2:3]
	s_waitcnt vmcnt(4)
	s_delay_alu instid0(VALU_DEP_1) | instskip(SKIP_4) | instid1(VALU_DEP_1)
	v_fma_f64 v[2:3], v[136:137], v[132:133], v[2:3]
	scratch_load_b128 v[130:133], off, off offset:456
	s_waitcnt lgkmcnt(0)
	v_fma_f64 v[2:3], v[138:139], v[144:145], v[2:3]
	s_waitcnt vmcnt(4)
	v_fma_f64 v[2:3], v[140:141], v[146:147], v[2:3]
	ds_load_b128 v[134:137], v1 offset:880
	ds_load_b128 v[138:141], v1 offset:896
	s_waitcnt lgkmcnt(1)
	v_fma_f64 v[2:3], v[142:143], v[134:135], v[2:3]
	s_waitcnt vmcnt(3)
	s_delay_alu instid0(VALU_DEP_1) | instskip(SKIP_1) | instid1(VALU_DEP_1)
	v_fma_f64 v[2:3], v[152:153], v[136:137], v[2:3]
	s_waitcnt lgkmcnt(0)
	v_fma_f64 v[2:3], v[154:155], v[138:139], v[2:3]
	s_waitcnt vmcnt(2)
	s_delay_alu instid0(VALU_DEP_1)
	v_fma_f64 v[2:3], v[126:127], v[140:141], v[2:3]
	ds_load_b128 v[134:137], v1 offset:912
	ds_load_b128 v[138:141], v1 offset:928
	ds_load_b64 v[126:127], v1 offset:944
	s_waitcnt lgkmcnt(2)
	v_fma_f64 v[2:3], v[128:129], v[134:135], v[2:3]
	s_waitcnt vmcnt(1)
	s_delay_alu instid0(VALU_DEP_1) | instskip(SKIP_1) | instid1(VALU_DEP_1)
	v_fma_f64 v[2:3], v[148:149], v[136:137], v[2:3]
	s_waitcnt lgkmcnt(1)
	v_fma_f64 v[2:3], v[150:151], v[138:139], v[2:3]
	s_waitcnt vmcnt(0)
	s_delay_alu instid0(VALU_DEP_1) | instskip(SKIP_1) | instid1(VALU_DEP_1)
	v_fma_f64 v[2:3], v[130:131], v[140:141], v[2:3]
	s_waitcnt lgkmcnt(0)
	v_fma_f64 v[2:3], v[132:133], v[126:127], v[2:3]
	s_delay_alu instid0(VALU_DEP_1)
	v_add_f64 v[2:3], v[124:125], -v[2:3]
	scratch_store_b64 off, v[2:3], off offset:328
	v_cmpx_lt_u32_e32 40, v0
	s_cbranch_execz .LBB122_283
; %bb.282:
	scratch_load_b64 v[3:4], off, off offset:320
	v_mov_b32_e32 v2, v1
	scratch_store_b64 off, v[1:2], off offset:320
	s_waitcnt vmcnt(0)
	ds_store_b64 v5, v[3:4]
.LBB122_283:
	s_or_b32 exec_lo, exec_lo, s0
	s_waitcnt lgkmcnt(0)
	s_waitcnt_vscnt null, 0x0
	s_barrier
	buffer_gl0_inv
	s_clause 0x4
	scratch_load_b128 v[124:127], off, off offset:320
	scratch_load_b128 v[128:131], off, off offset:336
	;; [unrolled: 1-line block ×5, first 2 shown]
	ds_load_2addr_b64 v[144:147], v1 offset0:101 offset1:102
	ds_load_2addr_b64 v[148:151], v1 offset0:103 offset1:104
	scratch_load_b128 v[152:155], off, off offset:400
	s_mov_b32 s0, exec_lo
	s_waitcnt vmcnt(5) lgkmcnt(1)
	v_fma_f64 v[2:3], v[126:127], v[144:145], 0
	s_waitcnt vmcnt(4)
	s_delay_alu instid0(VALU_DEP_1) | instskip(SKIP_4) | instid1(VALU_DEP_1)
	v_fma_f64 v[2:3], v[128:129], v[146:147], v[2:3]
	scratch_load_b128 v[126:129], off, off offset:416
	s_waitcnt lgkmcnt(0)
	v_fma_f64 v[2:3], v[130:131], v[148:149], v[2:3]
	s_waitcnt vmcnt(4)
	v_fma_f64 v[2:3], v[132:133], v[150:151], v[2:3]
	ds_load_2addr_b64 v[130:133], v1 offset0:105 offset1:106
	ds_load_2addr_b64 v[144:147], v1 offset0:107 offset1:108
	scratch_load_b128 v[148:151], off, off offset:432
	s_waitcnt lgkmcnt(1)
	v_fma_f64 v[2:3], v[134:135], v[130:131], v[2:3]
	s_waitcnt vmcnt(4)
	s_delay_alu instid0(VALU_DEP_1) | instskip(SKIP_4) | instid1(VALU_DEP_1)
	v_fma_f64 v[2:3], v[136:137], v[132:133], v[2:3]
	scratch_load_b128 v[130:133], off, off offset:448
	s_waitcnt lgkmcnt(0)
	v_fma_f64 v[2:3], v[138:139], v[144:145], v[2:3]
	s_waitcnt vmcnt(4)
	v_fma_f64 v[2:3], v[140:141], v[146:147], v[2:3]
	ds_load_2addr_b64 v[134:137], v1 offset0:109 offset1:110
	ds_load_2addr_b64 v[138:141], v1 offset0:111 offset1:112
	s_waitcnt lgkmcnt(1)
	v_fma_f64 v[2:3], v[142:143], v[134:135], v[2:3]
	scratch_load_b64 v[142:143], off, off offset:464
	s_waitcnt vmcnt(4)
	v_fma_f64 v[2:3], v[152:153], v[136:137], v[2:3]
	s_waitcnt lgkmcnt(0)
	s_delay_alu instid0(VALU_DEP_1) | instskip(SKIP_1) | instid1(VALU_DEP_1)
	v_fma_f64 v[2:3], v[154:155], v[138:139], v[2:3]
	s_waitcnt vmcnt(3)
	v_fma_f64 v[2:3], v[126:127], v[140:141], v[2:3]
	ds_load_2addr_b64 v[134:137], v1 offset0:113 offset1:114
	ds_load_2addr_b64 v[138:141], v1 offset0:115 offset1:116
	s_waitcnt lgkmcnt(1)
	v_fma_f64 v[2:3], v[128:129], v[134:135], v[2:3]
	s_waitcnt vmcnt(2)
	s_delay_alu instid0(VALU_DEP_1) | instskip(SKIP_1) | instid1(VALU_DEP_1)
	v_fma_f64 v[2:3], v[148:149], v[136:137], v[2:3]
	s_waitcnt lgkmcnt(0)
	v_fma_f64 v[2:3], v[150:151], v[138:139], v[2:3]
	s_waitcnt vmcnt(1)
	s_delay_alu instid0(VALU_DEP_1) | instskip(SKIP_4) | instid1(VALU_DEP_1)
	v_fma_f64 v[126:127], v[130:131], v[140:141], v[2:3]
	ds_load_2addr_b64 v[1:4], v1 offset0:117 offset1:118
	s_waitcnt lgkmcnt(0)
	v_fma_f64 v[1:2], v[132:133], v[1:2], v[126:127]
	s_waitcnt vmcnt(0)
	v_fma_f64 v[1:2], v[142:143], v[3:4], v[1:2]
	s_delay_alu instid0(VALU_DEP_1)
	v_add_f64 v[1:2], v[124:125], -v[1:2]
	scratch_store_b64 off, v[1:2], off offset:320
	v_cmpx_lt_u32_e32 39, v0
	s_cbranch_execz .LBB122_285
; %bb.284:
	scratch_load_b64 v[1:2], off, off offset:312
	v_mov_b32_e32 v3, 0
	s_delay_alu instid0(VALU_DEP_1)
	v_mov_b32_e32 v4, v3
	scratch_store_b64 off, v[3:4], off offset:312
	s_waitcnt vmcnt(0)
	ds_store_b64 v5, v[1:2]
.LBB122_285:
	s_or_b32 exec_lo, exec_lo, s0
	s_waitcnt lgkmcnt(0)
	s_waitcnt_vscnt null, 0x0
	s_barrier
	buffer_gl0_inv
	s_clause 0x4
	scratch_load_b128 v[124:127], off, off offset:312
	scratch_load_b128 v[128:131], off, off offset:328
	;; [unrolled: 1-line block ×5, first 2 shown]
	v_mov_b32_e32 v1, 0
	ds_load_b128 v[144:147], v1 offset:800
	ds_load_b128 v[148:151], v1 offset:816
	scratch_load_b128 v[152:155], off, off offset:392
	s_mov_b32 s0, exec_lo
	s_waitcnt vmcnt(5) lgkmcnt(1)
	v_fma_f64 v[2:3], v[126:127], v[144:145], 0
	s_waitcnt vmcnt(4)
	s_delay_alu instid0(VALU_DEP_1) | instskip(SKIP_4) | instid1(VALU_DEP_1)
	v_fma_f64 v[2:3], v[128:129], v[146:147], v[2:3]
	scratch_load_b128 v[126:129], off, off offset:408
	s_waitcnt lgkmcnt(0)
	v_fma_f64 v[2:3], v[130:131], v[148:149], v[2:3]
	s_waitcnt vmcnt(4)
	v_fma_f64 v[2:3], v[132:133], v[150:151], v[2:3]
	ds_load_b128 v[130:133], v1 offset:832
	ds_load_b128 v[144:147], v1 offset:848
	scratch_load_b128 v[148:151], off, off offset:424
	s_waitcnt lgkmcnt(1)
	v_fma_f64 v[2:3], v[134:135], v[130:131], v[2:3]
	s_waitcnt vmcnt(4)
	s_delay_alu instid0(VALU_DEP_1) | instskip(SKIP_4) | instid1(VALU_DEP_1)
	v_fma_f64 v[2:3], v[136:137], v[132:133], v[2:3]
	scratch_load_b128 v[130:133], off, off offset:440
	s_waitcnt lgkmcnt(0)
	v_fma_f64 v[2:3], v[138:139], v[144:145], v[2:3]
	s_waitcnt vmcnt(4)
	v_fma_f64 v[2:3], v[140:141], v[146:147], v[2:3]
	ds_load_b128 v[134:137], v1 offset:864
	ds_load_b128 v[138:141], v1 offset:880
	s_waitcnt lgkmcnt(1)
	v_fma_f64 v[2:3], v[142:143], v[134:135], v[2:3]
	scratch_load_b128 v[142:145], off, off offset:456
	s_waitcnt vmcnt(4)
	v_fma_f64 v[2:3], v[152:153], v[136:137], v[2:3]
	s_waitcnt lgkmcnt(0)
	s_delay_alu instid0(VALU_DEP_1) | instskip(SKIP_1) | instid1(VALU_DEP_1)
	v_fma_f64 v[2:3], v[154:155], v[138:139], v[2:3]
	s_waitcnt vmcnt(3)
	v_fma_f64 v[2:3], v[126:127], v[140:141], v[2:3]
	ds_load_b128 v[134:137], v1 offset:896
	ds_load_b128 v[138:141], v1 offset:912
	s_waitcnt lgkmcnt(1)
	v_fma_f64 v[2:3], v[128:129], v[134:135], v[2:3]
	s_waitcnt vmcnt(2)
	s_delay_alu instid0(VALU_DEP_1) | instskip(SKIP_1) | instid1(VALU_DEP_1)
	v_fma_f64 v[2:3], v[148:149], v[136:137], v[2:3]
	s_waitcnt lgkmcnt(0)
	v_fma_f64 v[2:3], v[150:151], v[138:139], v[2:3]
	s_waitcnt vmcnt(1)
	s_delay_alu instid0(VALU_DEP_1)
	v_fma_f64 v[2:3], v[130:131], v[140:141], v[2:3]
	ds_load_b128 v[126:129], v1 offset:928
	ds_load_b64 v[130:131], v1 offset:944
	s_waitcnt lgkmcnt(1)
	v_fma_f64 v[2:3], v[132:133], v[126:127], v[2:3]
	s_waitcnt vmcnt(0)
	s_delay_alu instid0(VALU_DEP_1) | instskip(SKIP_1) | instid1(VALU_DEP_1)
	v_fma_f64 v[2:3], v[142:143], v[128:129], v[2:3]
	s_waitcnt lgkmcnt(0)
	v_fma_f64 v[2:3], v[144:145], v[130:131], v[2:3]
	s_delay_alu instid0(VALU_DEP_1)
	v_add_f64 v[2:3], v[124:125], -v[2:3]
	scratch_store_b64 off, v[2:3], off offset:312
	v_cmpx_lt_u32_e32 38, v0
	s_cbranch_execz .LBB122_287
; %bb.286:
	scratch_load_b64 v[3:4], off, off offset:304
	v_mov_b32_e32 v2, v1
	scratch_store_b64 off, v[1:2], off offset:304
	s_waitcnt vmcnt(0)
	ds_store_b64 v5, v[3:4]
.LBB122_287:
	s_or_b32 exec_lo, exec_lo, s0
	s_waitcnt lgkmcnt(0)
	s_waitcnt_vscnt null, 0x0
	s_barrier
	buffer_gl0_inv
	s_clause 0x4
	scratch_load_b128 v[124:127], off, off offset:304
	scratch_load_b128 v[128:131], off, off offset:320
	;; [unrolled: 1-line block ×5, first 2 shown]
	ds_load_2addr_b64 v[144:147], v1 offset0:99 offset1:100
	ds_load_2addr_b64 v[148:151], v1 offset0:101 offset1:102
	scratch_load_b128 v[152:155], off, off offset:384
	s_mov_b32 s0, exec_lo
	s_waitcnt vmcnt(5) lgkmcnt(1)
	v_fma_f64 v[2:3], v[126:127], v[144:145], 0
	s_waitcnt vmcnt(4)
	s_delay_alu instid0(VALU_DEP_1) | instskip(SKIP_4) | instid1(VALU_DEP_1)
	v_fma_f64 v[2:3], v[128:129], v[146:147], v[2:3]
	scratch_load_b128 v[126:129], off, off offset:400
	s_waitcnt lgkmcnt(0)
	v_fma_f64 v[2:3], v[130:131], v[148:149], v[2:3]
	s_waitcnt vmcnt(4)
	v_fma_f64 v[2:3], v[132:133], v[150:151], v[2:3]
	ds_load_2addr_b64 v[130:133], v1 offset0:103 offset1:104
	ds_load_2addr_b64 v[144:147], v1 offset0:105 offset1:106
	scratch_load_b128 v[148:151], off, off offset:416
	s_waitcnt lgkmcnt(1)
	v_fma_f64 v[2:3], v[134:135], v[130:131], v[2:3]
	s_waitcnt vmcnt(4)
	s_delay_alu instid0(VALU_DEP_1) | instskip(SKIP_4) | instid1(VALU_DEP_1)
	v_fma_f64 v[2:3], v[136:137], v[132:133], v[2:3]
	scratch_load_b128 v[130:133], off, off offset:432
	s_waitcnt lgkmcnt(0)
	v_fma_f64 v[2:3], v[138:139], v[144:145], v[2:3]
	s_waitcnt vmcnt(4)
	v_fma_f64 v[2:3], v[140:141], v[146:147], v[2:3]
	ds_load_2addr_b64 v[134:137], v1 offset0:107 offset1:108
	ds_load_2addr_b64 v[138:141], v1 offset0:109 offset1:110
	scratch_load_b64 v[146:147], off, off offset:464
	s_waitcnt lgkmcnt(1)
	v_fma_f64 v[2:3], v[142:143], v[134:135], v[2:3]
	scratch_load_b128 v[142:145], off, off offset:448
	s_waitcnt vmcnt(5)
	v_fma_f64 v[2:3], v[152:153], v[136:137], v[2:3]
	s_waitcnt lgkmcnt(0)
	s_delay_alu instid0(VALU_DEP_1) | instskip(SKIP_1) | instid1(VALU_DEP_1)
	v_fma_f64 v[2:3], v[154:155], v[138:139], v[2:3]
	s_waitcnt vmcnt(4)
	v_fma_f64 v[2:3], v[126:127], v[140:141], v[2:3]
	ds_load_2addr_b64 v[134:137], v1 offset0:111 offset1:112
	ds_load_2addr_b64 v[138:141], v1 offset0:113 offset1:114
	s_waitcnt lgkmcnt(1)
	v_fma_f64 v[2:3], v[128:129], v[134:135], v[2:3]
	s_waitcnt vmcnt(3)
	s_delay_alu instid0(VALU_DEP_1) | instskip(SKIP_1) | instid1(VALU_DEP_1)
	v_fma_f64 v[2:3], v[148:149], v[136:137], v[2:3]
	s_waitcnt lgkmcnt(0)
	v_fma_f64 v[2:3], v[150:151], v[138:139], v[2:3]
	s_waitcnt vmcnt(2)
	s_delay_alu instid0(VALU_DEP_1)
	v_fma_f64 v[130:131], v[130:131], v[140:141], v[2:3]
	ds_load_2addr_b64 v[126:129], v1 offset0:115 offset1:116
	ds_load_2addr_b64 v[1:4], v1 offset0:117 offset1:118
	s_waitcnt lgkmcnt(1)
	v_fma_f64 v[126:127], v[132:133], v[126:127], v[130:131]
	s_waitcnt vmcnt(0)
	s_delay_alu instid0(VALU_DEP_1) | instskip(SKIP_1) | instid1(VALU_DEP_1)
	v_fma_f64 v[126:127], v[142:143], v[128:129], v[126:127]
	s_waitcnt lgkmcnt(0)
	v_fma_f64 v[1:2], v[144:145], v[1:2], v[126:127]
	s_delay_alu instid0(VALU_DEP_1) | instskip(NEXT) | instid1(VALU_DEP_1)
	v_fma_f64 v[1:2], v[146:147], v[3:4], v[1:2]
	v_add_f64 v[1:2], v[124:125], -v[1:2]
	scratch_store_b64 off, v[1:2], off offset:304
	v_cmpx_lt_u32_e32 37, v0
	s_cbranch_execz .LBB122_289
; %bb.288:
	scratch_load_b64 v[1:2], off, off offset:296
	v_mov_b32_e32 v3, 0
	s_delay_alu instid0(VALU_DEP_1)
	v_mov_b32_e32 v4, v3
	scratch_store_b64 off, v[3:4], off offset:296
	s_waitcnt vmcnt(0)
	ds_store_b64 v5, v[1:2]
.LBB122_289:
	s_or_b32 exec_lo, exec_lo, s0
	s_waitcnt lgkmcnt(0)
	s_waitcnt_vscnt null, 0x0
	s_barrier
	buffer_gl0_inv
	s_clause 0x4
	scratch_load_b128 v[124:127], off, off offset:296
	scratch_load_b128 v[128:131], off, off offset:312
	;; [unrolled: 1-line block ×5, first 2 shown]
	v_mov_b32_e32 v1, 0
	ds_load_b128 v[144:147], v1 offset:784
	ds_load_b128 v[148:151], v1 offset:800
	scratch_load_b128 v[152:155], off, off offset:376
	s_mov_b32 s0, exec_lo
	s_waitcnt vmcnt(5) lgkmcnt(1)
	v_fma_f64 v[2:3], v[126:127], v[144:145], 0
	s_waitcnt vmcnt(4)
	s_delay_alu instid0(VALU_DEP_1) | instskip(SKIP_4) | instid1(VALU_DEP_1)
	v_fma_f64 v[2:3], v[128:129], v[146:147], v[2:3]
	scratch_load_b128 v[126:129], off, off offset:392
	s_waitcnt lgkmcnt(0)
	v_fma_f64 v[2:3], v[130:131], v[148:149], v[2:3]
	s_waitcnt vmcnt(4)
	v_fma_f64 v[2:3], v[132:133], v[150:151], v[2:3]
	ds_load_b128 v[130:133], v1 offset:816
	ds_load_b128 v[144:147], v1 offset:832
	scratch_load_b128 v[148:151], off, off offset:408
	s_waitcnt lgkmcnt(1)
	v_fma_f64 v[2:3], v[134:135], v[130:131], v[2:3]
	s_waitcnt vmcnt(4)
	s_delay_alu instid0(VALU_DEP_1) | instskip(SKIP_4) | instid1(VALU_DEP_1)
	v_fma_f64 v[2:3], v[136:137], v[132:133], v[2:3]
	scratch_load_b128 v[130:133], off, off offset:424
	s_waitcnt lgkmcnt(0)
	v_fma_f64 v[2:3], v[138:139], v[144:145], v[2:3]
	s_waitcnt vmcnt(4)
	v_fma_f64 v[2:3], v[140:141], v[146:147], v[2:3]
	ds_load_b128 v[134:137], v1 offset:848
	ds_load_b128 v[138:141], v1 offset:864
	s_waitcnt lgkmcnt(1)
	v_fma_f64 v[2:3], v[142:143], v[134:135], v[2:3]
	scratch_load_b128 v[142:145], off, off offset:440
	s_waitcnt vmcnt(4)
	v_fma_f64 v[2:3], v[152:153], v[136:137], v[2:3]
	scratch_load_b128 v[134:137], off, off offset:456
	s_waitcnt lgkmcnt(0)
	v_fma_f64 v[2:3], v[154:155], v[138:139], v[2:3]
	s_waitcnt vmcnt(4)
	s_delay_alu instid0(VALU_DEP_1)
	v_fma_f64 v[2:3], v[126:127], v[140:141], v[2:3]
	ds_load_b128 v[138:141], v1 offset:880
	ds_load_b128 v[152:155], v1 offset:896
	s_waitcnt lgkmcnt(1)
	v_fma_f64 v[2:3], v[128:129], v[138:139], v[2:3]
	s_waitcnt vmcnt(3)
	s_delay_alu instid0(VALU_DEP_1)
	v_fma_f64 v[2:3], v[148:149], v[140:141], v[2:3]
	ds_load_b128 v[126:129], v1 offset:912
	ds_load_b128 v[138:141], v1 offset:928
	s_waitcnt lgkmcnt(2)
	v_fma_f64 v[2:3], v[150:151], v[152:153], v[2:3]
	s_waitcnt vmcnt(2)
	s_delay_alu instid0(VALU_DEP_1) | instskip(SKIP_1) | instid1(VALU_DEP_1)
	v_fma_f64 v[2:3], v[130:131], v[154:155], v[2:3]
	s_waitcnt lgkmcnt(1)
	v_fma_f64 v[2:3], v[132:133], v[126:127], v[2:3]
	ds_load_b64 v[126:127], v1 offset:944
	s_waitcnt vmcnt(1)
	v_fma_f64 v[2:3], v[142:143], v[128:129], v[2:3]
	s_waitcnt lgkmcnt(1)
	s_delay_alu instid0(VALU_DEP_1) | instskip(SKIP_1) | instid1(VALU_DEP_1)
	v_fma_f64 v[2:3], v[144:145], v[138:139], v[2:3]
	s_waitcnt vmcnt(0)
	v_fma_f64 v[2:3], v[134:135], v[140:141], v[2:3]
	s_waitcnt lgkmcnt(0)
	s_delay_alu instid0(VALU_DEP_1) | instskip(NEXT) | instid1(VALU_DEP_1)
	v_fma_f64 v[2:3], v[136:137], v[126:127], v[2:3]
	v_add_f64 v[2:3], v[124:125], -v[2:3]
	scratch_store_b64 off, v[2:3], off offset:296
	v_cmpx_lt_u32_e32 36, v0
	s_cbranch_execz .LBB122_291
; %bb.290:
	scratch_load_b64 v[3:4], off, off offset:288
	v_mov_b32_e32 v2, v1
	scratch_store_b64 off, v[1:2], off offset:288
	s_waitcnt vmcnt(0)
	ds_store_b64 v5, v[3:4]
.LBB122_291:
	s_or_b32 exec_lo, exec_lo, s0
	s_waitcnt lgkmcnt(0)
	s_waitcnt_vscnt null, 0x0
	s_barrier
	buffer_gl0_inv
	s_clause 0x4
	scratch_load_b128 v[124:127], off, off offset:288
	scratch_load_b128 v[128:131], off, off offset:304
	;; [unrolled: 1-line block ×5, first 2 shown]
	ds_load_2addr_b64 v[144:147], v1 offset0:97 offset1:98
	ds_load_2addr_b64 v[148:151], v1 offset0:99 offset1:100
	scratch_load_b128 v[152:155], off, off offset:368
	s_mov_b32 s0, exec_lo
	s_waitcnt vmcnt(5) lgkmcnt(1)
	v_fma_f64 v[2:3], v[126:127], v[144:145], 0
	s_waitcnt vmcnt(4)
	s_delay_alu instid0(VALU_DEP_1) | instskip(SKIP_4) | instid1(VALU_DEP_1)
	v_fma_f64 v[2:3], v[128:129], v[146:147], v[2:3]
	scratch_load_b128 v[126:129], off, off offset:384
	s_waitcnt lgkmcnt(0)
	v_fma_f64 v[2:3], v[130:131], v[148:149], v[2:3]
	s_waitcnt vmcnt(4)
	v_fma_f64 v[2:3], v[132:133], v[150:151], v[2:3]
	ds_load_2addr_b64 v[130:133], v1 offset0:101 offset1:102
	ds_load_2addr_b64 v[144:147], v1 offset0:103 offset1:104
	scratch_load_b128 v[148:151], off, off offset:400
	s_waitcnt lgkmcnt(1)
	v_fma_f64 v[2:3], v[134:135], v[130:131], v[2:3]
	s_waitcnt vmcnt(4)
	s_delay_alu instid0(VALU_DEP_1) | instskip(SKIP_4) | instid1(VALU_DEP_1)
	v_fma_f64 v[2:3], v[136:137], v[132:133], v[2:3]
	scratch_load_b128 v[130:133], off, off offset:416
	s_waitcnt lgkmcnt(0)
	v_fma_f64 v[2:3], v[138:139], v[144:145], v[2:3]
	s_waitcnt vmcnt(4)
	v_fma_f64 v[2:3], v[140:141], v[146:147], v[2:3]
	ds_load_2addr_b64 v[134:137], v1 offset0:105 offset1:106
	ds_load_2addr_b64 v[138:141], v1 offset0:107 offset1:108
	s_waitcnt lgkmcnt(1)
	v_fma_f64 v[2:3], v[142:143], v[134:135], v[2:3]
	scratch_load_b128 v[142:145], off, off offset:432
	s_waitcnt vmcnt(4)
	v_fma_f64 v[2:3], v[152:153], v[136:137], v[2:3]
	scratch_load_b128 v[134:137], off, off offset:448
	s_waitcnt lgkmcnt(0)
	v_fma_f64 v[2:3], v[154:155], v[138:139], v[2:3]
	s_waitcnt vmcnt(4)
	s_delay_alu instid0(VALU_DEP_1)
	v_fma_f64 v[2:3], v[126:127], v[140:141], v[2:3]
	ds_load_2addr_b64 v[138:141], v1 offset0:109 offset1:110
	ds_load_2addr_b64 v[152:155], v1 offset0:111 offset1:112
	scratch_load_b64 v[146:147], off, off offset:464
	s_waitcnt lgkmcnt(1)
	v_fma_f64 v[2:3], v[128:129], v[138:139], v[2:3]
	s_waitcnt vmcnt(4)
	s_delay_alu instid0(VALU_DEP_1)
	v_fma_f64 v[2:3], v[148:149], v[140:141], v[2:3]
	ds_load_2addr_b64 v[126:129], v1 offset0:113 offset1:114
	ds_load_2addr_b64 v[138:141], v1 offset0:115 offset1:116
	s_waitcnt lgkmcnt(2)
	v_fma_f64 v[2:3], v[150:151], v[152:153], v[2:3]
	s_waitcnt vmcnt(3)
	s_delay_alu instid0(VALU_DEP_1) | instskip(SKIP_1) | instid1(VALU_DEP_1)
	v_fma_f64 v[2:3], v[130:131], v[154:155], v[2:3]
	s_waitcnt lgkmcnt(1)
	v_fma_f64 v[2:3], v[132:133], v[126:127], v[2:3]
	s_waitcnt vmcnt(2)
	s_delay_alu instid0(VALU_DEP_1) | instskip(SKIP_1) | instid1(VALU_DEP_1)
	v_fma_f64 v[2:3], v[142:143], v[128:129], v[2:3]
	s_waitcnt lgkmcnt(0)
	v_fma_f64 v[2:3], v[144:145], v[138:139], v[2:3]
	s_waitcnt vmcnt(1)
	s_delay_alu instid0(VALU_DEP_1) | instskip(SKIP_4) | instid1(VALU_DEP_1)
	v_fma_f64 v[126:127], v[134:135], v[140:141], v[2:3]
	ds_load_2addr_b64 v[1:4], v1 offset0:117 offset1:118
	s_waitcnt lgkmcnt(0)
	v_fma_f64 v[1:2], v[136:137], v[1:2], v[126:127]
	s_waitcnt vmcnt(0)
	v_fma_f64 v[1:2], v[146:147], v[3:4], v[1:2]
	s_delay_alu instid0(VALU_DEP_1)
	v_add_f64 v[1:2], v[124:125], -v[1:2]
	scratch_store_b64 off, v[1:2], off offset:288
	v_cmpx_lt_u32_e32 35, v0
	s_cbranch_execz .LBB122_293
; %bb.292:
	scratch_load_b64 v[1:2], off, off offset:280
	v_mov_b32_e32 v3, 0
	s_delay_alu instid0(VALU_DEP_1)
	v_mov_b32_e32 v4, v3
	scratch_store_b64 off, v[3:4], off offset:280
	s_waitcnt vmcnt(0)
	ds_store_b64 v5, v[1:2]
.LBB122_293:
	s_or_b32 exec_lo, exec_lo, s0
	s_waitcnt lgkmcnt(0)
	s_waitcnt_vscnt null, 0x0
	s_barrier
	buffer_gl0_inv
	s_clause 0x4
	scratch_load_b128 v[124:127], off, off offset:280
	scratch_load_b128 v[128:131], off, off offset:296
	;; [unrolled: 1-line block ×5, first 2 shown]
	v_mov_b32_e32 v1, 0
	ds_load_b128 v[144:147], v1 offset:768
	ds_load_b128 v[148:151], v1 offset:784
	scratch_load_b128 v[152:155], off, off offset:360
	s_mov_b32 s0, exec_lo
	s_waitcnt vmcnt(5) lgkmcnt(1)
	v_fma_f64 v[2:3], v[126:127], v[144:145], 0
	s_waitcnt vmcnt(4)
	s_delay_alu instid0(VALU_DEP_1) | instskip(SKIP_4) | instid1(VALU_DEP_1)
	v_fma_f64 v[2:3], v[128:129], v[146:147], v[2:3]
	scratch_load_b128 v[126:129], off, off offset:376
	s_waitcnt lgkmcnt(0)
	v_fma_f64 v[2:3], v[130:131], v[148:149], v[2:3]
	s_waitcnt vmcnt(4)
	v_fma_f64 v[2:3], v[132:133], v[150:151], v[2:3]
	ds_load_b128 v[130:133], v1 offset:800
	ds_load_b128 v[144:147], v1 offset:816
	scratch_load_b128 v[148:151], off, off offset:392
	s_waitcnt lgkmcnt(1)
	v_fma_f64 v[2:3], v[134:135], v[130:131], v[2:3]
	s_waitcnt vmcnt(4)
	s_delay_alu instid0(VALU_DEP_1) | instskip(SKIP_4) | instid1(VALU_DEP_1)
	v_fma_f64 v[2:3], v[136:137], v[132:133], v[2:3]
	scratch_load_b128 v[130:133], off, off offset:408
	s_waitcnt lgkmcnt(0)
	v_fma_f64 v[2:3], v[138:139], v[144:145], v[2:3]
	s_waitcnt vmcnt(4)
	v_fma_f64 v[2:3], v[140:141], v[146:147], v[2:3]
	ds_load_b128 v[134:137], v1 offset:832
	ds_load_b128 v[138:141], v1 offset:848
	s_waitcnt lgkmcnt(1)
	v_fma_f64 v[2:3], v[142:143], v[134:135], v[2:3]
	scratch_load_b128 v[142:145], off, off offset:424
	s_waitcnt vmcnt(4)
	v_fma_f64 v[2:3], v[152:153], v[136:137], v[2:3]
	scratch_load_b128 v[134:137], off, off offset:440
	s_waitcnt lgkmcnt(0)
	v_fma_f64 v[2:3], v[154:155], v[138:139], v[2:3]
	s_waitcnt vmcnt(4)
	s_delay_alu instid0(VALU_DEP_1)
	v_fma_f64 v[2:3], v[126:127], v[140:141], v[2:3]
	ds_load_b128 v[138:141], v1 offset:864
	ds_load_b128 v[152:155], v1 offset:880
	s_waitcnt lgkmcnt(1)
	v_fma_f64 v[2:3], v[128:129], v[138:139], v[2:3]
	scratch_load_b128 v[126:129], off, off offset:456
	s_waitcnt vmcnt(4)
	v_fma_f64 v[2:3], v[148:149], v[140:141], v[2:3]
	ds_load_b128 v[138:141], v1 offset:896
	ds_load_b128 v[146:149], v1 offset:912
	s_waitcnt lgkmcnt(2)
	v_fma_f64 v[2:3], v[150:151], v[152:153], v[2:3]
	s_waitcnt vmcnt(3)
	s_delay_alu instid0(VALU_DEP_1) | instskip(SKIP_1) | instid1(VALU_DEP_1)
	v_fma_f64 v[2:3], v[130:131], v[154:155], v[2:3]
	s_waitcnt lgkmcnt(1)
	v_fma_f64 v[2:3], v[132:133], v[138:139], v[2:3]
	s_waitcnt vmcnt(2)
	s_delay_alu instid0(VALU_DEP_1) | instskip(SKIP_1) | instid1(VALU_DEP_1)
	v_fma_f64 v[2:3], v[142:143], v[140:141], v[2:3]
	s_waitcnt lgkmcnt(0)
	v_fma_f64 v[2:3], v[144:145], v[146:147], v[2:3]
	s_waitcnt vmcnt(1)
	s_delay_alu instid0(VALU_DEP_1)
	v_fma_f64 v[2:3], v[134:135], v[148:149], v[2:3]
	ds_load_b128 v[130:133], v1 offset:928
	ds_load_b64 v[134:135], v1 offset:944
	s_waitcnt lgkmcnt(1)
	v_fma_f64 v[2:3], v[136:137], v[130:131], v[2:3]
	s_waitcnt vmcnt(0)
	s_delay_alu instid0(VALU_DEP_1) | instskip(SKIP_1) | instid1(VALU_DEP_1)
	v_fma_f64 v[2:3], v[126:127], v[132:133], v[2:3]
	s_waitcnt lgkmcnt(0)
	v_fma_f64 v[2:3], v[128:129], v[134:135], v[2:3]
	s_delay_alu instid0(VALU_DEP_1)
	v_add_f64 v[2:3], v[124:125], -v[2:3]
	scratch_store_b64 off, v[2:3], off offset:280
	v_cmpx_lt_u32_e32 34, v0
	s_cbranch_execz .LBB122_295
; %bb.294:
	scratch_load_b64 v[3:4], off, off offset:272
	v_mov_b32_e32 v2, v1
	scratch_store_b64 off, v[1:2], off offset:272
	s_waitcnt vmcnt(0)
	ds_store_b64 v5, v[3:4]
.LBB122_295:
	s_or_b32 exec_lo, exec_lo, s0
	s_waitcnt lgkmcnt(0)
	s_waitcnt_vscnt null, 0x0
	s_barrier
	buffer_gl0_inv
	s_clause 0x4
	scratch_load_b128 v[124:127], off, off offset:272
	scratch_load_b128 v[128:131], off, off offset:288
	;; [unrolled: 1-line block ×5, first 2 shown]
	ds_load_2addr_b64 v[144:147], v1 offset0:95 offset1:96
	ds_load_2addr_b64 v[148:151], v1 offset0:97 offset1:98
	scratch_load_b128 v[152:155], off, off offset:352
	s_mov_b32 s0, exec_lo
	s_waitcnt vmcnt(5) lgkmcnt(1)
	v_fma_f64 v[2:3], v[126:127], v[144:145], 0
	s_waitcnt vmcnt(4)
	s_delay_alu instid0(VALU_DEP_1) | instskip(SKIP_4) | instid1(VALU_DEP_1)
	v_fma_f64 v[2:3], v[128:129], v[146:147], v[2:3]
	scratch_load_b128 v[126:129], off, off offset:368
	s_waitcnt lgkmcnt(0)
	v_fma_f64 v[2:3], v[130:131], v[148:149], v[2:3]
	s_waitcnt vmcnt(4)
	v_fma_f64 v[2:3], v[132:133], v[150:151], v[2:3]
	ds_load_2addr_b64 v[130:133], v1 offset0:99 offset1:100
	ds_load_2addr_b64 v[144:147], v1 offset0:101 offset1:102
	scratch_load_b128 v[148:151], off, off offset:384
	s_waitcnt lgkmcnt(1)
	v_fma_f64 v[2:3], v[134:135], v[130:131], v[2:3]
	s_waitcnt vmcnt(4)
	s_delay_alu instid0(VALU_DEP_1) | instskip(SKIP_4) | instid1(VALU_DEP_1)
	v_fma_f64 v[2:3], v[136:137], v[132:133], v[2:3]
	scratch_load_b128 v[130:133], off, off offset:400
	s_waitcnt lgkmcnt(0)
	v_fma_f64 v[2:3], v[138:139], v[144:145], v[2:3]
	s_waitcnt vmcnt(4)
	v_fma_f64 v[2:3], v[140:141], v[146:147], v[2:3]
	ds_load_2addr_b64 v[134:137], v1 offset0:103 offset1:104
	ds_load_2addr_b64 v[138:141], v1 offset0:105 offset1:106
	s_waitcnt lgkmcnt(1)
	v_fma_f64 v[2:3], v[142:143], v[134:135], v[2:3]
	scratch_load_b128 v[142:145], off, off offset:416
	s_waitcnt vmcnt(4)
	v_fma_f64 v[2:3], v[152:153], v[136:137], v[2:3]
	scratch_load_b128 v[134:137], off, off offset:432
	s_waitcnt lgkmcnt(0)
	v_fma_f64 v[2:3], v[154:155], v[138:139], v[2:3]
	s_waitcnt vmcnt(4)
	s_delay_alu instid0(VALU_DEP_1)
	v_fma_f64 v[2:3], v[126:127], v[140:141], v[2:3]
	ds_load_2addr_b64 v[138:141], v1 offset0:107 offset1:108
	ds_load_2addr_b64 v[152:155], v1 offset0:109 offset1:110
	s_waitcnt lgkmcnt(1)
	v_fma_f64 v[2:3], v[128:129], v[138:139], v[2:3]
	scratch_load_b128 v[126:129], off, off offset:448
	s_waitcnt vmcnt(4)
	v_fma_f64 v[2:3], v[148:149], v[140:141], v[2:3]
	s_waitcnt lgkmcnt(0)
	s_delay_alu instid0(VALU_DEP_1)
	v_fma_f64 v[2:3], v[150:151], v[152:153], v[2:3]
	scratch_load_b64 v[150:151], off, off offset:464
	ds_load_2addr_b64 v[138:141], v1 offset0:111 offset1:112
	ds_load_2addr_b64 v[146:149], v1 offset0:113 offset1:114
	s_waitcnt vmcnt(4)
	v_fma_f64 v[2:3], v[130:131], v[154:155], v[2:3]
	s_waitcnt lgkmcnt(1)
	s_delay_alu instid0(VALU_DEP_1) | instskip(SKIP_1) | instid1(VALU_DEP_1)
	v_fma_f64 v[2:3], v[132:133], v[138:139], v[2:3]
	s_waitcnt vmcnt(3)
	v_fma_f64 v[2:3], v[142:143], v[140:141], v[2:3]
	s_waitcnt lgkmcnt(0)
	s_delay_alu instid0(VALU_DEP_1) | instskip(SKIP_1) | instid1(VALU_DEP_1)
	v_fma_f64 v[2:3], v[144:145], v[146:147], v[2:3]
	s_waitcnt vmcnt(2)
	v_fma_f64 v[134:135], v[134:135], v[148:149], v[2:3]
	ds_load_2addr_b64 v[130:133], v1 offset0:115 offset1:116
	ds_load_2addr_b64 v[1:4], v1 offset0:117 offset1:118
	s_waitcnt lgkmcnt(1)
	v_fma_f64 v[130:131], v[136:137], v[130:131], v[134:135]
	s_waitcnt vmcnt(1)
	s_delay_alu instid0(VALU_DEP_1) | instskip(SKIP_1) | instid1(VALU_DEP_1)
	v_fma_f64 v[126:127], v[126:127], v[132:133], v[130:131]
	s_waitcnt lgkmcnt(0)
	v_fma_f64 v[1:2], v[128:129], v[1:2], v[126:127]
	s_waitcnt vmcnt(0)
	s_delay_alu instid0(VALU_DEP_1) | instskip(NEXT) | instid1(VALU_DEP_1)
	v_fma_f64 v[1:2], v[150:151], v[3:4], v[1:2]
	v_add_f64 v[1:2], v[124:125], -v[1:2]
	scratch_store_b64 off, v[1:2], off offset:272
	v_cmpx_lt_u32_e32 33, v0
	s_cbranch_execz .LBB122_297
; %bb.296:
	scratch_load_b64 v[1:2], off, off offset:264
	v_mov_b32_e32 v3, 0
	s_delay_alu instid0(VALU_DEP_1)
	v_mov_b32_e32 v4, v3
	scratch_store_b64 off, v[3:4], off offset:264
	s_waitcnt vmcnt(0)
	ds_store_b64 v5, v[1:2]
.LBB122_297:
	s_or_b32 exec_lo, exec_lo, s0
	s_waitcnt lgkmcnt(0)
	s_waitcnt_vscnt null, 0x0
	s_barrier
	buffer_gl0_inv
	s_clause 0x4
	scratch_load_b128 v[124:127], off, off offset:264
	scratch_load_b128 v[128:131], off, off offset:280
	;; [unrolled: 1-line block ×5, first 2 shown]
	v_mov_b32_e32 v1, 0
	ds_load_b128 v[144:147], v1 offset:752
	ds_load_b128 v[148:151], v1 offset:768
	scratch_load_b128 v[152:155], off, off offset:344
	s_mov_b32 s0, exec_lo
	s_waitcnt vmcnt(5) lgkmcnt(1)
	v_fma_f64 v[2:3], v[126:127], v[144:145], 0
	s_waitcnt vmcnt(4)
	s_delay_alu instid0(VALU_DEP_1) | instskip(SKIP_4) | instid1(VALU_DEP_1)
	v_fma_f64 v[2:3], v[128:129], v[146:147], v[2:3]
	scratch_load_b128 v[126:129], off, off offset:360
	s_waitcnt lgkmcnt(0)
	v_fma_f64 v[2:3], v[130:131], v[148:149], v[2:3]
	s_waitcnt vmcnt(4)
	v_fma_f64 v[2:3], v[132:133], v[150:151], v[2:3]
	ds_load_b128 v[130:133], v1 offset:784
	ds_load_b128 v[144:147], v1 offset:800
	scratch_load_b128 v[148:151], off, off offset:376
	s_waitcnt lgkmcnt(1)
	v_fma_f64 v[2:3], v[134:135], v[130:131], v[2:3]
	s_waitcnt vmcnt(4)
	s_delay_alu instid0(VALU_DEP_1) | instskip(SKIP_4) | instid1(VALU_DEP_1)
	v_fma_f64 v[2:3], v[136:137], v[132:133], v[2:3]
	scratch_load_b128 v[130:133], off, off offset:392
	s_waitcnt lgkmcnt(0)
	v_fma_f64 v[2:3], v[138:139], v[144:145], v[2:3]
	s_waitcnt vmcnt(4)
	v_fma_f64 v[2:3], v[140:141], v[146:147], v[2:3]
	ds_load_b128 v[134:137], v1 offset:816
	ds_load_b128 v[138:141], v1 offset:832
	s_waitcnt lgkmcnt(1)
	v_fma_f64 v[2:3], v[142:143], v[134:135], v[2:3]
	scratch_load_b128 v[142:145], off, off offset:408
	s_waitcnt vmcnt(4)
	v_fma_f64 v[2:3], v[152:153], v[136:137], v[2:3]
	scratch_load_b128 v[134:137], off, off offset:424
	s_waitcnt lgkmcnt(0)
	v_fma_f64 v[2:3], v[154:155], v[138:139], v[2:3]
	s_waitcnt vmcnt(4)
	s_delay_alu instid0(VALU_DEP_1)
	v_fma_f64 v[2:3], v[126:127], v[140:141], v[2:3]
	ds_load_b128 v[138:141], v1 offset:848
	ds_load_b128 v[152:155], v1 offset:864
	s_waitcnt lgkmcnt(1)
	v_fma_f64 v[2:3], v[128:129], v[138:139], v[2:3]
	scratch_load_b128 v[126:129], off, off offset:440
	s_waitcnt vmcnt(4)
	v_fma_f64 v[2:3], v[148:149], v[140:141], v[2:3]
	scratch_load_b128 v[138:141], off, off offset:456
	s_waitcnt lgkmcnt(0)
	v_fma_f64 v[2:3], v[150:151], v[152:153], v[2:3]
	ds_load_b128 v[146:149], v1 offset:880
	ds_load_b128 v[150:153], v1 offset:896
	s_waitcnt vmcnt(4)
	v_fma_f64 v[2:3], v[130:131], v[154:155], v[2:3]
	s_waitcnt lgkmcnt(1)
	s_delay_alu instid0(VALU_DEP_1) | instskip(SKIP_1) | instid1(VALU_DEP_1)
	v_fma_f64 v[2:3], v[132:133], v[146:147], v[2:3]
	s_waitcnt vmcnt(3)
	v_fma_f64 v[2:3], v[142:143], v[148:149], v[2:3]
	s_waitcnt lgkmcnt(0)
	s_delay_alu instid0(VALU_DEP_1)
	v_fma_f64 v[2:3], v[144:145], v[150:151], v[2:3]
	ds_load_b128 v[130:133], v1 offset:912
	ds_load_b128 v[142:145], v1 offset:928
	s_waitcnt vmcnt(2)
	v_fma_f64 v[2:3], v[134:135], v[152:153], v[2:3]
	s_waitcnt lgkmcnt(1)
	s_delay_alu instid0(VALU_DEP_1) | instskip(SKIP_1) | instid1(VALU_DEP_1)
	v_fma_f64 v[2:3], v[136:137], v[130:131], v[2:3]
	s_waitcnt vmcnt(1)
	v_fma_f64 v[2:3], v[126:127], v[132:133], v[2:3]
	ds_load_b64 v[126:127], v1 offset:944
	s_waitcnt lgkmcnt(1)
	v_fma_f64 v[2:3], v[128:129], v[142:143], v[2:3]
	s_waitcnt vmcnt(0)
	s_delay_alu instid0(VALU_DEP_1) | instskip(SKIP_1) | instid1(VALU_DEP_1)
	v_fma_f64 v[2:3], v[138:139], v[144:145], v[2:3]
	s_waitcnt lgkmcnt(0)
	v_fma_f64 v[2:3], v[140:141], v[126:127], v[2:3]
	s_delay_alu instid0(VALU_DEP_1)
	v_add_f64 v[2:3], v[124:125], -v[2:3]
	scratch_store_b64 off, v[2:3], off offset:264
	v_cmpx_lt_u32_e32 32, v0
	s_cbranch_execz .LBB122_299
; %bb.298:
	scratch_load_b64 v[3:4], off, off offset:256
	v_mov_b32_e32 v2, v1
	scratch_store_b64 off, v[1:2], off offset:256
	s_waitcnt vmcnt(0)
	ds_store_b64 v5, v[3:4]
.LBB122_299:
	s_or_b32 exec_lo, exec_lo, s0
	s_waitcnt lgkmcnt(0)
	s_waitcnt_vscnt null, 0x0
	s_barrier
	buffer_gl0_inv
	s_clause 0x4
	scratch_load_b128 v[124:127], off, off offset:256
	scratch_load_b128 v[128:131], off, off offset:272
	;; [unrolled: 1-line block ×5, first 2 shown]
	ds_load_2addr_b64 v[144:147], v1 offset0:93 offset1:94
	ds_load_2addr_b64 v[148:151], v1 offset0:95 offset1:96
	scratch_load_b128 v[152:155], off, off offset:336
	s_mov_b32 s0, exec_lo
	s_waitcnt vmcnt(5) lgkmcnt(1)
	v_fma_f64 v[2:3], v[126:127], v[144:145], 0
	s_waitcnt vmcnt(4)
	s_delay_alu instid0(VALU_DEP_1) | instskip(SKIP_4) | instid1(VALU_DEP_1)
	v_fma_f64 v[2:3], v[128:129], v[146:147], v[2:3]
	scratch_load_b128 v[126:129], off, off offset:352
	s_waitcnt lgkmcnt(0)
	v_fma_f64 v[2:3], v[130:131], v[148:149], v[2:3]
	s_waitcnt vmcnt(4)
	v_fma_f64 v[2:3], v[132:133], v[150:151], v[2:3]
	ds_load_2addr_b64 v[130:133], v1 offset0:97 offset1:98
	ds_load_2addr_b64 v[144:147], v1 offset0:99 offset1:100
	scratch_load_b128 v[148:151], off, off offset:368
	s_waitcnt lgkmcnt(1)
	v_fma_f64 v[2:3], v[134:135], v[130:131], v[2:3]
	s_waitcnt vmcnt(4)
	s_delay_alu instid0(VALU_DEP_1) | instskip(SKIP_4) | instid1(VALU_DEP_1)
	v_fma_f64 v[2:3], v[136:137], v[132:133], v[2:3]
	scratch_load_b128 v[130:133], off, off offset:384
	s_waitcnt lgkmcnt(0)
	v_fma_f64 v[2:3], v[138:139], v[144:145], v[2:3]
	s_waitcnt vmcnt(4)
	v_fma_f64 v[2:3], v[140:141], v[146:147], v[2:3]
	ds_load_2addr_b64 v[134:137], v1 offset0:101 offset1:102
	ds_load_2addr_b64 v[138:141], v1 offset0:103 offset1:104
	s_waitcnt lgkmcnt(1)
	v_fma_f64 v[2:3], v[142:143], v[134:135], v[2:3]
	scratch_load_b128 v[142:145], off, off offset:400
	s_waitcnt vmcnt(4)
	v_fma_f64 v[2:3], v[152:153], v[136:137], v[2:3]
	scratch_load_b128 v[134:137], off, off offset:416
	s_waitcnt lgkmcnt(0)
	v_fma_f64 v[2:3], v[154:155], v[138:139], v[2:3]
	s_waitcnt vmcnt(4)
	s_delay_alu instid0(VALU_DEP_1)
	v_fma_f64 v[2:3], v[126:127], v[140:141], v[2:3]
	ds_load_2addr_b64 v[138:141], v1 offset0:105 offset1:106
	ds_load_2addr_b64 v[152:155], v1 offset0:107 offset1:108
	s_waitcnt lgkmcnt(1)
	v_fma_f64 v[2:3], v[128:129], v[138:139], v[2:3]
	scratch_load_b128 v[126:129], off, off offset:432
	s_waitcnt vmcnt(4)
	v_fma_f64 v[2:3], v[148:149], v[140:141], v[2:3]
	scratch_load_b128 v[138:141], off, off offset:448
	s_waitcnt lgkmcnt(0)
	v_fma_f64 v[2:3], v[150:151], v[152:153], v[2:3]
	ds_load_2addr_b64 v[146:149], v1 offset0:109 offset1:110
	ds_load_2addr_b64 v[150:153], v1 offset0:111 offset1:112
	s_waitcnt vmcnt(4)
	v_fma_f64 v[2:3], v[130:131], v[154:155], v[2:3]
	s_waitcnt lgkmcnt(1)
	s_delay_alu instid0(VALU_DEP_1) | instskip(SKIP_4) | instid1(VALU_DEP_1)
	v_fma_f64 v[2:3], v[132:133], v[146:147], v[2:3]
	scratch_load_b64 v[146:147], off, off offset:464
	s_waitcnt vmcnt(4)
	v_fma_f64 v[2:3], v[142:143], v[148:149], v[2:3]
	s_waitcnt lgkmcnt(0)
	v_fma_f64 v[2:3], v[144:145], v[150:151], v[2:3]
	ds_load_2addr_b64 v[130:133], v1 offset0:113 offset1:114
	ds_load_2addr_b64 v[142:145], v1 offset0:115 offset1:116
	s_waitcnt vmcnt(3)
	v_fma_f64 v[2:3], v[134:135], v[152:153], v[2:3]
	s_waitcnt lgkmcnt(1)
	s_delay_alu instid0(VALU_DEP_1) | instskip(SKIP_1) | instid1(VALU_DEP_1)
	v_fma_f64 v[2:3], v[136:137], v[130:131], v[2:3]
	s_waitcnt vmcnt(2)
	v_fma_f64 v[2:3], v[126:127], v[132:133], v[2:3]
	s_waitcnt lgkmcnt(0)
	s_delay_alu instid0(VALU_DEP_1) | instskip(SKIP_1) | instid1(VALU_DEP_1)
	v_fma_f64 v[2:3], v[128:129], v[142:143], v[2:3]
	s_waitcnt vmcnt(1)
	v_fma_f64 v[126:127], v[138:139], v[144:145], v[2:3]
	ds_load_2addr_b64 v[1:4], v1 offset0:117 offset1:118
	s_waitcnt lgkmcnt(0)
	v_fma_f64 v[1:2], v[140:141], v[1:2], v[126:127]
	s_waitcnt vmcnt(0)
	s_delay_alu instid0(VALU_DEP_1) | instskip(NEXT) | instid1(VALU_DEP_1)
	v_fma_f64 v[1:2], v[146:147], v[3:4], v[1:2]
	v_add_f64 v[1:2], v[124:125], -v[1:2]
	scratch_store_b64 off, v[1:2], off offset:256
	v_cmpx_lt_u32_e32 31, v0
	s_cbranch_execz .LBB122_301
; %bb.300:
	scratch_load_b64 v[1:2], off, off offset:248
	v_mov_b32_e32 v3, 0
	s_delay_alu instid0(VALU_DEP_1)
	v_mov_b32_e32 v4, v3
	scratch_store_b64 off, v[3:4], off offset:248
	s_waitcnt vmcnt(0)
	ds_store_b64 v5, v[1:2]
.LBB122_301:
	s_or_b32 exec_lo, exec_lo, s0
	s_waitcnt lgkmcnt(0)
	s_waitcnt_vscnt null, 0x0
	s_barrier
	buffer_gl0_inv
	s_clause 0x4
	scratch_load_b128 v[124:127], off, off offset:248
	scratch_load_b128 v[128:131], off, off offset:264
	;; [unrolled: 1-line block ×5, first 2 shown]
	v_mov_b32_e32 v1, 0
	ds_load_b128 v[144:147], v1 offset:736
	ds_load_b128 v[148:151], v1 offset:752
	scratch_load_b128 v[152:155], off, off offset:328
	s_mov_b32 s0, exec_lo
	s_waitcnt vmcnt(5) lgkmcnt(1)
	v_fma_f64 v[2:3], v[126:127], v[144:145], 0
	s_waitcnt vmcnt(4)
	s_delay_alu instid0(VALU_DEP_1) | instskip(SKIP_4) | instid1(VALU_DEP_1)
	v_fma_f64 v[2:3], v[128:129], v[146:147], v[2:3]
	scratch_load_b128 v[126:129], off, off offset:344
	s_waitcnt lgkmcnt(0)
	v_fma_f64 v[2:3], v[130:131], v[148:149], v[2:3]
	s_waitcnt vmcnt(4)
	v_fma_f64 v[2:3], v[132:133], v[150:151], v[2:3]
	ds_load_b128 v[130:133], v1 offset:768
	ds_load_b128 v[144:147], v1 offset:784
	scratch_load_b128 v[148:151], off, off offset:360
	s_waitcnt lgkmcnt(1)
	v_fma_f64 v[2:3], v[134:135], v[130:131], v[2:3]
	s_waitcnt vmcnt(4)
	s_delay_alu instid0(VALU_DEP_1) | instskip(SKIP_4) | instid1(VALU_DEP_1)
	v_fma_f64 v[2:3], v[136:137], v[132:133], v[2:3]
	scratch_load_b128 v[130:133], off, off offset:376
	s_waitcnt lgkmcnt(0)
	v_fma_f64 v[2:3], v[138:139], v[144:145], v[2:3]
	s_waitcnt vmcnt(4)
	v_fma_f64 v[2:3], v[140:141], v[146:147], v[2:3]
	ds_load_b128 v[134:137], v1 offset:800
	ds_load_b128 v[138:141], v1 offset:816
	s_waitcnt lgkmcnt(1)
	v_fma_f64 v[2:3], v[142:143], v[134:135], v[2:3]
	scratch_load_b128 v[142:145], off, off offset:392
	s_waitcnt vmcnt(4)
	v_fma_f64 v[2:3], v[152:153], v[136:137], v[2:3]
	scratch_load_b128 v[134:137], off, off offset:408
	s_waitcnt lgkmcnt(0)
	v_fma_f64 v[2:3], v[154:155], v[138:139], v[2:3]
	s_waitcnt vmcnt(4)
	s_delay_alu instid0(VALU_DEP_1)
	v_fma_f64 v[2:3], v[126:127], v[140:141], v[2:3]
	ds_load_b128 v[138:141], v1 offset:832
	ds_load_b128 v[152:155], v1 offset:848
	s_waitcnt lgkmcnt(1)
	v_fma_f64 v[2:3], v[128:129], v[138:139], v[2:3]
	scratch_load_b128 v[126:129], off, off offset:424
	s_waitcnt vmcnt(4)
	v_fma_f64 v[2:3], v[148:149], v[140:141], v[2:3]
	scratch_load_b128 v[138:141], off, off offset:440
	s_waitcnt lgkmcnt(0)
	v_fma_f64 v[2:3], v[150:151], v[152:153], v[2:3]
	ds_load_b128 v[146:149], v1 offset:864
	ds_load_b128 v[150:153], v1 offset:880
	s_waitcnt vmcnt(4)
	v_fma_f64 v[2:3], v[130:131], v[154:155], v[2:3]
	s_waitcnt lgkmcnt(1)
	s_delay_alu instid0(VALU_DEP_1) | instskip(SKIP_4) | instid1(VALU_DEP_1)
	v_fma_f64 v[2:3], v[132:133], v[146:147], v[2:3]
	scratch_load_b128 v[130:133], off, off offset:456
	s_waitcnt vmcnt(4)
	v_fma_f64 v[2:3], v[142:143], v[148:149], v[2:3]
	s_waitcnt lgkmcnt(0)
	v_fma_f64 v[2:3], v[144:145], v[150:151], v[2:3]
	ds_load_b128 v[142:145], v1 offset:896
	ds_load_b128 v[146:149], v1 offset:912
	s_waitcnt vmcnt(3)
	v_fma_f64 v[2:3], v[134:135], v[152:153], v[2:3]
	s_waitcnt lgkmcnt(1)
	s_delay_alu instid0(VALU_DEP_1) | instskip(SKIP_1) | instid1(VALU_DEP_1)
	v_fma_f64 v[2:3], v[136:137], v[142:143], v[2:3]
	s_waitcnt vmcnt(2)
	v_fma_f64 v[2:3], v[126:127], v[144:145], v[2:3]
	s_waitcnt lgkmcnt(0)
	s_delay_alu instid0(VALU_DEP_1)
	v_fma_f64 v[2:3], v[128:129], v[146:147], v[2:3]
	ds_load_b128 v[126:129], v1 offset:928
	ds_load_b64 v[134:135], v1 offset:944
	s_waitcnt vmcnt(1)
	v_fma_f64 v[2:3], v[138:139], v[148:149], v[2:3]
	s_waitcnt lgkmcnt(1)
	s_delay_alu instid0(VALU_DEP_1) | instskip(SKIP_1) | instid1(VALU_DEP_1)
	v_fma_f64 v[2:3], v[140:141], v[126:127], v[2:3]
	s_waitcnt vmcnt(0)
	v_fma_f64 v[2:3], v[130:131], v[128:129], v[2:3]
	s_waitcnt lgkmcnt(0)
	s_delay_alu instid0(VALU_DEP_1) | instskip(NEXT) | instid1(VALU_DEP_1)
	v_fma_f64 v[2:3], v[132:133], v[134:135], v[2:3]
	v_add_f64 v[2:3], v[124:125], -v[2:3]
	scratch_store_b64 off, v[2:3], off offset:248
	v_cmpx_lt_u32_e32 30, v0
	s_cbranch_execz .LBB122_303
; %bb.302:
	scratch_load_b64 v[3:4], off, off offset:240
	v_mov_b32_e32 v2, v1
	scratch_store_b64 off, v[1:2], off offset:240
	s_waitcnt vmcnt(0)
	ds_store_b64 v5, v[3:4]
.LBB122_303:
	s_or_b32 exec_lo, exec_lo, s0
	s_waitcnt lgkmcnt(0)
	s_waitcnt_vscnt null, 0x0
	s_barrier
	buffer_gl0_inv
	s_clause 0x4
	scratch_load_b128 v[124:127], off, off offset:240
	scratch_load_b128 v[128:131], off, off offset:256
	;; [unrolled: 1-line block ×5, first 2 shown]
	ds_load_2addr_b64 v[144:147], v1 offset0:91 offset1:92
	ds_load_2addr_b64 v[148:151], v1 offset0:93 offset1:94
	scratch_load_b128 v[152:155], off, off offset:320
	s_mov_b32 s0, exec_lo
	s_waitcnt vmcnt(5) lgkmcnt(1)
	v_fma_f64 v[2:3], v[126:127], v[144:145], 0
	s_waitcnt vmcnt(4)
	s_delay_alu instid0(VALU_DEP_1) | instskip(SKIP_4) | instid1(VALU_DEP_1)
	v_fma_f64 v[2:3], v[128:129], v[146:147], v[2:3]
	scratch_load_b128 v[126:129], off, off offset:336
	s_waitcnt lgkmcnt(0)
	v_fma_f64 v[2:3], v[130:131], v[148:149], v[2:3]
	s_waitcnt vmcnt(4)
	v_fma_f64 v[2:3], v[132:133], v[150:151], v[2:3]
	ds_load_2addr_b64 v[130:133], v1 offset0:95 offset1:96
	ds_load_2addr_b64 v[144:147], v1 offset0:97 offset1:98
	scratch_load_b128 v[148:151], off, off offset:352
	s_waitcnt lgkmcnt(1)
	v_fma_f64 v[2:3], v[134:135], v[130:131], v[2:3]
	s_waitcnt vmcnt(4)
	s_delay_alu instid0(VALU_DEP_1) | instskip(SKIP_4) | instid1(VALU_DEP_1)
	v_fma_f64 v[2:3], v[136:137], v[132:133], v[2:3]
	scratch_load_b128 v[130:133], off, off offset:368
	s_waitcnt lgkmcnt(0)
	v_fma_f64 v[2:3], v[138:139], v[144:145], v[2:3]
	s_waitcnt vmcnt(4)
	v_fma_f64 v[2:3], v[140:141], v[146:147], v[2:3]
	ds_load_2addr_b64 v[134:137], v1 offset0:99 offset1:100
	ds_load_2addr_b64 v[138:141], v1 offset0:101 offset1:102
	s_waitcnt lgkmcnt(1)
	v_fma_f64 v[2:3], v[142:143], v[134:135], v[2:3]
	scratch_load_b128 v[142:145], off, off offset:384
	s_waitcnt vmcnt(4)
	v_fma_f64 v[2:3], v[152:153], v[136:137], v[2:3]
	scratch_load_b128 v[134:137], off, off offset:400
	s_waitcnt lgkmcnt(0)
	v_fma_f64 v[2:3], v[154:155], v[138:139], v[2:3]
	s_waitcnt vmcnt(4)
	s_delay_alu instid0(VALU_DEP_1)
	v_fma_f64 v[2:3], v[126:127], v[140:141], v[2:3]
	ds_load_2addr_b64 v[138:141], v1 offset0:103 offset1:104
	ds_load_2addr_b64 v[152:155], v1 offset0:105 offset1:106
	s_waitcnt lgkmcnt(1)
	v_fma_f64 v[2:3], v[128:129], v[138:139], v[2:3]
	scratch_load_b128 v[126:129], off, off offset:416
	s_waitcnt vmcnt(4)
	v_fma_f64 v[2:3], v[148:149], v[140:141], v[2:3]
	scratch_load_b128 v[138:141], off, off offset:432
	s_waitcnt lgkmcnt(0)
	v_fma_f64 v[2:3], v[150:151], v[152:153], v[2:3]
	ds_load_2addr_b64 v[146:149], v1 offset0:107 offset1:108
	ds_load_2addr_b64 v[150:153], v1 offset0:109 offset1:110
	s_waitcnt vmcnt(4)
	v_fma_f64 v[2:3], v[130:131], v[154:155], v[2:3]
	s_waitcnt lgkmcnt(1)
	s_delay_alu instid0(VALU_DEP_1) | instskip(SKIP_4) | instid1(VALU_DEP_1)
	v_fma_f64 v[2:3], v[132:133], v[146:147], v[2:3]
	scratch_load_b128 v[130:133], off, off offset:448
	s_waitcnt vmcnt(4)
	v_fma_f64 v[2:3], v[142:143], v[148:149], v[2:3]
	s_waitcnt lgkmcnt(0)
	v_fma_f64 v[2:3], v[144:145], v[150:151], v[2:3]
	scratch_load_b64 v[150:151], off, off offset:464
	ds_load_2addr_b64 v[142:145], v1 offset0:111 offset1:112
	ds_load_2addr_b64 v[146:149], v1 offset0:113 offset1:114
	s_waitcnt vmcnt(4)
	v_fma_f64 v[2:3], v[134:135], v[152:153], v[2:3]
	s_waitcnt lgkmcnt(1)
	s_delay_alu instid0(VALU_DEP_1) | instskip(SKIP_1) | instid1(VALU_DEP_1)
	v_fma_f64 v[2:3], v[136:137], v[142:143], v[2:3]
	s_waitcnt vmcnt(3)
	v_fma_f64 v[2:3], v[126:127], v[144:145], v[2:3]
	s_waitcnt lgkmcnt(0)
	s_delay_alu instid0(VALU_DEP_1) | instskip(SKIP_1) | instid1(VALU_DEP_1)
	v_fma_f64 v[2:3], v[128:129], v[146:147], v[2:3]
	s_waitcnt vmcnt(2)
	v_fma_f64 v[134:135], v[138:139], v[148:149], v[2:3]
	ds_load_2addr_b64 v[126:129], v1 offset0:115 offset1:116
	ds_load_2addr_b64 v[1:4], v1 offset0:117 offset1:118
	s_waitcnt lgkmcnt(1)
	v_fma_f64 v[126:127], v[140:141], v[126:127], v[134:135]
	s_waitcnt vmcnt(1)
	s_delay_alu instid0(VALU_DEP_1) | instskip(SKIP_1) | instid1(VALU_DEP_1)
	v_fma_f64 v[126:127], v[130:131], v[128:129], v[126:127]
	s_waitcnt lgkmcnt(0)
	v_fma_f64 v[1:2], v[132:133], v[1:2], v[126:127]
	s_waitcnt vmcnt(0)
	s_delay_alu instid0(VALU_DEP_1) | instskip(NEXT) | instid1(VALU_DEP_1)
	v_fma_f64 v[1:2], v[150:151], v[3:4], v[1:2]
	v_add_f64 v[1:2], v[124:125], -v[1:2]
	scratch_store_b64 off, v[1:2], off offset:240
	v_cmpx_lt_u32_e32 29, v0
	s_cbranch_execz .LBB122_305
; %bb.304:
	scratch_load_b64 v[1:2], off, off offset:232
	v_mov_b32_e32 v3, 0
	s_delay_alu instid0(VALU_DEP_1)
	v_mov_b32_e32 v4, v3
	scratch_store_b64 off, v[3:4], off offset:232
	s_waitcnt vmcnt(0)
	ds_store_b64 v5, v[1:2]
.LBB122_305:
	s_or_b32 exec_lo, exec_lo, s0
	s_waitcnt lgkmcnt(0)
	s_waitcnt_vscnt null, 0x0
	s_barrier
	buffer_gl0_inv
	s_clause 0x4
	scratch_load_b128 v[124:127], off, off offset:232
	scratch_load_b128 v[128:131], off, off offset:248
	;; [unrolled: 1-line block ×5, first 2 shown]
	v_mov_b32_e32 v1, 0
	ds_load_b128 v[144:147], v1 offset:720
	ds_load_b128 v[148:151], v1 offset:736
	scratch_load_b128 v[152:155], off, off offset:312
	s_mov_b32 s0, exec_lo
	s_waitcnt vmcnt(5) lgkmcnt(1)
	v_fma_f64 v[2:3], v[126:127], v[144:145], 0
	s_waitcnt vmcnt(4)
	s_delay_alu instid0(VALU_DEP_1) | instskip(SKIP_4) | instid1(VALU_DEP_1)
	v_fma_f64 v[2:3], v[128:129], v[146:147], v[2:3]
	scratch_load_b128 v[126:129], off, off offset:328
	s_waitcnt lgkmcnt(0)
	v_fma_f64 v[2:3], v[130:131], v[148:149], v[2:3]
	s_waitcnt vmcnt(4)
	v_fma_f64 v[2:3], v[132:133], v[150:151], v[2:3]
	ds_load_b128 v[130:133], v1 offset:752
	ds_load_b128 v[144:147], v1 offset:768
	scratch_load_b128 v[148:151], off, off offset:344
	s_waitcnt lgkmcnt(1)
	v_fma_f64 v[2:3], v[134:135], v[130:131], v[2:3]
	s_waitcnt vmcnt(4)
	s_delay_alu instid0(VALU_DEP_1) | instskip(SKIP_4) | instid1(VALU_DEP_1)
	v_fma_f64 v[2:3], v[136:137], v[132:133], v[2:3]
	scratch_load_b128 v[130:133], off, off offset:360
	s_waitcnt lgkmcnt(0)
	v_fma_f64 v[2:3], v[138:139], v[144:145], v[2:3]
	s_waitcnt vmcnt(4)
	v_fma_f64 v[2:3], v[140:141], v[146:147], v[2:3]
	ds_load_b128 v[134:137], v1 offset:784
	ds_load_b128 v[138:141], v1 offset:800
	s_waitcnt lgkmcnt(1)
	v_fma_f64 v[2:3], v[142:143], v[134:135], v[2:3]
	scratch_load_b128 v[142:145], off, off offset:376
	s_waitcnt vmcnt(4)
	v_fma_f64 v[2:3], v[152:153], v[136:137], v[2:3]
	scratch_load_b128 v[134:137], off, off offset:392
	s_waitcnt lgkmcnt(0)
	v_fma_f64 v[2:3], v[154:155], v[138:139], v[2:3]
	s_waitcnt vmcnt(4)
	s_delay_alu instid0(VALU_DEP_1)
	v_fma_f64 v[2:3], v[126:127], v[140:141], v[2:3]
	ds_load_b128 v[138:141], v1 offset:816
	ds_load_b128 v[152:155], v1 offset:832
	s_waitcnt lgkmcnt(1)
	v_fma_f64 v[2:3], v[128:129], v[138:139], v[2:3]
	scratch_load_b128 v[126:129], off, off offset:408
	s_waitcnt vmcnt(4)
	v_fma_f64 v[2:3], v[148:149], v[140:141], v[2:3]
	scratch_load_b128 v[138:141], off, off offset:424
	s_waitcnt lgkmcnt(0)
	v_fma_f64 v[2:3], v[150:151], v[152:153], v[2:3]
	ds_load_b128 v[146:149], v1 offset:848
	ds_load_b128 v[150:153], v1 offset:864
	s_waitcnt vmcnt(4)
	v_fma_f64 v[2:3], v[130:131], v[154:155], v[2:3]
	s_waitcnt lgkmcnt(1)
	s_delay_alu instid0(VALU_DEP_1) | instskip(SKIP_4) | instid1(VALU_DEP_1)
	v_fma_f64 v[2:3], v[132:133], v[146:147], v[2:3]
	scratch_load_b128 v[130:133], off, off offset:440
	s_waitcnt vmcnt(4)
	v_fma_f64 v[2:3], v[142:143], v[148:149], v[2:3]
	s_waitcnt lgkmcnt(0)
	v_fma_f64 v[2:3], v[144:145], v[150:151], v[2:3]
	scratch_load_b128 v[142:145], off, off offset:456
	s_waitcnt vmcnt(4)
	v_fma_f64 v[2:3], v[134:135], v[152:153], v[2:3]
	ds_load_b128 v[146:149], v1 offset:880
	ds_load_b128 v[150:153], v1 offset:896
	s_waitcnt lgkmcnt(1)
	v_fma_f64 v[2:3], v[136:137], v[146:147], v[2:3]
	s_waitcnt vmcnt(3)
	s_delay_alu instid0(VALU_DEP_1) | instskip(SKIP_1) | instid1(VALU_DEP_1)
	v_fma_f64 v[2:3], v[126:127], v[148:149], v[2:3]
	s_waitcnt lgkmcnt(0)
	v_fma_f64 v[2:3], v[128:129], v[150:151], v[2:3]
	ds_load_b128 v[126:129], v1 offset:912
	ds_load_b128 v[134:137], v1 offset:928
	s_waitcnt vmcnt(2)
	v_fma_f64 v[2:3], v[138:139], v[152:153], v[2:3]
	s_waitcnt lgkmcnt(1)
	s_delay_alu instid0(VALU_DEP_1) | instskip(SKIP_4) | instid1(VALU_DEP_1)
	v_fma_f64 v[2:3], v[140:141], v[126:127], v[2:3]
	ds_load_b64 v[126:127], v1 offset:944
	s_waitcnt vmcnt(1)
	v_fma_f64 v[2:3], v[130:131], v[128:129], v[2:3]
	s_waitcnt lgkmcnt(1)
	v_fma_f64 v[2:3], v[132:133], v[134:135], v[2:3]
	s_waitcnt vmcnt(0)
	s_delay_alu instid0(VALU_DEP_1) | instskip(SKIP_1) | instid1(VALU_DEP_1)
	v_fma_f64 v[2:3], v[142:143], v[136:137], v[2:3]
	s_waitcnt lgkmcnt(0)
	v_fma_f64 v[2:3], v[144:145], v[126:127], v[2:3]
	s_delay_alu instid0(VALU_DEP_1)
	v_add_f64 v[2:3], v[124:125], -v[2:3]
	scratch_store_b64 off, v[2:3], off offset:232
	v_cmpx_lt_u32_e32 28, v0
	s_cbranch_execz .LBB122_307
; %bb.306:
	scratch_load_b64 v[3:4], off, off offset:224
	v_mov_b32_e32 v2, v1
	scratch_store_b64 off, v[1:2], off offset:224
	s_waitcnt vmcnt(0)
	ds_store_b64 v5, v[3:4]
.LBB122_307:
	s_or_b32 exec_lo, exec_lo, s0
	s_waitcnt lgkmcnt(0)
	s_waitcnt_vscnt null, 0x0
	s_barrier
	buffer_gl0_inv
	s_clause 0x4
	scratch_load_b128 v[124:127], off, off offset:224
	scratch_load_b128 v[128:131], off, off offset:240
	;; [unrolled: 1-line block ×5, first 2 shown]
	ds_load_2addr_b64 v[144:147], v1 offset0:89 offset1:90
	ds_load_2addr_b64 v[148:151], v1 offset0:91 offset1:92
	scratch_load_b128 v[152:155], off, off offset:304
	s_mov_b32 s0, exec_lo
	s_waitcnt vmcnt(5) lgkmcnt(1)
	v_fma_f64 v[2:3], v[126:127], v[144:145], 0
	s_waitcnt vmcnt(4)
	s_delay_alu instid0(VALU_DEP_1) | instskip(SKIP_4) | instid1(VALU_DEP_1)
	v_fma_f64 v[2:3], v[128:129], v[146:147], v[2:3]
	scratch_load_b128 v[126:129], off, off offset:320
	s_waitcnt lgkmcnt(0)
	v_fma_f64 v[2:3], v[130:131], v[148:149], v[2:3]
	s_waitcnt vmcnt(4)
	v_fma_f64 v[2:3], v[132:133], v[150:151], v[2:3]
	ds_load_2addr_b64 v[130:133], v1 offset0:93 offset1:94
	ds_load_2addr_b64 v[144:147], v1 offset0:95 offset1:96
	scratch_load_b128 v[148:151], off, off offset:336
	s_waitcnt lgkmcnt(1)
	v_fma_f64 v[2:3], v[134:135], v[130:131], v[2:3]
	s_waitcnt vmcnt(4)
	s_delay_alu instid0(VALU_DEP_1) | instskip(SKIP_4) | instid1(VALU_DEP_1)
	v_fma_f64 v[2:3], v[136:137], v[132:133], v[2:3]
	scratch_load_b128 v[130:133], off, off offset:352
	s_waitcnt lgkmcnt(0)
	v_fma_f64 v[2:3], v[138:139], v[144:145], v[2:3]
	s_waitcnt vmcnt(4)
	v_fma_f64 v[2:3], v[140:141], v[146:147], v[2:3]
	ds_load_2addr_b64 v[134:137], v1 offset0:97 offset1:98
	ds_load_2addr_b64 v[138:141], v1 offset0:99 offset1:100
	s_waitcnt lgkmcnt(1)
	v_fma_f64 v[2:3], v[142:143], v[134:135], v[2:3]
	scratch_load_b128 v[142:145], off, off offset:368
	s_waitcnt vmcnt(4)
	v_fma_f64 v[2:3], v[152:153], v[136:137], v[2:3]
	scratch_load_b128 v[134:137], off, off offset:384
	s_waitcnt lgkmcnt(0)
	v_fma_f64 v[2:3], v[154:155], v[138:139], v[2:3]
	s_waitcnt vmcnt(4)
	s_delay_alu instid0(VALU_DEP_1)
	v_fma_f64 v[2:3], v[126:127], v[140:141], v[2:3]
	ds_load_2addr_b64 v[138:141], v1 offset0:101 offset1:102
	ds_load_2addr_b64 v[152:155], v1 offset0:103 offset1:104
	s_waitcnt lgkmcnt(1)
	v_fma_f64 v[2:3], v[128:129], v[138:139], v[2:3]
	scratch_load_b128 v[126:129], off, off offset:400
	s_waitcnt vmcnt(4)
	v_fma_f64 v[2:3], v[148:149], v[140:141], v[2:3]
	scratch_load_b128 v[138:141], off, off offset:416
	s_waitcnt lgkmcnt(0)
	v_fma_f64 v[2:3], v[150:151], v[152:153], v[2:3]
	ds_load_2addr_b64 v[146:149], v1 offset0:105 offset1:106
	ds_load_2addr_b64 v[150:153], v1 offset0:107 offset1:108
	s_waitcnt vmcnt(4)
	v_fma_f64 v[2:3], v[130:131], v[154:155], v[2:3]
	s_waitcnt lgkmcnt(1)
	s_delay_alu instid0(VALU_DEP_1) | instskip(SKIP_4) | instid1(VALU_DEP_1)
	v_fma_f64 v[2:3], v[132:133], v[146:147], v[2:3]
	scratch_load_b128 v[130:133], off, off offset:432
	s_waitcnt vmcnt(4)
	v_fma_f64 v[2:3], v[142:143], v[148:149], v[2:3]
	s_waitcnt lgkmcnt(0)
	v_fma_f64 v[2:3], v[144:145], v[150:151], v[2:3]
	scratch_load_b128 v[142:145], off, off offset:448
	s_waitcnt vmcnt(4)
	v_fma_f64 v[2:3], v[134:135], v[152:153], v[2:3]
	ds_load_2addr_b64 v[146:149], v1 offset0:109 offset1:110
	ds_load_2addr_b64 v[150:153], v1 offset0:111 offset1:112
	s_waitcnt lgkmcnt(1)
	v_fma_f64 v[2:3], v[136:137], v[146:147], v[2:3]
	scratch_load_b64 v[146:147], off, off offset:464
	s_waitcnt vmcnt(4)
	v_fma_f64 v[2:3], v[126:127], v[148:149], v[2:3]
	s_waitcnt lgkmcnt(0)
	s_delay_alu instid0(VALU_DEP_1)
	v_fma_f64 v[2:3], v[128:129], v[150:151], v[2:3]
	ds_load_2addr_b64 v[126:129], v1 offset0:113 offset1:114
	ds_load_2addr_b64 v[134:137], v1 offset0:115 offset1:116
	s_waitcnt vmcnt(3)
	v_fma_f64 v[2:3], v[138:139], v[152:153], v[2:3]
	s_waitcnt lgkmcnt(1)
	s_delay_alu instid0(VALU_DEP_1) | instskip(SKIP_1) | instid1(VALU_DEP_1)
	v_fma_f64 v[2:3], v[140:141], v[126:127], v[2:3]
	s_waitcnt vmcnt(2)
	v_fma_f64 v[2:3], v[130:131], v[128:129], v[2:3]
	s_waitcnt lgkmcnt(0)
	s_delay_alu instid0(VALU_DEP_1) | instskip(SKIP_1) | instid1(VALU_DEP_1)
	v_fma_f64 v[2:3], v[132:133], v[134:135], v[2:3]
	s_waitcnt vmcnt(1)
	v_fma_f64 v[126:127], v[142:143], v[136:137], v[2:3]
	ds_load_2addr_b64 v[1:4], v1 offset0:117 offset1:118
	s_waitcnt lgkmcnt(0)
	v_fma_f64 v[1:2], v[144:145], v[1:2], v[126:127]
	s_waitcnt vmcnt(0)
	s_delay_alu instid0(VALU_DEP_1) | instskip(NEXT) | instid1(VALU_DEP_1)
	v_fma_f64 v[1:2], v[146:147], v[3:4], v[1:2]
	v_add_f64 v[1:2], v[124:125], -v[1:2]
	scratch_store_b64 off, v[1:2], off offset:224
	v_cmpx_lt_u32_e32 27, v0
	s_cbranch_execz .LBB122_309
; %bb.308:
	scratch_load_b64 v[1:2], off, off offset:216
	v_mov_b32_e32 v3, 0
	s_delay_alu instid0(VALU_DEP_1)
	v_mov_b32_e32 v4, v3
	scratch_store_b64 off, v[3:4], off offset:216
	s_waitcnt vmcnt(0)
	ds_store_b64 v5, v[1:2]
.LBB122_309:
	s_or_b32 exec_lo, exec_lo, s0
	s_waitcnt lgkmcnt(0)
	s_waitcnt_vscnt null, 0x0
	s_barrier
	buffer_gl0_inv
	s_clause 0x4
	scratch_load_b128 v[124:127], off, off offset:216
	scratch_load_b128 v[128:131], off, off offset:232
	;; [unrolled: 1-line block ×5, first 2 shown]
	v_mov_b32_e32 v1, 0
	ds_load_b128 v[144:147], v1 offset:704
	ds_load_b128 v[148:151], v1 offset:720
	scratch_load_b128 v[152:155], off, off offset:296
	s_mov_b32 s0, exec_lo
	s_waitcnt vmcnt(5) lgkmcnt(1)
	v_fma_f64 v[2:3], v[126:127], v[144:145], 0
	s_waitcnt vmcnt(4)
	s_delay_alu instid0(VALU_DEP_1) | instskip(SKIP_4) | instid1(VALU_DEP_1)
	v_fma_f64 v[2:3], v[128:129], v[146:147], v[2:3]
	scratch_load_b128 v[126:129], off, off offset:312
	s_waitcnt lgkmcnt(0)
	v_fma_f64 v[2:3], v[130:131], v[148:149], v[2:3]
	s_waitcnt vmcnt(4)
	v_fma_f64 v[2:3], v[132:133], v[150:151], v[2:3]
	ds_load_b128 v[130:133], v1 offset:736
	ds_load_b128 v[144:147], v1 offset:752
	scratch_load_b128 v[148:151], off, off offset:328
	s_waitcnt lgkmcnt(1)
	v_fma_f64 v[2:3], v[134:135], v[130:131], v[2:3]
	s_waitcnt vmcnt(4)
	s_delay_alu instid0(VALU_DEP_1) | instskip(SKIP_4) | instid1(VALU_DEP_1)
	v_fma_f64 v[2:3], v[136:137], v[132:133], v[2:3]
	scratch_load_b128 v[130:133], off, off offset:344
	s_waitcnt lgkmcnt(0)
	v_fma_f64 v[2:3], v[138:139], v[144:145], v[2:3]
	s_waitcnt vmcnt(4)
	v_fma_f64 v[2:3], v[140:141], v[146:147], v[2:3]
	ds_load_b128 v[134:137], v1 offset:768
	ds_load_b128 v[138:141], v1 offset:784
	s_waitcnt lgkmcnt(1)
	v_fma_f64 v[2:3], v[142:143], v[134:135], v[2:3]
	scratch_load_b128 v[142:145], off, off offset:360
	s_waitcnt vmcnt(4)
	v_fma_f64 v[2:3], v[152:153], v[136:137], v[2:3]
	scratch_load_b128 v[134:137], off, off offset:376
	s_waitcnt lgkmcnt(0)
	v_fma_f64 v[2:3], v[154:155], v[138:139], v[2:3]
	s_waitcnt vmcnt(4)
	s_delay_alu instid0(VALU_DEP_1)
	v_fma_f64 v[2:3], v[126:127], v[140:141], v[2:3]
	ds_load_b128 v[138:141], v1 offset:800
	ds_load_b128 v[152:155], v1 offset:816
	s_waitcnt lgkmcnt(1)
	v_fma_f64 v[2:3], v[128:129], v[138:139], v[2:3]
	scratch_load_b128 v[126:129], off, off offset:392
	s_waitcnt vmcnt(4)
	v_fma_f64 v[2:3], v[148:149], v[140:141], v[2:3]
	scratch_load_b128 v[138:141], off, off offset:408
	s_waitcnt lgkmcnt(0)
	v_fma_f64 v[2:3], v[150:151], v[152:153], v[2:3]
	ds_load_b128 v[146:149], v1 offset:832
	ds_load_b128 v[150:153], v1 offset:848
	s_waitcnt vmcnt(4)
	v_fma_f64 v[2:3], v[130:131], v[154:155], v[2:3]
	s_waitcnt lgkmcnt(1)
	s_delay_alu instid0(VALU_DEP_1) | instskip(SKIP_4) | instid1(VALU_DEP_1)
	v_fma_f64 v[2:3], v[132:133], v[146:147], v[2:3]
	scratch_load_b128 v[130:133], off, off offset:424
	s_waitcnt vmcnt(4)
	v_fma_f64 v[2:3], v[142:143], v[148:149], v[2:3]
	s_waitcnt lgkmcnt(0)
	v_fma_f64 v[2:3], v[144:145], v[150:151], v[2:3]
	scratch_load_b128 v[142:145], off, off offset:440
	s_waitcnt vmcnt(4)
	v_fma_f64 v[2:3], v[134:135], v[152:153], v[2:3]
	ds_load_b128 v[146:149], v1 offset:864
	ds_load_b128 v[150:153], v1 offset:880
	s_waitcnt lgkmcnt(1)
	v_fma_f64 v[2:3], v[136:137], v[146:147], v[2:3]
	scratch_load_b128 v[134:137], off, off offset:456
	s_waitcnt vmcnt(4)
	v_fma_f64 v[2:3], v[126:127], v[148:149], v[2:3]
	s_waitcnt lgkmcnt(0)
	s_delay_alu instid0(VALU_DEP_1)
	v_fma_f64 v[2:3], v[128:129], v[150:151], v[2:3]
	ds_load_b128 v[126:129], v1 offset:896
	ds_load_b128 v[146:149], v1 offset:912
	s_waitcnt vmcnt(3)
	v_fma_f64 v[2:3], v[138:139], v[152:153], v[2:3]
	s_waitcnt lgkmcnt(1)
	s_delay_alu instid0(VALU_DEP_1) | instskip(SKIP_1) | instid1(VALU_DEP_1)
	v_fma_f64 v[2:3], v[140:141], v[126:127], v[2:3]
	s_waitcnt vmcnt(2)
	v_fma_f64 v[2:3], v[130:131], v[128:129], v[2:3]
	ds_load_b128 v[126:129], v1 offset:928
	ds_load_b64 v[130:131], v1 offset:944
	s_waitcnt lgkmcnt(2)
	v_fma_f64 v[2:3], v[132:133], v[146:147], v[2:3]
	s_waitcnt vmcnt(1)
	s_delay_alu instid0(VALU_DEP_1) | instskip(SKIP_1) | instid1(VALU_DEP_1)
	v_fma_f64 v[2:3], v[142:143], v[148:149], v[2:3]
	s_waitcnt lgkmcnt(1)
	v_fma_f64 v[2:3], v[144:145], v[126:127], v[2:3]
	s_waitcnt vmcnt(0)
	s_delay_alu instid0(VALU_DEP_1) | instskip(SKIP_1) | instid1(VALU_DEP_1)
	v_fma_f64 v[2:3], v[134:135], v[128:129], v[2:3]
	s_waitcnt lgkmcnt(0)
	v_fma_f64 v[2:3], v[136:137], v[130:131], v[2:3]
	s_delay_alu instid0(VALU_DEP_1)
	v_add_f64 v[2:3], v[124:125], -v[2:3]
	scratch_store_b64 off, v[2:3], off offset:216
	v_cmpx_lt_u32_e32 26, v0
	s_cbranch_execz .LBB122_311
; %bb.310:
	scratch_load_b64 v[3:4], off, off offset:208
	v_mov_b32_e32 v2, v1
	scratch_store_b64 off, v[1:2], off offset:208
	s_waitcnt vmcnt(0)
	ds_store_b64 v5, v[3:4]
.LBB122_311:
	s_or_b32 exec_lo, exec_lo, s0
	s_waitcnt lgkmcnt(0)
	s_waitcnt_vscnt null, 0x0
	s_barrier
	buffer_gl0_inv
	s_clause 0x4
	scratch_load_b128 v[124:127], off, off offset:208
	scratch_load_b128 v[128:131], off, off offset:224
	;; [unrolled: 1-line block ×5, first 2 shown]
	ds_load_2addr_b64 v[144:147], v1 offset0:87 offset1:88
	ds_load_2addr_b64 v[148:151], v1 offset0:89 offset1:90
	scratch_load_b128 v[152:155], off, off offset:288
	s_mov_b32 s0, exec_lo
	s_waitcnt vmcnt(5) lgkmcnt(1)
	v_fma_f64 v[2:3], v[126:127], v[144:145], 0
	s_waitcnt vmcnt(4)
	s_delay_alu instid0(VALU_DEP_1) | instskip(SKIP_4) | instid1(VALU_DEP_1)
	v_fma_f64 v[2:3], v[128:129], v[146:147], v[2:3]
	scratch_load_b128 v[126:129], off, off offset:304
	s_waitcnt lgkmcnt(0)
	v_fma_f64 v[2:3], v[130:131], v[148:149], v[2:3]
	s_waitcnt vmcnt(4)
	v_fma_f64 v[2:3], v[132:133], v[150:151], v[2:3]
	ds_load_2addr_b64 v[130:133], v1 offset0:91 offset1:92
	ds_load_2addr_b64 v[144:147], v1 offset0:93 offset1:94
	scratch_load_b128 v[148:151], off, off offset:320
	s_waitcnt lgkmcnt(1)
	v_fma_f64 v[2:3], v[134:135], v[130:131], v[2:3]
	s_waitcnt vmcnt(4)
	s_delay_alu instid0(VALU_DEP_1) | instskip(SKIP_4) | instid1(VALU_DEP_1)
	v_fma_f64 v[2:3], v[136:137], v[132:133], v[2:3]
	scratch_load_b128 v[130:133], off, off offset:336
	s_waitcnt lgkmcnt(0)
	v_fma_f64 v[2:3], v[138:139], v[144:145], v[2:3]
	s_waitcnt vmcnt(4)
	v_fma_f64 v[2:3], v[140:141], v[146:147], v[2:3]
	ds_load_2addr_b64 v[134:137], v1 offset0:95 offset1:96
	ds_load_2addr_b64 v[138:141], v1 offset0:97 offset1:98
	s_waitcnt lgkmcnt(1)
	v_fma_f64 v[2:3], v[142:143], v[134:135], v[2:3]
	scratch_load_b128 v[142:145], off, off offset:352
	s_waitcnt vmcnt(4)
	v_fma_f64 v[2:3], v[152:153], v[136:137], v[2:3]
	scratch_load_b128 v[134:137], off, off offset:368
	s_waitcnt lgkmcnt(0)
	v_fma_f64 v[2:3], v[154:155], v[138:139], v[2:3]
	s_waitcnt vmcnt(4)
	s_delay_alu instid0(VALU_DEP_1)
	v_fma_f64 v[2:3], v[126:127], v[140:141], v[2:3]
	ds_load_2addr_b64 v[138:141], v1 offset0:99 offset1:100
	ds_load_2addr_b64 v[152:155], v1 offset0:101 offset1:102
	s_waitcnt lgkmcnt(1)
	v_fma_f64 v[2:3], v[128:129], v[138:139], v[2:3]
	scratch_load_b128 v[126:129], off, off offset:384
	s_waitcnt vmcnt(4)
	v_fma_f64 v[2:3], v[148:149], v[140:141], v[2:3]
	scratch_load_b128 v[138:141], off, off offset:400
	s_waitcnt lgkmcnt(0)
	v_fma_f64 v[2:3], v[150:151], v[152:153], v[2:3]
	ds_load_2addr_b64 v[146:149], v1 offset0:103 offset1:104
	ds_load_2addr_b64 v[150:153], v1 offset0:105 offset1:106
	s_waitcnt vmcnt(4)
	v_fma_f64 v[2:3], v[130:131], v[154:155], v[2:3]
	s_waitcnt lgkmcnt(1)
	s_delay_alu instid0(VALU_DEP_1) | instskip(SKIP_4) | instid1(VALU_DEP_1)
	v_fma_f64 v[2:3], v[132:133], v[146:147], v[2:3]
	scratch_load_b128 v[130:133], off, off offset:416
	s_waitcnt vmcnt(4)
	v_fma_f64 v[2:3], v[142:143], v[148:149], v[2:3]
	s_waitcnt lgkmcnt(0)
	v_fma_f64 v[2:3], v[144:145], v[150:151], v[2:3]
	scratch_load_b128 v[142:145], off, off offset:432
	s_waitcnt vmcnt(4)
	v_fma_f64 v[2:3], v[134:135], v[152:153], v[2:3]
	ds_load_2addr_b64 v[146:149], v1 offset0:107 offset1:108
	ds_load_2addr_b64 v[150:153], v1 offset0:109 offset1:110
	s_waitcnt lgkmcnt(1)
	v_fma_f64 v[2:3], v[136:137], v[146:147], v[2:3]
	scratch_load_b128 v[134:137], off, off offset:448
	s_waitcnt vmcnt(4)
	v_fma_f64 v[2:3], v[126:127], v[148:149], v[2:3]
	s_waitcnt lgkmcnt(0)
	s_delay_alu instid0(VALU_DEP_1)
	v_fma_f64 v[2:3], v[128:129], v[150:151], v[2:3]
	scratch_load_b64 v[150:151], off, off offset:464
	ds_load_2addr_b64 v[126:129], v1 offset0:111 offset1:112
	ds_load_2addr_b64 v[146:149], v1 offset0:113 offset1:114
	s_waitcnt vmcnt(4)
	v_fma_f64 v[2:3], v[138:139], v[152:153], v[2:3]
	s_waitcnt lgkmcnt(1)
	s_delay_alu instid0(VALU_DEP_1) | instskip(SKIP_1) | instid1(VALU_DEP_1)
	v_fma_f64 v[2:3], v[140:141], v[126:127], v[2:3]
	s_waitcnt vmcnt(3)
	v_fma_f64 v[2:3], v[130:131], v[128:129], v[2:3]
	s_waitcnt lgkmcnt(0)
	s_delay_alu instid0(VALU_DEP_1) | instskip(SKIP_1) | instid1(VALU_DEP_1)
	v_fma_f64 v[2:3], v[132:133], v[146:147], v[2:3]
	s_waitcnt vmcnt(2)
	v_fma_f64 v[130:131], v[142:143], v[148:149], v[2:3]
	ds_load_2addr_b64 v[126:129], v1 offset0:115 offset1:116
	ds_load_2addr_b64 v[1:4], v1 offset0:117 offset1:118
	s_waitcnt lgkmcnt(1)
	v_fma_f64 v[126:127], v[144:145], v[126:127], v[130:131]
	s_waitcnt vmcnt(1)
	s_delay_alu instid0(VALU_DEP_1) | instskip(SKIP_1) | instid1(VALU_DEP_1)
	v_fma_f64 v[126:127], v[134:135], v[128:129], v[126:127]
	s_waitcnt lgkmcnt(0)
	v_fma_f64 v[1:2], v[136:137], v[1:2], v[126:127]
	s_waitcnt vmcnt(0)
	s_delay_alu instid0(VALU_DEP_1) | instskip(NEXT) | instid1(VALU_DEP_1)
	v_fma_f64 v[1:2], v[150:151], v[3:4], v[1:2]
	v_add_f64 v[1:2], v[124:125], -v[1:2]
	scratch_store_b64 off, v[1:2], off offset:208
	v_cmpx_lt_u32_e32 25, v0
	s_cbranch_execz .LBB122_313
; %bb.312:
	scratch_load_b64 v[1:2], off, off offset:200
	v_mov_b32_e32 v3, 0
	s_delay_alu instid0(VALU_DEP_1)
	v_mov_b32_e32 v4, v3
	scratch_store_b64 off, v[3:4], off offset:200
	s_waitcnt vmcnt(0)
	ds_store_b64 v5, v[1:2]
.LBB122_313:
	s_or_b32 exec_lo, exec_lo, s0
	s_waitcnt lgkmcnt(0)
	s_waitcnt_vscnt null, 0x0
	s_barrier
	buffer_gl0_inv
	s_clause 0x4
	scratch_load_b128 v[124:127], off, off offset:200
	scratch_load_b128 v[128:131], off, off offset:216
	;; [unrolled: 1-line block ×5, first 2 shown]
	v_mov_b32_e32 v1, 0
	ds_load_b128 v[144:147], v1 offset:688
	ds_load_b128 v[148:151], v1 offset:704
	scratch_load_b128 v[152:155], off, off offset:280
	s_mov_b32 s0, exec_lo
	s_waitcnt vmcnt(5) lgkmcnt(1)
	v_fma_f64 v[2:3], v[126:127], v[144:145], 0
	s_waitcnt vmcnt(4)
	s_delay_alu instid0(VALU_DEP_1) | instskip(SKIP_4) | instid1(VALU_DEP_1)
	v_fma_f64 v[2:3], v[128:129], v[146:147], v[2:3]
	scratch_load_b128 v[126:129], off, off offset:296
	s_waitcnt lgkmcnt(0)
	v_fma_f64 v[2:3], v[130:131], v[148:149], v[2:3]
	s_waitcnt vmcnt(4)
	v_fma_f64 v[2:3], v[132:133], v[150:151], v[2:3]
	ds_load_b128 v[130:133], v1 offset:720
	ds_load_b128 v[144:147], v1 offset:736
	scratch_load_b128 v[148:151], off, off offset:312
	s_waitcnt lgkmcnt(1)
	v_fma_f64 v[2:3], v[134:135], v[130:131], v[2:3]
	s_waitcnt vmcnt(4)
	s_delay_alu instid0(VALU_DEP_1) | instskip(SKIP_4) | instid1(VALU_DEP_1)
	v_fma_f64 v[2:3], v[136:137], v[132:133], v[2:3]
	scratch_load_b128 v[130:133], off, off offset:328
	s_waitcnt lgkmcnt(0)
	v_fma_f64 v[2:3], v[138:139], v[144:145], v[2:3]
	s_waitcnt vmcnt(4)
	v_fma_f64 v[2:3], v[140:141], v[146:147], v[2:3]
	ds_load_b128 v[134:137], v1 offset:752
	ds_load_b128 v[138:141], v1 offset:768
	s_waitcnt lgkmcnt(1)
	v_fma_f64 v[2:3], v[142:143], v[134:135], v[2:3]
	scratch_load_b128 v[142:145], off, off offset:344
	s_waitcnt vmcnt(4)
	v_fma_f64 v[2:3], v[152:153], v[136:137], v[2:3]
	scratch_load_b128 v[134:137], off, off offset:360
	s_waitcnt lgkmcnt(0)
	v_fma_f64 v[2:3], v[154:155], v[138:139], v[2:3]
	s_waitcnt vmcnt(4)
	s_delay_alu instid0(VALU_DEP_1)
	v_fma_f64 v[2:3], v[126:127], v[140:141], v[2:3]
	ds_load_b128 v[138:141], v1 offset:784
	ds_load_b128 v[152:155], v1 offset:800
	s_waitcnt lgkmcnt(1)
	v_fma_f64 v[2:3], v[128:129], v[138:139], v[2:3]
	scratch_load_b128 v[126:129], off, off offset:376
	s_waitcnt vmcnt(4)
	v_fma_f64 v[2:3], v[148:149], v[140:141], v[2:3]
	scratch_load_b128 v[138:141], off, off offset:392
	s_waitcnt lgkmcnt(0)
	v_fma_f64 v[2:3], v[150:151], v[152:153], v[2:3]
	ds_load_b128 v[146:149], v1 offset:816
	ds_load_b128 v[150:153], v1 offset:832
	s_waitcnt vmcnt(4)
	v_fma_f64 v[2:3], v[130:131], v[154:155], v[2:3]
	s_waitcnt lgkmcnt(1)
	s_delay_alu instid0(VALU_DEP_1) | instskip(SKIP_4) | instid1(VALU_DEP_1)
	v_fma_f64 v[2:3], v[132:133], v[146:147], v[2:3]
	scratch_load_b128 v[130:133], off, off offset:408
	s_waitcnt vmcnt(4)
	v_fma_f64 v[2:3], v[142:143], v[148:149], v[2:3]
	s_waitcnt lgkmcnt(0)
	v_fma_f64 v[2:3], v[144:145], v[150:151], v[2:3]
	scratch_load_b128 v[142:145], off, off offset:424
	s_waitcnt vmcnt(4)
	v_fma_f64 v[2:3], v[134:135], v[152:153], v[2:3]
	ds_load_b128 v[146:149], v1 offset:848
	ds_load_b128 v[150:153], v1 offset:864
	s_waitcnt lgkmcnt(1)
	v_fma_f64 v[2:3], v[136:137], v[146:147], v[2:3]
	scratch_load_b128 v[134:137], off, off offset:440
	s_waitcnt vmcnt(4)
	v_fma_f64 v[2:3], v[126:127], v[148:149], v[2:3]
	s_waitcnt lgkmcnt(0)
	s_delay_alu instid0(VALU_DEP_1)
	v_fma_f64 v[2:3], v[128:129], v[150:151], v[2:3]
	scratch_load_b128 v[126:129], off, off offset:456
	s_waitcnt vmcnt(4)
	v_fma_f64 v[2:3], v[138:139], v[152:153], v[2:3]
	ds_load_b128 v[146:149], v1 offset:880
	ds_load_b128 v[150:153], v1 offset:896
	s_waitcnt lgkmcnt(1)
	v_fma_f64 v[2:3], v[140:141], v[146:147], v[2:3]
	s_waitcnt vmcnt(3)
	s_delay_alu instid0(VALU_DEP_1) | instskip(SKIP_1) | instid1(VALU_DEP_1)
	v_fma_f64 v[2:3], v[130:131], v[148:149], v[2:3]
	s_waitcnt lgkmcnt(0)
	v_fma_f64 v[2:3], v[132:133], v[150:151], v[2:3]
	ds_load_b128 v[130:133], v1 offset:912
	ds_load_b128 v[138:141], v1 offset:928
	s_waitcnt vmcnt(2)
	v_fma_f64 v[2:3], v[142:143], v[152:153], v[2:3]
	s_waitcnt lgkmcnt(1)
	s_delay_alu instid0(VALU_DEP_1) | instskip(SKIP_1) | instid1(VALU_DEP_1)
	v_fma_f64 v[2:3], v[144:145], v[130:131], v[2:3]
	s_waitcnt vmcnt(1)
	v_fma_f64 v[2:3], v[134:135], v[132:133], v[2:3]
	s_waitcnt lgkmcnt(0)
	s_delay_alu instid0(VALU_DEP_1) | instskip(SKIP_1) | instid1(VALU_DEP_1)
	v_fma_f64 v[2:3], v[136:137], v[138:139], v[2:3]
	s_waitcnt vmcnt(0)
	v_fma_f64 v[2:3], v[126:127], v[140:141], v[2:3]
	ds_load_b64 v[126:127], v1 offset:944
	s_waitcnt lgkmcnt(0)
	v_fma_f64 v[2:3], v[128:129], v[126:127], v[2:3]
	s_delay_alu instid0(VALU_DEP_1)
	v_add_f64 v[2:3], v[124:125], -v[2:3]
	scratch_store_b64 off, v[2:3], off offset:200
	v_cmpx_lt_u32_e32 24, v0
	s_cbranch_execz .LBB122_315
; %bb.314:
	scratch_load_b64 v[3:4], off, off offset:192
	v_mov_b32_e32 v2, v1
	scratch_store_b64 off, v[1:2], off offset:192
	s_waitcnt vmcnt(0)
	ds_store_b64 v5, v[3:4]
.LBB122_315:
	s_or_b32 exec_lo, exec_lo, s0
	s_waitcnt lgkmcnt(0)
	s_waitcnt_vscnt null, 0x0
	s_barrier
	buffer_gl0_inv
	s_clause 0x4
	scratch_load_b128 v[124:127], off, off offset:192
	scratch_load_b128 v[128:131], off, off offset:208
	;; [unrolled: 1-line block ×5, first 2 shown]
	ds_load_2addr_b64 v[144:147], v1 offset0:85 offset1:86
	ds_load_2addr_b64 v[148:151], v1 offset0:87 offset1:88
	scratch_load_b128 v[152:155], off, off offset:272
	s_mov_b32 s0, exec_lo
	s_waitcnt vmcnt(5) lgkmcnt(1)
	v_fma_f64 v[2:3], v[126:127], v[144:145], 0
	s_waitcnt vmcnt(4)
	s_delay_alu instid0(VALU_DEP_1) | instskip(SKIP_4) | instid1(VALU_DEP_1)
	v_fma_f64 v[2:3], v[128:129], v[146:147], v[2:3]
	scratch_load_b128 v[126:129], off, off offset:288
	s_waitcnt lgkmcnt(0)
	v_fma_f64 v[2:3], v[130:131], v[148:149], v[2:3]
	s_waitcnt vmcnt(4)
	v_fma_f64 v[2:3], v[132:133], v[150:151], v[2:3]
	ds_load_2addr_b64 v[130:133], v1 offset0:89 offset1:90
	ds_load_2addr_b64 v[144:147], v1 offset0:91 offset1:92
	scratch_load_b128 v[148:151], off, off offset:304
	s_waitcnt lgkmcnt(1)
	v_fma_f64 v[2:3], v[134:135], v[130:131], v[2:3]
	s_waitcnt vmcnt(4)
	s_delay_alu instid0(VALU_DEP_1) | instskip(SKIP_4) | instid1(VALU_DEP_1)
	v_fma_f64 v[2:3], v[136:137], v[132:133], v[2:3]
	scratch_load_b128 v[130:133], off, off offset:320
	s_waitcnt lgkmcnt(0)
	v_fma_f64 v[2:3], v[138:139], v[144:145], v[2:3]
	s_waitcnt vmcnt(4)
	v_fma_f64 v[2:3], v[140:141], v[146:147], v[2:3]
	ds_load_2addr_b64 v[134:137], v1 offset0:93 offset1:94
	ds_load_2addr_b64 v[138:141], v1 offset0:95 offset1:96
	s_waitcnt lgkmcnt(1)
	v_fma_f64 v[2:3], v[142:143], v[134:135], v[2:3]
	scratch_load_b128 v[142:145], off, off offset:336
	s_waitcnt vmcnt(4)
	v_fma_f64 v[2:3], v[152:153], v[136:137], v[2:3]
	scratch_load_b128 v[134:137], off, off offset:352
	s_waitcnt lgkmcnt(0)
	v_fma_f64 v[2:3], v[154:155], v[138:139], v[2:3]
	s_waitcnt vmcnt(4)
	s_delay_alu instid0(VALU_DEP_1)
	v_fma_f64 v[2:3], v[126:127], v[140:141], v[2:3]
	ds_load_2addr_b64 v[138:141], v1 offset0:97 offset1:98
	ds_load_2addr_b64 v[152:155], v1 offset0:99 offset1:100
	s_waitcnt lgkmcnt(1)
	v_fma_f64 v[2:3], v[128:129], v[138:139], v[2:3]
	scratch_load_b128 v[126:129], off, off offset:368
	s_waitcnt vmcnt(4)
	v_fma_f64 v[2:3], v[148:149], v[140:141], v[2:3]
	scratch_load_b128 v[138:141], off, off offset:384
	s_waitcnt lgkmcnt(0)
	v_fma_f64 v[2:3], v[150:151], v[152:153], v[2:3]
	ds_load_2addr_b64 v[146:149], v1 offset0:101 offset1:102
	ds_load_2addr_b64 v[150:153], v1 offset0:103 offset1:104
	s_waitcnt vmcnt(4)
	v_fma_f64 v[2:3], v[130:131], v[154:155], v[2:3]
	s_waitcnt lgkmcnt(1)
	s_delay_alu instid0(VALU_DEP_1) | instskip(SKIP_4) | instid1(VALU_DEP_1)
	v_fma_f64 v[2:3], v[132:133], v[146:147], v[2:3]
	scratch_load_b128 v[130:133], off, off offset:400
	s_waitcnt vmcnt(4)
	v_fma_f64 v[2:3], v[142:143], v[148:149], v[2:3]
	s_waitcnt lgkmcnt(0)
	v_fma_f64 v[2:3], v[144:145], v[150:151], v[2:3]
	scratch_load_b128 v[142:145], off, off offset:416
	s_waitcnt vmcnt(4)
	v_fma_f64 v[2:3], v[134:135], v[152:153], v[2:3]
	ds_load_2addr_b64 v[146:149], v1 offset0:105 offset1:106
	ds_load_2addr_b64 v[150:153], v1 offset0:107 offset1:108
	s_waitcnt lgkmcnt(1)
	v_fma_f64 v[2:3], v[136:137], v[146:147], v[2:3]
	scratch_load_b128 v[134:137], off, off offset:432
	s_waitcnt vmcnt(4)
	v_fma_f64 v[2:3], v[126:127], v[148:149], v[2:3]
	s_waitcnt lgkmcnt(0)
	s_delay_alu instid0(VALU_DEP_1)
	v_fma_f64 v[2:3], v[128:129], v[150:151], v[2:3]
	scratch_load_b128 v[126:129], off, off offset:448
	s_waitcnt vmcnt(4)
	v_fma_f64 v[2:3], v[138:139], v[152:153], v[2:3]
	ds_load_2addr_b64 v[146:149], v1 offset0:109 offset1:110
	ds_load_2addr_b64 v[150:153], v1 offset0:111 offset1:112
	s_waitcnt lgkmcnt(1)
	v_fma_f64 v[2:3], v[140:141], v[146:147], v[2:3]
	scratch_load_b64 v[146:147], off, off offset:464
	s_waitcnt vmcnt(4)
	v_fma_f64 v[2:3], v[130:131], v[148:149], v[2:3]
	s_waitcnt lgkmcnt(0)
	s_delay_alu instid0(VALU_DEP_1)
	v_fma_f64 v[2:3], v[132:133], v[150:151], v[2:3]
	ds_load_2addr_b64 v[130:133], v1 offset0:113 offset1:114
	ds_load_2addr_b64 v[138:141], v1 offset0:115 offset1:116
	s_waitcnt vmcnt(3)
	v_fma_f64 v[2:3], v[142:143], v[152:153], v[2:3]
	s_waitcnt lgkmcnt(1)
	s_delay_alu instid0(VALU_DEP_1) | instskip(SKIP_1) | instid1(VALU_DEP_1)
	v_fma_f64 v[2:3], v[144:145], v[130:131], v[2:3]
	s_waitcnt vmcnt(2)
	v_fma_f64 v[2:3], v[134:135], v[132:133], v[2:3]
	s_waitcnt lgkmcnt(0)
	s_delay_alu instid0(VALU_DEP_1) | instskip(SKIP_1) | instid1(VALU_DEP_1)
	v_fma_f64 v[2:3], v[136:137], v[138:139], v[2:3]
	s_waitcnt vmcnt(1)
	v_fma_f64 v[126:127], v[126:127], v[140:141], v[2:3]
	ds_load_2addr_b64 v[1:4], v1 offset0:117 offset1:118
	s_waitcnt lgkmcnt(0)
	v_fma_f64 v[1:2], v[128:129], v[1:2], v[126:127]
	s_waitcnt vmcnt(0)
	s_delay_alu instid0(VALU_DEP_1) | instskip(NEXT) | instid1(VALU_DEP_1)
	v_fma_f64 v[1:2], v[146:147], v[3:4], v[1:2]
	v_add_f64 v[1:2], v[124:125], -v[1:2]
	scratch_store_b64 off, v[1:2], off offset:192
	v_cmpx_lt_u32_e32 23, v0
	s_cbranch_execz .LBB122_317
; %bb.316:
	scratch_load_b64 v[1:2], off, off offset:184
	v_mov_b32_e32 v3, 0
	s_delay_alu instid0(VALU_DEP_1)
	v_mov_b32_e32 v4, v3
	scratch_store_b64 off, v[3:4], off offset:184
	s_waitcnt vmcnt(0)
	ds_store_b64 v5, v[1:2]
.LBB122_317:
	s_or_b32 exec_lo, exec_lo, s0
	s_waitcnt lgkmcnt(0)
	s_waitcnt_vscnt null, 0x0
	s_barrier
	buffer_gl0_inv
	s_clause 0x4
	scratch_load_b128 v[124:127], off, off offset:184
	scratch_load_b128 v[128:131], off, off offset:200
	;; [unrolled: 1-line block ×5, first 2 shown]
	v_mov_b32_e32 v1, 0
	ds_load_b128 v[144:147], v1 offset:672
	ds_load_b128 v[148:151], v1 offset:688
	scratch_load_b128 v[152:155], off, off offset:264
	s_mov_b32 s0, exec_lo
	s_waitcnt vmcnt(5) lgkmcnt(1)
	v_fma_f64 v[2:3], v[126:127], v[144:145], 0
	s_waitcnt vmcnt(4)
	s_delay_alu instid0(VALU_DEP_1) | instskip(SKIP_4) | instid1(VALU_DEP_1)
	v_fma_f64 v[2:3], v[128:129], v[146:147], v[2:3]
	scratch_load_b128 v[126:129], off, off offset:280
	s_waitcnt lgkmcnt(0)
	v_fma_f64 v[2:3], v[130:131], v[148:149], v[2:3]
	s_waitcnt vmcnt(4)
	v_fma_f64 v[2:3], v[132:133], v[150:151], v[2:3]
	ds_load_b128 v[130:133], v1 offset:704
	ds_load_b128 v[144:147], v1 offset:720
	scratch_load_b128 v[148:151], off, off offset:296
	s_waitcnt lgkmcnt(1)
	v_fma_f64 v[2:3], v[134:135], v[130:131], v[2:3]
	s_waitcnt vmcnt(4)
	s_delay_alu instid0(VALU_DEP_1) | instskip(SKIP_4) | instid1(VALU_DEP_1)
	v_fma_f64 v[2:3], v[136:137], v[132:133], v[2:3]
	scratch_load_b128 v[130:133], off, off offset:312
	s_waitcnt lgkmcnt(0)
	v_fma_f64 v[2:3], v[138:139], v[144:145], v[2:3]
	s_waitcnt vmcnt(4)
	v_fma_f64 v[2:3], v[140:141], v[146:147], v[2:3]
	ds_load_b128 v[134:137], v1 offset:736
	ds_load_b128 v[138:141], v1 offset:752
	s_waitcnt lgkmcnt(1)
	v_fma_f64 v[2:3], v[142:143], v[134:135], v[2:3]
	scratch_load_b128 v[142:145], off, off offset:328
	s_waitcnt vmcnt(4)
	v_fma_f64 v[2:3], v[152:153], v[136:137], v[2:3]
	scratch_load_b128 v[134:137], off, off offset:344
	s_waitcnt lgkmcnt(0)
	v_fma_f64 v[2:3], v[154:155], v[138:139], v[2:3]
	s_waitcnt vmcnt(4)
	s_delay_alu instid0(VALU_DEP_1)
	v_fma_f64 v[2:3], v[126:127], v[140:141], v[2:3]
	ds_load_b128 v[138:141], v1 offset:768
	ds_load_b128 v[152:155], v1 offset:784
	s_waitcnt lgkmcnt(1)
	v_fma_f64 v[2:3], v[128:129], v[138:139], v[2:3]
	scratch_load_b128 v[126:129], off, off offset:360
	s_waitcnt vmcnt(4)
	v_fma_f64 v[2:3], v[148:149], v[140:141], v[2:3]
	scratch_load_b128 v[138:141], off, off offset:376
	s_waitcnt lgkmcnt(0)
	v_fma_f64 v[2:3], v[150:151], v[152:153], v[2:3]
	ds_load_b128 v[146:149], v1 offset:800
	ds_load_b128 v[150:153], v1 offset:816
	s_waitcnt vmcnt(4)
	v_fma_f64 v[2:3], v[130:131], v[154:155], v[2:3]
	s_waitcnt lgkmcnt(1)
	s_delay_alu instid0(VALU_DEP_1) | instskip(SKIP_4) | instid1(VALU_DEP_1)
	v_fma_f64 v[2:3], v[132:133], v[146:147], v[2:3]
	scratch_load_b128 v[130:133], off, off offset:392
	s_waitcnt vmcnt(4)
	v_fma_f64 v[2:3], v[142:143], v[148:149], v[2:3]
	s_waitcnt lgkmcnt(0)
	v_fma_f64 v[2:3], v[144:145], v[150:151], v[2:3]
	scratch_load_b128 v[142:145], off, off offset:408
	s_waitcnt vmcnt(4)
	v_fma_f64 v[2:3], v[134:135], v[152:153], v[2:3]
	ds_load_b128 v[146:149], v1 offset:832
	ds_load_b128 v[150:153], v1 offset:848
	s_waitcnt lgkmcnt(1)
	v_fma_f64 v[2:3], v[136:137], v[146:147], v[2:3]
	scratch_load_b128 v[134:137], off, off offset:424
	s_waitcnt vmcnt(4)
	v_fma_f64 v[2:3], v[126:127], v[148:149], v[2:3]
	s_waitcnt lgkmcnt(0)
	s_delay_alu instid0(VALU_DEP_1)
	v_fma_f64 v[2:3], v[128:129], v[150:151], v[2:3]
	scratch_load_b128 v[126:129], off, off offset:440
	s_waitcnt vmcnt(4)
	v_fma_f64 v[2:3], v[138:139], v[152:153], v[2:3]
	ds_load_b128 v[146:149], v1 offset:864
	ds_load_b128 v[150:153], v1 offset:880
	s_waitcnt lgkmcnt(1)
	v_fma_f64 v[2:3], v[140:141], v[146:147], v[2:3]
	scratch_load_b128 v[138:141], off, off offset:456
	s_waitcnt vmcnt(4)
	v_fma_f64 v[2:3], v[130:131], v[148:149], v[2:3]
	s_waitcnt lgkmcnt(0)
	s_delay_alu instid0(VALU_DEP_1)
	v_fma_f64 v[2:3], v[132:133], v[150:151], v[2:3]
	ds_load_b128 v[130:133], v1 offset:896
	ds_load_b128 v[146:149], v1 offset:912
	s_waitcnt vmcnt(3)
	v_fma_f64 v[2:3], v[142:143], v[152:153], v[2:3]
	s_waitcnt lgkmcnt(1)
	s_delay_alu instid0(VALU_DEP_1) | instskip(SKIP_1) | instid1(VALU_DEP_1)
	v_fma_f64 v[2:3], v[144:145], v[130:131], v[2:3]
	s_waitcnt vmcnt(2)
	v_fma_f64 v[2:3], v[134:135], v[132:133], v[2:3]
	s_waitcnt lgkmcnt(0)
	s_delay_alu instid0(VALU_DEP_1) | instskip(SKIP_1) | instid1(VALU_DEP_1)
	v_fma_f64 v[2:3], v[136:137], v[146:147], v[2:3]
	s_waitcnt vmcnt(1)
	v_fma_f64 v[2:3], v[126:127], v[148:149], v[2:3]
	ds_load_b128 v[130:133], v1 offset:928
	ds_load_b64 v[126:127], v1 offset:944
	s_waitcnt lgkmcnt(1)
	v_fma_f64 v[2:3], v[128:129], v[130:131], v[2:3]
	s_waitcnt vmcnt(0)
	s_delay_alu instid0(VALU_DEP_1) | instskip(SKIP_1) | instid1(VALU_DEP_1)
	v_fma_f64 v[2:3], v[138:139], v[132:133], v[2:3]
	s_waitcnt lgkmcnt(0)
	v_fma_f64 v[2:3], v[140:141], v[126:127], v[2:3]
	s_delay_alu instid0(VALU_DEP_1)
	v_add_f64 v[2:3], v[124:125], -v[2:3]
	scratch_store_b64 off, v[2:3], off offset:184
	v_cmpx_lt_u32_e32 22, v0
	s_cbranch_execz .LBB122_319
; %bb.318:
	scratch_load_b64 v[3:4], off, off offset:176
	v_mov_b32_e32 v2, v1
	scratch_store_b64 off, v[1:2], off offset:176
	s_waitcnt vmcnt(0)
	ds_store_b64 v5, v[3:4]
.LBB122_319:
	s_or_b32 exec_lo, exec_lo, s0
	s_waitcnt lgkmcnt(0)
	s_waitcnt_vscnt null, 0x0
	s_barrier
	buffer_gl0_inv
	s_clause 0x4
	scratch_load_b128 v[124:127], off, off offset:176
	scratch_load_b128 v[128:131], off, off offset:192
	;; [unrolled: 1-line block ×5, first 2 shown]
	ds_load_2addr_b64 v[144:147], v1 offset0:83 offset1:84
	ds_load_2addr_b64 v[148:151], v1 offset0:85 offset1:86
	scratch_load_b128 v[152:155], off, off offset:256
	s_mov_b32 s0, exec_lo
	s_waitcnt vmcnt(5) lgkmcnt(1)
	v_fma_f64 v[2:3], v[126:127], v[144:145], 0
	s_waitcnt vmcnt(4)
	s_delay_alu instid0(VALU_DEP_1) | instskip(SKIP_4) | instid1(VALU_DEP_1)
	v_fma_f64 v[2:3], v[128:129], v[146:147], v[2:3]
	scratch_load_b128 v[126:129], off, off offset:272
	s_waitcnt lgkmcnt(0)
	v_fma_f64 v[2:3], v[130:131], v[148:149], v[2:3]
	s_waitcnt vmcnt(4)
	v_fma_f64 v[2:3], v[132:133], v[150:151], v[2:3]
	ds_load_2addr_b64 v[130:133], v1 offset0:87 offset1:88
	ds_load_2addr_b64 v[144:147], v1 offset0:89 offset1:90
	scratch_load_b128 v[148:151], off, off offset:288
	s_waitcnt lgkmcnt(1)
	v_fma_f64 v[2:3], v[134:135], v[130:131], v[2:3]
	s_waitcnt vmcnt(4)
	s_delay_alu instid0(VALU_DEP_1) | instskip(SKIP_4) | instid1(VALU_DEP_1)
	v_fma_f64 v[2:3], v[136:137], v[132:133], v[2:3]
	scratch_load_b128 v[130:133], off, off offset:304
	s_waitcnt lgkmcnt(0)
	v_fma_f64 v[2:3], v[138:139], v[144:145], v[2:3]
	s_waitcnt vmcnt(4)
	v_fma_f64 v[2:3], v[140:141], v[146:147], v[2:3]
	ds_load_2addr_b64 v[134:137], v1 offset0:91 offset1:92
	ds_load_2addr_b64 v[138:141], v1 offset0:93 offset1:94
	s_waitcnt lgkmcnt(1)
	v_fma_f64 v[2:3], v[142:143], v[134:135], v[2:3]
	scratch_load_b128 v[142:145], off, off offset:320
	s_waitcnt vmcnt(4)
	v_fma_f64 v[2:3], v[152:153], v[136:137], v[2:3]
	scratch_load_b128 v[134:137], off, off offset:336
	s_waitcnt lgkmcnt(0)
	v_fma_f64 v[2:3], v[154:155], v[138:139], v[2:3]
	s_waitcnt vmcnt(4)
	s_delay_alu instid0(VALU_DEP_1)
	v_fma_f64 v[2:3], v[126:127], v[140:141], v[2:3]
	ds_load_2addr_b64 v[138:141], v1 offset0:95 offset1:96
	ds_load_2addr_b64 v[152:155], v1 offset0:97 offset1:98
	s_waitcnt lgkmcnt(1)
	v_fma_f64 v[2:3], v[128:129], v[138:139], v[2:3]
	scratch_load_b128 v[126:129], off, off offset:352
	s_waitcnt vmcnt(4)
	v_fma_f64 v[2:3], v[148:149], v[140:141], v[2:3]
	scratch_load_b128 v[138:141], off, off offset:368
	s_waitcnt lgkmcnt(0)
	v_fma_f64 v[2:3], v[150:151], v[152:153], v[2:3]
	ds_load_2addr_b64 v[146:149], v1 offset0:99 offset1:100
	ds_load_2addr_b64 v[150:153], v1 offset0:101 offset1:102
	s_waitcnt vmcnt(4)
	v_fma_f64 v[2:3], v[130:131], v[154:155], v[2:3]
	s_waitcnt lgkmcnt(1)
	s_delay_alu instid0(VALU_DEP_1) | instskip(SKIP_4) | instid1(VALU_DEP_1)
	v_fma_f64 v[2:3], v[132:133], v[146:147], v[2:3]
	scratch_load_b128 v[130:133], off, off offset:384
	s_waitcnt vmcnt(4)
	v_fma_f64 v[2:3], v[142:143], v[148:149], v[2:3]
	s_waitcnt lgkmcnt(0)
	v_fma_f64 v[2:3], v[144:145], v[150:151], v[2:3]
	scratch_load_b128 v[142:145], off, off offset:400
	s_waitcnt vmcnt(4)
	v_fma_f64 v[2:3], v[134:135], v[152:153], v[2:3]
	ds_load_2addr_b64 v[146:149], v1 offset0:103 offset1:104
	ds_load_2addr_b64 v[150:153], v1 offset0:105 offset1:106
	s_waitcnt lgkmcnt(1)
	v_fma_f64 v[2:3], v[136:137], v[146:147], v[2:3]
	scratch_load_b128 v[134:137], off, off offset:416
	s_waitcnt vmcnt(4)
	v_fma_f64 v[2:3], v[126:127], v[148:149], v[2:3]
	s_waitcnt lgkmcnt(0)
	s_delay_alu instid0(VALU_DEP_1)
	v_fma_f64 v[2:3], v[128:129], v[150:151], v[2:3]
	scratch_load_b128 v[126:129], off, off offset:432
	s_waitcnt vmcnt(4)
	v_fma_f64 v[2:3], v[138:139], v[152:153], v[2:3]
	ds_load_2addr_b64 v[146:149], v1 offset0:107 offset1:108
	ds_load_2addr_b64 v[150:153], v1 offset0:109 offset1:110
	s_waitcnt lgkmcnt(1)
	v_fma_f64 v[2:3], v[140:141], v[146:147], v[2:3]
	scratch_load_b128 v[138:141], off, off offset:448
	s_waitcnt vmcnt(4)
	v_fma_f64 v[2:3], v[130:131], v[148:149], v[2:3]
	s_waitcnt lgkmcnt(0)
	s_delay_alu instid0(VALU_DEP_1)
	v_fma_f64 v[2:3], v[132:133], v[150:151], v[2:3]
	scratch_load_b64 v[150:151], off, off offset:464
	ds_load_2addr_b64 v[130:133], v1 offset0:111 offset1:112
	ds_load_2addr_b64 v[146:149], v1 offset0:113 offset1:114
	s_waitcnt vmcnt(4)
	v_fma_f64 v[2:3], v[142:143], v[152:153], v[2:3]
	s_waitcnt lgkmcnt(1)
	s_delay_alu instid0(VALU_DEP_1) | instskip(SKIP_1) | instid1(VALU_DEP_1)
	v_fma_f64 v[2:3], v[144:145], v[130:131], v[2:3]
	s_waitcnt vmcnt(3)
	v_fma_f64 v[2:3], v[134:135], v[132:133], v[2:3]
	s_waitcnt lgkmcnt(0)
	s_delay_alu instid0(VALU_DEP_1) | instskip(SKIP_1) | instid1(VALU_DEP_1)
	v_fma_f64 v[2:3], v[136:137], v[146:147], v[2:3]
	s_waitcnt vmcnt(2)
	v_fma_f64 v[126:127], v[126:127], v[148:149], v[2:3]
	ds_load_2addr_b64 v[130:133], v1 offset0:115 offset1:116
	ds_load_2addr_b64 v[1:4], v1 offset0:117 offset1:118
	s_waitcnt lgkmcnt(1)
	v_fma_f64 v[126:127], v[128:129], v[130:131], v[126:127]
	s_waitcnt vmcnt(1)
	s_delay_alu instid0(VALU_DEP_1) | instskip(SKIP_1) | instid1(VALU_DEP_1)
	v_fma_f64 v[126:127], v[138:139], v[132:133], v[126:127]
	s_waitcnt lgkmcnt(0)
	v_fma_f64 v[1:2], v[140:141], v[1:2], v[126:127]
	s_waitcnt vmcnt(0)
	s_delay_alu instid0(VALU_DEP_1) | instskip(NEXT) | instid1(VALU_DEP_1)
	v_fma_f64 v[1:2], v[150:151], v[3:4], v[1:2]
	v_add_f64 v[1:2], v[124:125], -v[1:2]
	scratch_store_b64 off, v[1:2], off offset:176
	v_cmpx_lt_u32_e32 21, v0
	s_cbranch_execz .LBB122_321
; %bb.320:
	scratch_load_b64 v[1:2], off, off offset:168
	v_mov_b32_e32 v3, 0
	s_delay_alu instid0(VALU_DEP_1)
	v_mov_b32_e32 v4, v3
	scratch_store_b64 off, v[3:4], off offset:168
	s_waitcnt vmcnt(0)
	ds_store_b64 v5, v[1:2]
.LBB122_321:
	s_or_b32 exec_lo, exec_lo, s0
	s_waitcnt lgkmcnt(0)
	s_waitcnt_vscnt null, 0x0
	s_barrier
	buffer_gl0_inv
	s_clause 0x4
	scratch_load_b128 v[124:127], off, off offset:168
	scratch_load_b128 v[128:131], off, off offset:184
	;; [unrolled: 1-line block ×5, first 2 shown]
	v_mov_b32_e32 v1, 0
	ds_load_b128 v[144:147], v1 offset:656
	ds_load_b128 v[148:151], v1 offset:672
	scratch_load_b128 v[152:155], off, off offset:248
	s_mov_b32 s0, exec_lo
	s_waitcnt vmcnt(5) lgkmcnt(1)
	v_fma_f64 v[2:3], v[126:127], v[144:145], 0
	s_waitcnt vmcnt(4)
	s_delay_alu instid0(VALU_DEP_1) | instskip(SKIP_4) | instid1(VALU_DEP_1)
	v_fma_f64 v[2:3], v[128:129], v[146:147], v[2:3]
	scratch_load_b128 v[126:129], off, off offset:264
	s_waitcnt lgkmcnt(0)
	v_fma_f64 v[2:3], v[130:131], v[148:149], v[2:3]
	s_waitcnt vmcnt(4)
	v_fma_f64 v[2:3], v[132:133], v[150:151], v[2:3]
	ds_load_b128 v[130:133], v1 offset:688
	ds_load_b128 v[144:147], v1 offset:704
	scratch_load_b128 v[148:151], off, off offset:280
	s_waitcnt lgkmcnt(1)
	v_fma_f64 v[2:3], v[134:135], v[130:131], v[2:3]
	s_waitcnt vmcnt(4)
	s_delay_alu instid0(VALU_DEP_1) | instskip(SKIP_4) | instid1(VALU_DEP_1)
	v_fma_f64 v[2:3], v[136:137], v[132:133], v[2:3]
	scratch_load_b128 v[130:133], off, off offset:296
	s_waitcnt lgkmcnt(0)
	v_fma_f64 v[2:3], v[138:139], v[144:145], v[2:3]
	s_waitcnt vmcnt(4)
	v_fma_f64 v[2:3], v[140:141], v[146:147], v[2:3]
	ds_load_b128 v[134:137], v1 offset:720
	ds_load_b128 v[138:141], v1 offset:736
	s_waitcnt lgkmcnt(1)
	v_fma_f64 v[2:3], v[142:143], v[134:135], v[2:3]
	scratch_load_b128 v[142:145], off, off offset:312
	s_waitcnt vmcnt(4)
	v_fma_f64 v[2:3], v[152:153], v[136:137], v[2:3]
	scratch_load_b128 v[134:137], off, off offset:328
	s_waitcnt lgkmcnt(0)
	v_fma_f64 v[2:3], v[154:155], v[138:139], v[2:3]
	s_waitcnt vmcnt(4)
	s_delay_alu instid0(VALU_DEP_1)
	v_fma_f64 v[2:3], v[126:127], v[140:141], v[2:3]
	ds_load_b128 v[138:141], v1 offset:752
	ds_load_b128 v[152:155], v1 offset:768
	s_waitcnt lgkmcnt(1)
	v_fma_f64 v[2:3], v[128:129], v[138:139], v[2:3]
	scratch_load_b128 v[126:129], off, off offset:344
	s_waitcnt vmcnt(4)
	v_fma_f64 v[2:3], v[148:149], v[140:141], v[2:3]
	scratch_load_b128 v[138:141], off, off offset:360
	s_waitcnt lgkmcnt(0)
	v_fma_f64 v[2:3], v[150:151], v[152:153], v[2:3]
	ds_load_b128 v[146:149], v1 offset:784
	ds_load_b128 v[150:153], v1 offset:800
	s_waitcnt vmcnt(4)
	v_fma_f64 v[2:3], v[130:131], v[154:155], v[2:3]
	s_waitcnt lgkmcnt(1)
	s_delay_alu instid0(VALU_DEP_1) | instskip(SKIP_4) | instid1(VALU_DEP_1)
	v_fma_f64 v[2:3], v[132:133], v[146:147], v[2:3]
	scratch_load_b128 v[130:133], off, off offset:376
	s_waitcnt vmcnt(4)
	v_fma_f64 v[2:3], v[142:143], v[148:149], v[2:3]
	s_waitcnt lgkmcnt(0)
	v_fma_f64 v[2:3], v[144:145], v[150:151], v[2:3]
	scratch_load_b128 v[142:145], off, off offset:392
	s_waitcnt vmcnt(4)
	v_fma_f64 v[2:3], v[134:135], v[152:153], v[2:3]
	ds_load_b128 v[146:149], v1 offset:816
	ds_load_b128 v[150:153], v1 offset:832
	s_waitcnt lgkmcnt(1)
	v_fma_f64 v[2:3], v[136:137], v[146:147], v[2:3]
	scratch_load_b128 v[134:137], off, off offset:408
	s_waitcnt vmcnt(4)
	v_fma_f64 v[2:3], v[126:127], v[148:149], v[2:3]
	s_waitcnt lgkmcnt(0)
	s_delay_alu instid0(VALU_DEP_1)
	v_fma_f64 v[2:3], v[128:129], v[150:151], v[2:3]
	scratch_load_b128 v[126:129], off, off offset:424
	s_waitcnt vmcnt(4)
	v_fma_f64 v[2:3], v[138:139], v[152:153], v[2:3]
	ds_load_b128 v[146:149], v1 offset:848
	ds_load_b128 v[150:153], v1 offset:864
	s_waitcnt lgkmcnt(1)
	v_fma_f64 v[2:3], v[140:141], v[146:147], v[2:3]
	scratch_load_b128 v[138:141], off, off offset:440
	s_waitcnt vmcnt(4)
	v_fma_f64 v[2:3], v[130:131], v[148:149], v[2:3]
	s_waitcnt lgkmcnt(0)
	s_delay_alu instid0(VALU_DEP_1)
	v_fma_f64 v[2:3], v[132:133], v[150:151], v[2:3]
	scratch_load_b128 v[130:133], off, off offset:456
	s_waitcnt vmcnt(4)
	v_fma_f64 v[2:3], v[142:143], v[152:153], v[2:3]
	ds_load_b128 v[146:149], v1 offset:880
	ds_load_b128 v[150:153], v1 offset:896
	s_waitcnt lgkmcnt(1)
	v_fma_f64 v[2:3], v[144:145], v[146:147], v[2:3]
	s_waitcnt vmcnt(3)
	s_delay_alu instid0(VALU_DEP_1) | instskip(SKIP_1) | instid1(VALU_DEP_1)
	v_fma_f64 v[2:3], v[134:135], v[148:149], v[2:3]
	s_waitcnt lgkmcnt(0)
	v_fma_f64 v[2:3], v[136:137], v[150:151], v[2:3]
	ds_load_b128 v[134:137], v1 offset:912
	ds_load_b128 v[142:145], v1 offset:928
	s_waitcnt vmcnt(2)
	v_fma_f64 v[2:3], v[126:127], v[152:153], v[2:3]
	ds_load_b64 v[126:127], v1 offset:944
	s_waitcnt lgkmcnt(2)
	v_fma_f64 v[2:3], v[128:129], v[134:135], v[2:3]
	s_waitcnt vmcnt(1)
	s_delay_alu instid0(VALU_DEP_1) | instskip(SKIP_1) | instid1(VALU_DEP_1)
	v_fma_f64 v[2:3], v[138:139], v[136:137], v[2:3]
	s_waitcnt lgkmcnt(1)
	v_fma_f64 v[2:3], v[140:141], v[142:143], v[2:3]
	s_waitcnt vmcnt(0)
	s_delay_alu instid0(VALU_DEP_1) | instskip(SKIP_1) | instid1(VALU_DEP_1)
	v_fma_f64 v[2:3], v[130:131], v[144:145], v[2:3]
	s_waitcnt lgkmcnt(0)
	v_fma_f64 v[2:3], v[132:133], v[126:127], v[2:3]
	s_delay_alu instid0(VALU_DEP_1)
	v_add_f64 v[2:3], v[124:125], -v[2:3]
	scratch_store_b64 off, v[2:3], off offset:168
	v_cmpx_lt_u32_e32 20, v0
	s_cbranch_execz .LBB122_323
; %bb.322:
	scratch_load_b64 v[3:4], off, off offset:160
	v_mov_b32_e32 v2, v1
	scratch_store_b64 off, v[1:2], off offset:160
	s_waitcnt vmcnt(0)
	ds_store_b64 v5, v[3:4]
.LBB122_323:
	s_or_b32 exec_lo, exec_lo, s0
	s_waitcnt lgkmcnt(0)
	s_waitcnt_vscnt null, 0x0
	s_barrier
	buffer_gl0_inv
	s_clause 0x4
	scratch_load_b128 v[124:127], off, off offset:160
	scratch_load_b128 v[128:131], off, off offset:176
	;; [unrolled: 1-line block ×5, first 2 shown]
	ds_load_2addr_b64 v[144:147], v1 offset0:81 offset1:82
	ds_load_2addr_b64 v[148:151], v1 offset0:83 offset1:84
	scratch_load_b128 v[152:155], off, off offset:240
	s_mov_b32 s0, exec_lo
	s_waitcnt vmcnt(5) lgkmcnt(1)
	v_fma_f64 v[2:3], v[126:127], v[144:145], 0
	s_waitcnt vmcnt(4)
	s_delay_alu instid0(VALU_DEP_1) | instskip(SKIP_4) | instid1(VALU_DEP_1)
	v_fma_f64 v[2:3], v[128:129], v[146:147], v[2:3]
	scratch_load_b128 v[126:129], off, off offset:256
	s_waitcnt lgkmcnt(0)
	v_fma_f64 v[2:3], v[130:131], v[148:149], v[2:3]
	s_waitcnt vmcnt(4)
	v_fma_f64 v[2:3], v[132:133], v[150:151], v[2:3]
	ds_load_2addr_b64 v[130:133], v1 offset0:85 offset1:86
	ds_load_2addr_b64 v[144:147], v1 offset0:87 offset1:88
	scratch_load_b128 v[148:151], off, off offset:272
	s_waitcnt lgkmcnt(1)
	v_fma_f64 v[2:3], v[134:135], v[130:131], v[2:3]
	s_waitcnt vmcnt(4)
	s_delay_alu instid0(VALU_DEP_1) | instskip(SKIP_4) | instid1(VALU_DEP_1)
	v_fma_f64 v[2:3], v[136:137], v[132:133], v[2:3]
	scratch_load_b128 v[130:133], off, off offset:288
	s_waitcnt lgkmcnt(0)
	v_fma_f64 v[2:3], v[138:139], v[144:145], v[2:3]
	s_waitcnt vmcnt(4)
	v_fma_f64 v[2:3], v[140:141], v[146:147], v[2:3]
	ds_load_2addr_b64 v[134:137], v1 offset0:89 offset1:90
	ds_load_2addr_b64 v[138:141], v1 offset0:91 offset1:92
	s_waitcnt lgkmcnt(1)
	v_fma_f64 v[2:3], v[142:143], v[134:135], v[2:3]
	scratch_load_b128 v[142:145], off, off offset:304
	s_waitcnt vmcnt(4)
	v_fma_f64 v[2:3], v[152:153], v[136:137], v[2:3]
	scratch_load_b128 v[134:137], off, off offset:320
	s_waitcnt lgkmcnt(0)
	v_fma_f64 v[2:3], v[154:155], v[138:139], v[2:3]
	s_waitcnt vmcnt(4)
	s_delay_alu instid0(VALU_DEP_1)
	v_fma_f64 v[2:3], v[126:127], v[140:141], v[2:3]
	ds_load_2addr_b64 v[138:141], v1 offset0:93 offset1:94
	ds_load_2addr_b64 v[152:155], v1 offset0:95 offset1:96
	s_waitcnt lgkmcnt(1)
	v_fma_f64 v[2:3], v[128:129], v[138:139], v[2:3]
	scratch_load_b128 v[126:129], off, off offset:336
	s_waitcnt vmcnt(4)
	v_fma_f64 v[2:3], v[148:149], v[140:141], v[2:3]
	scratch_load_b128 v[138:141], off, off offset:352
	s_waitcnt lgkmcnt(0)
	v_fma_f64 v[2:3], v[150:151], v[152:153], v[2:3]
	ds_load_2addr_b64 v[146:149], v1 offset0:97 offset1:98
	ds_load_2addr_b64 v[150:153], v1 offset0:99 offset1:100
	s_waitcnt vmcnt(4)
	v_fma_f64 v[2:3], v[130:131], v[154:155], v[2:3]
	s_waitcnt lgkmcnt(1)
	s_delay_alu instid0(VALU_DEP_1) | instskip(SKIP_4) | instid1(VALU_DEP_1)
	v_fma_f64 v[2:3], v[132:133], v[146:147], v[2:3]
	scratch_load_b128 v[130:133], off, off offset:368
	s_waitcnt vmcnt(4)
	v_fma_f64 v[2:3], v[142:143], v[148:149], v[2:3]
	s_waitcnt lgkmcnt(0)
	v_fma_f64 v[2:3], v[144:145], v[150:151], v[2:3]
	scratch_load_b128 v[142:145], off, off offset:384
	s_waitcnt vmcnt(4)
	v_fma_f64 v[2:3], v[134:135], v[152:153], v[2:3]
	ds_load_2addr_b64 v[146:149], v1 offset0:101 offset1:102
	ds_load_2addr_b64 v[150:153], v1 offset0:103 offset1:104
	s_waitcnt lgkmcnt(1)
	v_fma_f64 v[2:3], v[136:137], v[146:147], v[2:3]
	scratch_load_b128 v[134:137], off, off offset:400
	s_waitcnt vmcnt(4)
	v_fma_f64 v[2:3], v[126:127], v[148:149], v[2:3]
	s_waitcnt lgkmcnt(0)
	s_delay_alu instid0(VALU_DEP_1)
	v_fma_f64 v[2:3], v[128:129], v[150:151], v[2:3]
	scratch_load_b128 v[126:129], off, off offset:416
	s_waitcnt vmcnt(4)
	v_fma_f64 v[2:3], v[138:139], v[152:153], v[2:3]
	ds_load_2addr_b64 v[146:149], v1 offset0:105 offset1:106
	ds_load_2addr_b64 v[150:153], v1 offset0:107 offset1:108
	s_waitcnt lgkmcnt(1)
	v_fma_f64 v[2:3], v[140:141], v[146:147], v[2:3]
	scratch_load_b128 v[138:141], off, off offset:432
	s_waitcnt vmcnt(4)
	v_fma_f64 v[2:3], v[130:131], v[148:149], v[2:3]
	s_waitcnt lgkmcnt(0)
	s_delay_alu instid0(VALU_DEP_1)
	v_fma_f64 v[2:3], v[132:133], v[150:151], v[2:3]
	scratch_load_b128 v[130:133], off, off offset:448
	s_waitcnt vmcnt(4)
	v_fma_f64 v[2:3], v[142:143], v[152:153], v[2:3]
	ds_load_2addr_b64 v[146:149], v1 offset0:109 offset1:110
	ds_load_2addr_b64 v[150:153], v1 offset0:111 offset1:112
	s_waitcnt lgkmcnt(1)
	v_fma_f64 v[2:3], v[144:145], v[146:147], v[2:3]
	scratch_load_b64 v[146:147], off, off offset:464
	s_waitcnt vmcnt(4)
	v_fma_f64 v[2:3], v[134:135], v[148:149], v[2:3]
	s_waitcnt lgkmcnt(0)
	s_delay_alu instid0(VALU_DEP_1)
	v_fma_f64 v[2:3], v[136:137], v[150:151], v[2:3]
	ds_load_2addr_b64 v[134:137], v1 offset0:113 offset1:114
	ds_load_2addr_b64 v[142:145], v1 offset0:115 offset1:116
	s_waitcnt vmcnt(3)
	v_fma_f64 v[2:3], v[126:127], v[152:153], v[2:3]
	s_waitcnt lgkmcnt(1)
	s_delay_alu instid0(VALU_DEP_1) | instskip(SKIP_1) | instid1(VALU_DEP_1)
	v_fma_f64 v[2:3], v[128:129], v[134:135], v[2:3]
	s_waitcnt vmcnt(2)
	v_fma_f64 v[2:3], v[138:139], v[136:137], v[2:3]
	s_waitcnt lgkmcnt(0)
	s_delay_alu instid0(VALU_DEP_1) | instskip(SKIP_1) | instid1(VALU_DEP_1)
	v_fma_f64 v[2:3], v[140:141], v[142:143], v[2:3]
	s_waitcnt vmcnt(1)
	v_fma_f64 v[126:127], v[130:131], v[144:145], v[2:3]
	ds_load_2addr_b64 v[1:4], v1 offset0:117 offset1:118
	s_waitcnt lgkmcnt(0)
	v_fma_f64 v[1:2], v[132:133], v[1:2], v[126:127]
	s_waitcnt vmcnt(0)
	s_delay_alu instid0(VALU_DEP_1) | instskip(NEXT) | instid1(VALU_DEP_1)
	v_fma_f64 v[1:2], v[146:147], v[3:4], v[1:2]
	v_add_f64 v[1:2], v[124:125], -v[1:2]
	scratch_store_b64 off, v[1:2], off offset:160
	v_cmpx_lt_u32_e32 19, v0
	s_cbranch_execz .LBB122_325
; %bb.324:
	scratch_load_b64 v[1:2], off, off offset:152
	v_mov_b32_e32 v3, 0
	s_delay_alu instid0(VALU_DEP_1)
	v_mov_b32_e32 v4, v3
	scratch_store_b64 off, v[3:4], off offset:152
	s_waitcnt vmcnt(0)
	ds_store_b64 v5, v[1:2]
.LBB122_325:
	s_or_b32 exec_lo, exec_lo, s0
	s_waitcnt lgkmcnt(0)
	s_waitcnt_vscnt null, 0x0
	s_barrier
	buffer_gl0_inv
	s_clause 0x4
	scratch_load_b128 v[124:127], off, off offset:152
	scratch_load_b128 v[128:131], off, off offset:168
	;; [unrolled: 1-line block ×5, first 2 shown]
	v_mov_b32_e32 v1, 0
	ds_load_b128 v[144:147], v1 offset:640
	ds_load_b128 v[148:151], v1 offset:656
	scratch_load_b128 v[152:155], off, off offset:232
	s_mov_b32 s0, exec_lo
	s_waitcnt vmcnt(5) lgkmcnt(1)
	v_fma_f64 v[2:3], v[126:127], v[144:145], 0
	s_waitcnt vmcnt(4)
	s_delay_alu instid0(VALU_DEP_1) | instskip(SKIP_4) | instid1(VALU_DEP_1)
	v_fma_f64 v[2:3], v[128:129], v[146:147], v[2:3]
	scratch_load_b128 v[126:129], off, off offset:248
	s_waitcnt lgkmcnt(0)
	v_fma_f64 v[2:3], v[130:131], v[148:149], v[2:3]
	s_waitcnt vmcnt(4)
	v_fma_f64 v[2:3], v[132:133], v[150:151], v[2:3]
	ds_load_b128 v[130:133], v1 offset:672
	ds_load_b128 v[144:147], v1 offset:688
	scratch_load_b128 v[148:151], off, off offset:264
	s_waitcnt lgkmcnt(1)
	v_fma_f64 v[2:3], v[134:135], v[130:131], v[2:3]
	s_waitcnt vmcnt(4)
	s_delay_alu instid0(VALU_DEP_1) | instskip(SKIP_4) | instid1(VALU_DEP_1)
	v_fma_f64 v[2:3], v[136:137], v[132:133], v[2:3]
	scratch_load_b128 v[130:133], off, off offset:280
	s_waitcnt lgkmcnt(0)
	v_fma_f64 v[2:3], v[138:139], v[144:145], v[2:3]
	s_waitcnt vmcnt(4)
	v_fma_f64 v[2:3], v[140:141], v[146:147], v[2:3]
	ds_load_b128 v[134:137], v1 offset:704
	ds_load_b128 v[138:141], v1 offset:720
	s_waitcnt lgkmcnt(1)
	v_fma_f64 v[2:3], v[142:143], v[134:135], v[2:3]
	scratch_load_b128 v[142:145], off, off offset:296
	s_waitcnt vmcnt(4)
	v_fma_f64 v[2:3], v[152:153], v[136:137], v[2:3]
	scratch_load_b128 v[134:137], off, off offset:312
	s_waitcnt lgkmcnt(0)
	v_fma_f64 v[2:3], v[154:155], v[138:139], v[2:3]
	s_waitcnt vmcnt(4)
	s_delay_alu instid0(VALU_DEP_1)
	v_fma_f64 v[2:3], v[126:127], v[140:141], v[2:3]
	ds_load_b128 v[138:141], v1 offset:736
	ds_load_b128 v[152:155], v1 offset:752
	s_waitcnt lgkmcnt(1)
	v_fma_f64 v[2:3], v[128:129], v[138:139], v[2:3]
	scratch_load_b128 v[126:129], off, off offset:328
	s_waitcnt vmcnt(4)
	v_fma_f64 v[2:3], v[148:149], v[140:141], v[2:3]
	scratch_load_b128 v[138:141], off, off offset:344
	s_waitcnt lgkmcnt(0)
	v_fma_f64 v[2:3], v[150:151], v[152:153], v[2:3]
	ds_load_b128 v[146:149], v1 offset:768
	ds_load_b128 v[150:153], v1 offset:784
	s_waitcnt vmcnt(4)
	v_fma_f64 v[2:3], v[130:131], v[154:155], v[2:3]
	s_waitcnt lgkmcnt(1)
	s_delay_alu instid0(VALU_DEP_1) | instskip(SKIP_4) | instid1(VALU_DEP_1)
	v_fma_f64 v[2:3], v[132:133], v[146:147], v[2:3]
	scratch_load_b128 v[130:133], off, off offset:360
	s_waitcnt vmcnt(4)
	v_fma_f64 v[2:3], v[142:143], v[148:149], v[2:3]
	s_waitcnt lgkmcnt(0)
	v_fma_f64 v[2:3], v[144:145], v[150:151], v[2:3]
	scratch_load_b128 v[142:145], off, off offset:376
	s_waitcnt vmcnt(4)
	v_fma_f64 v[2:3], v[134:135], v[152:153], v[2:3]
	ds_load_b128 v[146:149], v1 offset:800
	ds_load_b128 v[150:153], v1 offset:816
	s_waitcnt lgkmcnt(1)
	v_fma_f64 v[2:3], v[136:137], v[146:147], v[2:3]
	scratch_load_b128 v[134:137], off, off offset:392
	s_waitcnt vmcnt(4)
	v_fma_f64 v[2:3], v[126:127], v[148:149], v[2:3]
	s_waitcnt lgkmcnt(0)
	s_delay_alu instid0(VALU_DEP_1)
	v_fma_f64 v[2:3], v[128:129], v[150:151], v[2:3]
	scratch_load_b128 v[126:129], off, off offset:408
	s_waitcnt vmcnt(4)
	v_fma_f64 v[2:3], v[138:139], v[152:153], v[2:3]
	ds_load_b128 v[146:149], v1 offset:832
	ds_load_b128 v[150:153], v1 offset:848
	s_waitcnt lgkmcnt(1)
	v_fma_f64 v[2:3], v[140:141], v[146:147], v[2:3]
	scratch_load_b128 v[138:141], off, off offset:424
	s_waitcnt vmcnt(4)
	v_fma_f64 v[2:3], v[130:131], v[148:149], v[2:3]
	s_waitcnt lgkmcnt(0)
	s_delay_alu instid0(VALU_DEP_1)
	;; [unrolled: 13-line block ×3, first 2 shown]
	v_fma_f64 v[2:3], v[136:137], v[150:151], v[2:3]
	ds_load_b128 v[134:137], v1 offset:896
	ds_load_b128 v[146:149], v1 offset:912
	s_waitcnt vmcnt(3)
	v_fma_f64 v[2:3], v[126:127], v[152:153], v[2:3]
	s_waitcnt lgkmcnt(1)
	s_delay_alu instid0(VALU_DEP_1) | instskip(SKIP_1) | instid1(VALU_DEP_1)
	v_fma_f64 v[2:3], v[128:129], v[134:135], v[2:3]
	s_waitcnt vmcnt(2)
	v_fma_f64 v[2:3], v[138:139], v[136:137], v[2:3]
	s_waitcnt lgkmcnt(0)
	s_delay_alu instid0(VALU_DEP_1) | instskip(SKIP_1) | instid1(VALU_DEP_1)
	v_fma_f64 v[2:3], v[140:141], v[146:147], v[2:3]
	s_waitcnt vmcnt(1)
	v_fma_f64 v[2:3], v[130:131], v[148:149], v[2:3]
	ds_load_b128 v[126:129], v1 offset:928
	ds_load_b64 v[130:131], v1 offset:944
	s_waitcnt lgkmcnt(1)
	v_fma_f64 v[2:3], v[132:133], v[126:127], v[2:3]
	s_waitcnt vmcnt(0)
	s_delay_alu instid0(VALU_DEP_1) | instskip(SKIP_1) | instid1(VALU_DEP_1)
	v_fma_f64 v[2:3], v[142:143], v[128:129], v[2:3]
	s_waitcnt lgkmcnt(0)
	v_fma_f64 v[2:3], v[144:145], v[130:131], v[2:3]
	s_delay_alu instid0(VALU_DEP_1)
	v_add_f64 v[2:3], v[124:125], -v[2:3]
	scratch_store_b64 off, v[2:3], off offset:152
	v_cmpx_lt_u32_e32 18, v0
	s_cbranch_execz .LBB122_327
; %bb.326:
	scratch_load_b64 v[3:4], off, off offset:144
	v_mov_b32_e32 v2, v1
	scratch_store_b64 off, v[1:2], off offset:144
	s_waitcnt vmcnt(0)
	ds_store_b64 v5, v[3:4]
.LBB122_327:
	s_or_b32 exec_lo, exec_lo, s0
	s_waitcnt lgkmcnt(0)
	s_waitcnt_vscnt null, 0x0
	s_barrier
	buffer_gl0_inv
	s_clause 0x4
	scratch_load_b128 v[124:127], off, off offset:144
	scratch_load_b128 v[128:131], off, off offset:160
	;; [unrolled: 1-line block ×5, first 2 shown]
	ds_load_2addr_b64 v[144:147], v1 offset0:79 offset1:80
	ds_load_2addr_b64 v[148:151], v1 offset0:81 offset1:82
	scratch_load_b128 v[152:155], off, off offset:224
	s_mov_b32 s0, exec_lo
	s_waitcnt vmcnt(5) lgkmcnt(1)
	v_fma_f64 v[2:3], v[126:127], v[144:145], 0
	s_waitcnt vmcnt(4)
	s_delay_alu instid0(VALU_DEP_1) | instskip(SKIP_4) | instid1(VALU_DEP_1)
	v_fma_f64 v[2:3], v[128:129], v[146:147], v[2:3]
	scratch_load_b128 v[126:129], off, off offset:240
	s_waitcnt lgkmcnt(0)
	v_fma_f64 v[2:3], v[130:131], v[148:149], v[2:3]
	s_waitcnt vmcnt(4)
	v_fma_f64 v[2:3], v[132:133], v[150:151], v[2:3]
	ds_load_2addr_b64 v[130:133], v1 offset0:83 offset1:84
	ds_load_2addr_b64 v[144:147], v1 offset0:85 offset1:86
	scratch_load_b128 v[148:151], off, off offset:256
	s_waitcnt lgkmcnt(1)
	v_fma_f64 v[2:3], v[134:135], v[130:131], v[2:3]
	s_waitcnt vmcnt(4)
	s_delay_alu instid0(VALU_DEP_1) | instskip(SKIP_4) | instid1(VALU_DEP_1)
	v_fma_f64 v[2:3], v[136:137], v[132:133], v[2:3]
	scratch_load_b128 v[130:133], off, off offset:272
	s_waitcnt lgkmcnt(0)
	v_fma_f64 v[2:3], v[138:139], v[144:145], v[2:3]
	s_waitcnt vmcnt(4)
	v_fma_f64 v[2:3], v[140:141], v[146:147], v[2:3]
	ds_load_2addr_b64 v[134:137], v1 offset0:87 offset1:88
	ds_load_2addr_b64 v[138:141], v1 offset0:89 offset1:90
	s_waitcnt lgkmcnt(1)
	v_fma_f64 v[2:3], v[142:143], v[134:135], v[2:3]
	scratch_load_b128 v[142:145], off, off offset:288
	s_waitcnt vmcnt(4)
	v_fma_f64 v[2:3], v[152:153], v[136:137], v[2:3]
	scratch_load_b128 v[134:137], off, off offset:304
	s_waitcnt lgkmcnt(0)
	v_fma_f64 v[2:3], v[154:155], v[138:139], v[2:3]
	s_waitcnt vmcnt(4)
	s_delay_alu instid0(VALU_DEP_1)
	v_fma_f64 v[2:3], v[126:127], v[140:141], v[2:3]
	ds_load_2addr_b64 v[138:141], v1 offset0:91 offset1:92
	ds_load_2addr_b64 v[152:155], v1 offset0:93 offset1:94
	s_waitcnt lgkmcnt(1)
	v_fma_f64 v[2:3], v[128:129], v[138:139], v[2:3]
	scratch_load_b128 v[126:129], off, off offset:320
	s_waitcnt vmcnt(4)
	v_fma_f64 v[2:3], v[148:149], v[140:141], v[2:3]
	scratch_load_b128 v[138:141], off, off offset:336
	s_waitcnt lgkmcnt(0)
	v_fma_f64 v[2:3], v[150:151], v[152:153], v[2:3]
	ds_load_2addr_b64 v[146:149], v1 offset0:95 offset1:96
	ds_load_2addr_b64 v[150:153], v1 offset0:97 offset1:98
	s_waitcnt vmcnt(4)
	v_fma_f64 v[2:3], v[130:131], v[154:155], v[2:3]
	s_waitcnt lgkmcnt(1)
	s_delay_alu instid0(VALU_DEP_1) | instskip(SKIP_4) | instid1(VALU_DEP_1)
	v_fma_f64 v[2:3], v[132:133], v[146:147], v[2:3]
	scratch_load_b128 v[130:133], off, off offset:352
	s_waitcnt vmcnt(4)
	v_fma_f64 v[2:3], v[142:143], v[148:149], v[2:3]
	s_waitcnt lgkmcnt(0)
	v_fma_f64 v[2:3], v[144:145], v[150:151], v[2:3]
	scratch_load_b128 v[142:145], off, off offset:368
	s_waitcnt vmcnt(4)
	v_fma_f64 v[2:3], v[134:135], v[152:153], v[2:3]
	ds_load_2addr_b64 v[146:149], v1 offset0:99 offset1:100
	ds_load_2addr_b64 v[150:153], v1 offset0:101 offset1:102
	s_waitcnt lgkmcnt(1)
	v_fma_f64 v[2:3], v[136:137], v[146:147], v[2:3]
	scratch_load_b128 v[134:137], off, off offset:384
	s_waitcnt vmcnt(4)
	v_fma_f64 v[2:3], v[126:127], v[148:149], v[2:3]
	s_waitcnt lgkmcnt(0)
	s_delay_alu instid0(VALU_DEP_1)
	v_fma_f64 v[2:3], v[128:129], v[150:151], v[2:3]
	scratch_load_b128 v[126:129], off, off offset:400
	s_waitcnt vmcnt(4)
	v_fma_f64 v[2:3], v[138:139], v[152:153], v[2:3]
	ds_load_2addr_b64 v[146:149], v1 offset0:103 offset1:104
	ds_load_2addr_b64 v[150:153], v1 offset0:105 offset1:106
	s_waitcnt lgkmcnt(1)
	v_fma_f64 v[2:3], v[140:141], v[146:147], v[2:3]
	scratch_load_b128 v[138:141], off, off offset:416
	s_waitcnt vmcnt(4)
	v_fma_f64 v[2:3], v[130:131], v[148:149], v[2:3]
	s_waitcnt lgkmcnt(0)
	s_delay_alu instid0(VALU_DEP_1)
	;; [unrolled: 13-line block ×3, first 2 shown]
	v_fma_f64 v[2:3], v[136:137], v[150:151], v[2:3]
	scratch_load_b64 v[150:151], off, off offset:464
	ds_load_2addr_b64 v[134:137], v1 offset0:111 offset1:112
	ds_load_2addr_b64 v[146:149], v1 offset0:113 offset1:114
	s_waitcnt vmcnt(4)
	v_fma_f64 v[2:3], v[126:127], v[152:153], v[2:3]
	s_waitcnt lgkmcnt(1)
	s_delay_alu instid0(VALU_DEP_1) | instskip(SKIP_1) | instid1(VALU_DEP_1)
	v_fma_f64 v[2:3], v[128:129], v[134:135], v[2:3]
	s_waitcnt vmcnt(3)
	v_fma_f64 v[2:3], v[138:139], v[136:137], v[2:3]
	s_waitcnt lgkmcnt(0)
	s_delay_alu instid0(VALU_DEP_1) | instskip(SKIP_1) | instid1(VALU_DEP_1)
	v_fma_f64 v[2:3], v[140:141], v[146:147], v[2:3]
	s_waitcnt vmcnt(2)
	v_fma_f64 v[130:131], v[130:131], v[148:149], v[2:3]
	ds_load_2addr_b64 v[126:129], v1 offset0:115 offset1:116
	ds_load_2addr_b64 v[1:4], v1 offset0:117 offset1:118
	s_waitcnt lgkmcnt(1)
	v_fma_f64 v[126:127], v[132:133], v[126:127], v[130:131]
	s_waitcnt vmcnt(1)
	s_delay_alu instid0(VALU_DEP_1) | instskip(SKIP_1) | instid1(VALU_DEP_1)
	v_fma_f64 v[126:127], v[142:143], v[128:129], v[126:127]
	s_waitcnt lgkmcnt(0)
	v_fma_f64 v[1:2], v[144:145], v[1:2], v[126:127]
	s_waitcnt vmcnt(0)
	s_delay_alu instid0(VALU_DEP_1) | instskip(NEXT) | instid1(VALU_DEP_1)
	v_fma_f64 v[1:2], v[150:151], v[3:4], v[1:2]
	v_add_f64 v[1:2], v[124:125], -v[1:2]
	scratch_store_b64 off, v[1:2], off offset:144
	v_cmpx_lt_u32_e32 17, v0
	s_cbranch_execz .LBB122_329
; %bb.328:
	scratch_load_b64 v[1:2], off, off offset:136
	v_mov_b32_e32 v3, 0
	s_delay_alu instid0(VALU_DEP_1)
	v_mov_b32_e32 v4, v3
	scratch_store_b64 off, v[3:4], off offset:136
	s_waitcnt vmcnt(0)
	ds_store_b64 v5, v[1:2]
.LBB122_329:
	s_or_b32 exec_lo, exec_lo, s0
	s_waitcnt lgkmcnt(0)
	s_waitcnt_vscnt null, 0x0
	s_barrier
	buffer_gl0_inv
	s_clause 0x4
	scratch_load_b128 v[124:127], off, off offset:136
	scratch_load_b128 v[128:131], off, off offset:152
	scratch_load_b128 v[132:135], off, off offset:168
	scratch_load_b128 v[136:139], off, off offset:184
	scratch_load_b128 v[140:143], off, off offset:200
	v_mov_b32_e32 v1, 0
	ds_load_b128 v[144:147], v1 offset:624
	ds_load_b128 v[148:151], v1 offset:640
	scratch_load_b128 v[152:155], off, off offset:216
	s_mov_b32 s0, exec_lo
	s_waitcnt vmcnt(5) lgkmcnt(1)
	v_fma_f64 v[2:3], v[126:127], v[144:145], 0
	s_waitcnt vmcnt(4)
	s_delay_alu instid0(VALU_DEP_1) | instskip(SKIP_4) | instid1(VALU_DEP_1)
	v_fma_f64 v[2:3], v[128:129], v[146:147], v[2:3]
	scratch_load_b128 v[126:129], off, off offset:232
	s_waitcnt lgkmcnt(0)
	v_fma_f64 v[2:3], v[130:131], v[148:149], v[2:3]
	s_waitcnt vmcnt(4)
	v_fma_f64 v[2:3], v[132:133], v[150:151], v[2:3]
	ds_load_b128 v[130:133], v1 offset:656
	ds_load_b128 v[144:147], v1 offset:672
	scratch_load_b128 v[148:151], off, off offset:248
	s_waitcnt lgkmcnt(1)
	v_fma_f64 v[2:3], v[134:135], v[130:131], v[2:3]
	s_waitcnt vmcnt(4)
	s_delay_alu instid0(VALU_DEP_1) | instskip(SKIP_4) | instid1(VALU_DEP_1)
	v_fma_f64 v[2:3], v[136:137], v[132:133], v[2:3]
	scratch_load_b128 v[130:133], off, off offset:264
	s_waitcnt lgkmcnt(0)
	v_fma_f64 v[2:3], v[138:139], v[144:145], v[2:3]
	s_waitcnt vmcnt(4)
	v_fma_f64 v[2:3], v[140:141], v[146:147], v[2:3]
	ds_load_b128 v[134:137], v1 offset:688
	ds_load_b128 v[138:141], v1 offset:704
	s_waitcnt lgkmcnt(1)
	v_fma_f64 v[2:3], v[142:143], v[134:135], v[2:3]
	scratch_load_b128 v[142:145], off, off offset:280
	s_waitcnt vmcnt(4)
	v_fma_f64 v[2:3], v[152:153], v[136:137], v[2:3]
	scratch_load_b128 v[134:137], off, off offset:296
	s_waitcnt lgkmcnt(0)
	v_fma_f64 v[2:3], v[154:155], v[138:139], v[2:3]
	s_waitcnt vmcnt(4)
	s_delay_alu instid0(VALU_DEP_1)
	v_fma_f64 v[2:3], v[126:127], v[140:141], v[2:3]
	ds_load_b128 v[138:141], v1 offset:720
	ds_load_b128 v[152:155], v1 offset:736
	s_waitcnt lgkmcnt(1)
	v_fma_f64 v[2:3], v[128:129], v[138:139], v[2:3]
	scratch_load_b128 v[126:129], off, off offset:312
	s_waitcnt vmcnt(4)
	v_fma_f64 v[2:3], v[148:149], v[140:141], v[2:3]
	scratch_load_b128 v[138:141], off, off offset:328
	s_waitcnt lgkmcnt(0)
	v_fma_f64 v[2:3], v[150:151], v[152:153], v[2:3]
	ds_load_b128 v[146:149], v1 offset:752
	ds_load_b128 v[150:153], v1 offset:768
	s_waitcnt vmcnt(4)
	v_fma_f64 v[2:3], v[130:131], v[154:155], v[2:3]
	s_waitcnt lgkmcnt(1)
	s_delay_alu instid0(VALU_DEP_1) | instskip(SKIP_4) | instid1(VALU_DEP_1)
	v_fma_f64 v[2:3], v[132:133], v[146:147], v[2:3]
	scratch_load_b128 v[130:133], off, off offset:344
	s_waitcnt vmcnt(4)
	v_fma_f64 v[2:3], v[142:143], v[148:149], v[2:3]
	s_waitcnt lgkmcnt(0)
	v_fma_f64 v[2:3], v[144:145], v[150:151], v[2:3]
	scratch_load_b128 v[142:145], off, off offset:360
	s_waitcnt vmcnt(4)
	v_fma_f64 v[2:3], v[134:135], v[152:153], v[2:3]
	ds_load_b128 v[146:149], v1 offset:784
	ds_load_b128 v[150:153], v1 offset:800
	s_waitcnt lgkmcnt(1)
	v_fma_f64 v[2:3], v[136:137], v[146:147], v[2:3]
	scratch_load_b128 v[134:137], off, off offset:376
	s_waitcnt vmcnt(4)
	v_fma_f64 v[2:3], v[126:127], v[148:149], v[2:3]
	s_waitcnt lgkmcnt(0)
	s_delay_alu instid0(VALU_DEP_1)
	v_fma_f64 v[2:3], v[128:129], v[150:151], v[2:3]
	scratch_load_b128 v[126:129], off, off offset:392
	s_waitcnt vmcnt(4)
	v_fma_f64 v[2:3], v[138:139], v[152:153], v[2:3]
	ds_load_b128 v[146:149], v1 offset:816
	ds_load_b128 v[150:153], v1 offset:832
	s_waitcnt lgkmcnt(1)
	v_fma_f64 v[2:3], v[140:141], v[146:147], v[2:3]
	scratch_load_b128 v[138:141], off, off offset:408
	s_waitcnt vmcnt(4)
	v_fma_f64 v[2:3], v[130:131], v[148:149], v[2:3]
	s_waitcnt lgkmcnt(0)
	s_delay_alu instid0(VALU_DEP_1)
	;; [unrolled: 13-line block ×3, first 2 shown]
	v_fma_f64 v[2:3], v[136:137], v[150:151], v[2:3]
	scratch_load_b128 v[134:137], off, off offset:456
	s_waitcnt vmcnt(4)
	v_fma_f64 v[2:3], v[126:127], v[152:153], v[2:3]
	ds_load_b128 v[146:149], v1 offset:880
	ds_load_b128 v[150:153], v1 offset:896
	s_waitcnt lgkmcnt(1)
	v_fma_f64 v[2:3], v[128:129], v[146:147], v[2:3]
	s_waitcnt vmcnt(3)
	s_delay_alu instid0(VALU_DEP_1) | instskip(SKIP_1) | instid1(VALU_DEP_1)
	v_fma_f64 v[2:3], v[138:139], v[148:149], v[2:3]
	s_waitcnt lgkmcnt(0)
	v_fma_f64 v[2:3], v[140:141], v[150:151], v[2:3]
	ds_load_b128 v[126:129], v1 offset:912
	ds_load_b128 v[138:141], v1 offset:928
	s_waitcnt vmcnt(2)
	v_fma_f64 v[2:3], v[130:131], v[152:153], v[2:3]
	s_waitcnt lgkmcnt(1)
	s_delay_alu instid0(VALU_DEP_1) | instskip(SKIP_4) | instid1(VALU_DEP_1)
	v_fma_f64 v[2:3], v[132:133], v[126:127], v[2:3]
	ds_load_b64 v[126:127], v1 offset:944
	s_waitcnt vmcnt(1)
	v_fma_f64 v[2:3], v[142:143], v[128:129], v[2:3]
	s_waitcnt lgkmcnt(1)
	v_fma_f64 v[2:3], v[144:145], v[138:139], v[2:3]
	s_waitcnt vmcnt(0)
	s_delay_alu instid0(VALU_DEP_1) | instskip(SKIP_1) | instid1(VALU_DEP_1)
	v_fma_f64 v[2:3], v[134:135], v[140:141], v[2:3]
	s_waitcnt lgkmcnt(0)
	v_fma_f64 v[2:3], v[136:137], v[126:127], v[2:3]
	s_delay_alu instid0(VALU_DEP_1)
	v_add_f64 v[2:3], v[124:125], -v[2:3]
	scratch_store_b64 off, v[2:3], off offset:136
	v_cmpx_lt_u32_e32 16, v0
	s_cbranch_execz .LBB122_331
; %bb.330:
	scratch_load_b64 v[3:4], off, off offset:128
	v_mov_b32_e32 v2, v1
	scratch_store_b64 off, v[1:2], off offset:128
	s_waitcnt vmcnt(0)
	ds_store_b64 v5, v[3:4]
.LBB122_331:
	s_or_b32 exec_lo, exec_lo, s0
	s_waitcnt lgkmcnt(0)
	s_waitcnt_vscnt null, 0x0
	s_barrier
	buffer_gl0_inv
	s_clause 0x4
	scratch_load_b128 v[124:127], off, off offset:128
	scratch_load_b128 v[128:131], off, off offset:144
	;; [unrolled: 1-line block ×5, first 2 shown]
	ds_load_2addr_b64 v[144:147], v1 offset0:77 offset1:78
	ds_load_2addr_b64 v[148:151], v1 offset0:79 offset1:80
	scratch_load_b128 v[152:155], off, off offset:208
	s_mov_b32 s0, exec_lo
	s_waitcnt vmcnt(5) lgkmcnt(1)
	v_fma_f64 v[2:3], v[126:127], v[144:145], 0
	s_waitcnt vmcnt(4)
	s_delay_alu instid0(VALU_DEP_1) | instskip(SKIP_4) | instid1(VALU_DEP_1)
	v_fma_f64 v[2:3], v[128:129], v[146:147], v[2:3]
	scratch_load_b128 v[126:129], off, off offset:224
	s_waitcnt lgkmcnt(0)
	v_fma_f64 v[2:3], v[130:131], v[148:149], v[2:3]
	s_waitcnt vmcnt(4)
	v_fma_f64 v[2:3], v[132:133], v[150:151], v[2:3]
	ds_load_2addr_b64 v[130:133], v1 offset0:81 offset1:82
	ds_load_2addr_b64 v[144:147], v1 offset0:83 offset1:84
	scratch_load_b128 v[148:151], off, off offset:240
	s_waitcnt lgkmcnt(1)
	v_fma_f64 v[2:3], v[134:135], v[130:131], v[2:3]
	s_waitcnt vmcnt(4)
	s_delay_alu instid0(VALU_DEP_1) | instskip(SKIP_4) | instid1(VALU_DEP_1)
	v_fma_f64 v[2:3], v[136:137], v[132:133], v[2:3]
	scratch_load_b128 v[130:133], off, off offset:256
	s_waitcnt lgkmcnt(0)
	v_fma_f64 v[2:3], v[138:139], v[144:145], v[2:3]
	s_waitcnt vmcnt(4)
	v_fma_f64 v[2:3], v[140:141], v[146:147], v[2:3]
	ds_load_2addr_b64 v[134:137], v1 offset0:85 offset1:86
	ds_load_2addr_b64 v[138:141], v1 offset0:87 offset1:88
	s_waitcnt lgkmcnt(1)
	v_fma_f64 v[2:3], v[142:143], v[134:135], v[2:3]
	scratch_load_b128 v[142:145], off, off offset:272
	s_waitcnt vmcnt(4)
	v_fma_f64 v[2:3], v[152:153], v[136:137], v[2:3]
	scratch_load_b128 v[134:137], off, off offset:288
	s_waitcnt lgkmcnt(0)
	v_fma_f64 v[2:3], v[154:155], v[138:139], v[2:3]
	s_waitcnt vmcnt(4)
	s_delay_alu instid0(VALU_DEP_1)
	v_fma_f64 v[2:3], v[126:127], v[140:141], v[2:3]
	ds_load_2addr_b64 v[138:141], v1 offset0:89 offset1:90
	ds_load_2addr_b64 v[152:155], v1 offset0:91 offset1:92
	s_waitcnt lgkmcnt(1)
	v_fma_f64 v[2:3], v[128:129], v[138:139], v[2:3]
	scratch_load_b128 v[126:129], off, off offset:304
	s_waitcnt vmcnt(4)
	v_fma_f64 v[2:3], v[148:149], v[140:141], v[2:3]
	scratch_load_b128 v[138:141], off, off offset:320
	s_waitcnt lgkmcnt(0)
	v_fma_f64 v[2:3], v[150:151], v[152:153], v[2:3]
	ds_load_2addr_b64 v[146:149], v1 offset0:93 offset1:94
	ds_load_2addr_b64 v[150:153], v1 offset0:95 offset1:96
	s_waitcnt vmcnt(4)
	v_fma_f64 v[2:3], v[130:131], v[154:155], v[2:3]
	s_waitcnt lgkmcnt(1)
	s_delay_alu instid0(VALU_DEP_1) | instskip(SKIP_4) | instid1(VALU_DEP_1)
	v_fma_f64 v[2:3], v[132:133], v[146:147], v[2:3]
	scratch_load_b128 v[130:133], off, off offset:336
	s_waitcnt vmcnt(4)
	v_fma_f64 v[2:3], v[142:143], v[148:149], v[2:3]
	s_waitcnt lgkmcnt(0)
	v_fma_f64 v[2:3], v[144:145], v[150:151], v[2:3]
	scratch_load_b128 v[142:145], off, off offset:352
	s_waitcnt vmcnt(4)
	v_fma_f64 v[2:3], v[134:135], v[152:153], v[2:3]
	ds_load_2addr_b64 v[146:149], v1 offset0:97 offset1:98
	ds_load_2addr_b64 v[150:153], v1 offset0:99 offset1:100
	s_waitcnt lgkmcnt(1)
	v_fma_f64 v[2:3], v[136:137], v[146:147], v[2:3]
	scratch_load_b128 v[134:137], off, off offset:368
	s_waitcnt vmcnt(4)
	v_fma_f64 v[2:3], v[126:127], v[148:149], v[2:3]
	s_waitcnt lgkmcnt(0)
	s_delay_alu instid0(VALU_DEP_1)
	v_fma_f64 v[2:3], v[128:129], v[150:151], v[2:3]
	scratch_load_b128 v[126:129], off, off offset:384
	s_waitcnt vmcnt(4)
	v_fma_f64 v[2:3], v[138:139], v[152:153], v[2:3]
	ds_load_2addr_b64 v[146:149], v1 offset0:101 offset1:102
	ds_load_2addr_b64 v[150:153], v1 offset0:103 offset1:104
	s_waitcnt lgkmcnt(1)
	v_fma_f64 v[2:3], v[140:141], v[146:147], v[2:3]
	scratch_load_b128 v[138:141], off, off offset:400
	s_waitcnt vmcnt(4)
	v_fma_f64 v[2:3], v[130:131], v[148:149], v[2:3]
	s_waitcnt lgkmcnt(0)
	s_delay_alu instid0(VALU_DEP_1)
	;; [unrolled: 13-line block ×3, first 2 shown]
	v_fma_f64 v[2:3], v[136:137], v[150:151], v[2:3]
	scratch_load_b128 v[134:137], off, off offset:448
	s_waitcnt vmcnt(4)
	v_fma_f64 v[2:3], v[126:127], v[152:153], v[2:3]
	ds_load_2addr_b64 v[146:149], v1 offset0:109 offset1:110
	ds_load_2addr_b64 v[150:153], v1 offset0:111 offset1:112
	s_waitcnt lgkmcnt(1)
	v_fma_f64 v[2:3], v[128:129], v[146:147], v[2:3]
	scratch_load_b64 v[146:147], off, off offset:464
	s_waitcnt vmcnt(4)
	v_fma_f64 v[2:3], v[138:139], v[148:149], v[2:3]
	s_waitcnt lgkmcnt(0)
	s_delay_alu instid0(VALU_DEP_1)
	v_fma_f64 v[2:3], v[140:141], v[150:151], v[2:3]
	ds_load_2addr_b64 v[126:129], v1 offset0:113 offset1:114
	ds_load_2addr_b64 v[138:141], v1 offset0:115 offset1:116
	s_waitcnt vmcnt(3)
	v_fma_f64 v[2:3], v[130:131], v[152:153], v[2:3]
	s_waitcnt lgkmcnt(1)
	s_delay_alu instid0(VALU_DEP_1) | instskip(SKIP_1) | instid1(VALU_DEP_1)
	v_fma_f64 v[2:3], v[132:133], v[126:127], v[2:3]
	s_waitcnt vmcnt(2)
	v_fma_f64 v[2:3], v[142:143], v[128:129], v[2:3]
	s_waitcnt lgkmcnt(0)
	s_delay_alu instid0(VALU_DEP_1) | instskip(SKIP_1) | instid1(VALU_DEP_1)
	v_fma_f64 v[2:3], v[144:145], v[138:139], v[2:3]
	s_waitcnt vmcnt(1)
	v_fma_f64 v[126:127], v[134:135], v[140:141], v[2:3]
	ds_load_2addr_b64 v[1:4], v1 offset0:117 offset1:118
	s_waitcnt lgkmcnt(0)
	v_fma_f64 v[1:2], v[136:137], v[1:2], v[126:127]
	s_waitcnt vmcnt(0)
	s_delay_alu instid0(VALU_DEP_1) | instskip(NEXT) | instid1(VALU_DEP_1)
	v_fma_f64 v[1:2], v[146:147], v[3:4], v[1:2]
	v_add_f64 v[1:2], v[124:125], -v[1:2]
	scratch_store_b64 off, v[1:2], off offset:128
	v_cmpx_lt_u32_e32 15, v0
	s_cbranch_execz .LBB122_333
; %bb.332:
	scratch_load_b64 v[1:2], off, off offset:120
	v_mov_b32_e32 v3, 0
	s_delay_alu instid0(VALU_DEP_1)
	v_mov_b32_e32 v4, v3
	scratch_store_b64 off, v[3:4], off offset:120
	s_waitcnt vmcnt(0)
	ds_store_b64 v5, v[1:2]
.LBB122_333:
	s_or_b32 exec_lo, exec_lo, s0
	s_waitcnt lgkmcnt(0)
	s_waitcnt_vscnt null, 0x0
	s_barrier
	buffer_gl0_inv
	s_clause 0x4
	scratch_load_b128 v[124:127], off, off offset:120
	scratch_load_b128 v[128:131], off, off offset:136
	;; [unrolled: 1-line block ×5, first 2 shown]
	v_mov_b32_e32 v1, 0
	ds_load_b128 v[144:147], v1 offset:608
	ds_load_b128 v[148:151], v1 offset:624
	scratch_load_b128 v[152:155], off, off offset:200
	s_mov_b32 s0, exec_lo
	s_waitcnt vmcnt(5) lgkmcnt(1)
	v_fma_f64 v[2:3], v[126:127], v[144:145], 0
	s_waitcnt vmcnt(4)
	s_delay_alu instid0(VALU_DEP_1) | instskip(SKIP_4) | instid1(VALU_DEP_1)
	v_fma_f64 v[2:3], v[128:129], v[146:147], v[2:3]
	scratch_load_b128 v[126:129], off, off offset:216
	s_waitcnt lgkmcnt(0)
	v_fma_f64 v[2:3], v[130:131], v[148:149], v[2:3]
	s_waitcnt vmcnt(4)
	v_fma_f64 v[2:3], v[132:133], v[150:151], v[2:3]
	ds_load_b128 v[130:133], v1 offset:640
	ds_load_b128 v[144:147], v1 offset:656
	scratch_load_b128 v[148:151], off, off offset:232
	s_waitcnt lgkmcnt(1)
	v_fma_f64 v[2:3], v[134:135], v[130:131], v[2:3]
	s_waitcnt vmcnt(4)
	s_delay_alu instid0(VALU_DEP_1) | instskip(SKIP_4) | instid1(VALU_DEP_1)
	v_fma_f64 v[2:3], v[136:137], v[132:133], v[2:3]
	scratch_load_b128 v[130:133], off, off offset:248
	s_waitcnt lgkmcnt(0)
	v_fma_f64 v[2:3], v[138:139], v[144:145], v[2:3]
	s_waitcnt vmcnt(4)
	v_fma_f64 v[2:3], v[140:141], v[146:147], v[2:3]
	ds_load_b128 v[134:137], v1 offset:672
	ds_load_b128 v[138:141], v1 offset:688
	s_waitcnt lgkmcnt(1)
	v_fma_f64 v[2:3], v[142:143], v[134:135], v[2:3]
	scratch_load_b128 v[142:145], off, off offset:264
	s_waitcnt vmcnt(4)
	v_fma_f64 v[2:3], v[152:153], v[136:137], v[2:3]
	scratch_load_b128 v[134:137], off, off offset:280
	s_waitcnt lgkmcnt(0)
	v_fma_f64 v[2:3], v[154:155], v[138:139], v[2:3]
	s_waitcnt vmcnt(4)
	s_delay_alu instid0(VALU_DEP_1)
	v_fma_f64 v[2:3], v[126:127], v[140:141], v[2:3]
	ds_load_b128 v[138:141], v1 offset:704
	ds_load_b128 v[152:155], v1 offset:720
	s_waitcnt lgkmcnt(1)
	v_fma_f64 v[2:3], v[128:129], v[138:139], v[2:3]
	scratch_load_b128 v[126:129], off, off offset:296
	s_waitcnt vmcnt(4)
	v_fma_f64 v[2:3], v[148:149], v[140:141], v[2:3]
	scratch_load_b128 v[138:141], off, off offset:312
	s_waitcnt lgkmcnt(0)
	v_fma_f64 v[2:3], v[150:151], v[152:153], v[2:3]
	ds_load_b128 v[146:149], v1 offset:736
	ds_load_b128 v[150:153], v1 offset:752
	s_waitcnt vmcnt(4)
	v_fma_f64 v[2:3], v[130:131], v[154:155], v[2:3]
	s_waitcnt lgkmcnt(1)
	s_delay_alu instid0(VALU_DEP_1) | instskip(SKIP_4) | instid1(VALU_DEP_1)
	v_fma_f64 v[2:3], v[132:133], v[146:147], v[2:3]
	scratch_load_b128 v[130:133], off, off offset:328
	s_waitcnt vmcnt(4)
	v_fma_f64 v[2:3], v[142:143], v[148:149], v[2:3]
	s_waitcnt lgkmcnt(0)
	v_fma_f64 v[2:3], v[144:145], v[150:151], v[2:3]
	scratch_load_b128 v[142:145], off, off offset:344
	s_waitcnt vmcnt(4)
	v_fma_f64 v[2:3], v[134:135], v[152:153], v[2:3]
	ds_load_b128 v[146:149], v1 offset:768
	ds_load_b128 v[150:153], v1 offset:784
	s_waitcnt lgkmcnt(1)
	v_fma_f64 v[2:3], v[136:137], v[146:147], v[2:3]
	scratch_load_b128 v[134:137], off, off offset:360
	s_waitcnt vmcnt(4)
	v_fma_f64 v[2:3], v[126:127], v[148:149], v[2:3]
	s_waitcnt lgkmcnt(0)
	s_delay_alu instid0(VALU_DEP_1)
	v_fma_f64 v[2:3], v[128:129], v[150:151], v[2:3]
	scratch_load_b128 v[126:129], off, off offset:376
	s_waitcnt vmcnt(4)
	v_fma_f64 v[2:3], v[138:139], v[152:153], v[2:3]
	ds_load_b128 v[146:149], v1 offset:800
	ds_load_b128 v[150:153], v1 offset:816
	s_waitcnt lgkmcnt(1)
	v_fma_f64 v[2:3], v[140:141], v[146:147], v[2:3]
	scratch_load_b128 v[138:141], off, off offset:392
	s_waitcnt vmcnt(4)
	v_fma_f64 v[2:3], v[130:131], v[148:149], v[2:3]
	s_waitcnt lgkmcnt(0)
	s_delay_alu instid0(VALU_DEP_1)
	;; [unrolled: 13-line block ×4, first 2 shown]
	v_fma_f64 v[2:3], v[140:141], v[150:151], v[2:3]
	ds_load_b128 v[138:141], v1 offset:896
	ds_load_b128 v[146:149], v1 offset:912
	s_waitcnt vmcnt(3)
	v_fma_f64 v[2:3], v[130:131], v[152:153], v[2:3]
	s_waitcnt lgkmcnt(1)
	s_delay_alu instid0(VALU_DEP_1) | instskip(SKIP_1) | instid1(VALU_DEP_1)
	v_fma_f64 v[2:3], v[132:133], v[138:139], v[2:3]
	s_waitcnt vmcnt(2)
	v_fma_f64 v[2:3], v[142:143], v[140:141], v[2:3]
	s_waitcnt lgkmcnt(0)
	s_delay_alu instid0(VALU_DEP_1) | instskip(SKIP_1) | instid1(VALU_DEP_1)
	v_fma_f64 v[2:3], v[144:145], v[146:147], v[2:3]
	s_waitcnt vmcnt(1)
	v_fma_f64 v[2:3], v[134:135], v[148:149], v[2:3]
	ds_load_b128 v[130:133], v1 offset:928
	ds_load_b64 v[134:135], v1 offset:944
	s_waitcnt lgkmcnt(1)
	v_fma_f64 v[2:3], v[136:137], v[130:131], v[2:3]
	s_waitcnt vmcnt(0)
	s_delay_alu instid0(VALU_DEP_1) | instskip(SKIP_1) | instid1(VALU_DEP_1)
	v_fma_f64 v[2:3], v[126:127], v[132:133], v[2:3]
	s_waitcnt lgkmcnt(0)
	v_fma_f64 v[2:3], v[128:129], v[134:135], v[2:3]
	s_delay_alu instid0(VALU_DEP_1)
	v_add_f64 v[2:3], v[124:125], -v[2:3]
	scratch_store_b64 off, v[2:3], off offset:120
	v_cmpx_lt_u32_e32 14, v0
	s_cbranch_execz .LBB122_335
; %bb.334:
	scratch_load_b64 v[3:4], off, off offset:112
	v_mov_b32_e32 v2, v1
	scratch_store_b64 off, v[1:2], off offset:112
	s_waitcnt vmcnt(0)
	ds_store_b64 v5, v[3:4]
.LBB122_335:
	s_or_b32 exec_lo, exec_lo, s0
	s_waitcnt lgkmcnt(0)
	s_waitcnt_vscnt null, 0x0
	s_barrier
	buffer_gl0_inv
	s_clause 0x4
	scratch_load_b128 v[124:127], off, off offset:112
	scratch_load_b128 v[128:131], off, off offset:128
	;; [unrolled: 1-line block ×5, first 2 shown]
	ds_load_2addr_b64 v[144:147], v1 offset0:75 offset1:76
	ds_load_2addr_b64 v[148:151], v1 offset0:77 offset1:78
	scratch_load_b128 v[152:155], off, off offset:192
	s_mov_b32 s0, exec_lo
	s_waitcnt vmcnt(5) lgkmcnt(1)
	v_fma_f64 v[2:3], v[126:127], v[144:145], 0
	s_waitcnt vmcnt(4)
	s_delay_alu instid0(VALU_DEP_1) | instskip(SKIP_4) | instid1(VALU_DEP_1)
	v_fma_f64 v[2:3], v[128:129], v[146:147], v[2:3]
	scratch_load_b128 v[126:129], off, off offset:208
	s_waitcnt lgkmcnt(0)
	v_fma_f64 v[2:3], v[130:131], v[148:149], v[2:3]
	s_waitcnt vmcnt(4)
	v_fma_f64 v[2:3], v[132:133], v[150:151], v[2:3]
	ds_load_2addr_b64 v[130:133], v1 offset0:79 offset1:80
	ds_load_2addr_b64 v[144:147], v1 offset0:81 offset1:82
	scratch_load_b128 v[148:151], off, off offset:224
	s_waitcnt lgkmcnt(1)
	v_fma_f64 v[2:3], v[134:135], v[130:131], v[2:3]
	s_waitcnt vmcnt(4)
	s_delay_alu instid0(VALU_DEP_1) | instskip(SKIP_4) | instid1(VALU_DEP_1)
	v_fma_f64 v[2:3], v[136:137], v[132:133], v[2:3]
	scratch_load_b128 v[130:133], off, off offset:240
	s_waitcnt lgkmcnt(0)
	v_fma_f64 v[2:3], v[138:139], v[144:145], v[2:3]
	s_waitcnt vmcnt(4)
	v_fma_f64 v[2:3], v[140:141], v[146:147], v[2:3]
	ds_load_2addr_b64 v[134:137], v1 offset0:83 offset1:84
	ds_load_2addr_b64 v[138:141], v1 offset0:85 offset1:86
	s_waitcnt lgkmcnt(1)
	v_fma_f64 v[2:3], v[142:143], v[134:135], v[2:3]
	scratch_load_b128 v[142:145], off, off offset:256
	s_waitcnt vmcnt(4)
	v_fma_f64 v[2:3], v[152:153], v[136:137], v[2:3]
	scratch_load_b128 v[134:137], off, off offset:272
	s_waitcnt lgkmcnt(0)
	v_fma_f64 v[2:3], v[154:155], v[138:139], v[2:3]
	s_waitcnt vmcnt(4)
	s_delay_alu instid0(VALU_DEP_1)
	v_fma_f64 v[2:3], v[126:127], v[140:141], v[2:3]
	ds_load_2addr_b64 v[138:141], v1 offset0:87 offset1:88
	ds_load_2addr_b64 v[152:155], v1 offset0:89 offset1:90
	s_waitcnt lgkmcnt(1)
	v_fma_f64 v[2:3], v[128:129], v[138:139], v[2:3]
	scratch_load_b128 v[126:129], off, off offset:288
	s_waitcnt vmcnt(4)
	v_fma_f64 v[2:3], v[148:149], v[140:141], v[2:3]
	scratch_load_b128 v[138:141], off, off offset:304
	s_waitcnt lgkmcnt(0)
	v_fma_f64 v[2:3], v[150:151], v[152:153], v[2:3]
	ds_load_2addr_b64 v[146:149], v1 offset0:91 offset1:92
	ds_load_2addr_b64 v[150:153], v1 offset0:93 offset1:94
	s_waitcnt vmcnt(4)
	v_fma_f64 v[2:3], v[130:131], v[154:155], v[2:3]
	s_waitcnt lgkmcnt(1)
	s_delay_alu instid0(VALU_DEP_1) | instskip(SKIP_4) | instid1(VALU_DEP_1)
	v_fma_f64 v[2:3], v[132:133], v[146:147], v[2:3]
	scratch_load_b128 v[130:133], off, off offset:320
	s_waitcnt vmcnt(4)
	v_fma_f64 v[2:3], v[142:143], v[148:149], v[2:3]
	s_waitcnt lgkmcnt(0)
	v_fma_f64 v[2:3], v[144:145], v[150:151], v[2:3]
	scratch_load_b128 v[142:145], off, off offset:336
	s_waitcnt vmcnt(4)
	v_fma_f64 v[2:3], v[134:135], v[152:153], v[2:3]
	ds_load_2addr_b64 v[146:149], v1 offset0:95 offset1:96
	ds_load_2addr_b64 v[150:153], v1 offset0:97 offset1:98
	s_waitcnt lgkmcnt(1)
	v_fma_f64 v[2:3], v[136:137], v[146:147], v[2:3]
	scratch_load_b128 v[134:137], off, off offset:352
	s_waitcnt vmcnt(4)
	v_fma_f64 v[2:3], v[126:127], v[148:149], v[2:3]
	s_waitcnt lgkmcnt(0)
	s_delay_alu instid0(VALU_DEP_1)
	v_fma_f64 v[2:3], v[128:129], v[150:151], v[2:3]
	scratch_load_b128 v[126:129], off, off offset:368
	s_waitcnt vmcnt(4)
	v_fma_f64 v[2:3], v[138:139], v[152:153], v[2:3]
	ds_load_2addr_b64 v[146:149], v1 offset0:99 offset1:100
	ds_load_2addr_b64 v[150:153], v1 offset0:101 offset1:102
	s_waitcnt lgkmcnt(1)
	v_fma_f64 v[2:3], v[140:141], v[146:147], v[2:3]
	scratch_load_b128 v[138:141], off, off offset:384
	s_waitcnt vmcnt(4)
	v_fma_f64 v[2:3], v[130:131], v[148:149], v[2:3]
	s_waitcnt lgkmcnt(0)
	s_delay_alu instid0(VALU_DEP_1)
	v_fma_f64 v[2:3], v[132:133], v[150:151], v[2:3]
	scratch_load_b128 v[130:133], off, off offset:400
	s_waitcnt vmcnt(4)
	v_fma_f64 v[2:3], v[142:143], v[152:153], v[2:3]
	ds_load_2addr_b64 v[146:149], v1 offset0:103 offset1:104
	ds_load_2addr_b64 v[150:153], v1 offset0:105 offset1:106
	s_waitcnt lgkmcnt(1)
	v_fma_f64 v[2:3], v[144:145], v[146:147], v[2:3]
	scratch_load_b128 v[142:145], off, off offset:416
	s_waitcnt vmcnt(4)
	v_fma_f64 v[2:3], v[134:135], v[148:149], v[2:3]
	s_waitcnt lgkmcnt(0)
	s_delay_alu instid0(VALU_DEP_1)
	v_fma_f64 v[2:3], v[136:137], v[150:151], v[2:3]
	scratch_load_b128 v[134:137], off, off offset:432
	s_waitcnt vmcnt(4)
	v_fma_f64 v[2:3], v[126:127], v[152:153], v[2:3]
	ds_load_2addr_b64 v[146:149], v1 offset0:107 offset1:108
	ds_load_2addr_b64 v[150:153], v1 offset0:109 offset1:110
	s_waitcnt lgkmcnt(1)
	v_fma_f64 v[2:3], v[128:129], v[146:147], v[2:3]
	scratch_load_b128 v[126:129], off, off offset:448
	s_waitcnt vmcnt(4)
	v_fma_f64 v[2:3], v[138:139], v[148:149], v[2:3]
	s_waitcnt lgkmcnt(0)
	s_delay_alu instid0(VALU_DEP_1)
	v_fma_f64 v[2:3], v[140:141], v[150:151], v[2:3]
	scratch_load_b64 v[150:151], off, off offset:464
	ds_load_2addr_b64 v[138:141], v1 offset0:111 offset1:112
	ds_load_2addr_b64 v[146:149], v1 offset0:113 offset1:114
	s_waitcnt vmcnt(4)
	v_fma_f64 v[2:3], v[130:131], v[152:153], v[2:3]
	s_waitcnt lgkmcnt(1)
	s_delay_alu instid0(VALU_DEP_1) | instskip(SKIP_1) | instid1(VALU_DEP_1)
	v_fma_f64 v[2:3], v[132:133], v[138:139], v[2:3]
	s_waitcnt vmcnt(3)
	v_fma_f64 v[2:3], v[142:143], v[140:141], v[2:3]
	s_waitcnt lgkmcnt(0)
	s_delay_alu instid0(VALU_DEP_1) | instskip(SKIP_1) | instid1(VALU_DEP_1)
	v_fma_f64 v[2:3], v[144:145], v[146:147], v[2:3]
	s_waitcnt vmcnt(2)
	v_fma_f64 v[134:135], v[134:135], v[148:149], v[2:3]
	ds_load_2addr_b64 v[130:133], v1 offset0:115 offset1:116
	ds_load_2addr_b64 v[1:4], v1 offset0:117 offset1:118
	s_waitcnt lgkmcnt(1)
	v_fma_f64 v[130:131], v[136:137], v[130:131], v[134:135]
	s_waitcnt vmcnt(1)
	s_delay_alu instid0(VALU_DEP_1) | instskip(SKIP_1) | instid1(VALU_DEP_1)
	v_fma_f64 v[126:127], v[126:127], v[132:133], v[130:131]
	s_waitcnt lgkmcnt(0)
	v_fma_f64 v[1:2], v[128:129], v[1:2], v[126:127]
	s_waitcnt vmcnt(0)
	s_delay_alu instid0(VALU_DEP_1) | instskip(NEXT) | instid1(VALU_DEP_1)
	v_fma_f64 v[1:2], v[150:151], v[3:4], v[1:2]
	v_add_f64 v[1:2], v[124:125], -v[1:2]
	scratch_store_b64 off, v[1:2], off offset:112
	v_cmpx_lt_u32_e32 13, v0
	s_cbranch_execz .LBB122_337
; %bb.336:
	scratch_load_b64 v[1:2], off, off offset:104
	v_mov_b32_e32 v3, 0
	s_delay_alu instid0(VALU_DEP_1)
	v_mov_b32_e32 v4, v3
	scratch_store_b64 off, v[3:4], off offset:104
	s_waitcnt vmcnt(0)
	ds_store_b64 v5, v[1:2]
.LBB122_337:
	s_or_b32 exec_lo, exec_lo, s0
	s_waitcnt lgkmcnt(0)
	s_waitcnt_vscnt null, 0x0
	s_barrier
	buffer_gl0_inv
	s_clause 0x4
	scratch_load_b128 v[1:4], off, off offset:104
	scratch_load_b128 v[125:128], off, off offset:120
	;; [unrolled: 1-line block ×5, first 2 shown]
	v_mov_b32_e32 v124, 0
	ds_load_b128 v[141:144], v124 offset:592
	ds_load_b128 v[145:148], v124 offset:608
	scratch_load_b128 v[149:152], off, off offset:184
	s_mov_b32 s0, exec_lo
	s_waitcnt vmcnt(5) lgkmcnt(1)
	v_fma_f64 v[3:4], v[3:4], v[141:142], 0
	s_waitcnt vmcnt(4)
	s_delay_alu instid0(VALU_DEP_1) | instskip(SKIP_1) | instid1(VALU_DEP_1)
	v_fma_f64 v[3:4], v[125:126], v[143:144], v[3:4]
	s_waitcnt lgkmcnt(0)
	v_fma_f64 v[3:4], v[127:128], v[145:146], v[3:4]
	scratch_load_b128 v[125:128], off, off offset:200
	s_waitcnt vmcnt(4)
	v_fma_f64 v[3:4], v[129:130], v[147:148], v[3:4]
	ds_load_b128 v[141:144], v124 offset:624
	ds_load_b128 v[145:148], v124 offset:640
	s_waitcnt lgkmcnt(1)
	v_fma_f64 v[3:4], v[131:132], v[141:142], v[3:4]
	scratch_load_b128 v[129:132], off, off offset:216
	s_waitcnt vmcnt(4)
	v_fma_f64 v[3:4], v[133:134], v[143:144], v[3:4]
	s_waitcnt lgkmcnt(0)
	s_delay_alu instid0(VALU_DEP_1)
	v_fma_f64 v[3:4], v[135:136], v[145:146], v[3:4]
	scratch_load_b128 v[133:136], off, off offset:232
	s_waitcnt vmcnt(4)
	v_fma_f64 v[3:4], v[137:138], v[147:148], v[3:4]
	ds_load_b128 v[141:144], v124 offset:656
	ds_load_b128 v[145:148], v124 offset:672
	s_waitcnt lgkmcnt(1)
	v_fma_f64 v[3:4], v[139:140], v[141:142], v[3:4]
	scratch_load_b128 v[137:140], off, off offset:248
	s_waitcnt vmcnt(4)
	v_fma_f64 v[3:4], v[149:150], v[143:144], v[3:4]
	scratch_load_b128 v[141:144], off, off offset:264
	s_waitcnt lgkmcnt(0)
	v_fma_f64 v[3:4], v[151:152], v[145:146], v[3:4]
	s_waitcnt vmcnt(4)
	s_delay_alu instid0(VALU_DEP_1)
	v_fma_f64 v[3:4], v[125:126], v[147:148], v[3:4]
	ds_load_b128 v[145:148], v124 offset:688
	ds_load_b128 v[149:152], v124 offset:704
	s_waitcnt lgkmcnt(1)
	v_fma_f64 v[3:4], v[127:128], v[145:146], v[3:4]
	scratch_load_b128 v[125:128], off, off offset:280
	s_waitcnt vmcnt(4)
	v_fma_f64 v[3:4], v[129:130], v[147:148], v[3:4]
	s_waitcnt lgkmcnt(0)
	s_delay_alu instid0(VALU_DEP_1)
	v_fma_f64 v[3:4], v[131:132], v[149:150], v[3:4]
	scratch_load_b128 v[129:132], off, off offset:296
	s_waitcnt vmcnt(4)
	v_fma_f64 v[3:4], v[133:134], v[151:152], v[3:4]
	ds_load_b128 v[145:148], v124 offset:720
	ds_load_b128 v[149:152], v124 offset:736
	s_waitcnt lgkmcnt(1)
	v_fma_f64 v[3:4], v[135:136], v[145:146], v[3:4]
	scratch_load_b128 v[133:136], off, off offset:312
	s_waitcnt vmcnt(4)
	v_fma_f64 v[3:4], v[137:138], v[147:148], v[3:4]
	s_waitcnt lgkmcnt(0)
	s_delay_alu instid0(VALU_DEP_1)
	v_fma_f64 v[3:4], v[139:140], v[149:150], v[3:4]
	scratch_load_b128 v[137:140], off, off offset:328
	s_waitcnt vmcnt(4)
	;; [unrolled: 13-line block ×6, first 2 shown]
	v_fma_f64 v[3:4], v[133:134], v[151:152], v[3:4]
	ds_load_b128 v[145:148], v124 offset:880
	ds_load_b128 v[149:152], v124 offset:896
	s_waitcnt lgkmcnt(1)
	v_fma_f64 v[3:4], v[135:136], v[145:146], v[3:4]
	s_waitcnt vmcnt(3)
	s_delay_alu instid0(VALU_DEP_1) | instskip(SKIP_1) | instid1(VALU_DEP_1)
	v_fma_f64 v[3:4], v[137:138], v[147:148], v[3:4]
	s_waitcnt lgkmcnt(0)
	v_fma_f64 v[3:4], v[139:140], v[149:150], v[3:4]
	ds_load_b128 v[133:136], v124 offset:912
	ds_load_b128 v[137:140], v124 offset:928
	s_waitcnt vmcnt(2)
	v_fma_f64 v[3:4], v[141:142], v[151:152], v[3:4]
	s_waitcnt lgkmcnt(1)
	s_delay_alu instid0(VALU_DEP_1) | instskip(SKIP_1) | instid1(VALU_DEP_1)
	v_fma_f64 v[3:4], v[143:144], v[133:134], v[3:4]
	s_waitcnt vmcnt(1)
	v_fma_f64 v[3:4], v[125:126], v[135:136], v[3:4]
	ds_load_b64 v[125:126], v124 offset:944
	s_waitcnt lgkmcnt(1)
	v_fma_f64 v[3:4], v[127:128], v[137:138], v[3:4]
	s_waitcnt vmcnt(0)
	s_delay_alu instid0(VALU_DEP_1) | instskip(SKIP_1) | instid1(VALU_DEP_1)
	v_fma_f64 v[3:4], v[129:130], v[139:140], v[3:4]
	s_waitcnt lgkmcnt(0)
	v_fma_f64 v[3:4], v[131:132], v[125:126], v[3:4]
	s_delay_alu instid0(VALU_DEP_1)
	v_add_f64 v[1:2], v[1:2], -v[3:4]
	scratch_store_b64 off, v[1:2], off offset:104
	v_cmpx_lt_u32_e32 12, v0
	s_cbranch_execz .LBB122_339
; %bb.338:
	scratch_load_b64 v[1:2], off, off offset:96
	v_mov_b32_e32 v125, v124
	scratch_store_b64 off, v[124:125], off offset:96
	s_waitcnt vmcnt(0)
	ds_store_b64 v5, v[1:2]
.LBB122_339:
	s_or_b32 exec_lo, exec_lo, s0
	s_waitcnt lgkmcnt(0)
	s_waitcnt_vscnt null, 0x0
	s_barrier
	buffer_gl0_inv
	s_clause 0x4
	scratch_load_b128 v[1:4], off, off offset:96
	scratch_load_b128 v[125:128], off, off offset:112
	;; [unrolled: 1-line block ×5, first 2 shown]
	ds_load_2addr_b64 v[141:144], v124 offset0:73 offset1:74
	ds_load_2addr_b64 v[145:148], v124 offset0:75 offset1:76
	scratch_load_b128 v[149:152], off, off offset:176
	s_mov_b32 s0, exec_lo
	s_waitcnt vmcnt(5) lgkmcnt(1)
	v_fma_f64 v[3:4], v[3:4], v[141:142], 0
	s_waitcnt vmcnt(4)
	s_delay_alu instid0(VALU_DEP_1) | instskip(SKIP_1) | instid1(VALU_DEP_1)
	v_fma_f64 v[3:4], v[125:126], v[143:144], v[3:4]
	s_waitcnt lgkmcnt(0)
	v_fma_f64 v[3:4], v[127:128], v[145:146], v[3:4]
	scratch_load_b128 v[125:128], off, off offset:192
	s_waitcnt vmcnt(4)
	v_fma_f64 v[3:4], v[129:130], v[147:148], v[3:4]
	ds_load_2addr_b64 v[141:144], v124 offset0:77 offset1:78
	ds_load_2addr_b64 v[145:148], v124 offset0:79 offset1:80
	s_waitcnt lgkmcnt(1)
	v_fma_f64 v[3:4], v[131:132], v[141:142], v[3:4]
	scratch_load_b128 v[129:132], off, off offset:208
	s_waitcnt vmcnt(4)
	v_fma_f64 v[3:4], v[133:134], v[143:144], v[3:4]
	s_waitcnt lgkmcnt(0)
	s_delay_alu instid0(VALU_DEP_1)
	v_fma_f64 v[3:4], v[135:136], v[145:146], v[3:4]
	scratch_load_b128 v[133:136], off, off offset:224
	s_waitcnt vmcnt(4)
	v_fma_f64 v[3:4], v[137:138], v[147:148], v[3:4]
	ds_load_2addr_b64 v[141:144], v124 offset0:81 offset1:82
	ds_load_2addr_b64 v[145:148], v124 offset0:83 offset1:84
	s_waitcnt lgkmcnt(1)
	v_fma_f64 v[3:4], v[139:140], v[141:142], v[3:4]
	scratch_load_b128 v[137:140], off, off offset:240
	s_waitcnt vmcnt(4)
	v_fma_f64 v[3:4], v[149:150], v[143:144], v[3:4]
	scratch_load_b128 v[141:144], off, off offset:256
	s_waitcnt lgkmcnt(0)
	v_fma_f64 v[3:4], v[151:152], v[145:146], v[3:4]
	s_waitcnt vmcnt(4)
	s_delay_alu instid0(VALU_DEP_1)
	v_fma_f64 v[3:4], v[125:126], v[147:148], v[3:4]
	ds_load_2addr_b64 v[145:148], v124 offset0:85 offset1:86
	ds_load_2addr_b64 v[149:152], v124 offset0:87 offset1:88
	s_waitcnt lgkmcnt(1)
	v_fma_f64 v[3:4], v[127:128], v[145:146], v[3:4]
	scratch_load_b128 v[125:128], off, off offset:272
	s_waitcnt vmcnt(4)
	v_fma_f64 v[3:4], v[129:130], v[147:148], v[3:4]
	s_waitcnt lgkmcnt(0)
	s_delay_alu instid0(VALU_DEP_1)
	v_fma_f64 v[3:4], v[131:132], v[149:150], v[3:4]
	scratch_load_b128 v[129:132], off, off offset:288
	s_waitcnt vmcnt(4)
	v_fma_f64 v[3:4], v[133:134], v[151:152], v[3:4]
	ds_load_2addr_b64 v[145:148], v124 offset0:89 offset1:90
	ds_load_2addr_b64 v[149:152], v124 offset0:91 offset1:92
	s_waitcnt lgkmcnt(1)
	v_fma_f64 v[3:4], v[135:136], v[145:146], v[3:4]
	scratch_load_b128 v[133:136], off, off offset:304
	s_waitcnt vmcnt(4)
	v_fma_f64 v[3:4], v[137:138], v[147:148], v[3:4]
	s_waitcnt lgkmcnt(0)
	s_delay_alu instid0(VALU_DEP_1)
	v_fma_f64 v[3:4], v[139:140], v[149:150], v[3:4]
	scratch_load_b128 v[137:140], off, off offset:320
	s_waitcnt vmcnt(4)
	;; [unrolled: 13-line block ×6, first 2 shown]
	v_fma_f64 v[3:4], v[133:134], v[151:152], v[3:4]
	ds_load_2addr_b64 v[145:148], v124 offset0:109 offset1:110
	ds_load_2addr_b64 v[149:152], v124 offset0:111 offset1:112
	s_waitcnt lgkmcnt(1)
	v_fma_f64 v[3:4], v[135:136], v[145:146], v[3:4]
	scratch_load_b64 v[145:146], off, off offset:464
	s_waitcnt vmcnt(4)
	v_fma_f64 v[3:4], v[137:138], v[147:148], v[3:4]
	s_waitcnt lgkmcnt(0)
	s_delay_alu instid0(VALU_DEP_1)
	v_fma_f64 v[3:4], v[139:140], v[149:150], v[3:4]
	ds_load_2addr_b64 v[133:136], v124 offset0:113 offset1:114
	ds_load_2addr_b64 v[137:140], v124 offset0:115 offset1:116
	s_waitcnt vmcnt(3)
	v_fma_f64 v[3:4], v[141:142], v[151:152], v[3:4]
	s_waitcnt lgkmcnt(1)
	s_delay_alu instid0(VALU_DEP_1) | instskip(SKIP_1) | instid1(VALU_DEP_1)
	v_fma_f64 v[3:4], v[143:144], v[133:134], v[3:4]
	s_waitcnt vmcnt(2)
	v_fma_f64 v[3:4], v[125:126], v[135:136], v[3:4]
	s_waitcnt lgkmcnt(0)
	s_delay_alu instid0(VALU_DEP_1) | instskip(SKIP_4) | instid1(VALU_DEP_1)
	v_fma_f64 v[3:4], v[127:128], v[137:138], v[3:4]
	ds_load_2addr_b64 v[124:127], v124 offset0:117 offset1:118
	s_waitcnt vmcnt(1)
	v_fma_f64 v[3:4], v[129:130], v[139:140], v[3:4]
	s_waitcnt lgkmcnt(0)
	v_fma_f64 v[3:4], v[131:132], v[124:125], v[3:4]
	s_waitcnt vmcnt(0)
	s_delay_alu instid0(VALU_DEP_1) | instskip(NEXT) | instid1(VALU_DEP_1)
	v_fma_f64 v[3:4], v[145:146], v[126:127], v[3:4]
	v_add_f64 v[1:2], v[1:2], -v[3:4]
	scratch_store_b64 off, v[1:2], off offset:96
	v_cmpx_lt_u32_e32 11, v0
	s_cbranch_execz .LBB122_341
; %bb.340:
	scratch_load_b64 v[1:2], off, off offset:88
	v_mov_b32_e32 v3, 0
	s_delay_alu instid0(VALU_DEP_1)
	v_mov_b32_e32 v4, v3
	scratch_store_b64 off, v[3:4], off offset:88
	s_waitcnt vmcnt(0)
	ds_store_b64 v5, v[1:2]
.LBB122_341:
	s_or_b32 exec_lo, exec_lo, s0
	s_waitcnt lgkmcnt(0)
	s_waitcnt_vscnt null, 0x0
	s_barrier
	buffer_gl0_inv
	s_clause 0x4
	scratch_load_b128 v[1:4], off, off offset:88
	scratch_load_b128 v[125:128], off, off offset:104
	;; [unrolled: 1-line block ×5, first 2 shown]
	v_mov_b32_e32 v124, 0
	ds_load_b128 v[141:144], v124 offset:576
	ds_load_b128 v[145:148], v124 offset:592
	scratch_load_b128 v[149:152], off, off offset:168
	s_mov_b32 s0, exec_lo
	s_waitcnt vmcnt(5) lgkmcnt(1)
	v_fma_f64 v[3:4], v[3:4], v[141:142], 0
	s_waitcnt vmcnt(4)
	s_delay_alu instid0(VALU_DEP_1) | instskip(SKIP_1) | instid1(VALU_DEP_1)
	v_fma_f64 v[3:4], v[125:126], v[143:144], v[3:4]
	s_waitcnt lgkmcnt(0)
	v_fma_f64 v[3:4], v[127:128], v[145:146], v[3:4]
	scratch_load_b128 v[125:128], off, off offset:184
	s_waitcnt vmcnt(4)
	v_fma_f64 v[3:4], v[129:130], v[147:148], v[3:4]
	ds_load_b128 v[141:144], v124 offset:608
	ds_load_b128 v[145:148], v124 offset:624
	s_waitcnt lgkmcnt(1)
	v_fma_f64 v[3:4], v[131:132], v[141:142], v[3:4]
	scratch_load_b128 v[129:132], off, off offset:200
	s_waitcnt vmcnt(4)
	v_fma_f64 v[3:4], v[133:134], v[143:144], v[3:4]
	s_waitcnt lgkmcnt(0)
	s_delay_alu instid0(VALU_DEP_1)
	v_fma_f64 v[3:4], v[135:136], v[145:146], v[3:4]
	scratch_load_b128 v[133:136], off, off offset:216
	s_waitcnt vmcnt(4)
	v_fma_f64 v[3:4], v[137:138], v[147:148], v[3:4]
	ds_load_b128 v[141:144], v124 offset:640
	ds_load_b128 v[145:148], v124 offset:656
	s_waitcnt lgkmcnt(1)
	v_fma_f64 v[3:4], v[139:140], v[141:142], v[3:4]
	scratch_load_b128 v[137:140], off, off offset:232
	s_waitcnt vmcnt(4)
	v_fma_f64 v[3:4], v[149:150], v[143:144], v[3:4]
	scratch_load_b128 v[141:144], off, off offset:248
	s_waitcnt lgkmcnt(0)
	v_fma_f64 v[3:4], v[151:152], v[145:146], v[3:4]
	s_waitcnt vmcnt(4)
	s_delay_alu instid0(VALU_DEP_1)
	v_fma_f64 v[3:4], v[125:126], v[147:148], v[3:4]
	ds_load_b128 v[145:148], v124 offset:672
	ds_load_b128 v[149:152], v124 offset:688
	s_waitcnt lgkmcnt(1)
	v_fma_f64 v[3:4], v[127:128], v[145:146], v[3:4]
	scratch_load_b128 v[125:128], off, off offset:264
	s_waitcnt vmcnt(4)
	v_fma_f64 v[3:4], v[129:130], v[147:148], v[3:4]
	s_waitcnt lgkmcnt(0)
	s_delay_alu instid0(VALU_DEP_1)
	v_fma_f64 v[3:4], v[131:132], v[149:150], v[3:4]
	scratch_load_b128 v[129:132], off, off offset:280
	s_waitcnt vmcnt(4)
	v_fma_f64 v[3:4], v[133:134], v[151:152], v[3:4]
	ds_load_b128 v[145:148], v124 offset:704
	ds_load_b128 v[149:152], v124 offset:720
	s_waitcnt lgkmcnt(1)
	v_fma_f64 v[3:4], v[135:136], v[145:146], v[3:4]
	scratch_load_b128 v[133:136], off, off offset:296
	s_waitcnt vmcnt(4)
	v_fma_f64 v[3:4], v[137:138], v[147:148], v[3:4]
	s_waitcnt lgkmcnt(0)
	s_delay_alu instid0(VALU_DEP_1)
	v_fma_f64 v[3:4], v[139:140], v[149:150], v[3:4]
	scratch_load_b128 v[137:140], off, off offset:312
	s_waitcnt vmcnt(4)
	;; [unrolled: 13-line block ×6, first 2 shown]
	v_fma_f64 v[3:4], v[133:134], v[151:152], v[3:4]
	ds_load_b128 v[145:148], v124 offset:864
	ds_load_b128 v[149:152], v124 offset:880
	s_waitcnt lgkmcnt(1)
	v_fma_f64 v[3:4], v[135:136], v[145:146], v[3:4]
	scratch_load_b128 v[133:136], off, off offset:456
	s_waitcnt vmcnt(4)
	v_fma_f64 v[3:4], v[137:138], v[147:148], v[3:4]
	s_waitcnt lgkmcnt(0)
	s_delay_alu instid0(VALU_DEP_1)
	v_fma_f64 v[3:4], v[139:140], v[149:150], v[3:4]
	ds_load_b128 v[137:140], v124 offset:896
	ds_load_b128 v[145:148], v124 offset:912
	s_waitcnt vmcnt(3)
	v_fma_f64 v[3:4], v[141:142], v[151:152], v[3:4]
	s_waitcnt lgkmcnt(1)
	s_delay_alu instid0(VALU_DEP_1) | instskip(SKIP_1) | instid1(VALU_DEP_1)
	v_fma_f64 v[3:4], v[143:144], v[137:138], v[3:4]
	s_waitcnt vmcnt(2)
	v_fma_f64 v[3:4], v[125:126], v[139:140], v[3:4]
	s_waitcnt lgkmcnt(0)
	s_delay_alu instid0(VALU_DEP_1) | instskip(SKIP_1) | instid1(VALU_DEP_1)
	v_fma_f64 v[3:4], v[127:128], v[145:146], v[3:4]
	s_waitcnt vmcnt(1)
	v_fma_f64 v[3:4], v[129:130], v[147:148], v[3:4]
	ds_load_b128 v[125:128], v124 offset:928
	ds_load_b64 v[129:130], v124 offset:944
	s_waitcnt lgkmcnt(1)
	v_fma_f64 v[3:4], v[131:132], v[125:126], v[3:4]
	s_waitcnt vmcnt(0)
	s_delay_alu instid0(VALU_DEP_1) | instskip(SKIP_1) | instid1(VALU_DEP_1)
	v_fma_f64 v[3:4], v[133:134], v[127:128], v[3:4]
	s_waitcnt lgkmcnt(0)
	v_fma_f64 v[3:4], v[135:136], v[129:130], v[3:4]
	s_delay_alu instid0(VALU_DEP_1)
	v_add_f64 v[1:2], v[1:2], -v[3:4]
	scratch_store_b64 off, v[1:2], off offset:88
	v_cmpx_lt_u32_e32 10, v0
	s_cbranch_execz .LBB122_343
; %bb.342:
	scratch_load_b64 v[1:2], off, off offset:80
	v_mov_b32_e32 v125, v124
	scratch_store_b64 off, v[124:125], off offset:80
	s_waitcnt vmcnt(0)
	ds_store_b64 v5, v[1:2]
.LBB122_343:
	s_or_b32 exec_lo, exec_lo, s0
	s_waitcnt lgkmcnt(0)
	s_waitcnt_vscnt null, 0x0
	s_barrier
	buffer_gl0_inv
	s_clause 0x4
	scratch_load_b128 v[1:4], off, off offset:80
	scratch_load_b128 v[125:128], off, off offset:96
	;; [unrolled: 1-line block ×5, first 2 shown]
	ds_load_2addr_b64 v[141:144], v124 offset0:71 offset1:72
	ds_load_2addr_b64 v[145:148], v124 offset0:73 offset1:74
	scratch_load_b128 v[149:152], off, off offset:160
	s_mov_b32 s0, exec_lo
	s_waitcnt vmcnt(5) lgkmcnt(1)
	v_fma_f64 v[3:4], v[3:4], v[141:142], 0
	s_waitcnt vmcnt(4)
	s_delay_alu instid0(VALU_DEP_1) | instskip(SKIP_1) | instid1(VALU_DEP_1)
	v_fma_f64 v[3:4], v[125:126], v[143:144], v[3:4]
	s_waitcnt lgkmcnt(0)
	v_fma_f64 v[3:4], v[127:128], v[145:146], v[3:4]
	scratch_load_b128 v[125:128], off, off offset:176
	s_waitcnt vmcnt(4)
	v_fma_f64 v[3:4], v[129:130], v[147:148], v[3:4]
	ds_load_2addr_b64 v[141:144], v124 offset0:75 offset1:76
	ds_load_2addr_b64 v[145:148], v124 offset0:77 offset1:78
	s_waitcnt lgkmcnt(1)
	v_fma_f64 v[3:4], v[131:132], v[141:142], v[3:4]
	scratch_load_b128 v[129:132], off, off offset:192
	s_waitcnt vmcnt(4)
	v_fma_f64 v[3:4], v[133:134], v[143:144], v[3:4]
	s_waitcnt lgkmcnt(0)
	s_delay_alu instid0(VALU_DEP_1)
	v_fma_f64 v[3:4], v[135:136], v[145:146], v[3:4]
	scratch_load_b128 v[133:136], off, off offset:208
	s_waitcnt vmcnt(4)
	v_fma_f64 v[3:4], v[137:138], v[147:148], v[3:4]
	ds_load_2addr_b64 v[141:144], v124 offset0:79 offset1:80
	ds_load_2addr_b64 v[145:148], v124 offset0:81 offset1:82
	s_waitcnt lgkmcnt(1)
	v_fma_f64 v[3:4], v[139:140], v[141:142], v[3:4]
	scratch_load_b128 v[137:140], off, off offset:224
	s_waitcnt vmcnt(4)
	v_fma_f64 v[3:4], v[149:150], v[143:144], v[3:4]
	scratch_load_b128 v[141:144], off, off offset:240
	s_waitcnt lgkmcnt(0)
	v_fma_f64 v[3:4], v[151:152], v[145:146], v[3:4]
	s_waitcnt vmcnt(4)
	s_delay_alu instid0(VALU_DEP_1)
	v_fma_f64 v[3:4], v[125:126], v[147:148], v[3:4]
	ds_load_2addr_b64 v[145:148], v124 offset0:83 offset1:84
	ds_load_2addr_b64 v[149:152], v124 offset0:85 offset1:86
	s_waitcnt lgkmcnt(1)
	v_fma_f64 v[3:4], v[127:128], v[145:146], v[3:4]
	scratch_load_b128 v[125:128], off, off offset:256
	s_waitcnt vmcnt(4)
	v_fma_f64 v[3:4], v[129:130], v[147:148], v[3:4]
	s_waitcnt lgkmcnt(0)
	s_delay_alu instid0(VALU_DEP_1)
	v_fma_f64 v[3:4], v[131:132], v[149:150], v[3:4]
	scratch_load_b128 v[129:132], off, off offset:272
	s_waitcnt vmcnt(4)
	v_fma_f64 v[3:4], v[133:134], v[151:152], v[3:4]
	ds_load_2addr_b64 v[145:148], v124 offset0:87 offset1:88
	ds_load_2addr_b64 v[149:152], v124 offset0:89 offset1:90
	s_waitcnt lgkmcnt(1)
	v_fma_f64 v[3:4], v[135:136], v[145:146], v[3:4]
	scratch_load_b128 v[133:136], off, off offset:288
	s_waitcnt vmcnt(4)
	v_fma_f64 v[3:4], v[137:138], v[147:148], v[3:4]
	s_waitcnt lgkmcnt(0)
	s_delay_alu instid0(VALU_DEP_1)
	v_fma_f64 v[3:4], v[139:140], v[149:150], v[3:4]
	scratch_load_b128 v[137:140], off, off offset:304
	s_waitcnt vmcnt(4)
	;; [unrolled: 13-line block ×6, first 2 shown]
	v_fma_f64 v[3:4], v[133:134], v[151:152], v[3:4]
	ds_load_2addr_b64 v[145:148], v124 offset0:107 offset1:108
	ds_load_2addr_b64 v[149:152], v124 offset0:109 offset1:110
	s_waitcnt lgkmcnt(1)
	v_fma_f64 v[3:4], v[135:136], v[145:146], v[3:4]
	scratch_load_b128 v[133:136], off, off offset:448
	s_waitcnt vmcnt(4)
	v_fma_f64 v[3:4], v[137:138], v[147:148], v[3:4]
	s_waitcnt lgkmcnt(0)
	s_delay_alu instid0(VALU_DEP_1)
	v_fma_f64 v[3:4], v[139:140], v[149:150], v[3:4]
	scratch_load_b64 v[149:150], off, off offset:464
	ds_load_2addr_b64 v[137:140], v124 offset0:111 offset1:112
	ds_load_2addr_b64 v[145:148], v124 offset0:113 offset1:114
	s_waitcnt vmcnt(4)
	v_fma_f64 v[3:4], v[141:142], v[151:152], v[3:4]
	s_waitcnt lgkmcnt(1)
	s_delay_alu instid0(VALU_DEP_1) | instskip(SKIP_1) | instid1(VALU_DEP_1)
	v_fma_f64 v[3:4], v[143:144], v[137:138], v[3:4]
	s_waitcnt vmcnt(3)
	v_fma_f64 v[3:4], v[125:126], v[139:140], v[3:4]
	s_waitcnt lgkmcnt(0)
	s_delay_alu instid0(VALU_DEP_1)
	v_fma_f64 v[3:4], v[127:128], v[145:146], v[3:4]
	ds_load_2addr_b64 v[125:128], v124 offset0:115 offset1:116
	ds_load_2addr_b64 v[137:140], v124 offset0:117 offset1:118
	s_waitcnt vmcnt(2)
	v_fma_f64 v[3:4], v[129:130], v[147:148], v[3:4]
	s_waitcnt lgkmcnt(1)
	s_delay_alu instid0(VALU_DEP_1) | instskip(SKIP_1) | instid1(VALU_DEP_1)
	v_fma_f64 v[3:4], v[131:132], v[125:126], v[3:4]
	s_waitcnt vmcnt(1)
	v_fma_f64 v[3:4], v[133:134], v[127:128], v[3:4]
	s_waitcnt lgkmcnt(0)
	s_delay_alu instid0(VALU_DEP_1) | instskip(SKIP_1) | instid1(VALU_DEP_1)
	v_fma_f64 v[3:4], v[135:136], v[137:138], v[3:4]
	s_waitcnt vmcnt(0)
	v_fma_f64 v[3:4], v[149:150], v[139:140], v[3:4]
	s_delay_alu instid0(VALU_DEP_1)
	v_add_f64 v[1:2], v[1:2], -v[3:4]
	scratch_store_b64 off, v[1:2], off offset:80
	v_cmpx_lt_u32_e32 9, v0
	s_cbranch_execz .LBB122_345
; %bb.344:
	scratch_load_b64 v[1:2], off, off offset:72
	v_mov_b32_e32 v3, 0
	s_delay_alu instid0(VALU_DEP_1)
	v_mov_b32_e32 v4, v3
	scratch_store_b64 off, v[3:4], off offset:72
	s_waitcnt vmcnt(0)
	ds_store_b64 v5, v[1:2]
.LBB122_345:
	s_or_b32 exec_lo, exec_lo, s0
	s_waitcnt lgkmcnt(0)
	s_waitcnt_vscnt null, 0x0
	s_barrier
	buffer_gl0_inv
	s_clause 0x4
	scratch_load_b128 v[1:4], off, off offset:72
	scratch_load_b128 v[125:128], off, off offset:88
	;; [unrolled: 1-line block ×5, first 2 shown]
	v_mov_b32_e32 v124, 0
	ds_load_b128 v[141:144], v124 offset:560
	ds_load_b128 v[145:148], v124 offset:576
	scratch_load_b128 v[149:152], off, off offset:152
	s_mov_b32 s0, exec_lo
	s_waitcnt vmcnt(5) lgkmcnt(1)
	v_fma_f64 v[3:4], v[3:4], v[141:142], 0
	s_waitcnt vmcnt(4)
	s_delay_alu instid0(VALU_DEP_1) | instskip(SKIP_1) | instid1(VALU_DEP_1)
	v_fma_f64 v[3:4], v[125:126], v[143:144], v[3:4]
	s_waitcnt lgkmcnt(0)
	v_fma_f64 v[3:4], v[127:128], v[145:146], v[3:4]
	scratch_load_b128 v[125:128], off, off offset:168
	s_waitcnt vmcnt(4)
	v_fma_f64 v[3:4], v[129:130], v[147:148], v[3:4]
	ds_load_b128 v[141:144], v124 offset:592
	ds_load_b128 v[145:148], v124 offset:608
	s_waitcnt lgkmcnt(1)
	v_fma_f64 v[3:4], v[131:132], v[141:142], v[3:4]
	scratch_load_b128 v[129:132], off, off offset:184
	s_waitcnt vmcnt(4)
	v_fma_f64 v[3:4], v[133:134], v[143:144], v[3:4]
	s_waitcnt lgkmcnt(0)
	s_delay_alu instid0(VALU_DEP_1)
	v_fma_f64 v[3:4], v[135:136], v[145:146], v[3:4]
	scratch_load_b128 v[133:136], off, off offset:200
	s_waitcnt vmcnt(4)
	v_fma_f64 v[3:4], v[137:138], v[147:148], v[3:4]
	ds_load_b128 v[141:144], v124 offset:624
	ds_load_b128 v[145:148], v124 offset:640
	s_waitcnt lgkmcnt(1)
	v_fma_f64 v[3:4], v[139:140], v[141:142], v[3:4]
	scratch_load_b128 v[137:140], off, off offset:216
	s_waitcnt vmcnt(4)
	v_fma_f64 v[3:4], v[149:150], v[143:144], v[3:4]
	scratch_load_b128 v[141:144], off, off offset:232
	s_waitcnt lgkmcnt(0)
	v_fma_f64 v[3:4], v[151:152], v[145:146], v[3:4]
	s_waitcnt vmcnt(4)
	s_delay_alu instid0(VALU_DEP_1)
	v_fma_f64 v[3:4], v[125:126], v[147:148], v[3:4]
	ds_load_b128 v[145:148], v124 offset:656
	ds_load_b128 v[149:152], v124 offset:672
	s_waitcnt lgkmcnt(1)
	v_fma_f64 v[3:4], v[127:128], v[145:146], v[3:4]
	scratch_load_b128 v[125:128], off, off offset:248
	s_waitcnt vmcnt(4)
	v_fma_f64 v[3:4], v[129:130], v[147:148], v[3:4]
	s_waitcnt lgkmcnt(0)
	s_delay_alu instid0(VALU_DEP_1)
	v_fma_f64 v[3:4], v[131:132], v[149:150], v[3:4]
	scratch_load_b128 v[129:132], off, off offset:264
	s_waitcnt vmcnt(4)
	v_fma_f64 v[3:4], v[133:134], v[151:152], v[3:4]
	ds_load_b128 v[145:148], v124 offset:688
	ds_load_b128 v[149:152], v124 offset:704
	s_waitcnt lgkmcnt(1)
	v_fma_f64 v[3:4], v[135:136], v[145:146], v[3:4]
	scratch_load_b128 v[133:136], off, off offset:280
	s_waitcnt vmcnt(4)
	v_fma_f64 v[3:4], v[137:138], v[147:148], v[3:4]
	s_waitcnt lgkmcnt(0)
	s_delay_alu instid0(VALU_DEP_1)
	v_fma_f64 v[3:4], v[139:140], v[149:150], v[3:4]
	scratch_load_b128 v[137:140], off, off offset:296
	s_waitcnt vmcnt(4)
	;; [unrolled: 13-line block ×7, first 2 shown]
	v_fma_f64 v[3:4], v[141:142], v[151:152], v[3:4]
	ds_load_b128 v[145:148], v124 offset:880
	ds_load_b128 v[149:152], v124 offset:896
	s_waitcnt lgkmcnt(1)
	v_fma_f64 v[3:4], v[143:144], v[145:146], v[3:4]
	s_waitcnt vmcnt(3)
	s_delay_alu instid0(VALU_DEP_1) | instskip(SKIP_1) | instid1(VALU_DEP_1)
	v_fma_f64 v[3:4], v[125:126], v[147:148], v[3:4]
	s_waitcnt lgkmcnt(0)
	v_fma_f64 v[3:4], v[127:128], v[149:150], v[3:4]
	ds_load_b128 v[125:128], v124 offset:912
	ds_load_b128 v[141:144], v124 offset:928
	s_waitcnt vmcnt(2)
	v_fma_f64 v[3:4], v[129:130], v[151:152], v[3:4]
	s_waitcnt lgkmcnt(1)
	s_delay_alu instid0(VALU_DEP_1) | instskip(SKIP_4) | instid1(VALU_DEP_1)
	v_fma_f64 v[3:4], v[131:132], v[125:126], v[3:4]
	ds_load_b64 v[125:126], v124 offset:944
	s_waitcnt vmcnt(1)
	v_fma_f64 v[3:4], v[133:134], v[127:128], v[3:4]
	s_waitcnt lgkmcnt(1)
	v_fma_f64 v[3:4], v[135:136], v[141:142], v[3:4]
	s_waitcnt vmcnt(0)
	s_delay_alu instid0(VALU_DEP_1) | instskip(SKIP_1) | instid1(VALU_DEP_1)
	v_fma_f64 v[3:4], v[137:138], v[143:144], v[3:4]
	s_waitcnt lgkmcnt(0)
	v_fma_f64 v[3:4], v[139:140], v[125:126], v[3:4]
	s_delay_alu instid0(VALU_DEP_1)
	v_add_f64 v[1:2], v[1:2], -v[3:4]
	scratch_store_b64 off, v[1:2], off offset:72
	v_cmpx_lt_u32_e32 8, v0
	s_cbranch_execz .LBB122_347
; %bb.346:
	scratch_load_b64 v[1:2], off, off offset:64
	v_mov_b32_e32 v125, v124
	scratch_store_b64 off, v[124:125], off offset:64
	s_waitcnt vmcnt(0)
	ds_store_b64 v5, v[1:2]
.LBB122_347:
	s_or_b32 exec_lo, exec_lo, s0
	s_waitcnt lgkmcnt(0)
	s_waitcnt_vscnt null, 0x0
	s_barrier
	buffer_gl0_inv
	s_clause 0x4
	scratch_load_b128 v[1:4], off, off offset:64
	scratch_load_b128 v[125:128], off, off offset:80
	;; [unrolled: 1-line block ×5, first 2 shown]
	ds_load_2addr_b64 v[141:144], v124 offset0:69 offset1:70
	ds_load_2addr_b64 v[145:148], v124 offset0:71 offset1:72
	scratch_load_b128 v[149:152], off, off offset:144
	s_mov_b32 s0, exec_lo
	s_waitcnt vmcnt(5) lgkmcnt(1)
	v_fma_f64 v[3:4], v[3:4], v[141:142], 0
	s_waitcnt vmcnt(4)
	s_delay_alu instid0(VALU_DEP_1) | instskip(SKIP_1) | instid1(VALU_DEP_1)
	v_fma_f64 v[3:4], v[125:126], v[143:144], v[3:4]
	s_waitcnt lgkmcnt(0)
	v_fma_f64 v[3:4], v[127:128], v[145:146], v[3:4]
	scratch_load_b128 v[125:128], off, off offset:160
	s_waitcnt vmcnt(4)
	v_fma_f64 v[3:4], v[129:130], v[147:148], v[3:4]
	ds_load_2addr_b64 v[141:144], v124 offset0:73 offset1:74
	ds_load_2addr_b64 v[145:148], v124 offset0:75 offset1:76
	s_waitcnt lgkmcnt(1)
	v_fma_f64 v[3:4], v[131:132], v[141:142], v[3:4]
	scratch_load_b128 v[129:132], off, off offset:176
	s_waitcnt vmcnt(4)
	v_fma_f64 v[3:4], v[133:134], v[143:144], v[3:4]
	s_waitcnt lgkmcnt(0)
	s_delay_alu instid0(VALU_DEP_1)
	v_fma_f64 v[3:4], v[135:136], v[145:146], v[3:4]
	scratch_load_b128 v[133:136], off, off offset:192
	s_waitcnt vmcnt(4)
	v_fma_f64 v[3:4], v[137:138], v[147:148], v[3:4]
	ds_load_2addr_b64 v[141:144], v124 offset0:77 offset1:78
	ds_load_2addr_b64 v[145:148], v124 offset0:79 offset1:80
	s_waitcnt lgkmcnt(1)
	v_fma_f64 v[3:4], v[139:140], v[141:142], v[3:4]
	scratch_load_b128 v[137:140], off, off offset:208
	s_waitcnt vmcnt(4)
	v_fma_f64 v[3:4], v[149:150], v[143:144], v[3:4]
	scratch_load_b128 v[141:144], off, off offset:224
	s_waitcnt lgkmcnt(0)
	v_fma_f64 v[3:4], v[151:152], v[145:146], v[3:4]
	s_waitcnt vmcnt(4)
	s_delay_alu instid0(VALU_DEP_1)
	v_fma_f64 v[3:4], v[125:126], v[147:148], v[3:4]
	ds_load_2addr_b64 v[145:148], v124 offset0:81 offset1:82
	ds_load_2addr_b64 v[149:152], v124 offset0:83 offset1:84
	s_waitcnt lgkmcnt(1)
	v_fma_f64 v[3:4], v[127:128], v[145:146], v[3:4]
	scratch_load_b128 v[125:128], off, off offset:240
	s_waitcnt vmcnt(4)
	v_fma_f64 v[3:4], v[129:130], v[147:148], v[3:4]
	s_waitcnt lgkmcnt(0)
	s_delay_alu instid0(VALU_DEP_1)
	v_fma_f64 v[3:4], v[131:132], v[149:150], v[3:4]
	scratch_load_b128 v[129:132], off, off offset:256
	s_waitcnt vmcnt(4)
	v_fma_f64 v[3:4], v[133:134], v[151:152], v[3:4]
	ds_load_2addr_b64 v[145:148], v124 offset0:85 offset1:86
	ds_load_2addr_b64 v[149:152], v124 offset0:87 offset1:88
	s_waitcnt lgkmcnt(1)
	v_fma_f64 v[3:4], v[135:136], v[145:146], v[3:4]
	scratch_load_b128 v[133:136], off, off offset:272
	s_waitcnt vmcnt(4)
	v_fma_f64 v[3:4], v[137:138], v[147:148], v[3:4]
	s_waitcnt lgkmcnt(0)
	s_delay_alu instid0(VALU_DEP_1)
	v_fma_f64 v[3:4], v[139:140], v[149:150], v[3:4]
	scratch_load_b128 v[137:140], off, off offset:288
	s_waitcnt vmcnt(4)
	;; [unrolled: 13-line block ×7, first 2 shown]
	v_fma_f64 v[3:4], v[141:142], v[151:152], v[3:4]
	ds_load_2addr_b64 v[145:148], v124 offset0:109 offset1:110
	ds_load_2addr_b64 v[149:152], v124 offset0:111 offset1:112
	s_waitcnt lgkmcnt(1)
	v_fma_f64 v[3:4], v[143:144], v[145:146], v[3:4]
	scratch_load_b64 v[145:146], off, off offset:464
	s_waitcnt vmcnt(4)
	v_fma_f64 v[3:4], v[125:126], v[147:148], v[3:4]
	s_waitcnt lgkmcnt(0)
	s_delay_alu instid0(VALU_DEP_1)
	v_fma_f64 v[3:4], v[127:128], v[149:150], v[3:4]
	ds_load_2addr_b64 v[125:128], v124 offset0:113 offset1:114
	ds_load_2addr_b64 v[141:144], v124 offset0:115 offset1:116
	s_waitcnt vmcnt(3)
	v_fma_f64 v[3:4], v[129:130], v[151:152], v[3:4]
	s_waitcnt lgkmcnt(1)
	s_delay_alu instid0(VALU_DEP_1) | instskip(SKIP_1) | instid1(VALU_DEP_1)
	v_fma_f64 v[3:4], v[131:132], v[125:126], v[3:4]
	s_waitcnt vmcnt(2)
	v_fma_f64 v[3:4], v[133:134], v[127:128], v[3:4]
	ds_load_2addr_b64 v[124:127], v124 offset0:117 offset1:118
	s_waitcnt lgkmcnt(1)
	v_fma_f64 v[3:4], v[135:136], v[141:142], v[3:4]
	s_waitcnt vmcnt(1)
	s_delay_alu instid0(VALU_DEP_1) | instskip(SKIP_1) | instid1(VALU_DEP_1)
	v_fma_f64 v[3:4], v[137:138], v[143:144], v[3:4]
	s_waitcnt lgkmcnt(0)
	v_fma_f64 v[3:4], v[139:140], v[124:125], v[3:4]
	s_waitcnt vmcnt(0)
	s_delay_alu instid0(VALU_DEP_1) | instskip(NEXT) | instid1(VALU_DEP_1)
	v_fma_f64 v[3:4], v[145:146], v[126:127], v[3:4]
	v_add_f64 v[1:2], v[1:2], -v[3:4]
	scratch_store_b64 off, v[1:2], off offset:64
	v_cmpx_lt_u32_e32 7, v0
	s_cbranch_execz .LBB122_349
; %bb.348:
	scratch_load_b64 v[1:2], off, off offset:56
	v_mov_b32_e32 v3, 0
	s_delay_alu instid0(VALU_DEP_1)
	v_mov_b32_e32 v4, v3
	scratch_store_b64 off, v[3:4], off offset:56
	s_waitcnt vmcnt(0)
	ds_store_b64 v5, v[1:2]
.LBB122_349:
	s_or_b32 exec_lo, exec_lo, s0
	s_waitcnt lgkmcnt(0)
	s_waitcnt_vscnt null, 0x0
	s_barrier
	buffer_gl0_inv
	s_clause 0x4
	scratch_load_b128 v[1:4], off, off offset:56
	scratch_load_b128 v[125:128], off, off offset:72
	;; [unrolled: 1-line block ×5, first 2 shown]
	v_mov_b32_e32 v124, 0
	ds_load_b128 v[141:144], v124 offset:544
	ds_load_b128 v[145:148], v124 offset:560
	scratch_load_b128 v[149:152], off, off offset:136
	s_mov_b32 s0, exec_lo
	s_waitcnt vmcnt(5) lgkmcnt(1)
	v_fma_f64 v[3:4], v[3:4], v[141:142], 0
	s_waitcnt vmcnt(4)
	s_delay_alu instid0(VALU_DEP_1) | instskip(SKIP_1) | instid1(VALU_DEP_1)
	v_fma_f64 v[3:4], v[125:126], v[143:144], v[3:4]
	s_waitcnt lgkmcnt(0)
	v_fma_f64 v[3:4], v[127:128], v[145:146], v[3:4]
	scratch_load_b128 v[125:128], off, off offset:152
	s_waitcnt vmcnt(4)
	v_fma_f64 v[3:4], v[129:130], v[147:148], v[3:4]
	ds_load_b128 v[141:144], v124 offset:576
	ds_load_b128 v[145:148], v124 offset:592
	s_waitcnt lgkmcnt(1)
	v_fma_f64 v[3:4], v[131:132], v[141:142], v[3:4]
	scratch_load_b128 v[129:132], off, off offset:168
	s_waitcnt vmcnt(4)
	v_fma_f64 v[3:4], v[133:134], v[143:144], v[3:4]
	s_waitcnt lgkmcnt(0)
	s_delay_alu instid0(VALU_DEP_1)
	v_fma_f64 v[3:4], v[135:136], v[145:146], v[3:4]
	scratch_load_b128 v[133:136], off, off offset:184
	s_waitcnt vmcnt(4)
	v_fma_f64 v[3:4], v[137:138], v[147:148], v[3:4]
	ds_load_b128 v[141:144], v124 offset:608
	ds_load_b128 v[145:148], v124 offset:624
	s_waitcnt lgkmcnt(1)
	v_fma_f64 v[3:4], v[139:140], v[141:142], v[3:4]
	scratch_load_b128 v[137:140], off, off offset:200
	s_waitcnt vmcnt(4)
	v_fma_f64 v[3:4], v[149:150], v[143:144], v[3:4]
	scratch_load_b128 v[141:144], off, off offset:216
	s_waitcnt lgkmcnt(0)
	v_fma_f64 v[3:4], v[151:152], v[145:146], v[3:4]
	s_waitcnt vmcnt(4)
	s_delay_alu instid0(VALU_DEP_1)
	v_fma_f64 v[3:4], v[125:126], v[147:148], v[3:4]
	ds_load_b128 v[145:148], v124 offset:640
	ds_load_b128 v[149:152], v124 offset:656
	s_waitcnt lgkmcnt(1)
	v_fma_f64 v[3:4], v[127:128], v[145:146], v[3:4]
	scratch_load_b128 v[125:128], off, off offset:232
	s_waitcnt vmcnt(4)
	v_fma_f64 v[3:4], v[129:130], v[147:148], v[3:4]
	s_waitcnt lgkmcnt(0)
	s_delay_alu instid0(VALU_DEP_1)
	v_fma_f64 v[3:4], v[131:132], v[149:150], v[3:4]
	scratch_load_b128 v[129:132], off, off offset:248
	s_waitcnt vmcnt(4)
	v_fma_f64 v[3:4], v[133:134], v[151:152], v[3:4]
	ds_load_b128 v[145:148], v124 offset:672
	ds_load_b128 v[149:152], v124 offset:688
	s_waitcnt lgkmcnt(1)
	v_fma_f64 v[3:4], v[135:136], v[145:146], v[3:4]
	scratch_load_b128 v[133:136], off, off offset:264
	s_waitcnt vmcnt(4)
	v_fma_f64 v[3:4], v[137:138], v[147:148], v[3:4]
	s_waitcnt lgkmcnt(0)
	s_delay_alu instid0(VALU_DEP_1)
	v_fma_f64 v[3:4], v[139:140], v[149:150], v[3:4]
	scratch_load_b128 v[137:140], off, off offset:280
	s_waitcnt vmcnt(4)
	v_fma_f64 v[3:4], v[141:142], v[151:152], v[3:4]
	ds_load_b128 v[145:148], v124 offset:704
	ds_load_b128 v[149:152], v124 offset:720
	s_waitcnt lgkmcnt(1)
	v_fma_f64 v[3:4], v[143:144], v[145:146], v[3:4]
	scratch_load_b128 v[141:144], off, off offset:296
	s_waitcnt vmcnt(4)
	v_fma_f64 v[3:4], v[125:126], v[147:148], v[3:4]
	s_waitcnt lgkmcnt(0)
	s_delay_alu instid0(VALU_DEP_1)
	v_fma_f64 v[3:4], v[127:128], v[149:150], v[3:4]
	scratch_load_b128 v[125:128], off, off offset:312
	s_waitcnt vmcnt(4)
	v_fma_f64 v[3:4], v[129:130], v[151:152], v[3:4]
	ds_load_b128 v[145:148], v124 offset:736
	ds_load_b128 v[149:152], v124 offset:752
	s_waitcnt lgkmcnt(1)
	v_fma_f64 v[3:4], v[131:132], v[145:146], v[3:4]
	scratch_load_b128 v[129:132], off, off offset:328
	s_waitcnt vmcnt(4)
	v_fma_f64 v[3:4], v[133:134], v[147:148], v[3:4]
	s_waitcnt lgkmcnt(0)
	s_delay_alu instid0(VALU_DEP_1)
	v_fma_f64 v[3:4], v[135:136], v[149:150], v[3:4]
	scratch_load_b128 v[133:136], off, off offset:344
	s_waitcnt vmcnt(4)
	v_fma_f64 v[3:4], v[137:138], v[151:152], v[3:4]
	ds_load_b128 v[145:148], v124 offset:768
	ds_load_b128 v[149:152], v124 offset:784
	s_waitcnt lgkmcnt(1)
	v_fma_f64 v[3:4], v[139:140], v[145:146], v[3:4]
	scratch_load_b128 v[137:140], off, off offset:360
	s_waitcnt vmcnt(4)
	v_fma_f64 v[3:4], v[141:142], v[147:148], v[3:4]
	s_waitcnt lgkmcnt(0)
	s_delay_alu instid0(VALU_DEP_1)
	v_fma_f64 v[3:4], v[143:144], v[149:150], v[3:4]
	scratch_load_b128 v[141:144], off, off offset:376
	s_waitcnt vmcnt(4)
	v_fma_f64 v[3:4], v[125:126], v[151:152], v[3:4]
	ds_load_b128 v[145:148], v124 offset:800
	ds_load_b128 v[149:152], v124 offset:816
	s_waitcnt lgkmcnt(1)
	v_fma_f64 v[3:4], v[127:128], v[145:146], v[3:4]
	scratch_load_b128 v[125:128], off, off offset:392
	s_waitcnt vmcnt(4)
	v_fma_f64 v[3:4], v[129:130], v[147:148], v[3:4]
	s_waitcnt lgkmcnt(0)
	s_delay_alu instid0(VALU_DEP_1)
	v_fma_f64 v[3:4], v[131:132], v[149:150], v[3:4]
	scratch_load_b128 v[129:132], off, off offset:408
	s_waitcnt vmcnt(4)
	v_fma_f64 v[3:4], v[133:134], v[151:152], v[3:4]
	ds_load_b128 v[145:148], v124 offset:832
	ds_load_b128 v[149:152], v124 offset:848
	s_waitcnt lgkmcnt(1)
	v_fma_f64 v[3:4], v[135:136], v[145:146], v[3:4]
	scratch_load_b128 v[133:136], off, off offset:424
	s_waitcnt vmcnt(4)
	v_fma_f64 v[3:4], v[137:138], v[147:148], v[3:4]
	s_waitcnt lgkmcnt(0)
	s_delay_alu instid0(VALU_DEP_1)
	v_fma_f64 v[3:4], v[139:140], v[149:150], v[3:4]
	scratch_load_b128 v[137:140], off, off offset:440
	s_waitcnt vmcnt(4)
	v_fma_f64 v[3:4], v[141:142], v[151:152], v[3:4]
	ds_load_b128 v[145:148], v124 offset:864
	ds_load_b128 v[149:152], v124 offset:880
	s_waitcnt lgkmcnt(1)
	v_fma_f64 v[3:4], v[143:144], v[145:146], v[3:4]
	scratch_load_b128 v[141:144], off, off offset:456
	s_waitcnt vmcnt(4)
	v_fma_f64 v[3:4], v[125:126], v[147:148], v[3:4]
	s_waitcnt lgkmcnt(0)
	s_delay_alu instid0(VALU_DEP_1)
	v_fma_f64 v[3:4], v[127:128], v[149:150], v[3:4]
	ds_load_b128 v[125:128], v124 offset:896
	ds_load_b128 v[145:148], v124 offset:912
	s_waitcnt vmcnt(3)
	v_fma_f64 v[3:4], v[129:130], v[151:152], v[3:4]
	s_waitcnt lgkmcnt(1)
	s_delay_alu instid0(VALU_DEP_1) | instskip(SKIP_1) | instid1(VALU_DEP_1)
	v_fma_f64 v[3:4], v[131:132], v[125:126], v[3:4]
	s_waitcnt vmcnt(2)
	v_fma_f64 v[3:4], v[133:134], v[127:128], v[3:4]
	ds_load_b128 v[125:128], v124 offset:928
	ds_load_b64 v[129:130], v124 offset:944
	s_waitcnt lgkmcnt(2)
	v_fma_f64 v[3:4], v[135:136], v[145:146], v[3:4]
	s_waitcnt vmcnt(1)
	s_delay_alu instid0(VALU_DEP_1) | instskip(SKIP_1) | instid1(VALU_DEP_1)
	v_fma_f64 v[3:4], v[137:138], v[147:148], v[3:4]
	s_waitcnt lgkmcnt(1)
	v_fma_f64 v[3:4], v[139:140], v[125:126], v[3:4]
	s_waitcnt vmcnt(0)
	s_delay_alu instid0(VALU_DEP_1) | instskip(SKIP_1) | instid1(VALU_DEP_1)
	v_fma_f64 v[3:4], v[141:142], v[127:128], v[3:4]
	s_waitcnt lgkmcnt(0)
	v_fma_f64 v[3:4], v[143:144], v[129:130], v[3:4]
	s_delay_alu instid0(VALU_DEP_1)
	v_add_f64 v[1:2], v[1:2], -v[3:4]
	scratch_store_b64 off, v[1:2], off offset:56
	v_cmpx_lt_u32_e32 6, v0
	s_cbranch_execz .LBB122_351
; %bb.350:
	scratch_load_b64 v[1:2], off, off offset:48
	v_mov_b32_e32 v125, v124
	scratch_store_b64 off, v[124:125], off offset:48
	s_waitcnt vmcnt(0)
	ds_store_b64 v5, v[1:2]
.LBB122_351:
	s_or_b32 exec_lo, exec_lo, s0
	s_waitcnt lgkmcnt(0)
	s_waitcnt_vscnt null, 0x0
	s_barrier
	buffer_gl0_inv
	s_clause 0x4
	scratch_load_b128 v[1:4], off, off offset:48
	scratch_load_b128 v[125:128], off, off offset:64
	scratch_load_b128 v[129:132], off, off offset:80
	scratch_load_b128 v[133:136], off, off offset:96
	scratch_load_b128 v[137:140], off, off offset:112
	ds_load_2addr_b64 v[141:144], v124 offset0:67 offset1:68
	ds_load_2addr_b64 v[145:148], v124 offset0:69 offset1:70
	scratch_load_b128 v[149:152], off, off offset:128
	s_mov_b32 s0, exec_lo
	s_waitcnt vmcnt(5) lgkmcnt(1)
	v_fma_f64 v[3:4], v[3:4], v[141:142], 0
	s_waitcnt vmcnt(4)
	s_delay_alu instid0(VALU_DEP_1) | instskip(SKIP_1) | instid1(VALU_DEP_1)
	v_fma_f64 v[3:4], v[125:126], v[143:144], v[3:4]
	s_waitcnt lgkmcnt(0)
	v_fma_f64 v[3:4], v[127:128], v[145:146], v[3:4]
	scratch_load_b128 v[125:128], off, off offset:144
	s_waitcnt vmcnt(4)
	v_fma_f64 v[3:4], v[129:130], v[147:148], v[3:4]
	ds_load_2addr_b64 v[141:144], v124 offset0:71 offset1:72
	ds_load_2addr_b64 v[145:148], v124 offset0:73 offset1:74
	s_waitcnt lgkmcnt(1)
	v_fma_f64 v[3:4], v[131:132], v[141:142], v[3:4]
	scratch_load_b128 v[129:132], off, off offset:160
	s_waitcnt vmcnt(4)
	v_fma_f64 v[3:4], v[133:134], v[143:144], v[3:4]
	s_waitcnt lgkmcnt(0)
	s_delay_alu instid0(VALU_DEP_1)
	v_fma_f64 v[3:4], v[135:136], v[145:146], v[3:4]
	scratch_load_b128 v[133:136], off, off offset:176
	s_waitcnt vmcnt(4)
	v_fma_f64 v[3:4], v[137:138], v[147:148], v[3:4]
	ds_load_2addr_b64 v[141:144], v124 offset0:75 offset1:76
	ds_load_2addr_b64 v[145:148], v124 offset0:77 offset1:78
	s_waitcnt lgkmcnt(1)
	v_fma_f64 v[3:4], v[139:140], v[141:142], v[3:4]
	scratch_load_b128 v[137:140], off, off offset:192
	s_waitcnt vmcnt(4)
	v_fma_f64 v[3:4], v[149:150], v[143:144], v[3:4]
	scratch_load_b128 v[141:144], off, off offset:208
	s_waitcnt lgkmcnt(0)
	v_fma_f64 v[3:4], v[151:152], v[145:146], v[3:4]
	s_waitcnt vmcnt(4)
	s_delay_alu instid0(VALU_DEP_1)
	v_fma_f64 v[3:4], v[125:126], v[147:148], v[3:4]
	ds_load_2addr_b64 v[145:148], v124 offset0:79 offset1:80
	ds_load_2addr_b64 v[149:152], v124 offset0:81 offset1:82
	s_waitcnt lgkmcnt(1)
	v_fma_f64 v[3:4], v[127:128], v[145:146], v[3:4]
	scratch_load_b128 v[125:128], off, off offset:224
	s_waitcnt vmcnt(4)
	v_fma_f64 v[3:4], v[129:130], v[147:148], v[3:4]
	s_waitcnt lgkmcnt(0)
	s_delay_alu instid0(VALU_DEP_1)
	v_fma_f64 v[3:4], v[131:132], v[149:150], v[3:4]
	scratch_load_b128 v[129:132], off, off offset:240
	s_waitcnt vmcnt(4)
	v_fma_f64 v[3:4], v[133:134], v[151:152], v[3:4]
	ds_load_2addr_b64 v[145:148], v124 offset0:83 offset1:84
	ds_load_2addr_b64 v[149:152], v124 offset0:85 offset1:86
	s_waitcnt lgkmcnt(1)
	v_fma_f64 v[3:4], v[135:136], v[145:146], v[3:4]
	scratch_load_b128 v[133:136], off, off offset:256
	s_waitcnt vmcnt(4)
	v_fma_f64 v[3:4], v[137:138], v[147:148], v[3:4]
	s_waitcnt lgkmcnt(0)
	s_delay_alu instid0(VALU_DEP_1)
	v_fma_f64 v[3:4], v[139:140], v[149:150], v[3:4]
	scratch_load_b128 v[137:140], off, off offset:272
	s_waitcnt vmcnt(4)
	;; [unrolled: 13-line block ×7, first 2 shown]
	v_fma_f64 v[3:4], v[141:142], v[151:152], v[3:4]
	ds_load_2addr_b64 v[145:148], v124 offset0:107 offset1:108
	ds_load_2addr_b64 v[149:152], v124 offset0:109 offset1:110
	s_waitcnt lgkmcnt(1)
	v_fma_f64 v[3:4], v[143:144], v[145:146], v[3:4]
	scratch_load_b128 v[141:144], off, off offset:448
	s_waitcnt vmcnt(4)
	v_fma_f64 v[3:4], v[125:126], v[147:148], v[3:4]
	s_waitcnt lgkmcnt(0)
	s_delay_alu instid0(VALU_DEP_1)
	v_fma_f64 v[3:4], v[127:128], v[149:150], v[3:4]
	scratch_load_b64 v[149:150], off, off offset:464
	ds_load_2addr_b64 v[125:128], v124 offset0:111 offset1:112
	ds_load_2addr_b64 v[145:148], v124 offset0:113 offset1:114
	s_waitcnt vmcnt(4)
	v_fma_f64 v[3:4], v[129:130], v[151:152], v[3:4]
	s_waitcnt lgkmcnt(1)
	s_delay_alu instid0(VALU_DEP_1) | instskip(SKIP_1) | instid1(VALU_DEP_1)
	v_fma_f64 v[3:4], v[131:132], v[125:126], v[3:4]
	s_waitcnt vmcnt(3)
	v_fma_f64 v[3:4], v[133:134], v[127:128], v[3:4]
	ds_load_2addr_b64 v[125:128], v124 offset0:115 offset1:116
	ds_load_2addr_b64 v[129:132], v124 offset0:117 offset1:118
	s_waitcnt lgkmcnt(2)
	v_fma_f64 v[3:4], v[135:136], v[145:146], v[3:4]
	s_waitcnt vmcnt(2)
	s_delay_alu instid0(VALU_DEP_1) | instskip(SKIP_1) | instid1(VALU_DEP_1)
	v_fma_f64 v[3:4], v[137:138], v[147:148], v[3:4]
	s_waitcnt lgkmcnt(1)
	v_fma_f64 v[3:4], v[139:140], v[125:126], v[3:4]
	s_waitcnt vmcnt(1)
	s_delay_alu instid0(VALU_DEP_1) | instskip(SKIP_1) | instid1(VALU_DEP_1)
	v_fma_f64 v[3:4], v[141:142], v[127:128], v[3:4]
	s_waitcnt lgkmcnt(0)
	v_fma_f64 v[3:4], v[143:144], v[129:130], v[3:4]
	s_waitcnt vmcnt(0)
	s_delay_alu instid0(VALU_DEP_1) | instskip(NEXT) | instid1(VALU_DEP_1)
	v_fma_f64 v[3:4], v[149:150], v[131:132], v[3:4]
	v_add_f64 v[1:2], v[1:2], -v[3:4]
	scratch_store_b64 off, v[1:2], off offset:48
	v_cmpx_lt_u32_e32 5, v0
	s_cbranch_execz .LBB122_353
; %bb.352:
	scratch_load_b64 v[1:2], off, off offset:40
	v_mov_b32_e32 v3, 0
	s_delay_alu instid0(VALU_DEP_1)
	v_mov_b32_e32 v4, v3
	scratch_store_b64 off, v[3:4], off offset:40
	s_waitcnt vmcnt(0)
	ds_store_b64 v5, v[1:2]
.LBB122_353:
	s_or_b32 exec_lo, exec_lo, s0
	s_waitcnt lgkmcnt(0)
	s_waitcnt_vscnt null, 0x0
	s_barrier
	buffer_gl0_inv
	s_clause 0x4
	scratch_load_b128 v[1:4], off, off offset:40
	scratch_load_b128 v[125:128], off, off offset:56
	;; [unrolled: 1-line block ×5, first 2 shown]
	v_mov_b32_e32 v124, 0
	ds_load_b128 v[141:144], v124 offset:528
	ds_load_b128 v[145:148], v124 offset:544
	scratch_load_b128 v[149:152], off, off offset:120
	s_mov_b32 s0, exec_lo
	s_waitcnt vmcnt(5) lgkmcnt(1)
	v_fma_f64 v[3:4], v[3:4], v[141:142], 0
	s_waitcnt vmcnt(4)
	s_delay_alu instid0(VALU_DEP_1) | instskip(SKIP_1) | instid1(VALU_DEP_1)
	v_fma_f64 v[3:4], v[125:126], v[143:144], v[3:4]
	s_waitcnt lgkmcnt(0)
	v_fma_f64 v[3:4], v[127:128], v[145:146], v[3:4]
	scratch_load_b128 v[125:128], off, off offset:136
	s_waitcnt vmcnt(4)
	v_fma_f64 v[3:4], v[129:130], v[147:148], v[3:4]
	ds_load_b128 v[141:144], v124 offset:560
	ds_load_b128 v[145:148], v124 offset:576
	s_waitcnt lgkmcnt(1)
	v_fma_f64 v[3:4], v[131:132], v[141:142], v[3:4]
	scratch_load_b128 v[129:132], off, off offset:152
	s_waitcnt vmcnt(4)
	v_fma_f64 v[3:4], v[133:134], v[143:144], v[3:4]
	s_waitcnt lgkmcnt(0)
	s_delay_alu instid0(VALU_DEP_1)
	v_fma_f64 v[3:4], v[135:136], v[145:146], v[3:4]
	scratch_load_b128 v[133:136], off, off offset:168
	s_waitcnt vmcnt(4)
	v_fma_f64 v[3:4], v[137:138], v[147:148], v[3:4]
	ds_load_b128 v[141:144], v124 offset:592
	ds_load_b128 v[145:148], v124 offset:608
	s_waitcnt lgkmcnt(1)
	v_fma_f64 v[3:4], v[139:140], v[141:142], v[3:4]
	scratch_load_b128 v[137:140], off, off offset:184
	s_waitcnt vmcnt(4)
	v_fma_f64 v[3:4], v[149:150], v[143:144], v[3:4]
	scratch_load_b128 v[141:144], off, off offset:200
	s_waitcnt lgkmcnt(0)
	v_fma_f64 v[3:4], v[151:152], v[145:146], v[3:4]
	s_waitcnt vmcnt(4)
	s_delay_alu instid0(VALU_DEP_1)
	v_fma_f64 v[3:4], v[125:126], v[147:148], v[3:4]
	ds_load_b128 v[145:148], v124 offset:624
	ds_load_b128 v[149:152], v124 offset:640
	s_waitcnt lgkmcnt(1)
	v_fma_f64 v[3:4], v[127:128], v[145:146], v[3:4]
	scratch_load_b128 v[125:128], off, off offset:216
	s_waitcnt vmcnt(4)
	v_fma_f64 v[3:4], v[129:130], v[147:148], v[3:4]
	s_waitcnt lgkmcnt(0)
	s_delay_alu instid0(VALU_DEP_1)
	v_fma_f64 v[3:4], v[131:132], v[149:150], v[3:4]
	scratch_load_b128 v[129:132], off, off offset:232
	s_waitcnt vmcnt(4)
	v_fma_f64 v[3:4], v[133:134], v[151:152], v[3:4]
	ds_load_b128 v[145:148], v124 offset:656
	ds_load_b128 v[149:152], v124 offset:672
	s_waitcnt lgkmcnt(1)
	v_fma_f64 v[3:4], v[135:136], v[145:146], v[3:4]
	scratch_load_b128 v[133:136], off, off offset:248
	s_waitcnt vmcnt(4)
	v_fma_f64 v[3:4], v[137:138], v[147:148], v[3:4]
	s_waitcnt lgkmcnt(0)
	s_delay_alu instid0(VALU_DEP_1)
	v_fma_f64 v[3:4], v[139:140], v[149:150], v[3:4]
	scratch_load_b128 v[137:140], off, off offset:264
	s_waitcnt vmcnt(4)
	;; [unrolled: 13-line block ×8, first 2 shown]
	v_fma_f64 v[3:4], v[129:130], v[151:152], v[3:4]
	ds_load_b128 v[145:148], v124 offset:880
	ds_load_b128 v[149:152], v124 offset:896
	s_waitcnt lgkmcnt(1)
	v_fma_f64 v[3:4], v[131:132], v[145:146], v[3:4]
	s_waitcnt vmcnt(3)
	s_delay_alu instid0(VALU_DEP_1) | instskip(SKIP_1) | instid1(VALU_DEP_1)
	v_fma_f64 v[3:4], v[133:134], v[147:148], v[3:4]
	s_waitcnt lgkmcnt(0)
	v_fma_f64 v[3:4], v[135:136], v[149:150], v[3:4]
	ds_load_b128 v[129:132], v124 offset:912
	ds_load_b128 v[133:136], v124 offset:928
	s_waitcnt vmcnt(2)
	v_fma_f64 v[3:4], v[137:138], v[151:152], v[3:4]
	s_waitcnt lgkmcnt(1)
	s_delay_alu instid0(VALU_DEP_1) | instskip(SKIP_1) | instid1(VALU_DEP_1)
	v_fma_f64 v[3:4], v[139:140], v[129:130], v[3:4]
	s_waitcnt vmcnt(1)
	v_fma_f64 v[3:4], v[141:142], v[131:132], v[3:4]
	s_waitcnt lgkmcnt(0)
	s_delay_alu instid0(VALU_DEP_1) | instskip(SKIP_1) | instid1(VALU_DEP_1)
	v_fma_f64 v[3:4], v[143:144], v[133:134], v[3:4]
	s_waitcnt vmcnt(0)
	v_fma_f64 v[3:4], v[125:126], v[135:136], v[3:4]
	ds_load_b64 v[125:126], v124 offset:944
	s_waitcnt lgkmcnt(0)
	v_fma_f64 v[3:4], v[127:128], v[125:126], v[3:4]
	s_delay_alu instid0(VALU_DEP_1)
	v_add_f64 v[1:2], v[1:2], -v[3:4]
	scratch_store_b64 off, v[1:2], off offset:40
	v_cmpx_lt_u32_e32 4, v0
	s_cbranch_execz .LBB122_355
; %bb.354:
	scratch_load_b64 v[1:2], off, off offset:32
	v_mov_b32_e32 v125, v124
	scratch_store_b64 off, v[124:125], off offset:32
	s_waitcnt vmcnt(0)
	ds_store_b64 v5, v[1:2]
.LBB122_355:
	s_or_b32 exec_lo, exec_lo, s0
	s_waitcnt lgkmcnt(0)
	s_waitcnt_vscnt null, 0x0
	s_barrier
	buffer_gl0_inv
	s_clause 0x4
	scratch_load_b128 v[1:4], off, off offset:32
	scratch_load_b128 v[125:128], off, off offset:48
	;; [unrolled: 1-line block ×5, first 2 shown]
	ds_load_2addr_b64 v[141:144], v124 offset0:65 offset1:66
	ds_load_2addr_b64 v[145:148], v124 offset0:67 offset1:68
	scratch_load_b128 v[149:152], off, off offset:112
	s_mov_b32 s0, exec_lo
	s_waitcnt vmcnt(5) lgkmcnt(1)
	v_fma_f64 v[3:4], v[3:4], v[141:142], 0
	s_waitcnt vmcnt(4)
	s_delay_alu instid0(VALU_DEP_1) | instskip(SKIP_1) | instid1(VALU_DEP_1)
	v_fma_f64 v[3:4], v[125:126], v[143:144], v[3:4]
	s_waitcnt lgkmcnt(0)
	v_fma_f64 v[3:4], v[127:128], v[145:146], v[3:4]
	scratch_load_b128 v[125:128], off, off offset:128
	s_waitcnt vmcnt(4)
	v_fma_f64 v[3:4], v[129:130], v[147:148], v[3:4]
	ds_load_2addr_b64 v[141:144], v124 offset0:69 offset1:70
	ds_load_2addr_b64 v[145:148], v124 offset0:71 offset1:72
	s_waitcnt lgkmcnt(1)
	v_fma_f64 v[3:4], v[131:132], v[141:142], v[3:4]
	scratch_load_b128 v[129:132], off, off offset:144
	s_waitcnt vmcnt(4)
	v_fma_f64 v[3:4], v[133:134], v[143:144], v[3:4]
	s_waitcnt lgkmcnt(0)
	s_delay_alu instid0(VALU_DEP_1)
	v_fma_f64 v[3:4], v[135:136], v[145:146], v[3:4]
	scratch_load_b128 v[133:136], off, off offset:160
	s_waitcnt vmcnt(4)
	v_fma_f64 v[3:4], v[137:138], v[147:148], v[3:4]
	ds_load_2addr_b64 v[141:144], v124 offset0:73 offset1:74
	ds_load_2addr_b64 v[145:148], v124 offset0:75 offset1:76
	s_waitcnt lgkmcnt(1)
	v_fma_f64 v[3:4], v[139:140], v[141:142], v[3:4]
	scratch_load_b128 v[137:140], off, off offset:176
	s_waitcnt vmcnt(4)
	v_fma_f64 v[3:4], v[149:150], v[143:144], v[3:4]
	scratch_load_b128 v[141:144], off, off offset:192
	s_waitcnt lgkmcnt(0)
	v_fma_f64 v[3:4], v[151:152], v[145:146], v[3:4]
	s_waitcnt vmcnt(4)
	s_delay_alu instid0(VALU_DEP_1)
	v_fma_f64 v[3:4], v[125:126], v[147:148], v[3:4]
	ds_load_2addr_b64 v[145:148], v124 offset0:77 offset1:78
	ds_load_2addr_b64 v[149:152], v124 offset0:79 offset1:80
	s_waitcnt lgkmcnt(1)
	v_fma_f64 v[3:4], v[127:128], v[145:146], v[3:4]
	scratch_load_b128 v[125:128], off, off offset:208
	s_waitcnt vmcnt(4)
	v_fma_f64 v[3:4], v[129:130], v[147:148], v[3:4]
	s_waitcnt lgkmcnt(0)
	s_delay_alu instid0(VALU_DEP_1)
	v_fma_f64 v[3:4], v[131:132], v[149:150], v[3:4]
	scratch_load_b128 v[129:132], off, off offset:224
	s_waitcnt vmcnt(4)
	v_fma_f64 v[3:4], v[133:134], v[151:152], v[3:4]
	ds_load_2addr_b64 v[145:148], v124 offset0:81 offset1:82
	ds_load_2addr_b64 v[149:152], v124 offset0:83 offset1:84
	s_waitcnt lgkmcnt(1)
	v_fma_f64 v[3:4], v[135:136], v[145:146], v[3:4]
	scratch_load_b128 v[133:136], off, off offset:240
	s_waitcnt vmcnt(4)
	v_fma_f64 v[3:4], v[137:138], v[147:148], v[3:4]
	s_waitcnt lgkmcnt(0)
	s_delay_alu instid0(VALU_DEP_1)
	v_fma_f64 v[3:4], v[139:140], v[149:150], v[3:4]
	scratch_load_b128 v[137:140], off, off offset:256
	s_waitcnt vmcnt(4)
	;; [unrolled: 13-line block ×8, first 2 shown]
	v_fma_f64 v[3:4], v[129:130], v[151:152], v[3:4]
	ds_load_2addr_b64 v[145:148], v124 offset0:109 offset1:110
	ds_load_2addr_b64 v[149:152], v124 offset0:111 offset1:112
	s_waitcnt lgkmcnt(1)
	v_fma_f64 v[3:4], v[131:132], v[145:146], v[3:4]
	scratch_load_b64 v[145:146], off, off offset:464
	s_waitcnt vmcnt(4)
	v_fma_f64 v[3:4], v[133:134], v[147:148], v[3:4]
	s_waitcnt lgkmcnt(0)
	s_delay_alu instid0(VALU_DEP_1)
	v_fma_f64 v[3:4], v[135:136], v[149:150], v[3:4]
	ds_load_2addr_b64 v[129:132], v124 offset0:113 offset1:114
	ds_load_2addr_b64 v[133:136], v124 offset0:115 offset1:116
	s_waitcnt vmcnt(3)
	v_fma_f64 v[3:4], v[137:138], v[151:152], v[3:4]
	s_waitcnt lgkmcnt(1)
	s_delay_alu instid0(VALU_DEP_1) | instskip(SKIP_1) | instid1(VALU_DEP_1)
	v_fma_f64 v[3:4], v[139:140], v[129:130], v[3:4]
	s_waitcnt vmcnt(2)
	v_fma_f64 v[3:4], v[141:142], v[131:132], v[3:4]
	ds_load_2addr_b64 v[129:132], v124 offset0:117 offset1:118
	s_waitcnt lgkmcnt(1)
	v_fma_f64 v[3:4], v[143:144], v[133:134], v[3:4]
	s_waitcnt vmcnt(1)
	s_delay_alu instid0(VALU_DEP_1) | instskip(SKIP_1) | instid1(VALU_DEP_1)
	v_fma_f64 v[3:4], v[125:126], v[135:136], v[3:4]
	s_waitcnt lgkmcnt(0)
	v_fma_f64 v[3:4], v[127:128], v[129:130], v[3:4]
	s_waitcnt vmcnt(0)
	s_delay_alu instid0(VALU_DEP_1) | instskip(NEXT) | instid1(VALU_DEP_1)
	v_fma_f64 v[3:4], v[145:146], v[131:132], v[3:4]
	v_add_f64 v[1:2], v[1:2], -v[3:4]
	scratch_store_b64 off, v[1:2], off offset:32
	v_cmpx_lt_u32_e32 3, v0
	s_cbranch_execz .LBB122_357
; %bb.356:
	scratch_load_b64 v[1:2], off, off offset:24
	v_mov_b32_e32 v3, 0
	s_delay_alu instid0(VALU_DEP_1)
	v_mov_b32_e32 v4, v3
	scratch_store_b64 off, v[3:4], off offset:24
	s_waitcnt vmcnt(0)
	ds_store_b64 v5, v[1:2]
.LBB122_357:
	s_or_b32 exec_lo, exec_lo, s0
	s_waitcnt lgkmcnt(0)
	s_waitcnt_vscnt null, 0x0
	s_barrier
	buffer_gl0_inv
	s_clause 0x4
	scratch_load_b128 v[1:4], off, off offset:24
	scratch_load_b128 v[125:128], off, off offset:40
	;; [unrolled: 1-line block ×5, first 2 shown]
	v_mov_b32_e32 v124, 0
	ds_load_b128 v[141:144], v124 offset:512
	ds_load_b128 v[145:148], v124 offset:528
	scratch_load_b128 v[149:152], off, off offset:104
	s_mov_b32 s0, exec_lo
	s_waitcnt vmcnt(5) lgkmcnt(1)
	v_fma_f64 v[3:4], v[3:4], v[141:142], 0
	s_waitcnt vmcnt(4)
	s_delay_alu instid0(VALU_DEP_1) | instskip(SKIP_1) | instid1(VALU_DEP_1)
	v_fma_f64 v[3:4], v[125:126], v[143:144], v[3:4]
	s_waitcnt lgkmcnt(0)
	v_fma_f64 v[3:4], v[127:128], v[145:146], v[3:4]
	scratch_load_b128 v[125:128], off, off offset:120
	s_waitcnt vmcnt(4)
	v_fma_f64 v[3:4], v[129:130], v[147:148], v[3:4]
	ds_load_b128 v[141:144], v124 offset:544
	ds_load_b128 v[145:148], v124 offset:560
	s_waitcnt lgkmcnt(1)
	v_fma_f64 v[3:4], v[131:132], v[141:142], v[3:4]
	scratch_load_b128 v[129:132], off, off offset:136
	s_waitcnt vmcnt(4)
	v_fma_f64 v[3:4], v[133:134], v[143:144], v[3:4]
	s_waitcnt lgkmcnt(0)
	s_delay_alu instid0(VALU_DEP_1)
	v_fma_f64 v[3:4], v[135:136], v[145:146], v[3:4]
	scratch_load_b128 v[133:136], off, off offset:152
	s_waitcnt vmcnt(4)
	v_fma_f64 v[3:4], v[137:138], v[147:148], v[3:4]
	ds_load_b128 v[141:144], v124 offset:576
	ds_load_b128 v[145:148], v124 offset:592
	s_waitcnt lgkmcnt(1)
	v_fma_f64 v[3:4], v[139:140], v[141:142], v[3:4]
	scratch_load_b128 v[137:140], off, off offset:168
	s_waitcnt vmcnt(4)
	v_fma_f64 v[3:4], v[149:150], v[143:144], v[3:4]
	scratch_load_b128 v[141:144], off, off offset:184
	s_waitcnt lgkmcnt(0)
	v_fma_f64 v[3:4], v[151:152], v[145:146], v[3:4]
	s_waitcnt vmcnt(4)
	s_delay_alu instid0(VALU_DEP_1)
	v_fma_f64 v[3:4], v[125:126], v[147:148], v[3:4]
	ds_load_b128 v[145:148], v124 offset:608
	ds_load_b128 v[149:152], v124 offset:624
	s_waitcnt lgkmcnt(1)
	v_fma_f64 v[3:4], v[127:128], v[145:146], v[3:4]
	scratch_load_b128 v[125:128], off, off offset:200
	s_waitcnt vmcnt(4)
	v_fma_f64 v[3:4], v[129:130], v[147:148], v[3:4]
	s_waitcnt lgkmcnt(0)
	s_delay_alu instid0(VALU_DEP_1)
	v_fma_f64 v[3:4], v[131:132], v[149:150], v[3:4]
	scratch_load_b128 v[129:132], off, off offset:216
	s_waitcnt vmcnt(4)
	v_fma_f64 v[3:4], v[133:134], v[151:152], v[3:4]
	ds_load_b128 v[145:148], v124 offset:640
	ds_load_b128 v[149:152], v124 offset:656
	s_waitcnt lgkmcnt(1)
	v_fma_f64 v[3:4], v[135:136], v[145:146], v[3:4]
	scratch_load_b128 v[133:136], off, off offset:232
	s_waitcnt vmcnt(4)
	v_fma_f64 v[3:4], v[137:138], v[147:148], v[3:4]
	s_waitcnt lgkmcnt(0)
	s_delay_alu instid0(VALU_DEP_1)
	v_fma_f64 v[3:4], v[139:140], v[149:150], v[3:4]
	scratch_load_b128 v[137:140], off, off offset:248
	s_waitcnt vmcnt(4)
	;; [unrolled: 13-line block ×8, first 2 shown]
	v_fma_f64 v[3:4], v[129:130], v[151:152], v[3:4]
	ds_load_b128 v[145:148], v124 offset:864
	ds_load_b128 v[149:152], v124 offset:880
	s_waitcnt lgkmcnt(1)
	v_fma_f64 v[3:4], v[131:132], v[145:146], v[3:4]
	scratch_load_b128 v[129:132], off, off offset:456
	s_waitcnt vmcnt(4)
	v_fma_f64 v[3:4], v[133:134], v[147:148], v[3:4]
	s_waitcnt lgkmcnt(0)
	s_delay_alu instid0(VALU_DEP_1)
	v_fma_f64 v[3:4], v[135:136], v[149:150], v[3:4]
	ds_load_b128 v[133:136], v124 offset:896
	ds_load_b128 v[145:148], v124 offset:912
	s_waitcnt vmcnt(3)
	v_fma_f64 v[3:4], v[137:138], v[151:152], v[3:4]
	s_waitcnt lgkmcnt(1)
	s_delay_alu instid0(VALU_DEP_1) | instskip(SKIP_1) | instid1(VALU_DEP_1)
	v_fma_f64 v[3:4], v[139:140], v[133:134], v[3:4]
	s_waitcnt vmcnt(2)
	v_fma_f64 v[3:4], v[141:142], v[135:136], v[3:4]
	s_waitcnt lgkmcnt(0)
	s_delay_alu instid0(VALU_DEP_1) | instskip(SKIP_1) | instid1(VALU_DEP_1)
	v_fma_f64 v[3:4], v[143:144], v[145:146], v[3:4]
	s_waitcnt vmcnt(1)
	v_fma_f64 v[3:4], v[125:126], v[147:148], v[3:4]
	ds_load_b128 v[133:136], v124 offset:928
	ds_load_b64 v[125:126], v124 offset:944
	s_waitcnt lgkmcnt(1)
	v_fma_f64 v[3:4], v[127:128], v[133:134], v[3:4]
	s_waitcnt vmcnt(0)
	s_delay_alu instid0(VALU_DEP_1) | instskip(SKIP_1) | instid1(VALU_DEP_1)
	v_fma_f64 v[3:4], v[129:130], v[135:136], v[3:4]
	s_waitcnt lgkmcnt(0)
	v_fma_f64 v[3:4], v[131:132], v[125:126], v[3:4]
	s_delay_alu instid0(VALU_DEP_1)
	v_add_f64 v[1:2], v[1:2], -v[3:4]
	scratch_store_b64 off, v[1:2], off offset:24
	v_cmpx_lt_u32_e32 2, v0
	s_cbranch_execz .LBB122_359
; %bb.358:
	scratch_load_b64 v[1:2], off, off offset:16
	v_mov_b32_e32 v125, v124
	scratch_store_b64 off, v[124:125], off offset:16
	s_waitcnt vmcnt(0)
	ds_store_b64 v5, v[1:2]
.LBB122_359:
	s_or_b32 exec_lo, exec_lo, s0
	s_waitcnt lgkmcnt(0)
	s_waitcnt_vscnt null, 0x0
	s_barrier
	buffer_gl0_inv
	s_clause 0x4
	scratch_load_b128 v[1:4], off, off offset:16
	scratch_load_b128 v[125:128], off, off offset:32
	;; [unrolled: 1-line block ×5, first 2 shown]
	ds_load_2addr_b64 v[141:144], v124 offset0:63 offset1:64
	ds_load_2addr_b64 v[145:148], v124 offset0:65 offset1:66
	scratch_load_b128 v[149:152], off, off offset:96
	s_mov_b32 s0, exec_lo
	s_waitcnt vmcnt(5) lgkmcnt(1)
	v_fma_f64 v[3:4], v[3:4], v[141:142], 0
	s_waitcnt vmcnt(4)
	s_delay_alu instid0(VALU_DEP_1) | instskip(SKIP_1) | instid1(VALU_DEP_1)
	v_fma_f64 v[3:4], v[125:126], v[143:144], v[3:4]
	s_waitcnt lgkmcnt(0)
	v_fma_f64 v[3:4], v[127:128], v[145:146], v[3:4]
	scratch_load_b128 v[125:128], off, off offset:112
	s_waitcnt vmcnt(4)
	v_fma_f64 v[3:4], v[129:130], v[147:148], v[3:4]
	ds_load_2addr_b64 v[141:144], v124 offset0:67 offset1:68
	ds_load_2addr_b64 v[145:148], v124 offset0:69 offset1:70
	s_waitcnt lgkmcnt(1)
	v_fma_f64 v[3:4], v[131:132], v[141:142], v[3:4]
	scratch_load_b128 v[129:132], off, off offset:128
	s_waitcnt vmcnt(4)
	v_fma_f64 v[3:4], v[133:134], v[143:144], v[3:4]
	s_waitcnt lgkmcnt(0)
	s_delay_alu instid0(VALU_DEP_1)
	v_fma_f64 v[3:4], v[135:136], v[145:146], v[3:4]
	scratch_load_b128 v[133:136], off, off offset:144
	s_waitcnt vmcnt(4)
	v_fma_f64 v[3:4], v[137:138], v[147:148], v[3:4]
	ds_load_2addr_b64 v[141:144], v124 offset0:71 offset1:72
	ds_load_2addr_b64 v[145:148], v124 offset0:73 offset1:74
	s_waitcnt lgkmcnt(1)
	v_fma_f64 v[3:4], v[139:140], v[141:142], v[3:4]
	scratch_load_b128 v[137:140], off, off offset:160
	s_waitcnt vmcnt(4)
	v_fma_f64 v[3:4], v[149:150], v[143:144], v[3:4]
	scratch_load_b128 v[141:144], off, off offset:176
	s_waitcnt lgkmcnt(0)
	v_fma_f64 v[3:4], v[151:152], v[145:146], v[3:4]
	s_waitcnt vmcnt(4)
	s_delay_alu instid0(VALU_DEP_1)
	v_fma_f64 v[3:4], v[125:126], v[147:148], v[3:4]
	ds_load_2addr_b64 v[145:148], v124 offset0:75 offset1:76
	ds_load_2addr_b64 v[149:152], v124 offset0:77 offset1:78
	s_waitcnt lgkmcnt(1)
	v_fma_f64 v[3:4], v[127:128], v[145:146], v[3:4]
	scratch_load_b128 v[125:128], off, off offset:192
	s_waitcnt vmcnt(4)
	v_fma_f64 v[3:4], v[129:130], v[147:148], v[3:4]
	s_waitcnt lgkmcnt(0)
	s_delay_alu instid0(VALU_DEP_1)
	v_fma_f64 v[3:4], v[131:132], v[149:150], v[3:4]
	scratch_load_b128 v[129:132], off, off offset:208
	s_waitcnt vmcnt(4)
	v_fma_f64 v[3:4], v[133:134], v[151:152], v[3:4]
	ds_load_2addr_b64 v[145:148], v124 offset0:79 offset1:80
	ds_load_2addr_b64 v[149:152], v124 offset0:81 offset1:82
	s_waitcnt lgkmcnt(1)
	v_fma_f64 v[3:4], v[135:136], v[145:146], v[3:4]
	scratch_load_b128 v[133:136], off, off offset:224
	s_waitcnt vmcnt(4)
	v_fma_f64 v[3:4], v[137:138], v[147:148], v[3:4]
	s_waitcnt lgkmcnt(0)
	s_delay_alu instid0(VALU_DEP_1)
	v_fma_f64 v[3:4], v[139:140], v[149:150], v[3:4]
	scratch_load_b128 v[137:140], off, off offset:240
	s_waitcnt vmcnt(4)
	;; [unrolled: 13-line block ×8, first 2 shown]
	v_fma_f64 v[3:4], v[129:130], v[151:152], v[3:4]
	ds_load_2addr_b64 v[145:148], v124 offset0:107 offset1:108
	ds_load_2addr_b64 v[149:152], v124 offset0:109 offset1:110
	s_waitcnt lgkmcnt(1)
	v_fma_f64 v[3:4], v[131:132], v[145:146], v[3:4]
	scratch_load_b128 v[129:132], off, off offset:448
	s_waitcnt vmcnt(4)
	v_fma_f64 v[3:4], v[133:134], v[147:148], v[3:4]
	s_waitcnt lgkmcnt(0)
	s_delay_alu instid0(VALU_DEP_1)
	v_fma_f64 v[3:4], v[135:136], v[149:150], v[3:4]
	scratch_load_b64 v[149:150], off, off offset:464
	ds_load_2addr_b64 v[133:136], v124 offset0:111 offset1:112
	ds_load_2addr_b64 v[145:148], v124 offset0:113 offset1:114
	s_waitcnt vmcnt(4)
	v_fma_f64 v[3:4], v[137:138], v[151:152], v[3:4]
	s_waitcnt lgkmcnt(1)
	s_delay_alu instid0(VALU_DEP_1) | instskip(SKIP_1) | instid1(VALU_DEP_1)
	v_fma_f64 v[3:4], v[139:140], v[133:134], v[3:4]
	s_waitcnt vmcnt(3)
	v_fma_f64 v[3:4], v[141:142], v[135:136], v[3:4]
	ds_load_2addr_b64 v[133:136], v124 offset0:115 offset1:116
	ds_load_2addr_b64 v[137:140], v124 offset0:117 offset1:118
	s_waitcnt lgkmcnt(2)
	v_fma_f64 v[3:4], v[143:144], v[145:146], v[3:4]
	s_waitcnt vmcnt(2)
	s_delay_alu instid0(VALU_DEP_1) | instskip(SKIP_1) | instid1(VALU_DEP_1)
	v_fma_f64 v[3:4], v[125:126], v[147:148], v[3:4]
	s_waitcnt lgkmcnt(1)
	v_fma_f64 v[3:4], v[127:128], v[133:134], v[3:4]
	s_waitcnt vmcnt(1)
	s_delay_alu instid0(VALU_DEP_1) | instskip(SKIP_1) | instid1(VALU_DEP_1)
	v_fma_f64 v[3:4], v[129:130], v[135:136], v[3:4]
	s_waitcnt lgkmcnt(0)
	v_fma_f64 v[3:4], v[131:132], v[137:138], v[3:4]
	s_waitcnt vmcnt(0)
	s_delay_alu instid0(VALU_DEP_1) | instskip(NEXT) | instid1(VALU_DEP_1)
	v_fma_f64 v[3:4], v[149:150], v[139:140], v[3:4]
	v_add_f64 v[1:2], v[1:2], -v[3:4]
	scratch_store_b64 off, v[1:2], off offset:16
	v_cmpx_lt_u32_e32 1, v0
	s_cbranch_execz .LBB122_361
; %bb.360:
	scratch_load_b64 v[1:2], off, off offset:8
	v_mov_b32_e32 v3, 0
	s_delay_alu instid0(VALU_DEP_1)
	v_mov_b32_e32 v4, v3
	scratch_store_b64 off, v[3:4], off offset:8
	s_waitcnt vmcnt(0)
	ds_store_b64 v5, v[1:2]
.LBB122_361:
	s_or_b32 exec_lo, exec_lo, s0
	s_waitcnt lgkmcnt(0)
	s_waitcnt_vscnt null, 0x0
	s_barrier
	buffer_gl0_inv
	s_clause 0x4
	scratch_load_b128 v[1:4], off, off offset:8
	scratch_load_b128 v[125:128], off, off offset:24
	;; [unrolled: 1-line block ×5, first 2 shown]
	v_mov_b32_e32 v124, 0
	ds_load_b128 v[141:144], v124 offset:496
	ds_load_b128 v[145:148], v124 offset:512
	scratch_load_b128 v[149:152], off, off offset:88
	s_mov_b32 s0, exec_lo
	s_waitcnt vmcnt(5) lgkmcnt(1)
	v_fma_f64 v[3:4], v[3:4], v[141:142], 0
	s_waitcnt vmcnt(4)
	s_delay_alu instid0(VALU_DEP_1) | instskip(SKIP_1) | instid1(VALU_DEP_1)
	v_fma_f64 v[3:4], v[125:126], v[143:144], v[3:4]
	s_waitcnt lgkmcnt(0)
	v_fma_f64 v[3:4], v[127:128], v[145:146], v[3:4]
	scratch_load_b128 v[125:128], off, off offset:104
	s_waitcnt vmcnt(4)
	v_fma_f64 v[3:4], v[129:130], v[147:148], v[3:4]
	ds_load_b128 v[141:144], v124 offset:528
	ds_load_b128 v[145:148], v124 offset:544
	s_waitcnt lgkmcnt(1)
	v_fma_f64 v[3:4], v[131:132], v[141:142], v[3:4]
	scratch_load_b128 v[129:132], off, off offset:120
	s_waitcnt vmcnt(4)
	v_fma_f64 v[3:4], v[133:134], v[143:144], v[3:4]
	s_waitcnt lgkmcnt(0)
	s_delay_alu instid0(VALU_DEP_1)
	v_fma_f64 v[3:4], v[135:136], v[145:146], v[3:4]
	scratch_load_b128 v[133:136], off, off offset:136
	s_waitcnt vmcnt(4)
	v_fma_f64 v[3:4], v[137:138], v[147:148], v[3:4]
	ds_load_b128 v[141:144], v124 offset:560
	ds_load_b128 v[145:148], v124 offset:576
	s_waitcnt lgkmcnt(1)
	v_fma_f64 v[3:4], v[139:140], v[141:142], v[3:4]
	scratch_load_b128 v[137:140], off, off offset:152
	s_waitcnt vmcnt(4)
	v_fma_f64 v[3:4], v[149:150], v[143:144], v[3:4]
	scratch_load_b128 v[141:144], off, off offset:168
	s_waitcnt lgkmcnt(0)
	v_fma_f64 v[3:4], v[151:152], v[145:146], v[3:4]
	s_waitcnt vmcnt(4)
	s_delay_alu instid0(VALU_DEP_1)
	v_fma_f64 v[3:4], v[125:126], v[147:148], v[3:4]
	ds_load_b128 v[145:148], v124 offset:592
	ds_load_b128 v[149:152], v124 offset:608
	s_waitcnt lgkmcnt(1)
	v_fma_f64 v[3:4], v[127:128], v[145:146], v[3:4]
	scratch_load_b128 v[125:128], off, off offset:184
	s_waitcnt vmcnt(4)
	v_fma_f64 v[3:4], v[129:130], v[147:148], v[3:4]
	s_waitcnt lgkmcnt(0)
	s_delay_alu instid0(VALU_DEP_1)
	v_fma_f64 v[3:4], v[131:132], v[149:150], v[3:4]
	scratch_load_b128 v[129:132], off, off offset:200
	s_waitcnt vmcnt(4)
	v_fma_f64 v[3:4], v[133:134], v[151:152], v[3:4]
	ds_load_b128 v[145:148], v124 offset:624
	ds_load_b128 v[149:152], v124 offset:640
	s_waitcnt lgkmcnt(1)
	v_fma_f64 v[3:4], v[135:136], v[145:146], v[3:4]
	scratch_load_b128 v[133:136], off, off offset:216
	s_waitcnt vmcnt(4)
	v_fma_f64 v[3:4], v[137:138], v[147:148], v[3:4]
	s_waitcnt lgkmcnt(0)
	s_delay_alu instid0(VALU_DEP_1)
	v_fma_f64 v[3:4], v[139:140], v[149:150], v[3:4]
	scratch_load_b128 v[137:140], off, off offset:232
	s_waitcnt vmcnt(4)
	;; [unrolled: 13-line block ×9, first 2 shown]
	v_fma_f64 v[3:4], v[137:138], v[151:152], v[3:4]
	ds_load_b128 v[145:148], v124 offset:880
	ds_load_b128 v[149:152], v124 offset:896
	s_waitcnt lgkmcnt(1)
	v_fma_f64 v[3:4], v[139:140], v[145:146], v[3:4]
	s_waitcnt vmcnt(3)
	s_delay_alu instid0(VALU_DEP_1) | instskip(SKIP_1) | instid1(VALU_DEP_1)
	v_fma_f64 v[3:4], v[141:142], v[147:148], v[3:4]
	s_waitcnt lgkmcnt(0)
	v_fma_f64 v[3:4], v[143:144], v[149:150], v[3:4]
	ds_load_b128 v[137:140], v124 offset:912
	ds_load_b128 v[141:144], v124 offset:928
	s_waitcnt vmcnt(2)
	v_fma_f64 v[3:4], v[125:126], v[151:152], v[3:4]
	ds_load_b64 v[125:126], v124 offset:944
	s_waitcnt lgkmcnt(2)
	v_fma_f64 v[3:4], v[127:128], v[137:138], v[3:4]
	s_waitcnt vmcnt(1)
	s_delay_alu instid0(VALU_DEP_1) | instskip(SKIP_1) | instid1(VALU_DEP_1)
	v_fma_f64 v[3:4], v[129:130], v[139:140], v[3:4]
	s_waitcnt lgkmcnt(1)
	v_fma_f64 v[3:4], v[131:132], v[141:142], v[3:4]
	s_waitcnt vmcnt(0)
	s_delay_alu instid0(VALU_DEP_1) | instskip(SKIP_1) | instid1(VALU_DEP_1)
	v_fma_f64 v[3:4], v[133:134], v[143:144], v[3:4]
	s_waitcnt lgkmcnt(0)
	v_fma_f64 v[3:4], v[135:136], v[125:126], v[3:4]
	s_delay_alu instid0(VALU_DEP_1)
	v_add_f64 v[1:2], v[1:2], -v[3:4]
	scratch_store_b64 off, v[1:2], off offset:8
	v_cmpx_ne_u32_e32 0, v0
	s_cbranch_execz .LBB122_363
; %bb.362:
	scratch_load_b64 v[0:1], off, off
	v_mov_b32_e32 v125, v124
	scratch_store_b64 off, v[124:125], off
	s_waitcnt vmcnt(0)
	ds_store_b64 v5, v[0:1]
.LBB122_363:
	s_or_b32 exec_lo, exec_lo, s0
	s_waitcnt lgkmcnt(0)
	s_waitcnt_vscnt null, 0x0
	s_barrier
	buffer_gl0_inv
	s_clause 0x4
	scratch_load_b128 v[0:3], off, off
	scratch_load_b128 v[125:128], off, off offset:16
	scratch_load_b128 v[129:132], off, off offset:32
	;; [unrolled: 1-line block ×4, first 2 shown]
	ds_load_2addr_b64 v[141:144], v124 offset0:61 offset1:62
	ds_load_2addr_b64 v[145:148], v124 offset0:63 offset1:64
	s_and_b32 vcc_lo, exec_lo, s12
	s_waitcnt vmcnt(4) lgkmcnt(1)
	v_fma_f64 v[141:142], v[2:3], v[141:142], 0
	scratch_load_b128 v[2:5], off, off offset:80
	s_waitcnt vmcnt(4)
	v_fma_f64 v[125:126], v[125:126], v[143:144], v[141:142]
	s_waitcnt lgkmcnt(0)
	s_delay_alu instid0(VALU_DEP_1)
	v_fma_f64 v[141:142], v[127:128], v[145:146], v[125:126]
	scratch_load_b128 v[125:128], off, off offset:96
	s_waitcnt vmcnt(4)
	v_fma_f64 v[129:130], v[129:130], v[147:148], v[141:142]
	ds_load_2addr_b64 v[141:144], v124 offset0:65 offset1:66
	ds_load_2addr_b64 v[145:148], v124 offset0:67 offset1:68
	s_waitcnt lgkmcnt(1)
	v_fma_f64 v[141:142], v[131:132], v[141:142], v[129:130]
	scratch_load_b128 v[129:132], off, off offset:112
	s_waitcnt vmcnt(4)
	v_fma_f64 v[133:134], v[133:134], v[143:144], v[141:142]
	s_waitcnt lgkmcnt(0)
	s_delay_alu instid0(VALU_DEP_1)
	v_fma_f64 v[141:142], v[135:136], v[145:146], v[133:134]
	scratch_load_b128 v[133:136], off, off offset:128
	s_waitcnt vmcnt(4)
	v_fma_f64 v[137:138], v[137:138], v[147:148], v[141:142]
	ds_load_2addr_b64 v[141:144], v124 offset0:69 offset1:70
	ds_load_2addr_b64 v[145:148], v124 offset0:71 offset1:72
	s_waitcnt lgkmcnt(1)
	v_fma_f64 v[141:142], v[139:140], v[141:142], v[137:138]
	scratch_load_b128 v[137:140], off, off offset:144
	s_waitcnt vmcnt(4)
	v_fma_f64 v[2:3], v[2:3], v[143:144], v[141:142]
	s_waitcnt lgkmcnt(0)
	s_delay_alu instid0(VALU_DEP_1)
	v_fma_f64 v[141:142], v[4:5], v[145:146], v[2:3]
	scratch_load_b128 v[2:5], off, off offset:160
	s_waitcnt vmcnt(4)
	v_fma_f64 v[125:126], v[125:126], v[147:148], v[141:142]
	ds_load_2addr_b64 v[141:144], v124 offset0:73 offset1:74
	ds_load_2addr_b64 v[145:148], v124 offset0:75 offset1:76
	s_waitcnt lgkmcnt(1)
	v_fma_f64 v[141:142], v[127:128], v[141:142], v[125:126]
	scratch_load_b128 v[125:128], off, off offset:176
	s_waitcnt vmcnt(4)
	v_fma_f64 v[129:130], v[129:130], v[143:144], v[141:142]
	s_waitcnt lgkmcnt(0)
	s_delay_alu instid0(VALU_DEP_1)
	v_fma_f64 v[141:142], v[131:132], v[145:146], v[129:130]
	scratch_load_b128 v[129:132], off, off offset:192
	s_waitcnt vmcnt(4)
	v_fma_f64 v[133:134], v[133:134], v[147:148], v[141:142]
	ds_load_2addr_b64 v[141:144], v124 offset0:77 offset1:78
	ds_load_2addr_b64 v[145:148], v124 offset0:79 offset1:80
	s_waitcnt lgkmcnt(1)
	v_fma_f64 v[141:142], v[135:136], v[141:142], v[133:134]
	scratch_load_b128 v[133:136], off, off offset:208
	s_waitcnt vmcnt(4)
	v_fma_f64 v[137:138], v[137:138], v[143:144], v[141:142]
	s_waitcnt lgkmcnt(0)
	s_delay_alu instid0(VALU_DEP_1)
	v_fma_f64 v[141:142], v[139:140], v[145:146], v[137:138]
	scratch_load_b128 v[137:140], off, off offset:224
	s_waitcnt vmcnt(4)
	v_fma_f64 v[2:3], v[2:3], v[147:148], v[141:142]
	ds_load_2addr_b64 v[141:144], v124 offset0:81 offset1:82
	ds_load_2addr_b64 v[145:148], v124 offset0:83 offset1:84
	s_waitcnt lgkmcnt(1)
	v_fma_f64 v[141:142], v[4:5], v[141:142], v[2:3]
	scratch_load_b128 v[2:5], off, off offset:240
	s_waitcnt vmcnt(4)
	v_fma_f64 v[125:126], v[125:126], v[143:144], v[141:142]
	s_waitcnt lgkmcnt(0)
	s_delay_alu instid0(VALU_DEP_1)
	v_fma_f64 v[141:142], v[127:128], v[145:146], v[125:126]
	scratch_load_b128 v[125:128], off, off offset:256
	s_waitcnt vmcnt(4)
	v_fma_f64 v[129:130], v[129:130], v[147:148], v[141:142]
	ds_load_2addr_b64 v[141:144], v124 offset0:85 offset1:86
	ds_load_2addr_b64 v[145:148], v124 offset0:87 offset1:88
	s_waitcnt lgkmcnt(1)
	v_fma_f64 v[141:142], v[131:132], v[141:142], v[129:130]
	scratch_load_b128 v[129:132], off, off offset:272
	s_waitcnt vmcnt(4)
	v_fma_f64 v[133:134], v[133:134], v[143:144], v[141:142]
	s_waitcnt lgkmcnt(0)
	s_delay_alu instid0(VALU_DEP_1)
	v_fma_f64 v[141:142], v[135:136], v[145:146], v[133:134]
	scratch_load_b128 v[133:136], off, off offset:288
	s_waitcnt vmcnt(4)
	v_fma_f64 v[137:138], v[137:138], v[147:148], v[141:142]
	ds_load_2addr_b64 v[141:144], v124 offset0:89 offset1:90
	ds_load_2addr_b64 v[145:148], v124 offset0:91 offset1:92
	s_waitcnt lgkmcnt(1)
	v_fma_f64 v[141:142], v[139:140], v[141:142], v[137:138]
	scratch_load_b128 v[137:140], off, off offset:304
	s_waitcnt vmcnt(4)
	v_fma_f64 v[2:3], v[2:3], v[143:144], v[141:142]
	s_waitcnt lgkmcnt(0)
	s_delay_alu instid0(VALU_DEP_1)
	v_fma_f64 v[141:142], v[4:5], v[145:146], v[2:3]
	scratch_load_b128 v[2:5], off, off offset:320
	s_waitcnt vmcnt(4)
	v_fma_f64 v[125:126], v[125:126], v[147:148], v[141:142]
	ds_load_2addr_b64 v[141:144], v124 offset0:93 offset1:94
	ds_load_2addr_b64 v[145:148], v124 offset0:95 offset1:96
	s_waitcnt lgkmcnt(1)
	v_fma_f64 v[141:142], v[127:128], v[141:142], v[125:126]
	scratch_load_b128 v[125:128], off, off offset:336
	s_waitcnt vmcnt(4)
	v_fma_f64 v[129:130], v[129:130], v[143:144], v[141:142]
	s_waitcnt lgkmcnt(0)
	s_delay_alu instid0(VALU_DEP_1)
	v_fma_f64 v[141:142], v[131:132], v[145:146], v[129:130]
	scratch_load_b128 v[129:132], off, off offset:352
	s_waitcnt vmcnt(4)
	v_fma_f64 v[133:134], v[133:134], v[147:148], v[141:142]
	ds_load_2addr_b64 v[141:144], v124 offset0:97 offset1:98
	ds_load_2addr_b64 v[145:148], v124 offset0:99 offset1:100
	s_waitcnt lgkmcnt(1)
	v_fma_f64 v[141:142], v[135:136], v[141:142], v[133:134]
	scratch_load_b128 v[133:136], off, off offset:368
	s_waitcnt vmcnt(4)
	v_fma_f64 v[137:138], v[137:138], v[143:144], v[141:142]
	s_waitcnt lgkmcnt(0)
	s_delay_alu instid0(VALU_DEP_1)
	v_fma_f64 v[141:142], v[139:140], v[145:146], v[137:138]
	scratch_load_b128 v[137:140], off, off offset:384
	s_waitcnt vmcnt(4)
	v_fma_f64 v[2:3], v[2:3], v[147:148], v[141:142]
	ds_load_2addr_b64 v[141:144], v124 offset0:101 offset1:102
	ds_load_2addr_b64 v[145:148], v124 offset0:103 offset1:104
	scratch_load_b128 v[149:152], off, off offset:400
	s_waitcnt lgkmcnt(1)
	v_fma_f64 v[2:3], v[4:5], v[141:142], v[2:3]
	s_waitcnt vmcnt(4)
	s_delay_alu instid0(VALU_DEP_1) | instskip(SKIP_1) | instid1(VALU_DEP_1)
	v_fma_f64 v[2:3], v[125:126], v[143:144], v[2:3]
	s_waitcnt lgkmcnt(0)
	v_fma_f64 v[2:3], v[127:128], v[145:146], v[2:3]
	scratch_load_b128 v[125:128], off, off offset:416
	s_waitcnt vmcnt(4)
	v_fma_f64 v[129:130], v[129:130], v[147:148], v[2:3]
	ds_load_2addr_b64 v[2:5], v124 offset0:105 offset1:106
	ds_load_2addr_b64 v[141:144], v124 offset0:107 offset1:108
	s_waitcnt lgkmcnt(1)
	v_fma_f64 v[2:3], v[131:132], v[2:3], v[129:130]
	scratch_load_b128 v[129:132], off, off offset:432
	s_waitcnt vmcnt(4)
	v_fma_f64 v[2:3], v[133:134], v[4:5], v[2:3]
	s_waitcnt lgkmcnt(0)
	s_delay_alu instid0(VALU_DEP_1)
	v_fma_f64 v[133:134], v[135:136], v[141:142], v[2:3]
	scratch_load_b128 v[2:5], off, off offset:448
	s_waitcnt vmcnt(4)
	v_fma_f64 v[137:138], v[137:138], v[143:144], v[133:134]
	ds_load_2addr_b64 v[133:136], v124 offset0:109 offset1:110
	ds_load_2addr_b64 v[141:144], v124 offset0:111 offset1:112
	scratch_load_b64 v[145:146], off, off offset:464
	s_waitcnt lgkmcnt(1)
	v_fma_f64 v[133:134], v[139:140], v[133:134], v[137:138]
	s_waitcnt vmcnt(4)
	s_delay_alu instid0(VALU_DEP_1) | instskip(SKIP_1) | instid1(VALU_DEP_1)
	v_fma_f64 v[133:134], v[149:150], v[135:136], v[133:134]
	s_waitcnt lgkmcnt(0)
	v_fma_f64 v[133:134], v[151:152], v[141:142], v[133:134]
	s_waitcnt vmcnt(3)
	s_delay_alu instid0(VALU_DEP_1)
	v_fma_f64 v[125:126], v[125:126], v[143:144], v[133:134]
	ds_load_2addr_b64 v[133:136], v124 offset0:113 offset1:114
	ds_load_2addr_b64 v[137:140], v124 offset0:115 offset1:116
	s_waitcnt lgkmcnt(1)
	v_fma_f64 v[125:126], v[127:128], v[133:134], v[125:126]
	s_waitcnt vmcnt(2)
	s_delay_alu instid0(VALU_DEP_1) | instskip(SKIP_1) | instid1(VALU_DEP_1)
	v_fma_f64 v[125:126], v[129:130], v[135:136], v[125:126]
	s_waitcnt lgkmcnt(0)
	v_fma_f64 v[125:126], v[131:132], v[137:138], v[125:126]
	s_waitcnt vmcnt(1)
	s_delay_alu instid0(VALU_DEP_1) | instskip(SKIP_4) | instid1(VALU_DEP_1)
	v_fma_f64 v[2:3], v[2:3], v[139:140], v[125:126]
	ds_load_2addr_b64 v[124:127], v124 offset0:117 offset1:118
	s_waitcnt lgkmcnt(0)
	v_fma_f64 v[2:3], v[4:5], v[124:125], v[2:3]
	s_waitcnt vmcnt(0)
	v_fma_f64 v[2:3], v[145:146], v[126:127], v[2:3]
	s_delay_alu instid0(VALU_DEP_1)
	v_add_f64 v[0:1], v[0:1], -v[2:3]
	scratch_store_b64 off, v[0:1], off
	s_cbranch_vccz .LBB122_481
; %bb.364:
	v_dual_mov_b32 v0, s2 :: v_dual_mov_b32 v1, s3
	s_mov_b32 s0, exec_lo
	flat_load_b32 v0, v[0:1] offset:228
	s_waitcnt vmcnt(0) lgkmcnt(0)
	v_cmpx_ne_u32_e32 58, v0
	s_cbranch_execz .LBB122_366
; %bb.365:
	v_lshl_add_u32 v2, v0, 3, 0
	scratch_load_b64 v[0:1], v2, off offset:-8
	s_waitcnt vmcnt(0)
	scratch_store_b64 off, v[0:1], off offset:456
	scratch_store_b64 v2, v[4:5], off offset:-8
.LBB122_366:
	s_or_b32 exec_lo, exec_lo, s0
	v_dual_mov_b32 v0, s2 :: v_dual_mov_b32 v1, s3
	s_mov_b32 s0, exec_lo
	flat_load_b32 v0, v[0:1] offset:224
	s_waitcnt vmcnt(0) lgkmcnt(0)
	v_cmpx_ne_u32_e32 57, v0
	s_cbranch_execz .LBB122_368
; %bb.367:
	v_lshl_add_u32 v4, v0, 3, 0
	scratch_load_b64 v[0:1], v4, off offset:-8
	scratch_load_b64 v[2:3], off, off offset:448
	s_waitcnt vmcnt(1)
	scratch_store_b64 off, v[0:1], off offset:448
	s_waitcnt vmcnt(0)
	scratch_store_b64 v4, v[2:3], off offset:-8
.LBB122_368:
	s_or_b32 exec_lo, exec_lo, s0
	v_dual_mov_b32 v0, s2 :: v_dual_mov_b32 v1, s3
	s_mov_b32 s0, exec_lo
	flat_load_b32 v0, v[0:1] offset:220
	s_waitcnt vmcnt(0) lgkmcnt(0)
	v_cmpx_ne_u32_e32 56, v0
	s_cbranch_execz .LBB122_370
; %bb.369:
	v_lshl_add_u32 v4, v0, 3, 0
	scratch_load_b64 v[0:1], v4, off offset:-8
	scratch_load_b64 v[2:3], off, off offset:440
	s_waitcnt vmcnt(1)
	scratch_store_b64 off, v[0:1], off offset:440
	s_waitcnt vmcnt(0)
	scratch_store_b64 v4, v[2:3], off offset:-8
.LBB122_370:
	;; [unrolled: 16-line block ×56, first 2 shown]
	s_or_b32 exec_lo, exec_lo, s0
	v_dual_mov_b32 v0, s2 :: v_dual_mov_b32 v1, s3
	s_mov_b32 s0, exec_lo
	flat_load_b32 v2, v[0:1]
	scratch_load_b64 v[0:1], off, off
	s_waitcnt vmcnt(1) lgkmcnt(0)
	v_cmpx_ne_u32_e32 1, v2
	s_cbranch_execz .LBB122_480
; %bb.479:
	v_lshl_add_u32 v4, v2, 3, 0
	scratch_load_b64 v[2:3], v4, off offset:-8
	s_waitcnt vmcnt(0)
	scratch_store_b64 off, v[2:3], off
	scratch_store_b64 v4, v[0:1], off offset:-8
	scratch_load_b64 v[0:1], off, off
.LBB122_480:
	s_or_b32 exec_lo, exec_lo, s0
.LBB122_481:
	s_clause 0x9
	scratch_load_b128 v[2:5], off, off offset:8
	scratch_load_b128 v[124:127], off, off offset:24
	;; [unrolled: 1-line block ×10, first 2 shown]
	s_waitcnt vmcnt(10)
	global_store_b64 v[46:47], v[0:1], off
	s_clause 0x1
	scratch_load_b128 v[160:163], off, off offset:168
	scratch_load_b128 v[164:167], off, off offset:184
	s_waitcnt vmcnt(11)
	s_clause 0x1
	global_store_b64 v[36:37], v[2:3], off
	global_store_b64 v[40:41], v[4:5], off
	s_clause 0x1
	scratch_load_b128 v[0:3], off, off offset:200
	scratch_load_b128 v[168:171], off, off offset:216
	s_waitcnt vmcnt(12)
	s_clause 0x1
	global_store_b64 v[32:33], v[124:125], off
	;; [unrolled: 7-line block ×9, first 2 shown]
	global_store_b64 v[44:45], v[154:155], off
	scratch_load_b128 v[4:7], off, off offset:456
	s_waitcnt vmcnt(19)
	s_clause 0x1
	global_store_b64 v[42:43], v[156:157], off
	global_store_b64 v[48:49], v[158:159], off
	s_waitcnt vmcnt(18)
	s_clause 0x1
	global_store_b64 v[50:51], v[160:161], off
	global_store_b64 v[52:53], v[162:163], off
	;; [unrolled: 4-line block ×20, first 2 shown]
	s_endpgm
	.section	.rodata,"a",@progbits
	.p2align	6, 0x0
	.amdhsa_kernel _ZN9rocsolver6v33100L18getri_kernel_smallILi59EdPKPdEEvT1_iilPiilS6_bb
		.amdhsa_group_segment_fixed_size 952
		.amdhsa_private_segment_fixed_size 480
		.amdhsa_kernarg_size 60
		.amdhsa_user_sgpr_count 15
		.amdhsa_user_sgpr_dispatch_ptr 0
		.amdhsa_user_sgpr_queue_ptr 0
		.amdhsa_user_sgpr_kernarg_segment_ptr 1
		.amdhsa_user_sgpr_dispatch_id 0
		.amdhsa_user_sgpr_private_segment_size 0
		.amdhsa_wavefront_size32 1
		.amdhsa_uses_dynamic_stack 0
		.amdhsa_enable_private_segment 1
		.amdhsa_system_sgpr_workgroup_id_x 1
		.amdhsa_system_sgpr_workgroup_id_y 0
		.amdhsa_system_sgpr_workgroup_id_z 0
		.amdhsa_system_sgpr_workgroup_info 0
		.amdhsa_system_vgpr_workitem_id 0
		.amdhsa_next_free_vgpr 174
		.amdhsa_next_free_sgpr 17
		.amdhsa_reserve_vcc 1
		.amdhsa_float_round_mode_32 0
		.amdhsa_float_round_mode_16_64 0
		.amdhsa_float_denorm_mode_32 3
		.amdhsa_float_denorm_mode_16_64 3
		.amdhsa_dx10_clamp 1
		.amdhsa_ieee_mode 1
		.amdhsa_fp16_overflow 0
		.amdhsa_workgroup_processor_mode 1
		.amdhsa_memory_ordered 1
		.amdhsa_forward_progress 0
		.amdhsa_shared_vgpr_count 0
		.amdhsa_exception_fp_ieee_invalid_op 0
		.amdhsa_exception_fp_denorm_src 0
		.amdhsa_exception_fp_ieee_div_zero 0
		.amdhsa_exception_fp_ieee_overflow 0
		.amdhsa_exception_fp_ieee_underflow 0
		.amdhsa_exception_fp_ieee_inexact 0
		.amdhsa_exception_int_div_zero 0
	.end_amdhsa_kernel
	.section	.text._ZN9rocsolver6v33100L18getri_kernel_smallILi59EdPKPdEEvT1_iilPiilS6_bb,"axG",@progbits,_ZN9rocsolver6v33100L18getri_kernel_smallILi59EdPKPdEEvT1_iilPiilS6_bb,comdat
.Lfunc_end122:
	.size	_ZN9rocsolver6v33100L18getri_kernel_smallILi59EdPKPdEEvT1_iilPiilS6_bb, .Lfunc_end122-_ZN9rocsolver6v33100L18getri_kernel_smallILi59EdPKPdEEvT1_iilPiilS6_bb
                                        ; -- End function
	.section	.AMDGPU.csdata,"",@progbits
; Kernel info:
; codeLenInByte = 62488
; NumSgprs: 19
; NumVgprs: 174
; ScratchSize: 480
; MemoryBound: 0
; FloatMode: 240
; IeeeMode: 1
; LDSByteSize: 952 bytes/workgroup (compile time only)
; SGPRBlocks: 2
; VGPRBlocks: 21
; NumSGPRsForWavesPerEU: 19
; NumVGPRsForWavesPerEU: 174
; Occupancy: 8
; WaveLimiterHint : 1
; COMPUTE_PGM_RSRC2:SCRATCH_EN: 1
; COMPUTE_PGM_RSRC2:USER_SGPR: 15
; COMPUTE_PGM_RSRC2:TRAP_HANDLER: 0
; COMPUTE_PGM_RSRC2:TGID_X_EN: 1
; COMPUTE_PGM_RSRC2:TGID_Y_EN: 0
; COMPUTE_PGM_RSRC2:TGID_Z_EN: 0
; COMPUTE_PGM_RSRC2:TIDIG_COMP_CNT: 0
	.section	.text._ZN9rocsolver6v33100L18getri_kernel_smallILi60EdPKPdEEvT1_iilPiilS6_bb,"axG",@progbits,_ZN9rocsolver6v33100L18getri_kernel_smallILi60EdPKPdEEvT1_iilPiilS6_bb,comdat
	.globl	_ZN9rocsolver6v33100L18getri_kernel_smallILi60EdPKPdEEvT1_iilPiilS6_bb ; -- Begin function _ZN9rocsolver6v33100L18getri_kernel_smallILi60EdPKPdEEvT1_iilPiilS6_bb
	.p2align	8
	.type	_ZN9rocsolver6v33100L18getri_kernel_smallILi60EdPKPdEEvT1_iilPiilS6_bb,@function
_ZN9rocsolver6v33100L18getri_kernel_smallILi60EdPKPdEEvT1_iilPiilS6_bb: ; @_ZN9rocsolver6v33100L18getri_kernel_smallILi60EdPKPdEEvT1_iilPiilS6_bb
; %bb.0:
	s_mov_b32 s2, exec_lo
	v_cmpx_gt_u32_e32 60, v0
	s_cbranch_execz .LBB123_250
; %bb.1:
	s_clause 0x1
	s_load_b32 s13, s[0:1], 0x38
	s_load_b64 s[2:3], s[0:1], 0x0
	s_mov_b32 s8, s15
	s_load_b128 s[4:7], s[0:1], 0x28
	s_waitcnt lgkmcnt(0)
	s_bitcmp1_b32 s13, 8
	s_cselect_b32 s12, -1, 0
	s_ashr_i32 s9, s15, 31
	s_delay_alu instid0(SALU_CYCLE_1) | instskip(NEXT) | instid1(SALU_CYCLE_1)
	s_lshl_b64 s[10:11], s[8:9], 3
	s_add_u32 s2, s2, s10
	s_addc_u32 s3, s3, s11
	s_load_b64 s[10:11], s[2:3], 0x0
	s_bfe_u32 s2, s13, 0x10008
	s_delay_alu instid0(SALU_CYCLE_1)
	s_cmp_eq_u32 s2, 0
                                        ; implicit-def: $sgpr2_sgpr3
	s_cbranch_scc1 .LBB123_3
; %bb.2:
	s_clause 0x1
	s_load_b32 s2, s[0:1], 0x20
	s_load_b64 s[14:15], s[0:1], 0x18
	s_mul_i32 s3, s8, s5
	s_mul_hi_u32 s5, s8, s4
	s_mul_i32 s16, s9, s4
	s_add_i32 s3, s5, s3
	s_mul_i32 s4, s8, s4
	s_add_i32 s5, s3, s16
	s_delay_alu instid0(SALU_CYCLE_1)
	s_lshl_b64 s[4:5], s[4:5], 2
	s_waitcnt lgkmcnt(0)
	s_ashr_i32 s3, s2, 31
	s_add_u32 s4, s14, s4
	s_addc_u32 s5, s15, s5
	s_lshl_b64 s[2:3], s[2:3], 2
	s_delay_alu instid0(SALU_CYCLE_1)
	s_add_u32 s2, s4, s2
	s_addc_u32 s3, s5, s3
.LBB123_3:
	s_load_b64 s[0:1], s[0:1], 0x8
	v_lshlrev_b32_e32 v3, 3, v0
	s_waitcnt lgkmcnt(0)
	s_ashr_i32 s5, s0, 31
	s_mov_b32 s4, s0
	v_add3_u32 v1, s1, s1, v0
	s_lshl_b64 s[4:5], s[4:5], 3
	s_mov_b32 s14, s1
	s_add_u32 s4, s10, s4
	s_addc_u32 s5, s11, s5
	v_add_co_u32 v32, s0, s4, v3
	v_add_nc_u32_e32 v4, s1, v1
	s_ashr_i32 s15, s1, 31
	v_add_co_ci_u32_e64 v33, null, s5, 0, s0
	v_ashrrev_i32_e32 v2, 31, v1
	s_lshl_b64 s[10:11], s[14:15], 3
	v_ashrrev_i32_e32 v5, 31, v4
	v_add_co_u32 v20, vcc_lo, v32, s10
	v_add_co_ci_u32_e32 v21, vcc_lo, s11, v33, vcc_lo
	v_lshlrev_b64 v[1:2], 3, v[1:2]
	v_add_nc_u32_e32 v6, s1, v4
	v_lshlrev_b64 v[4:5], 3, v[4:5]
	s_clause 0x1
	global_load_b64 v[16:17], v3, s[4:5]
	global_load_b64 v[18:19], v[20:21], off
	s_bitcmp0_b32 s13, 0
	v_add_co_u32 v14, vcc_lo, s4, v1
	v_add_co_ci_u32_e32 v15, vcc_lo, s5, v2, vcc_lo
	v_add_co_u32 v10, vcc_lo, s4, v4
	v_add_co_ci_u32_e32 v11, vcc_lo, s5, v5, vcc_lo
	s_clause 0x1
	global_load_b64 v[56:57], v[14:15], off
	global_load_b64 v[58:59], v[10:11], off
	v_add_nc_u32_e32 v8, s1, v6
	v_ashrrev_i32_e32 v7, 31, v6
	s_delay_alu instid0(VALU_DEP_2) | instskip(NEXT) | instid1(VALU_DEP_2)
	v_add_nc_u32_e32 v1, s1, v8
	v_lshlrev_b64 v[5:6], 3, v[6:7]
	v_ashrrev_i32_e32 v9, 31, v8
	s_delay_alu instid0(VALU_DEP_3) | instskip(SKIP_1) | instid1(VALU_DEP_4)
	v_add_nc_u32_e32 v4, s1, v1
	v_ashrrev_i32_e32 v2, 31, v1
	v_add_co_u32 v54, vcc_lo, s4, v5
	v_add_co_ci_u32_e32 v55, vcc_lo, s5, v6, vcc_lo
	s_delay_alu instid0(VALU_DEP_4)
	v_add_nc_u32_e32 v12, s1, v4
	v_lshlrev_b64 v[6:7], 3, v[8:9]
	v_ashrrev_i32_e32 v5, 31, v4
	v_lshlrev_b64 v[1:2], 3, v[1:2]
	global_load_b64 v[60:61], v[54:55], off
	v_add_nc_u32_e32 v22, s1, v12
	v_ashrrev_i32_e32 v13, 31, v12
	v_add_co_u32 v52, vcc_lo, s4, v6
	v_lshlrev_b64 v[4:5], 3, v[4:5]
	s_delay_alu instid0(VALU_DEP_4) | instskip(SKIP_2) | instid1(VALU_DEP_3)
	v_add_nc_u32_e32 v24, s1, v22
	v_add_co_ci_u32_e32 v53, vcc_lo, s5, v7, vcc_lo
	v_add_co_u32 v44, vcc_lo, s4, v1
	v_add_nc_u32_e32 v26, s1, v24
	global_load_b64 v[62:63], v[52:53], off
	v_add_co_ci_u32_e32 v45, vcc_lo, s5, v2, vcc_lo
	v_add_co_u32 v50, vcc_lo, s4, v4
	v_add_nc_u32_e32 v28, s1, v26
	v_lshlrev_b64 v[1:2], 3, v[12:13]
	v_ashrrev_i32_e32 v23, 31, v22
	v_ashrrev_i32_e32 v25, 31, v24
	v_add_co_ci_u32_e32 v51, vcc_lo, s5, v5, vcc_lo
	v_add_nc_u32_e32 v30, s1, v28
	s_delay_alu instid0(VALU_DEP_4) | instskip(SKIP_2) | instid1(VALU_DEP_4)
	v_lshlrev_b64 v[5:6], 3, v[22:23]
	v_add_co_u32 v46, vcc_lo, s4, v1
	v_add_co_ci_u32_e32 v47, vcc_lo, s5, v2, vcc_lo
	v_add_nc_u32_e32 v42, s1, v30
	v_lshlrev_b64 v[1:2], 3, v[24:25]
	v_ashrrev_i32_e32 v27, 31, v26
	v_add_co_u32 v38, vcc_lo, s4, v5
	s_delay_alu instid0(VALU_DEP_4) | instskip(SKIP_3) | instid1(VALU_DEP_4)
	v_add_nc_u32_e32 v48, s1, v42
	v_ashrrev_i32_e32 v29, 31, v28
	v_add_co_ci_u32_e32 v39, vcc_lo, s5, v6, vcc_lo
	v_lshlrev_b64 v[5:6], 3, v[26:27]
	v_add_nc_u32_e32 v80, s1, v48
	v_add_co_u32 v40, vcc_lo, s4, v1
	v_add_co_ci_u32_e32 v41, vcc_lo, s5, v2, vcc_lo
	s_delay_alu instid0(VALU_DEP_3) | instskip(SKIP_3) | instid1(VALU_DEP_4)
	v_add_nc_u32_e32 v82, s1, v80
	v_lshlrev_b64 v[1:2], 3, v[28:29]
	v_ashrrev_i32_e32 v31, 31, v30
	v_add_co_u32 v36, vcc_lo, s4, v5
	v_add_nc_u32_e32 v88, s1, v82
	v_ashrrev_i32_e32 v43, 31, v42
	s_clause 0x1
	global_load_b64 v[64:65], v[44:45], off
	global_load_b64 v[66:67], v[50:51], off
	v_add_co_ci_u32_e32 v37, vcc_lo, s5, v6, vcc_lo
	v_add_nc_u32_e32 v90, s1, v88
	v_lshlrev_b64 v[5:6], 3, v[30:31]
	v_add_co_u32 v34, vcc_lo, s4, v1
	s_clause 0x1
	global_load_b64 v[68:69], v[46:47], off
	global_load_b64 v[70:71], v[38:39], off
	v_add_nc_u32_e32 v92, s1, v90
	v_add_co_ci_u32_e32 v35, vcc_lo, s5, v2, vcc_lo
	v_lshlrev_b64 v[1:2], 3, v[42:43]
	v_ashrrev_i32_e32 v49, 31, v48
	s_delay_alu instid0(VALU_DEP_4) | instskip(SKIP_3) | instid1(VALU_DEP_4)
	v_add_nc_u32_e32 v94, s1, v92
	v_add_co_u32 v28, vcc_lo, s4, v5
	v_ashrrev_i32_e32 v81, 31, v80
	v_add_co_ci_u32_e32 v29, vcc_lo, s5, v6, vcc_lo
	v_add_nc_u32_e32 v96, s1, v94
	v_lshlrev_b64 v[5:6], 3, v[48:49]
	v_add_co_u32 v30, vcc_lo, s4, v1
	v_add_co_ci_u32_e32 v31, vcc_lo, s5, v2, vcc_lo
	s_delay_alu instid0(VALU_DEP_4) | instskip(SKIP_3) | instid1(VALU_DEP_4)
	v_add_nc_u32_e32 v98, s1, v96
	v_lshlrev_b64 v[1:2], 3, v[80:81]
	v_ashrrev_i32_e32 v83, 31, v82
	v_add_co_u32 v26, vcc_lo, s4, v5
	v_add_nc_u32_e32 v100, s1, v98
	s_clause 0x1
	global_load_b64 v[72:73], v[40:41], off
	global_load_b64 v[74:75], v[36:37], off
	v_add_co_ci_u32_e32 v27, vcc_lo, s5, v6, vcc_lo
	v_lshlrev_b64 v[5:6], 3, v[82:83]
	v_add_nc_u32_e32 v102, s1, v100
	v_add_co_u32 v22, vcc_lo, s4, v1
	s_clause 0x1
	global_load_b64 v[76:77], v[34:35], off
	global_load_b64 v[78:79], v[28:29], off
	v_add_nc_u32_e32 v104, s1, v102
	v_add_co_ci_u32_e32 v23, vcc_lo, s5, v2, vcc_lo
	v_add_co_u32 v12, vcc_lo, s4, v5
	s_delay_alu instid0(VALU_DEP_3) | instskip(SKIP_3) | instid1(VALU_DEP_4)
	v_add_nc_u32_e32 v106, s1, v104
	v_ashrrev_i32_e32 v89, 31, v88
	v_add_co_ci_u32_e32 v13, vcc_lo, s5, v6, vcc_lo
	v_ashrrev_i32_e32 v91, 31, v90
	v_add_nc_u32_e32 v108, s1, v106
	s_delay_alu instid0(VALU_DEP_4)
	v_lshlrev_b64 v[7:8], 3, v[88:89]
	v_ashrrev_i32_e32 v93, 31, v92
	s_clause 0x3
	global_load_b64 v[80:81], v[30:31], off
	global_load_b64 v[82:83], v[26:27], off
	global_load_b64 v[84:85], v[22:23], off
	global_load_b64 v[86:87], v[12:13], off
	v_lshlrev_b64 v[42:43], 3, v[90:91]
	v_add_nc_u32_e32 v110, s1, v108
	v_ashrrev_i32_e32 v95, 31, v94
	v_add_co_u32 v24, vcc_lo, s4, v7
	v_add_co_ci_u32_e32 v25, vcc_lo, s5, v8, vcc_lo
	s_delay_alu instid0(VALU_DEP_4)
	v_add_nc_u32_e32 v112, s1, v110
	v_lshlrev_b64 v[92:93], 3, v[92:93]
	v_ashrrev_i32_e32 v97, 31, v96
	v_ashrrev_i32_e32 v99, 31, v98
	;; [unrolled: 1-line block ×3, first 2 shown]
	v_add_nc_u32_e32 v114, s1, v112
	v_ashrrev_i32_e32 v103, 31, v102
	v_ashrrev_i32_e32 v105, 31, v104
	;; [unrolled: 1-line block ×4, first 2 shown]
	v_add_nc_u32_e32 v116, s1, v114
	v_ashrrev_i32_e32 v111, 31, v110
	v_ashrrev_i32_e32 v113, 31, v112
	;; [unrolled: 1-line block ×3, first 2 shown]
	s_delay_alu instid0(VALU_DEP_4) | instskip(SKIP_1) | instid1(VALU_DEP_2)
	v_add_nc_u32_e32 v118, s1, v116
	v_ashrrev_i32_e32 v117, 31, v116
	v_add_nc_u32_e32 v120, s1, v118
	v_ashrrev_i32_e32 v119, 31, v118
	s_delay_alu instid0(VALU_DEP_2) | instskip(SKIP_1) | instid1(VALU_DEP_2)
	v_add_nc_u32_e32 v122, s1, v120
	v_ashrrev_i32_e32 v121, 31, v120
	v_add_nc_u32_e32 v124, s1, v122
	v_ashrrev_i32_e32 v123, 31, v122
	s_delay_alu instid0(VALU_DEP_2) | instskip(SKIP_1) | instid1(VALU_DEP_2)
	;; [unrolled: 5-line block ×6, first 2 shown]
	v_add_nc_u32_e32 v4, s1, v146
	v_ashrrev_i32_e32 v147, 31, v146
	v_add_nc_u32_e32 v148, s1, v4
	s_delay_alu instid0(VALU_DEP_1) | instskip(SKIP_1) | instid1(VALU_DEP_2)
	v_add_nc_u32_e32 v150, s1, v148
	v_ashrrev_i32_e32 v149, 31, v148
	v_add_nc_u32_e32 v152, s1, v150
	v_ashrrev_i32_e32 v151, 31, v150
	s_delay_alu instid0(VALU_DEP_2) | instskip(SKIP_1) | instid1(VALU_DEP_2)
	v_add_nc_u32_e32 v154, s1, v152
	v_ashrrev_i32_e32 v153, 31, v152
	v_add_nc_u32_e32 v156, s1, v154
	v_ashrrev_i32_e32 v155, 31, v154
	s_delay_alu instid0(VALU_DEP_2) | instskip(SKIP_1) | instid1(VALU_DEP_2)
	;; [unrolled: 5-line block ×5, first 2 shown]
	v_add_nc_u32_e32 v170, s1, v168
	v_ashrrev_i32_e32 v169, 31, v168
	v_add_nc_u32_e32 v1, s1, v170
	v_ashrrev_i32_e32 v171, 31, v170
	s_delay_alu instid0(VALU_DEP_2) | instskip(SKIP_2) | instid1(VALU_DEP_2)
	v_add_nc_u32_e32 v5, s1, v1
	v_ashrrev_i32_e32 v2, 31, v1
	s_mov_b32 s1, -1
	v_ashrrev_i32_e32 v6, 31, v5
	s_delay_alu instid0(VALU_DEP_2) | instskip(NEXT) | instid1(VALU_DEP_2)
	v_lshlrev_b64 v[1:2], 3, v[1:2]
	v_lshlrev_b64 v[48:49], 3, v[5:6]
	v_ashrrev_i32_e32 v5, 31, v4
	s_delay_alu instid0(VALU_DEP_2) | instskip(NEXT) | instid1(VALU_DEP_3)
	v_add_co_u32 v6, vcc_lo, s4, v48
	v_add_co_ci_u32_e32 v7, vcc_lo, s5, v49, vcc_lo
	v_add_co_u32 v8, vcc_lo, s4, v42
	v_add_co_ci_u32_e32 v9, vcc_lo, s5, v43, vcc_lo
	global_load_b64 v[128:129], v[6:7], off
	v_lshlrev_b64 v[42:43], 3, v[96:97]
	v_lshlrev_b64 v[48:49], 3, v[98:99]
	;; [unrolled: 1-line block ×3, first 2 shown]
	s_waitcnt vmcnt(17)
	scratch_store_b128 off, v[16:19], off
	v_lshlrev_b64 v[18:19], 3, v[94:95]
	v_add_co_u32 v16, vcc_lo, s4, v92
	v_add_co_ci_u32_e32 v17, vcc_lo, s5, v93, vcc_lo
	s_clause 0x1
	global_load_b64 v[88:89], v[24:25], off
	global_load_b64 v[90:91], v[8:9], off
	v_add_co_u32 v18, vcc_lo, s4, v18
	v_add_co_ci_u32_e32 v19, vcc_lo, s5, v19, vcc_lo
	v_add_co_u32 v42, vcc_lo, s4, v42
	s_waitcnt vmcnt(17)
	scratch_store_b128 off, v[56:59], off offset:16
	s_clause 0x1
	global_load_b64 v[92:93], v[16:17], off
	global_load_b64 v[94:95], v[18:19], off
	v_add_co_ci_u32_e32 v43, vcc_lo, s5, v43, vcc_lo
	v_lshlrev_b64 v[56:57], 3, v[100:101]
	v_add_co_u32 v48, vcc_lo, s4, v48
	v_add_co_ci_u32_e32 v49, vcc_lo, s5, v49, vcc_lo
	v_lshlrev_b64 v[58:59], 3, v[102:103]
	s_delay_alu instid0(VALU_DEP_4) | instskip(SKIP_1) | instid1(VALU_DEP_3)
	v_add_co_u32 v56, vcc_lo, s4, v56
	v_add_co_ci_u32_e32 v57, vcc_lo, s5, v57, vcc_lo
	v_add_co_u32 v58, vcc_lo, s4, v58
	s_delay_alu instid0(VALU_DEP_4)
	v_add_co_ci_u32_e32 v59, vcc_lo, s5, v59, vcc_lo
	s_waitcnt vmcnt(17)
	scratch_store_b128 off, v[60:63], off offset:32
	s_clause 0x1
	global_load_b64 v[96:97], v[42:43], off
	global_load_b64 v[98:99], v[48:49], off
	v_lshlrev_b64 v[60:61], 3, v[104:105]
	v_lshlrev_b64 v[62:63], 3, v[106:107]
	global_load_b64 v[100:101], v[56:57], off
	v_add_co_u32 v60, vcc_lo, s4, v60
	v_add_co_ci_u32_e32 v61, vcc_lo, s5, v61, vcc_lo
	v_add_co_u32 v62, vcc_lo, s4, v62
	v_add_co_ci_u32_e32 v63, vcc_lo, s5, v63, vcc_lo
	s_waitcnt vmcnt(18)
	scratch_store_b128 off, v[64:67], off offset:48
	v_lshlrev_b64 v[64:65], 3, v[108:109]
	v_lshlrev_b64 v[66:67], 3, v[110:111]
	s_delay_alu instid0(VALU_DEP_2)
	v_add_co_u32 v64, vcc_lo, s4, v64
	s_waitcnt vmcnt(16)
	scratch_store_b128 off, v[68:71], off offset:64
	s_clause 0x2
	global_load_b64 v[102:103], v[58:59], off
	global_load_b64 v[104:105], v[60:61], off
	;; [unrolled: 1-line block ×3, first 2 shown]
	v_lshlrev_b64 v[68:69], 3, v[112:113]
	v_add_co_ci_u32_e32 v65, vcc_lo, s5, v65, vcc_lo
	v_add_co_u32 v66, vcc_lo, s4, v66
	v_lshlrev_b64 v[70:71], 3, v[114:115]
	v_add_co_ci_u32_e32 v67, vcc_lo, s5, v67, vcc_lo
	v_add_co_u32 v68, vcc_lo, s4, v68
	v_add_co_ci_u32_e32 v69, vcc_lo, s5, v69, vcc_lo
	s_delay_alu instid0(VALU_DEP_4)
	v_add_co_u32 v70, vcc_lo, s4, v70
	v_add_co_ci_u32_e32 v71, vcc_lo, s5, v71, vcc_lo
	global_load_b64 v[108:109], v[64:65], off
	s_waitcnt vmcnt(18)
	scratch_store_b128 off, v[72:75], off offset:80
	v_lshlrev_b64 v[72:73], 3, v[116:117]
	v_lshlrev_b64 v[74:75], 3, v[118:119]
	s_delay_alu instid0(VALU_DEP_2)
	v_add_co_u32 v72, vcc_lo, s4, v72
	s_waitcnt vmcnt(16)
	scratch_store_b128 off, v[76:79], off offset:96
	s_clause 0x2
	global_load_b64 v[110:111], v[66:67], off
	global_load_b64 v[112:113], v[68:69], off
	;; [unrolled: 1-line block ×3, first 2 shown]
	v_lshlrev_b64 v[76:77], 3, v[120:121]
	v_add_co_ci_u32_e32 v73, vcc_lo, s5, v73, vcc_lo
	v_add_co_u32 v74, vcc_lo, s4, v74
	v_lshlrev_b64 v[78:79], 3, v[122:123]
	v_add_co_ci_u32_e32 v75, vcc_lo, s5, v75, vcc_lo
	v_add_co_u32 v76, vcc_lo, s4, v76
	v_add_co_ci_u32_e32 v77, vcc_lo, s5, v77, vcc_lo
	s_delay_alu instid0(VALU_DEP_4)
	v_add_co_u32 v78, vcc_lo, s4, v78
	v_add_co_ci_u32_e32 v79, vcc_lo, s5, v79, vcc_lo
	s_waitcnt vmcnt(17)
	scratch_store_b128 off, v[80:83], off offset:112
	s_waitcnt vmcnt(15)
	scratch_store_b128 off, v[84:87], off offset:128
	v_lshlrev_b64 v[80:81], 3, v[124:125]
	s_clause 0x3
	global_load_b64 v[116:117], v[72:73], off
	global_load_b64 v[118:119], v[74:75], off
	;; [unrolled: 1-line block ×4, first 2 shown]
	v_lshlrev_b64 v[82:83], 3, v[126:127]
	v_lshlrev_b64 v[84:85], 3, v[130:131]
	;; [unrolled: 1-line block ×3, first 2 shown]
	v_add_co_u32 v80, vcc_lo, s4, v80
	v_add_co_ci_u32_e32 v81, vcc_lo, s5, v81, vcc_lo
	v_add_co_u32 v82, vcc_lo, s4, v82
	v_add_co_ci_u32_e32 v83, vcc_lo, s5, v83, vcc_lo
	;; [unrolled: 2-line block ×4, first 2 shown]
	s_clause 0x1
	global_load_b64 v[130:131], v[80:81], off
	global_load_b64 v[132:133], v[82:83], off
	v_lshlrev_b64 v[124:125], 3, v[148:149]
	s_waitcnt vmcnt(18)
	scratch_store_b128 off, v[88:91], off offset:144
	v_lshlrev_b64 v[88:89], 3, v[138:139]
	v_lshlrev_b64 v[90:91], 3, v[140:141]
	s_delay_alu instid0(VALU_DEP_2)
	v_add_co_u32 v88, vcc_lo, s4, v88
	s_waitcnt vmcnt(16)
	scratch_store_b128 off, v[92:95], off offset:160
	s_clause 0x1
	global_load_b64 v[134:135], v[84:85], off
	global_load_b64 v[136:137], v[86:87], off
	v_lshlrev_b64 v[92:93], 3, v[142:143]
	v_add_co_ci_u32_e32 v89, vcc_lo, s5, v89, vcc_lo
	v_add_co_u32 v90, vcc_lo, s4, v90
	v_lshlrev_b64 v[94:95], 3, v[144:145]
	v_add_co_ci_u32_e32 v91, vcc_lo, s5, v91, vcc_lo
	v_add_co_u32 v92, vcc_lo, s4, v92
	v_add_co_ci_u32_e32 v93, vcc_lo, s5, v93, vcc_lo
	s_delay_alu instid0(VALU_DEP_4)
	v_add_co_u32 v94, vcc_lo, s4, v94
	v_add_co_ci_u32_e32 v95, vcc_lo, s5, v95, vcc_lo
	global_load_b64 v[138:139], v[88:89], off
	s_waitcnt vmcnt(17)
	scratch_store_b128 off, v[96:99], off offset:176
	v_lshlrev_b64 v[96:97], 3, v[146:147]
	s_waitcnt vmcnt(15)
	scratch_store_b128 off, v[100:103], off offset:192
	s_waitcnt vmcnt(13)
	scratch_store_b128 off, v[104:107], off offset:208
	v_add_co_u32 v96, vcc_lo, s4, v96
	v_add_co_ci_u32_e32 v97, vcc_lo, s5, v97, vcc_lo
	v_add_co_u32 v98, vcc_lo, s4, v4
	v_add_co_ci_u32_e32 v99, vcc_lo, s5, v5, vcc_lo
	v_lshlrev_b64 v[4:5], 3, v[150:151]
	v_add_co_u32 v100, vcc_lo, s4, v124
	v_add_co_ci_u32_e32 v101, vcc_lo, s5, v125, vcc_lo
	v_lshlrev_b64 v[104:105], 3, v[152:153]
	s_delay_alu instid0(VALU_DEP_4) | instskip(SKIP_2) | instid1(VALU_DEP_4)
	v_add_co_u32 v102, vcc_lo, s4, v4
	v_add_co_ci_u32_e32 v103, vcc_lo, s5, v5, vcc_lo
	v_lshlrev_b64 v[4:5], 3, v[154:155]
	v_add_co_u32 v104, vcc_lo, s4, v104
	v_add_co_ci_u32_e32 v105, vcc_lo, s5, v105, vcc_lo
	v_lshlrev_b64 v[124:125], 3, v[156:157]
	s_delay_alu instid0(VALU_DEP_4)
	v_add_co_u32 v106, vcc_lo, s4, v4
	v_add_co_ci_u32_e32 v107, vcc_lo, s5, v5, vcc_lo
	v_lshlrev_b64 v[4:5], 3, v[158:159]
	s_clause 0x3
	global_load_b64 v[140:141], v[90:91], off
	global_load_b64 v[142:143], v[92:93], off
	;; [unrolled: 1-line block ×4, first 2 shown]
	s_waitcnt vmcnt(15)
	scratch_store_b128 off, v[108:111], off offset:224
	s_waitcnt vmcnt(13)
	scratch_store_b128 off, v[112:115], off offset:240
	v_add_co_u32 v108, vcc_lo, s4, v124
	v_add_co_ci_u32_e32 v109, vcc_lo, s5, v125, vcc_lo
	v_lshlrev_b64 v[112:113], 3, v[160:161]
	v_add_co_u32 v110, vcc_lo, s4, v4
	v_add_co_ci_u32_e32 v111, vcc_lo, s5, v5, vcc_lo
	v_lshlrev_b64 v[4:5], 3, v[162:163]
	s_delay_alu instid0(VALU_DEP_4) | instskip(SKIP_2) | instid1(VALU_DEP_4)
	v_add_co_u32 v112, vcc_lo, s4, v112
	v_add_co_ci_u32_e32 v113, vcc_lo, s5, v113, vcc_lo
	v_lshlrev_b64 v[124:125], 3, v[164:165]
	v_add_co_u32 v114, vcc_lo, s4, v4
	v_add_co_ci_u32_e32 v115, vcc_lo, s5, v5, vcc_lo
	v_lshlrev_b64 v[4:5], 3, v[166:167]
	s_clause 0x3
	global_load_b64 v[148:149], v[98:99], off
	global_load_b64 v[150:151], v[100:101], off
	;; [unrolled: 1-line block ×4, first 2 shown]
	s_waitcnt vmcnt(15)
	scratch_store_b128 off, v[116:119], off offset:256
	s_waitcnt vmcnt(13)
	scratch_store_b128 off, v[120:123], off offset:272
	v_add_co_u32 v116, vcc_lo, s4, v124
	v_add_co_ci_u32_e32 v117, vcc_lo, s5, v125, vcc_lo
	v_lshlrev_b64 v[120:121], 3, v[168:169]
	v_add_co_u32 v118, vcc_lo, s4, v4
	v_add_co_ci_u32_e32 v119, vcc_lo, s5, v5, vcc_lo
	v_lshlrev_b64 v[4:5], 3, v[170:171]
	s_delay_alu instid0(VALU_DEP_4)
	v_add_co_u32 v120, vcc_lo, s4, v120
	v_add_co_ci_u32_e32 v121, vcc_lo, s5, v121, vcc_lo
	s_clause 0x3
	global_load_b64 v[156:157], v[106:107], off
	global_load_b64 v[158:159], v[108:109], off
	;; [unrolled: 1-line block ×4, first 2 shown]
	v_add_co_u32 v122, vcc_lo, s4, v4
	v_add_co_ci_u32_e32 v123, vcc_lo, s5, v5, vcc_lo
	v_add_co_u32 v124, vcc_lo, s4, v1
	v_add_co_ci_u32_e32 v125, vcc_lo, s5, v2, vcc_lo
	s_waitcnt vmcnt(15)
	scratch_store_b128 off, v[130:133], off offset:288
	s_clause 0x2
	global_load_b64 v[164:165], v[114:115], off
	global_load_b64 v[130:131], v[116:117], off
	;; [unrolled: 1-line block ×3, first 2 shown]
	s_waitcnt vmcnt(16)
	scratch_store_b128 off, v[134:137], off offset:304
	s_clause 0x2
	global_load_b64 v[134:135], v[120:121], off
	global_load_b64 v[136:137], v[122:123], off
	;; [unrolled: 1-line block ×3, first 2 shown]
	s_waitcnt vmcnt(17)
	scratch_store_b128 off, v[138:141], off offset:320
	s_waitcnt vmcnt(15)
	scratch_store_b128 off, v[142:145], off offset:336
	;; [unrolled: 2-line block ×10, first 2 shown]
	s_cbranch_scc1 .LBB123_248
; %bb.4:
	v_cmp_eq_u32_e64 s0, 0, v0
	s_delay_alu instid0(VALU_DEP_1)
	s_and_saveexec_b32 s1, s0
	s_cbranch_execz .LBB123_6
; %bb.5:
	v_mov_b32_e32 v1, 0
	ds_store_b32 v1, v1 offset:960
.LBB123_6:
	s_or_b32 exec_lo, exec_lo, s1
	s_waitcnt lgkmcnt(0)
	s_waitcnt_vscnt null, 0x0
	s_barrier
	buffer_gl0_inv
	scratch_load_b64 v[1:2], v3, off
	s_mov_b32 s4, exec_lo
	s_waitcnt vmcnt(0)
	v_cmpx_eq_f64_e32 0, v[1:2]
	s_cbranch_execz .LBB123_10
; %bb.7:
	v_mov_b32_e32 v1, 0
	s_mov_b32 s5, 0
	ds_load_b32 v2, v1 offset:960
	s_waitcnt lgkmcnt(0)
	v_readfirstlane_b32 s1, v2
	v_add_nc_u32_e32 v2, 1, v0
	s_delay_alu instid0(VALU_DEP_2) | instskip(NEXT) | instid1(VALU_DEP_1)
	s_cmp_eq_u32 s1, 0
	v_cmp_gt_i32_e32 vcc_lo, s1, v2
	s_cselect_b32 s10, -1, 0
	s_delay_alu instid0(SALU_CYCLE_1) | instskip(NEXT) | instid1(SALU_CYCLE_1)
	s_or_b32 s10, s10, vcc_lo
	s_and_b32 exec_lo, exec_lo, s10
	s_cbranch_execz .LBB123_10
; %bb.8:
	v_mov_b32_e32 v4, s1
.LBB123_9:                              ; =>This Inner Loop Header: Depth=1
	ds_cmpstore_rtn_b32 v4, v1, v2, v4 offset:960
	s_waitcnt lgkmcnt(0)
	v_cmp_ne_u32_e32 vcc_lo, 0, v4
	v_cmp_le_i32_e64 s1, v4, v2
	s_delay_alu instid0(VALU_DEP_1) | instskip(NEXT) | instid1(SALU_CYCLE_1)
	s_and_b32 s1, vcc_lo, s1
	s_and_b32 s1, exec_lo, s1
	s_delay_alu instid0(SALU_CYCLE_1) | instskip(NEXT) | instid1(SALU_CYCLE_1)
	s_or_b32 s5, s1, s5
	s_and_not1_b32 exec_lo, exec_lo, s5
	s_cbranch_execnz .LBB123_9
.LBB123_10:
	s_or_b32 exec_lo, exec_lo, s4
	v_mov_b32_e32 v1, 0
	s_barrier
	buffer_gl0_inv
	ds_load_b32 v2, v1 offset:960
	s_and_saveexec_b32 s1, s0
	s_cbranch_execz .LBB123_12
; %bb.11:
	s_lshl_b64 s[4:5], s[8:9], 2
	s_delay_alu instid0(SALU_CYCLE_1)
	s_add_u32 s4, s6, s4
	s_addc_u32 s5, s7, s5
	s_waitcnt lgkmcnt(0)
	global_store_b32 v1, v2, s[4:5]
.LBB123_12:
	s_or_b32 exec_lo, exec_lo, s1
	s_waitcnt lgkmcnt(0)
	v_cmp_ne_u32_e32 vcc_lo, 0, v2
	s_mov_b32 s1, 0
	s_cbranch_vccnz .LBB123_248
; %bb.13:
	v_add_nc_u32_e32 v4, 0, v3
	v_add_nc_u32_e32 v5, 0x1e0, v3
	scratch_load_b64 v[1:2], v4, off
	s_waitcnt vmcnt(0)
	v_div_scale_f64 v[126:127], null, v[1:2], v[1:2], 1.0
	v_div_scale_f64 v[132:133], vcc_lo, 1.0, v[1:2], 1.0
	s_delay_alu instid0(VALU_DEP_2) | instskip(SKIP_2) | instid1(VALU_DEP_1)
	v_rcp_f64_e32 v[128:129], v[126:127]
	s_waitcnt_depctr 0xfff
	v_fma_f64 v[130:131], -v[126:127], v[128:129], 1.0
	v_fma_f64 v[128:129], v[128:129], v[130:131], v[128:129]
	s_delay_alu instid0(VALU_DEP_1) | instskip(NEXT) | instid1(VALU_DEP_1)
	v_fma_f64 v[130:131], -v[126:127], v[128:129], 1.0
	v_fma_f64 v[128:129], v[128:129], v[130:131], v[128:129]
	s_delay_alu instid0(VALU_DEP_1) | instskip(NEXT) | instid1(VALU_DEP_1)
	v_mul_f64 v[130:131], v[132:133], v[128:129]
	v_fma_f64 v[126:127], -v[126:127], v[130:131], v[132:133]
	s_delay_alu instid0(VALU_DEP_1) | instskip(NEXT) | instid1(VALU_DEP_1)
	v_div_fmas_f64 v[126:127], v[126:127], v[128:129], v[130:131]
	v_div_fixup_f64 v[1:2], v[126:127], v[1:2], 1.0
	scratch_store_b64 v4, v[1:2], off
	scratch_load_b64 v[126:127], off, off offset:8
	v_xor_b32_e32 v2, 0x80000000, v2
	s_waitcnt vmcnt(0)
	ds_store_2addr_b64 v3, v[1:2], v[126:127] offset1:60
	s_waitcnt lgkmcnt(0)
	s_waitcnt_vscnt null, 0x0
	s_barrier
	buffer_gl0_inv
	s_and_saveexec_b32 s1, s0
	s_cbranch_execz .LBB123_15
; %bb.14:
	scratch_load_b64 v[1:2], v4, off
	ds_load_b64 v[126:127], v5
	s_waitcnt vmcnt(0) lgkmcnt(0)
	v_fma_f64 v[1:2], v[1:2], v[126:127], 0
	v_mov_b32_e32 v126, 0
	ds_load_b64 v[126:127], v126 offset:8
	s_waitcnt lgkmcnt(0)
	v_mul_f64 v[1:2], v[1:2], v[126:127]
	scratch_store_b64 off, v[1:2], off offset:8
.LBB123_15:
	s_or_b32 exec_lo, exec_lo, s1
	s_waitcnt_vscnt null, 0x0
	s_barrier
	buffer_gl0_inv
	scratch_load_b64 v[1:2], off, off offset:16
	s_mov_b32 s1, exec_lo
	s_waitcnt vmcnt(0)
	ds_store_b64 v5, v[1:2]
	s_waitcnt lgkmcnt(0)
	s_barrier
	buffer_gl0_inv
	v_cmpx_gt_u32_e32 2, v0
	s_cbranch_execz .LBB123_19
; %bb.16:
	scratch_load_b64 v[1:2], v4, off
	ds_load_b64 v[126:127], v5
	s_waitcnt vmcnt(0) lgkmcnt(0)
	v_fma_f64 v[1:2], v[1:2], v[126:127], 0
	s_and_saveexec_b32 s4, s0
	s_cbranch_execz .LBB123_18
; %bb.17:
	scratch_load_b64 v[126:127], off, off offset:8
	v_mov_b32_e32 v128, 0
	ds_load_b64 v[128:129], v128 offset:488
	s_waitcnt vmcnt(0) lgkmcnt(0)
	v_fma_f64 v[1:2], v[126:127], v[128:129], v[1:2]
.LBB123_18:
	s_or_b32 exec_lo, exec_lo, s4
	v_mov_b32_e32 v126, 0
	ds_load_b64 v[126:127], v126 offset:16
	s_waitcnt lgkmcnt(0)
	v_mul_f64 v[1:2], v[1:2], v[126:127]
	scratch_store_b64 off, v[1:2], off offset:16
.LBB123_19:
	s_or_b32 exec_lo, exec_lo, s1
	s_waitcnt_vscnt null, 0x0
	s_barrier
	buffer_gl0_inv
	scratch_load_b64 v[1:2], off, off offset:24
	v_add_nc_u32_e32 v126, -1, v0
	s_mov_b32 s0, exec_lo
	s_waitcnt vmcnt(0)
	ds_store_b64 v5, v[1:2]
	s_waitcnt lgkmcnt(0)
	s_barrier
	buffer_gl0_inv
	v_cmpx_gt_u32_e32 3, v0
	s_cbranch_execz .LBB123_23
; %bb.20:
	v_dual_mov_b32 v1, 0 :: v_dual_add_nc_u32 v128, 0x1e0, v3
	v_dual_mov_b32 v2, 0 :: v_dual_add_nc_u32 v127, -1, v0
	v_add_nc_u32_e32 v129, 0, v3
	s_mov_b32 s1, 0
.LBB123_21:                             ; =>This Inner Loop Header: Depth=1
	scratch_load_b64 v[130:131], v129, off
	ds_load_b64 v[132:133], v128
	v_add_nc_u32_e32 v127, 1, v127
	v_add_nc_u32_e32 v128, 8, v128
	v_add_nc_u32_e32 v129, 8, v129
	s_delay_alu instid0(VALU_DEP_3)
	v_cmp_lt_u32_e32 vcc_lo, 1, v127
	s_or_b32 s1, vcc_lo, s1
	s_waitcnt vmcnt(0) lgkmcnt(0)
	v_fma_f64 v[1:2], v[130:131], v[132:133], v[1:2]
	s_and_not1_b32 exec_lo, exec_lo, s1
	s_cbranch_execnz .LBB123_21
; %bb.22:
	s_or_b32 exec_lo, exec_lo, s1
	v_mov_b32_e32 v127, 0
	ds_load_b64 v[127:128], v127 offset:24
	s_waitcnt lgkmcnt(0)
	v_mul_f64 v[1:2], v[1:2], v[127:128]
	scratch_store_b64 off, v[1:2], off offset:24
.LBB123_23:
	s_or_b32 exec_lo, exec_lo, s0
	s_waitcnt_vscnt null, 0x0
	s_barrier
	buffer_gl0_inv
	scratch_load_b64 v[1:2], off, off offset:32
	s_mov_b32 s0, exec_lo
	s_waitcnt vmcnt(0)
	ds_store_b64 v5, v[1:2]
	s_waitcnt lgkmcnt(0)
	s_barrier
	buffer_gl0_inv
	v_cmpx_gt_u32_e32 4, v0
	s_cbranch_execz .LBB123_27
; %bb.24:
	v_dual_mov_b32 v1, 0 :: v_dual_add_nc_u32 v128, 0x1e0, v3
	v_dual_mov_b32 v2, 0 :: v_dual_add_nc_u32 v127, -1, v0
	v_add_nc_u32_e32 v129, 0, v3
	s_mov_b32 s1, 0
.LBB123_25:                             ; =>This Inner Loop Header: Depth=1
	scratch_load_b64 v[130:131], v129, off
	ds_load_b64 v[132:133], v128
	v_add_nc_u32_e32 v127, 1, v127
	v_add_nc_u32_e32 v128, 8, v128
	v_add_nc_u32_e32 v129, 8, v129
	s_delay_alu instid0(VALU_DEP_3)
	v_cmp_lt_u32_e32 vcc_lo, 2, v127
	s_or_b32 s1, vcc_lo, s1
	s_waitcnt vmcnt(0) lgkmcnt(0)
	v_fma_f64 v[1:2], v[130:131], v[132:133], v[1:2]
	s_and_not1_b32 exec_lo, exec_lo, s1
	s_cbranch_execnz .LBB123_25
; %bb.26:
	s_or_b32 exec_lo, exec_lo, s1
	v_mov_b32_e32 v127, 0
	ds_load_b64 v[127:128], v127 offset:32
	s_waitcnt lgkmcnt(0)
	v_mul_f64 v[1:2], v[1:2], v[127:128]
	scratch_store_b64 off, v[1:2], off offset:32
.LBB123_27:
	s_or_b32 exec_lo, exec_lo, s0
	s_waitcnt_vscnt null, 0x0
	s_barrier
	buffer_gl0_inv
	scratch_load_b64 v[1:2], off, off offset:40
	;; [unrolled: 39-line block ×20, first 2 shown]
	s_mov_b32 s0, exec_lo
	s_waitcnt vmcnt(0)
	ds_store_b64 v5, v[1:2]
	s_waitcnt lgkmcnt(0)
	s_barrier
	buffer_gl0_inv
	v_cmpx_gt_u32_e32 23, v0
	s_cbranch_execz .LBB123_103
; %bb.100:
	v_dual_mov_b32 v1, 0 :: v_dual_add_nc_u32 v128, 0x1e0, v3
	v_dual_mov_b32 v2, 0 :: v_dual_add_nc_u32 v127, -1, v0
	v_add_nc_u32_e32 v129, 0, v3
	s_mov_b32 s1, 0
.LBB123_101:                            ; =>This Inner Loop Header: Depth=1
	scratch_load_b64 v[130:131], v129, off
	ds_load_b64 v[132:133], v128
	v_add_nc_u32_e32 v127, 1, v127
	v_add_nc_u32_e32 v128, 8, v128
	v_add_nc_u32_e32 v129, 8, v129
	s_delay_alu instid0(VALU_DEP_3)
	v_cmp_lt_u32_e32 vcc_lo, 21, v127
	s_or_b32 s1, vcc_lo, s1
	s_waitcnt vmcnt(0) lgkmcnt(0)
	v_fma_f64 v[1:2], v[130:131], v[132:133], v[1:2]
	s_and_not1_b32 exec_lo, exec_lo, s1
	s_cbranch_execnz .LBB123_101
; %bb.102:
	s_or_b32 exec_lo, exec_lo, s1
	v_mov_b32_e32 v127, 0
	ds_load_b64 v[127:128], v127 offset:184
	s_waitcnt lgkmcnt(0)
	v_mul_f64 v[1:2], v[1:2], v[127:128]
	scratch_store_b64 off, v[1:2], off offset:184
.LBB123_103:
	s_or_b32 exec_lo, exec_lo, s0
	s_waitcnt_vscnt null, 0x0
	s_barrier
	buffer_gl0_inv
	scratch_load_b64 v[1:2], off, off offset:192
	s_mov_b32 s0, exec_lo
	s_waitcnt vmcnt(0)
	ds_store_b64 v5, v[1:2]
	s_waitcnt lgkmcnt(0)
	s_barrier
	buffer_gl0_inv
	v_cmpx_gt_u32_e32 24, v0
	s_cbranch_execz .LBB123_107
; %bb.104:
	v_dual_mov_b32 v1, 0 :: v_dual_add_nc_u32 v128, 0x1e0, v3
	v_dual_mov_b32 v2, 0 :: v_dual_add_nc_u32 v127, -1, v0
	v_add_nc_u32_e32 v129, 0, v3
	s_mov_b32 s1, 0
.LBB123_105:                            ; =>This Inner Loop Header: Depth=1
	scratch_load_b64 v[130:131], v129, off
	ds_load_b64 v[132:133], v128
	v_add_nc_u32_e32 v127, 1, v127
	v_add_nc_u32_e32 v128, 8, v128
	v_add_nc_u32_e32 v129, 8, v129
	s_delay_alu instid0(VALU_DEP_3)
	v_cmp_lt_u32_e32 vcc_lo, 22, v127
	s_or_b32 s1, vcc_lo, s1
	s_waitcnt vmcnt(0) lgkmcnt(0)
	v_fma_f64 v[1:2], v[130:131], v[132:133], v[1:2]
	s_and_not1_b32 exec_lo, exec_lo, s1
	s_cbranch_execnz .LBB123_105
; %bb.106:
	s_or_b32 exec_lo, exec_lo, s1
	v_mov_b32_e32 v127, 0
	ds_load_b64 v[127:128], v127 offset:192
	s_waitcnt lgkmcnt(0)
	v_mul_f64 v[1:2], v[1:2], v[127:128]
	scratch_store_b64 off, v[1:2], off offset:192
.LBB123_107:
	s_or_b32 exec_lo, exec_lo, s0
	s_waitcnt_vscnt null, 0x0
	s_barrier
	buffer_gl0_inv
	scratch_load_b64 v[1:2], off, off offset:200
	;; [unrolled: 39-line block ×36, first 2 shown]
	s_mov_b32 s0, exec_lo
	s_waitcnt vmcnt(0)
	ds_store_b64 v5, v[1:2]
	s_waitcnt lgkmcnt(0)
	s_barrier
	buffer_gl0_inv
	v_cmpx_ne_u32_e32 59, v0
	s_cbranch_execz .LBB123_247
; %bb.244:
	v_mov_b32_e32 v1, 0
	v_mov_b32_e32 v2, 0
	s_mov_b32 s1, 0
.LBB123_245:                            ; =>This Inner Loop Header: Depth=1
	scratch_load_b64 v[127:128], v4, off
	ds_load_b64 v[129:130], v5
	v_add_nc_u32_e32 v126, 1, v126
	v_add_nc_u32_e32 v5, 8, v5
	;; [unrolled: 1-line block ×3, first 2 shown]
	s_delay_alu instid0(VALU_DEP_3)
	v_cmp_lt_u32_e32 vcc_lo, 57, v126
	s_or_b32 s1, vcc_lo, s1
	s_waitcnt vmcnt(0) lgkmcnt(0)
	v_fma_f64 v[1:2], v[127:128], v[129:130], v[1:2]
	s_and_not1_b32 exec_lo, exec_lo, s1
	s_cbranch_execnz .LBB123_245
; %bb.246:
	s_or_b32 exec_lo, exec_lo, s1
	v_mov_b32_e32 v3, 0
	ds_load_b64 v[3:4], v3 offset:472
	s_waitcnt lgkmcnt(0)
	v_mul_f64 v[1:2], v[1:2], v[3:4]
	scratch_store_b64 off, v[1:2], off offset:472
.LBB123_247:
	s_or_b32 exec_lo, exec_lo, s0
	s_mov_b32 s1, -1
	s_waitcnt_vscnt null, 0x0
	s_barrier
	buffer_gl0_inv
.LBB123_248:
	s_and_b32 vcc_lo, exec_lo, s1
	s_cbranch_vccz .LBB123_250
; %bb.249:
	s_lshl_b64 s[0:1], s[8:9], 2
	v_mov_b32_e32 v1, 0
	s_add_u32 s0, s6, s0
	s_addc_u32 s1, s7, s1
	global_load_b32 v1, v1, s[0:1]
	s_waitcnt vmcnt(0)
	v_cmp_ne_u32_e32 vcc_lo, 0, v1
	s_cbranch_vccz .LBB123_251
.LBB123_250:
	s_endpgm
.LBB123_251:
	v_lshl_add_u32 v5, v0, 3, 0x1e0
	s_mov_b32 s0, exec_lo
	v_cmpx_eq_u32_e32 59, v0
	s_cbranch_execz .LBB123_253
; %bb.252:
	scratch_load_b64 v[1:2], off, off offset:464
	v_mov_b32_e32 v3, 0
	s_delay_alu instid0(VALU_DEP_1)
	v_mov_b32_e32 v4, v3
	scratch_store_b64 off, v[3:4], off offset:464
	s_waitcnt vmcnt(0)
	ds_store_b64 v5, v[1:2]
.LBB123_253:
	s_or_b32 exec_lo, exec_lo, s0
	s_waitcnt lgkmcnt(0)
	s_waitcnt_vscnt null, 0x0
	s_barrier
	buffer_gl0_inv
	scratch_load_b128 v[126:129], off, off offset:464
	v_mov_b32_e32 v1, 0
	s_mov_b32 s0, exec_lo
	ds_load_b64 v[2:3], v1 offset:952
	s_waitcnt vmcnt(0) lgkmcnt(0)
	v_fma_f64 v[2:3], v[128:129], v[2:3], 0
	s_delay_alu instid0(VALU_DEP_1)
	v_add_f64 v[2:3], v[126:127], -v[2:3]
	scratch_store_b64 off, v[2:3], off offset:464
	v_cmpx_lt_u32_e32 57, v0
	s_cbranch_execz .LBB123_255
; %bb.254:
	scratch_load_b64 v[3:4], off, off offset:456
	v_mov_b32_e32 v2, v1
	scratch_store_b64 off, v[1:2], off offset:456
	s_waitcnt vmcnt(0)
	ds_store_b64 v5, v[3:4]
.LBB123_255:
	s_or_b32 exec_lo, exec_lo, s0
	s_waitcnt lgkmcnt(0)
	s_waitcnt_vscnt null, 0x0
	s_barrier
	buffer_gl0_inv
	s_clause 0x1
	scratch_load_b128 v[126:129], off, off offset:456
	scratch_load_b64 v[130:131], off, off offset:472
	ds_load_b128 v[1:4], v1 offset:944
	s_mov_b32 s0, exec_lo
	s_waitcnt vmcnt(1) lgkmcnt(0)
	v_fma_f64 v[1:2], v[128:129], v[1:2], 0
	s_waitcnt vmcnt(0)
	s_delay_alu instid0(VALU_DEP_1) | instskip(NEXT) | instid1(VALU_DEP_1)
	v_fma_f64 v[1:2], v[130:131], v[3:4], v[1:2]
	v_add_f64 v[1:2], v[126:127], -v[1:2]
	scratch_store_b64 off, v[1:2], off offset:456
	v_cmpx_lt_u32_e32 56, v0
	s_cbranch_execz .LBB123_257
; %bb.256:
	scratch_load_b64 v[1:2], off, off offset:448
	v_mov_b32_e32 v3, 0
	s_delay_alu instid0(VALU_DEP_1)
	v_mov_b32_e32 v4, v3
	scratch_store_b64 off, v[3:4], off offset:448
	s_waitcnt vmcnt(0)
	ds_store_b64 v5, v[1:2]
.LBB123_257:
	s_or_b32 exec_lo, exec_lo, s0
	s_waitcnt lgkmcnt(0)
	s_waitcnt_vscnt null, 0x0
	s_barrier
	buffer_gl0_inv
	s_clause 0x1
	scratch_load_b128 v[126:129], off, off offset:448
	scratch_load_b128 v[130:133], off, off offset:464
	v_mov_b32_e32 v1, 0
	ds_load_2addr_b64 v[134:137], v1 offset0:117 offset1:118
	ds_load_b64 v[2:3], v1 offset:952
	s_mov_b32 s0, exec_lo
	s_waitcnt vmcnt(1) lgkmcnt(1)
	v_fma_f64 v[128:129], v[128:129], v[134:135], 0
	s_waitcnt vmcnt(0)
	s_delay_alu instid0(VALU_DEP_1) | instskip(SKIP_1) | instid1(VALU_DEP_1)
	v_fma_f64 v[128:129], v[130:131], v[136:137], v[128:129]
	s_waitcnt lgkmcnt(0)
	v_fma_f64 v[2:3], v[132:133], v[2:3], v[128:129]
	s_delay_alu instid0(VALU_DEP_1)
	v_add_f64 v[2:3], v[126:127], -v[2:3]
	scratch_store_b64 off, v[2:3], off offset:448
	v_cmpx_lt_u32_e32 55, v0
	s_cbranch_execz .LBB123_259
; %bb.258:
	scratch_load_b64 v[3:4], off, off offset:440
	v_mov_b32_e32 v2, v1
	scratch_store_b64 off, v[1:2], off offset:440
	s_waitcnt vmcnt(0)
	ds_store_b64 v5, v[3:4]
.LBB123_259:
	s_or_b32 exec_lo, exec_lo, s0
	s_waitcnt lgkmcnt(0)
	s_waitcnt_vscnt null, 0x0
	s_barrier
	buffer_gl0_inv
	s_clause 0x2
	scratch_load_b128 v[126:129], off, off offset:440
	scratch_load_b128 v[130:133], off, off offset:456
	scratch_load_b64 v[138:139], off, off offset:472
	ds_load_b128 v[134:137], v1 offset:928
	ds_load_b128 v[1:4], v1 offset:944
	s_mov_b32 s0, exec_lo
	s_waitcnt vmcnt(2) lgkmcnt(1)
	v_fma_f64 v[128:129], v[128:129], v[134:135], 0
	s_waitcnt vmcnt(1)
	s_delay_alu instid0(VALU_DEP_1) | instskip(SKIP_1) | instid1(VALU_DEP_1)
	v_fma_f64 v[128:129], v[130:131], v[136:137], v[128:129]
	s_waitcnt lgkmcnt(0)
	v_fma_f64 v[1:2], v[132:133], v[1:2], v[128:129]
	s_waitcnt vmcnt(0)
	s_delay_alu instid0(VALU_DEP_1) | instskip(NEXT) | instid1(VALU_DEP_1)
	v_fma_f64 v[1:2], v[138:139], v[3:4], v[1:2]
	v_add_f64 v[1:2], v[126:127], -v[1:2]
	scratch_store_b64 off, v[1:2], off offset:440
	v_cmpx_lt_u32_e32 54, v0
	s_cbranch_execz .LBB123_261
; %bb.260:
	scratch_load_b64 v[1:2], off, off offset:432
	v_mov_b32_e32 v3, 0
	s_delay_alu instid0(VALU_DEP_1)
	v_mov_b32_e32 v4, v3
	scratch_store_b64 off, v[3:4], off offset:432
	s_waitcnt vmcnt(0)
	ds_store_b64 v5, v[1:2]
.LBB123_261:
	s_or_b32 exec_lo, exec_lo, s0
	s_waitcnt lgkmcnt(0)
	s_waitcnt_vscnt null, 0x0
	s_barrier
	buffer_gl0_inv
	s_clause 0x2
	scratch_load_b128 v[126:129], off, off offset:432
	scratch_load_b128 v[130:133], off, off offset:448
	;; [unrolled: 1-line block ×3, first 2 shown]
	v_mov_b32_e32 v1, 0
	s_mov_b32 s0, exec_lo
	ds_load_2addr_b64 v[138:141], v1 offset0:115 offset1:116
	s_waitcnt vmcnt(2) lgkmcnt(0)
	v_fma_f64 v[2:3], v[128:129], v[138:139], 0
	s_waitcnt vmcnt(1)
	s_delay_alu instid0(VALU_DEP_1)
	v_fma_f64 v[2:3], v[130:131], v[140:141], v[2:3]
	ds_load_2addr_b64 v[128:131], v1 offset0:117 offset1:118
	s_waitcnt lgkmcnt(0)
	v_fma_f64 v[2:3], v[132:133], v[128:129], v[2:3]
	ds_load_b64 v[128:129], v1 offset:952
	s_waitcnt vmcnt(0)
	v_fma_f64 v[2:3], v[134:135], v[130:131], v[2:3]
	s_waitcnt lgkmcnt(0)
	s_delay_alu instid0(VALU_DEP_1) | instskip(NEXT) | instid1(VALU_DEP_1)
	v_fma_f64 v[2:3], v[136:137], v[128:129], v[2:3]
	v_add_f64 v[2:3], v[126:127], -v[2:3]
	scratch_store_b64 off, v[2:3], off offset:432
	v_cmpx_lt_u32_e32 53, v0
	s_cbranch_execz .LBB123_263
; %bb.262:
	scratch_load_b64 v[3:4], off, off offset:424
	v_mov_b32_e32 v2, v1
	scratch_store_b64 off, v[1:2], off offset:424
	s_waitcnt vmcnt(0)
	ds_store_b64 v5, v[3:4]
.LBB123_263:
	s_or_b32 exec_lo, exec_lo, s0
	s_waitcnt lgkmcnt(0)
	s_waitcnt_vscnt null, 0x0
	s_barrier
	buffer_gl0_inv
	s_clause 0x3
	scratch_load_b128 v[126:129], off, off offset:424
	scratch_load_b128 v[130:133], off, off offset:440
	;; [unrolled: 1-line block ×3, first 2 shown]
	scratch_load_b64 v[142:143], off, off offset:472
	ds_load_b128 v[138:141], v1 offset:912
	s_mov_b32 s0, exec_lo
	s_waitcnt vmcnt(3) lgkmcnt(0)
	v_fma_f64 v[2:3], v[128:129], v[138:139], 0
	s_waitcnt vmcnt(2)
	s_delay_alu instid0(VALU_DEP_1) | instskip(SKIP_4) | instid1(VALU_DEP_1)
	v_fma_f64 v[2:3], v[130:131], v[140:141], v[2:3]
	ds_load_b128 v[128:131], v1 offset:928
	s_waitcnt lgkmcnt(0)
	v_fma_f64 v[2:3], v[132:133], v[128:129], v[2:3]
	s_waitcnt vmcnt(1)
	v_fma_f64 v[128:129], v[134:135], v[130:131], v[2:3]
	ds_load_b128 v[1:4], v1 offset:944
	s_waitcnt lgkmcnt(0)
	v_fma_f64 v[1:2], v[136:137], v[1:2], v[128:129]
	s_waitcnt vmcnt(0)
	s_delay_alu instid0(VALU_DEP_1) | instskip(NEXT) | instid1(VALU_DEP_1)
	v_fma_f64 v[1:2], v[142:143], v[3:4], v[1:2]
	v_add_f64 v[1:2], v[126:127], -v[1:2]
	scratch_store_b64 off, v[1:2], off offset:424
	v_cmpx_lt_u32_e32 52, v0
	s_cbranch_execz .LBB123_265
; %bb.264:
	scratch_load_b64 v[1:2], off, off offset:416
	v_mov_b32_e32 v3, 0
	s_delay_alu instid0(VALU_DEP_1)
	v_mov_b32_e32 v4, v3
	scratch_store_b64 off, v[3:4], off offset:416
	s_waitcnt vmcnt(0)
	ds_store_b64 v5, v[1:2]
.LBB123_265:
	s_or_b32 exec_lo, exec_lo, s0
	s_waitcnt lgkmcnt(0)
	s_waitcnt_vscnt null, 0x0
	s_barrier
	buffer_gl0_inv
	s_clause 0x3
	scratch_load_b128 v[126:129], off, off offset:416
	scratch_load_b128 v[130:133], off, off offset:432
	;; [unrolled: 1-line block ×4, first 2 shown]
	v_mov_b32_e32 v1, 0
	s_mov_b32 s0, exec_lo
	ds_load_2addr_b64 v[142:145], v1 offset0:113 offset1:114
	s_waitcnt vmcnt(3) lgkmcnt(0)
	v_fma_f64 v[2:3], v[128:129], v[142:143], 0
	s_waitcnt vmcnt(2)
	s_delay_alu instid0(VALU_DEP_1) | instskip(SKIP_4) | instid1(VALU_DEP_1)
	v_fma_f64 v[2:3], v[130:131], v[144:145], v[2:3]
	ds_load_2addr_b64 v[128:131], v1 offset0:115 offset1:116
	s_waitcnt lgkmcnt(0)
	v_fma_f64 v[2:3], v[132:133], v[128:129], v[2:3]
	s_waitcnt vmcnt(1)
	v_fma_f64 v[2:3], v[134:135], v[130:131], v[2:3]
	ds_load_2addr_b64 v[128:131], v1 offset0:117 offset1:118
	s_waitcnt lgkmcnt(0)
	v_fma_f64 v[2:3], v[136:137], v[128:129], v[2:3]
	ds_load_b64 v[128:129], v1 offset:952
	s_waitcnt vmcnt(0)
	v_fma_f64 v[2:3], v[138:139], v[130:131], v[2:3]
	s_waitcnt lgkmcnt(0)
	s_delay_alu instid0(VALU_DEP_1) | instskip(NEXT) | instid1(VALU_DEP_1)
	v_fma_f64 v[2:3], v[140:141], v[128:129], v[2:3]
	v_add_f64 v[2:3], v[126:127], -v[2:3]
	scratch_store_b64 off, v[2:3], off offset:416
	v_cmpx_lt_u32_e32 51, v0
	s_cbranch_execz .LBB123_267
; %bb.266:
	scratch_load_b64 v[3:4], off, off offset:408
	v_mov_b32_e32 v2, v1
	scratch_store_b64 off, v[1:2], off offset:408
	s_waitcnt vmcnt(0)
	ds_store_b64 v5, v[3:4]
.LBB123_267:
	s_or_b32 exec_lo, exec_lo, s0
	s_waitcnt lgkmcnt(0)
	s_waitcnt_vscnt null, 0x0
	s_barrier
	buffer_gl0_inv
	s_clause 0x4
	scratch_load_b128 v[126:129], off, off offset:408
	scratch_load_b128 v[130:133], off, off offset:424
	;; [unrolled: 1-line block ×4, first 2 shown]
	scratch_load_b64 v[150:151], off, off offset:472
	ds_load_b128 v[142:145], v1 offset:896
	ds_load_b128 v[146:149], v1 offset:912
	s_mov_b32 s0, exec_lo
	s_waitcnt vmcnt(4) lgkmcnt(1)
	v_fma_f64 v[2:3], v[128:129], v[142:143], 0
	s_waitcnt vmcnt(3)
	s_delay_alu instid0(VALU_DEP_1) | instskip(SKIP_1) | instid1(VALU_DEP_1)
	v_fma_f64 v[2:3], v[130:131], v[144:145], v[2:3]
	s_waitcnt lgkmcnt(0)
	v_fma_f64 v[2:3], v[132:133], v[146:147], v[2:3]
	s_waitcnt vmcnt(2)
	s_delay_alu instid0(VALU_DEP_1)
	v_fma_f64 v[132:133], v[134:135], v[148:149], v[2:3]
	ds_load_b128 v[128:131], v1 offset:928
	ds_load_b128 v[1:4], v1 offset:944
	s_waitcnt lgkmcnt(1)
	v_fma_f64 v[128:129], v[136:137], v[128:129], v[132:133]
	s_waitcnt vmcnt(1)
	s_delay_alu instid0(VALU_DEP_1) | instskip(SKIP_1) | instid1(VALU_DEP_1)
	v_fma_f64 v[128:129], v[138:139], v[130:131], v[128:129]
	s_waitcnt lgkmcnt(0)
	v_fma_f64 v[1:2], v[140:141], v[1:2], v[128:129]
	s_waitcnt vmcnt(0)
	s_delay_alu instid0(VALU_DEP_1) | instskip(NEXT) | instid1(VALU_DEP_1)
	v_fma_f64 v[1:2], v[150:151], v[3:4], v[1:2]
	v_add_f64 v[1:2], v[126:127], -v[1:2]
	scratch_store_b64 off, v[1:2], off offset:408
	v_cmpx_lt_u32_e32 50, v0
	s_cbranch_execz .LBB123_269
; %bb.268:
	scratch_load_b64 v[1:2], off, off offset:400
	v_mov_b32_e32 v3, 0
	s_delay_alu instid0(VALU_DEP_1)
	v_mov_b32_e32 v4, v3
	scratch_store_b64 off, v[3:4], off offset:400
	s_waitcnt vmcnt(0)
	ds_store_b64 v5, v[1:2]
.LBB123_269:
	s_or_b32 exec_lo, exec_lo, s0
	s_waitcnt lgkmcnt(0)
	s_waitcnt_vscnt null, 0x0
	s_barrier
	buffer_gl0_inv
	s_clause 0x4
	scratch_load_b128 v[126:129], off, off offset:400
	scratch_load_b128 v[130:133], off, off offset:416
	;; [unrolled: 1-line block ×5, first 2 shown]
	v_mov_b32_e32 v1, 0
	ds_load_2addr_b64 v[146:149], v1 offset0:111 offset1:112
	ds_load_2addr_b64 v[150:153], v1 offset0:113 offset1:114
	s_mov_b32 s0, exec_lo
	s_waitcnt vmcnt(4) lgkmcnt(1)
	v_fma_f64 v[2:3], v[128:129], v[146:147], 0
	s_waitcnt vmcnt(3)
	s_delay_alu instid0(VALU_DEP_1) | instskip(SKIP_1) | instid1(VALU_DEP_1)
	v_fma_f64 v[2:3], v[130:131], v[148:149], v[2:3]
	s_waitcnt lgkmcnt(0)
	v_fma_f64 v[2:3], v[132:133], v[150:151], v[2:3]
	s_waitcnt vmcnt(2)
	s_delay_alu instid0(VALU_DEP_1)
	v_fma_f64 v[2:3], v[134:135], v[152:153], v[2:3]
	ds_load_2addr_b64 v[128:131], v1 offset0:115 offset1:116
	ds_load_2addr_b64 v[132:135], v1 offset0:117 offset1:118
	s_waitcnt lgkmcnt(1)
	v_fma_f64 v[2:3], v[136:137], v[128:129], v[2:3]
	ds_load_b64 v[128:129], v1 offset:952
	s_waitcnt vmcnt(1)
	v_fma_f64 v[2:3], v[138:139], v[130:131], v[2:3]
	s_waitcnt lgkmcnt(1)
	s_delay_alu instid0(VALU_DEP_1) | instskip(SKIP_1) | instid1(VALU_DEP_1)
	v_fma_f64 v[2:3], v[140:141], v[132:133], v[2:3]
	s_waitcnt vmcnt(0)
	v_fma_f64 v[2:3], v[142:143], v[134:135], v[2:3]
	s_waitcnt lgkmcnt(0)
	s_delay_alu instid0(VALU_DEP_1) | instskip(NEXT) | instid1(VALU_DEP_1)
	v_fma_f64 v[2:3], v[144:145], v[128:129], v[2:3]
	v_add_f64 v[2:3], v[126:127], -v[2:3]
	scratch_store_b64 off, v[2:3], off offset:400
	v_cmpx_lt_u32_e32 49, v0
	s_cbranch_execz .LBB123_271
; %bb.270:
	scratch_load_b64 v[3:4], off, off offset:392
	v_mov_b32_e32 v2, v1
	scratch_store_b64 off, v[1:2], off offset:392
	s_waitcnt vmcnt(0)
	ds_store_b64 v5, v[3:4]
.LBB123_271:
	s_or_b32 exec_lo, exec_lo, s0
	s_waitcnt lgkmcnt(0)
	s_waitcnt_vscnt null, 0x0
	s_barrier
	buffer_gl0_inv
	s_clause 0x4
	scratch_load_b128 v[126:129], off, off offset:392
	scratch_load_b128 v[130:133], off, off offset:408
	;; [unrolled: 1-line block ×5, first 2 shown]
	ds_load_b128 v[146:149], v1 offset:880
	ds_load_b128 v[150:153], v1 offset:896
	s_mov_b32 s0, exec_lo
	s_waitcnt vmcnt(4) lgkmcnt(1)
	v_fma_f64 v[2:3], v[128:129], v[146:147], 0
	scratch_load_b64 v[146:147], off, off offset:472
	s_waitcnt vmcnt(4)
	v_fma_f64 v[2:3], v[130:131], v[148:149], v[2:3]
	s_waitcnt lgkmcnt(0)
	s_delay_alu instid0(VALU_DEP_1) | instskip(SKIP_1) | instid1(VALU_DEP_1)
	v_fma_f64 v[2:3], v[132:133], v[150:151], v[2:3]
	s_waitcnt vmcnt(3)
	v_fma_f64 v[2:3], v[134:135], v[152:153], v[2:3]
	ds_load_b128 v[128:131], v1 offset:912
	ds_load_b128 v[132:135], v1 offset:928
	s_waitcnt lgkmcnt(1)
	v_fma_f64 v[2:3], v[136:137], v[128:129], v[2:3]
	s_waitcnt vmcnt(2)
	s_delay_alu instid0(VALU_DEP_1) | instskip(SKIP_1) | instid1(VALU_DEP_1)
	v_fma_f64 v[2:3], v[138:139], v[130:131], v[2:3]
	s_waitcnt lgkmcnt(0)
	v_fma_f64 v[2:3], v[140:141], v[132:133], v[2:3]
	s_waitcnt vmcnt(1)
	s_delay_alu instid0(VALU_DEP_1) | instskip(SKIP_4) | instid1(VALU_DEP_1)
	v_fma_f64 v[128:129], v[142:143], v[134:135], v[2:3]
	ds_load_b128 v[1:4], v1 offset:944
	s_waitcnt lgkmcnt(0)
	v_fma_f64 v[1:2], v[144:145], v[1:2], v[128:129]
	s_waitcnt vmcnt(0)
	v_fma_f64 v[1:2], v[146:147], v[3:4], v[1:2]
	s_delay_alu instid0(VALU_DEP_1)
	v_add_f64 v[1:2], v[126:127], -v[1:2]
	scratch_store_b64 off, v[1:2], off offset:392
	v_cmpx_lt_u32_e32 48, v0
	s_cbranch_execz .LBB123_273
; %bb.272:
	scratch_load_b64 v[1:2], off, off offset:384
	v_mov_b32_e32 v3, 0
	s_delay_alu instid0(VALU_DEP_1)
	v_mov_b32_e32 v4, v3
	scratch_store_b64 off, v[3:4], off offset:384
	s_waitcnt vmcnt(0)
	ds_store_b64 v5, v[1:2]
.LBB123_273:
	s_or_b32 exec_lo, exec_lo, s0
	s_waitcnt lgkmcnt(0)
	s_waitcnt_vscnt null, 0x0
	s_barrier
	buffer_gl0_inv
	s_clause 0x4
	scratch_load_b128 v[126:129], off, off offset:384
	scratch_load_b128 v[130:133], off, off offset:400
	;; [unrolled: 1-line block ×5, first 2 shown]
	v_mov_b32_e32 v1, 0
	ds_load_2addr_b64 v[146:149], v1 offset0:109 offset1:110
	ds_load_2addr_b64 v[150:153], v1 offset0:111 offset1:112
	scratch_load_b128 v[154:157], off, off offset:464
	s_mov_b32 s0, exec_lo
	s_waitcnt vmcnt(5) lgkmcnt(1)
	v_fma_f64 v[2:3], v[128:129], v[146:147], 0
	s_waitcnt vmcnt(4)
	s_delay_alu instid0(VALU_DEP_1) | instskip(SKIP_1) | instid1(VALU_DEP_1)
	v_fma_f64 v[2:3], v[130:131], v[148:149], v[2:3]
	s_waitcnt lgkmcnt(0)
	v_fma_f64 v[2:3], v[132:133], v[150:151], v[2:3]
	s_waitcnt vmcnt(3)
	s_delay_alu instid0(VALU_DEP_1)
	v_fma_f64 v[2:3], v[134:135], v[152:153], v[2:3]
	ds_load_2addr_b64 v[128:131], v1 offset0:113 offset1:114
	ds_load_2addr_b64 v[132:135], v1 offset0:115 offset1:116
	s_waitcnt lgkmcnt(1)
	v_fma_f64 v[2:3], v[136:137], v[128:129], v[2:3]
	s_waitcnt vmcnt(2)
	s_delay_alu instid0(VALU_DEP_1) | instskip(SKIP_1) | instid1(VALU_DEP_1)
	v_fma_f64 v[2:3], v[138:139], v[130:131], v[2:3]
	s_waitcnt lgkmcnt(0)
	v_fma_f64 v[2:3], v[140:141], v[132:133], v[2:3]
	ds_load_2addr_b64 v[128:131], v1 offset0:117 offset1:118
	ds_load_b64 v[132:133], v1 offset:952
	s_waitcnt vmcnt(1)
	v_fma_f64 v[2:3], v[142:143], v[134:135], v[2:3]
	s_waitcnt lgkmcnt(1)
	s_delay_alu instid0(VALU_DEP_1) | instskip(SKIP_1) | instid1(VALU_DEP_1)
	v_fma_f64 v[2:3], v[144:145], v[128:129], v[2:3]
	s_waitcnt vmcnt(0)
	v_fma_f64 v[2:3], v[154:155], v[130:131], v[2:3]
	s_waitcnt lgkmcnt(0)
	s_delay_alu instid0(VALU_DEP_1) | instskip(NEXT) | instid1(VALU_DEP_1)
	v_fma_f64 v[2:3], v[156:157], v[132:133], v[2:3]
	v_add_f64 v[2:3], v[126:127], -v[2:3]
	scratch_store_b64 off, v[2:3], off offset:384
	v_cmpx_lt_u32_e32 47, v0
	s_cbranch_execz .LBB123_275
; %bb.274:
	scratch_load_b64 v[3:4], off, off offset:376
	v_mov_b32_e32 v2, v1
	scratch_store_b64 off, v[1:2], off offset:376
	s_waitcnt vmcnt(0)
	ds_store_b64 v5, v[3:4]
.LBB123_275:
	s_or_b32 exec_lo, exec_lo, s0
	s_waitcnt lgkmcnt(0)
	s_waitcnt_vscnt null, 0x0
	s_barrier
	buffer_gl0_inv
	s_clause 0x4
	scratch_load_b128 v[126:129], off, off offset:376
	scratch_load_b128 v[130:133], off, off offset:392
	;; [unrolled: 1-line block ×5, first 2 shown]
	ds_load_b128 v[146:149], v1 offset:864
	ds_load_b128 v[150:153], v1 offset:880
	scratch_load_b128 v[154:157], off, off offset:456
	s_mov_b32 s0, exec_lo
	s_waitcnt vmcnt(5) lgkmcnt(1)
	v_fma_f64 v[2:3], v[128:129], v[146:147], 0
	scratch_load_b64 v[146:147], off, off offset:472
	s_waitcnt vmcnt(5)
	v_fma_f64 v[2:3], v[130:131], v[148:149], v[2:3]
	s_waitcnt lgkmcnt(0)
	s_delay_alu instid0(VALU_DEP_1) | instskip(SKIP_1) | instid1(VALU_DEP_1)
	v_fma_f64 v[2:3], v[132:133], v[150:151], v[2:3]
	s_waitcnt vmcnt(4)
	v_fma_f64 v[2:3], v[134:135], v[152:153], v[2:3]
	ds_load_b128 v[128:131], v1 offset:896
	ds_load_b128 v[132:135], v1 offset:912
	s_waitcnt lgkmcnt(1)
	v_fma_f64 v[2:3], v[136:137], v[128:129], v[2:3]
	s_waitcnt vmcnt(3)
	s_delay_alu instid0(VALU_DEP_1) | instskip(SKIP_1) | instid1(VALU_DEP_1)
	v_fma_f64 v[2:3], v[138:139], v[130:131], v[2:3]
	s_waitcnt lgkmcnt(0)
	v_fma_f64 v[2:3], v[140:141], v[132:133], v[2:3]
	s_waitcnt vmcnt(2)
	s_delay_alu instid0(VALU_DEP_1)
	v_fma_f64 v[132:133], v[142:143], v[134:135], v[2:3]
	ds_load_b128 v[128:131], v1 offset:928
	ds_load_b128 v[1:4], v1 offset:944
	s_waitcnt lgkmcnt(1)
	v_fma_f64 v[128:129], v[144:145], v[128:129], v[132:133]
	s_waitcnt vmcnt(1)
	s_delay_alu instid0(VALU_DEP_1) | instskip(SKIP_1) | instid1(VALU_DEP_1)
	v_fma_f64 v[128:129], v[154:155], v[130:131], v[128:129]
	s_waitcnt lgkmcnt(0)
	v_fma_f64 v[1:2], v[156:157], v[1:2], v[128:129]
	s_waitcnt vmcnt(0)
	s_delay_alu instid0(VALU_DEP_1) | instskip(NEXT) | instid1(VALU_DEP_1)
	v_fma_f64 v[1:2], v[146:147], v[3:4], v[1:2]
	v_add_f64 v[1:2], v[126:127], -v[1:2]
	scratch_store_b64 off, v[1:2], off offset:376
	v_cmpx_lt_u32_e32 46, v0
	s_cbranch_execz .LBB123_277
; %bb.276:
	scratch_load_b64 v[1:2], off, off offset:368
	v_mov_b32_e32 v3, 0
	s_delay_alu instid0(VALU_DEP_1)
	v_mov_b32_e32 v4, v3
	scratch_store_b64 off, v[3:4], off offset:368
	s_waitcnt vmcnt(0)
	ds_store_b64 v5, v[1:2]
.LBB123_277:
	s_or_b32 exec_lo, exec_lo, s0
	s_waitcnt lgkmcnt(0)
	s_waitcnt_vscnt null, 0x0
	s_barrier
	buffer_gl0_inv
	s_clause 0x4
	scratch_load_b128 v[126:129], off, off offset:368
	scratch_load_b128 v[130:133], off, off offset:384
	;; [unrolled: 1-line block ×5, first 2 shown]
	v_mov_b32_e32 v1, 0
	ds_load_2addr_b64 v[146:149], v1 offset0:107 offset1:108
	ds_load_2addr_b64 v[150:153], v1 offset0:109 offset1:110
	scratch_load_b128 v[154:157], off, off offset:448
	s_mov_b32 s0, exec_lo
	s_waitcnt vmcnt(5) lgkmcnt(1)
	v_fma_f64 v[2:3], v[128:129], v[146:147], 0
	s_waitcnt vmcnt(4)
	s_delay_alu instid0(VALU_DEP_1) | instskip(SKIP_4) | instid1(VALU_DEP_1)
	v_fma_f64 v[2:3], v[130:131], v[148:149], v[2:3]
	scratch_load_b128 v[128:131], off, off offset:464
	s_waitcnt lgkmcnt(0)
	v_fma_f64 v[2:3], v[132:133], v[150:151], v[2:3]
	s_waitcnt vmcnt(4)
	v_fma_f64 v[2:3], v[134:135], v[152:153], v[2:3]
	ds_load_2addr_b64 v[132:135], v1 offset0:111 offset1:112
	ds_load_2addr_b64 v[146:149], v1 offset0:113 offset1:114
	s_waitcnt lgkmcnt(1)
	v_fma_f64 v[2:3], v[136:137], v[132:133], v[2:3]
	s_waitcnt vmcnt(3)
	s_delay_alu instid0(VALU_DEP_1)
	v_fma_f64 v[2:3], v[138:139], v[134:135], v[2:3]
	ds_load_2addr_b64 v[132:135], v1 offset0:115 offset1:116
	ds_load_2addr_b64 v[136:139], v1 offset0:117 offset1:118
	s_waitcnt lgkmcnt(2)
	v_fma_f64 v[2:3], v[140:141], v[146:147], v[2:3]
	s_waitcnt vmcnt(2)
	s_delay_alu instid0(VALU_DEP_1) | instskip(SKIP_1) | instid1(VALU_DEP_1)
	v_fma_f64 v[2:3], v[142:143], v[148:149], v[2:3]
	s_waitcnt lgkmcnt(1)
	v_fma_f64 v[2:3], v[144:145], v[132:133], v[2:3]
	s_waitcnt vmcnt(1)
	s_delay_alu instid0(VALU_DEP_1) | instskip(SKIP_1) | instid1(VALU_DEP_1)
	v_fma_f64 v[2:3], v[154:155], v[134:135], v[2:3]
	s_waitcnt lgkmcnt(0)
	v_fma_f64 v[2:3], v[156:157], v[136:137], v[2:3]
	s_waitcnt vmcnt(0)
	s_delay_alu instid0(VALU_DEP_1) | instskip(SKIP_3) | instid1(VALU_DEP_1)
	v_fma_f64 v[2:3], v[128:129], v[138:139], v[2:3]
	ds_load_b64 v[128:129], v1 offset:952
	s_waitcnt lgkmcnt(0)
	v_fma_f64 v[2:3], v[130:131], v[128:129], v[2:3]
	v_add_f64 v[2:3], v[126:127], -v[2:3]
	scratch_store_b64 off, v[2:3], off offset:368
	v_cmpx_lt_u32_e32 45, v0
	s_cbranch_execz .LBB123_279
; %bb.278:
	scratch_load_b64 v[3:4], off, off offset:360
	v_mov_b32_e32 v2, v1
	scratch_store_b64 off, v[1:2], off offset:360
	s_waitcnt vmcnt(0)
	ds_store_b64 v5, v[3:4]
.LBB123_279:
	s_or_b32 exec_lo, exec_lo, s0
	s_waitcnt lgkmcnt(0)
	s_waitcnt_vscnt null, 0x0
	s_barrier
	buffer_gl0_inv
	s_clause 0x4
	scratch_load_b128 v[126:129], off, off offset:360
	scratch_load_b128 v[130:133], off, off offset:376
	;; [unrolled: 1-line block ×5, first 2 shown]
	ds_load_b128 v[146:149], v1 offset:848
	ds_load_b128 v[150:153], v1 offset:864
	scratch_load_b128 v[154:157], off, off offset:440
	s_mov_b32 s0, exec_lo
	s_waitcnt vmcnt(5) lgkmcnt(1)
	v_fma_f64 v[2:3], v[128:129], v[146:147], 0
	s_waitcnt vmcnt(4)
	s_delay_alu instid0(VALU_DEP_1) | instskip(SKIP_4) | instid1(VALU_DEP_1)
	v_fma_f64 v[2:3], v[130:131], v[148:149], v[2:3]
	scratch_load_b128 v[128:131], off, off offset:456
	s_waitcnt lgkmcnt(0)
	v_fma_f64 v[2:3], v[132:133], v[150:151], v[2:3]
	s_waitcnt vmcnt(4)
	v_fma_f64 v[2:3], v[134:135], v[152:153], v[2:3]
	ds_load_b128 v[132:135], v1 offset:880
	ds_load_b128 v[146:149], v1 offset:896
	scratch_load_b64 v[150:151], off, off offset:472
	s_waitcnt lgkmcnt(1)
	v_fma_f64 v[2:3], v[136:137], v[132:133], v[2:3]
	s_waitcnt vmcnt(4)
	s_delay_alu instid0(VALU_DEP_1)
	v_fma_f64 v[2:3], v[138:139], v[134:135], v[2:3]
	ds_load_b128 v[132:135], v1 offset:912
	ds_load_b128 v[136:139], v1 offset:928
	s_waitcnt lgkmcnt(2)
	v_fma_f64 v[2:3], v[140:141], v[146:147], v[2:3]
	s_waitcnt vmcnt(3)
	s_delay_alu instid0(VALU_DEP_1) | instskip(SKIP_1) | instid1(VALU_DEP_1)
	v_fma_f64 v[2:3], v[142:143], v[148:149], v[2:3]
	s_waitcnt lgkmcnt(1)
	v_fma_f64 v[2:3], v[144:145], v[132:133], v[2:3]
	s_waitcnt vmcnt(2)
	s_delay_alu instid0(VALU_DEP_1) | instskip(SKIP_1) | instid1(VALU_DEP_1)
	v_fma_f64 v[2:3], v[154:155], v[134:135], v[2:3]
	s_waitcnt lgkmcnt(0)
	v_fma_f64 v[2:3], v[156:157], v[136:137], v[2:3]
	s_waitcnt vmcnt(1)
	s_delay_alu instid0(VALU_DEP_1) | instskip(SKIP_4) | instid1(VALU_DEP_1)
	v_fma_f64 v[128:129], v[128:129], v[138:139], v[2:3]
	ds_load_b128 v[1:4], v1 offset:944
	s_waitcnt lgkmcnt(0)
	v_fma_f64 v[1:2], v[130:131], v[1:2], v[128:129]
	s_waitcnt vmcnt(0)
	v_fma_f64 v[1:2], v[150:151], v[3:4], v[1:2]
	s_delay_alu instid0(VALU_DEP_1)
	v_add_f64 v[1:2], v[126:127], -v[1:2]
	scratch_store_b64 off, v[1:2], off offset:360
	v_cmpx_lt_u32_e32 44, v0
	s_cbranch_execz .LBB123_281
; %bb.280:
	scratch_load_b64 v[1:2], off, off offset:352
	v_mov_b32_e32 v3, 0
	s_delay_alu instid0(VALU_DEP_1)
	v_mov_b32_e32 v4, v3
	scratch_store_b64 off, v[3:4], off offset:352
	s_waitcnt vmcnt(0)
	ds_store_b64 v5, v[1:2]
.LBB123_281:
	s_or_b32 exec_lo, exec_lo, s0
	s_waitcnt lgkmcnt(0)
	s_waitcnt_vscnt null, 0x0
	s_barrier
	buffer_gl0_inv
	s_clause 0x4
	scratch_load_b128 v[126:129], off, off offset:352
	scratch_load_b128 v[130:133], off, off offset:368
	;; [unrolled: 1-line block ×5, first 2 shown]
	v_mov_b32_e32 v1, 0
	ds_load_2addr_b64 v[146:149], v1 offset0:105 offset1:106
	ds_load_2addr_b64 v[150:153], v1 offset0:107 offset1:108
	scratch_load_b128 v[154:157], off, off offset:432
	s_mov_b32 s0, exec_lo
	s_waitcnt vmcnt(5) lgkmcnt(1)
	v_fma_f64 v[2:3], v[128:129], v[146:147], 0
	s_waitcnt vmcnt(4)
	s_delay_alu instid0(VALU_DEP_1) | instskip(SKIP_4) | instid1(VALU_DEP_1)
	v_fma_f64 v[2:3], v[130:131], v[148:149], v[2:3]
	scratch_load_b128 v[128:131], off, off offset:448
	s_waitcnt lgkmcnt(0)
	v_fma_f64 v[2:3], v[132:133], v[150:151], v[2:3]
	s_waitcnt vmcnt(4)
	v_fma_f64 v[2:3], v[134:135], v[152:153], v[2:3]
	ds_load_2addr_b64 v[132:135], v1 offset0:109 offset1:110
	ds_load_2addr_b64 v[146:149], v1 offset0:111 offset1:112
	scratch_load_b128 v[150:153], off, off offset:464
	s_waitcnt lgkmcnt(1)
	v_fma_f64 v[2:3], v[136:137], v[132:133], v[2:3]
	s_waitcnt vmcnt(4)
	s_delay_alu instid0(VALU_DEP_1)
	v_fma_f64 v[2:3], v[138:139], v[134:135], v[2:3]
	ds_load_2addr_b64 v[132:135], v1 offset0:113 offset1:114
	ds_load_2addr_b64 v[136:139], v1 offset0:115 offset1:116
	s_waitcnt lgkmcnt(2)
	v_fma_f64 v[2:3], v[140:141], v[146:147], v[2:3]
	s_waitcnt vmcnt(3)
	s_delay_alu instid0(VALU_DEP_1) | instskip(SKIP_1) | instid1(VALU_DEP_1)
	v_fma_f64 v[2:3], v[142:143], v[148:149], v[2:3]
	s_waitcnt lgkmcnt(1)
	v_fma_f64 v[2:3], v[144:145], v[132:133], v[2:3]
	s_waitcnt vmcnt(2)
	s_delay_alu instid0(VALU_DEP_1) | instskip(SKIP_1) | instid1(VALU_DEP_1)
	v_fma_f64 v[2:3], v[154:155], v[134:135], v[2:3]
	s_waitcnt lgkmcnt(0)
	v_fma_f64 v[2:3], v[156:157], v[136:137], v[2:3]
	s_waitcnt vmcnt(1)
	s_delay_alu instid0(VALU_DEP_1)
	v_fma_f64 v[2:3], v[128:129], v[138:139], v[2:3]
	ds_load_2addr_b64 v[132:135], v1 offset0:117 offset1:118
	ds_load_b64 v[128:129], v1 offset:952
	s_waitcnt lgkmcnt(1)
	v_fma_f64 v[2:3], v[130:131], v[132:133], v[2:3]
	s_waitcnt vmcnt(0)
	s_delay_alu instid0(VALU_DEP_1) | instskip(SKIP_1) | instid1(VALU_DEP_1)
	v_fma_f64 v[2:3], v[150:151], v[134:135], v[2:3]
	s_waitcnt lgkmcnt(0)
	v_fma_f64 v[2:3], v[152:153], v[128:129], v[2:3]
	s_delay_alu instid0(VALU_DEP_1)
	v_add_f64 v[2:3], v[126:127], -v[2:3]
	scratch_store_b64 off, v[2:3], off offset:352
	v_cmpx_lt_u32_e32 43, v0
	s_cbranch_execz .LBB123_283
; %bb.282:
	scratch_load_b64 v[3:4], off, off offset:344
	v_mov_b32_e32 v2, v1
	scratch_store_b64 off, v[1:2], off offset:344
	s_waitcnt vmcnt(0)
	ds_store_b64 v5, v[3:4]
.LBB123_283:
	s_or_b32 exec_lo, exec_lo, s0
	s_waitcnt lgkmcnt(0)
	s_waitcnt_vscnt null, 0x0
	s_barrier
	buffer_gl0_inv
	s_clause 0x4
	scratch_load_b128 v[126:129], off, off offset:344
	scratch_load_b128 v[130:133], off, off offset:360
	;; [unrolled: 1-line block ×5, first 2 shown]
	ds_load_b128 v[146:149], v1 offset:832
	ds_load_b128 v[150:153], v1 offset:848
	scratch_load_b128 v[154:157], off, off offset:424
	s_mov_b32 s0, exec_lo
	s_waitcnt vmcnt(5) lgkmcnt(1)
	v_fma_f64 v[2:3], v[128:129], v[146:147], 0
	s_waitcnt vmcnt(4)
	s_delay_alu instid0(VALU_DEP_1) | instskip(SKIP_4) | instid1(VALU_DEP_1)
	v_fma_f64 v[2:3], v[130:131], v[148:149], v[2:3]
	scratch_load_b128 v[128:131], off, off offset:440
	s_waitcnt lgkmcnt(0)
	v_fma_f64 v[2:3], v[132:133], v[150:151], v[2:3]
	s_waitcnt vmcnt(4)
	v_fma_f64 v[2:3], v[134:135], v[152:153], v[2:3]
	ds_load_b128 v[132:135], v1 offset:864
	ds_load_b128 v[146:149], v1 offset:880
	scratch_load_b128 v[150:153], off, off offset:456
	s_waitcnt lgkmcnt(1)
	v_fma_f64 v[2:3], v[136:137], v[132:133], v[2:3]
	s_waitcnt vmcnt(4)
	s_delay_alu instid0(VALU_DEP_1) | instskip(SKIP_1) | instid1(VALU_DEP_1)
	v_fma_f64 v[2:3], v[138:139], v[134:135], v[2:3]
	s_waitcnt lgkmcnt(0)
	v_fma_f64 v[2:3], v[140:141], v[146:147], v[2:3]
	scratch_load_b64 v[140:141], off, off offset:472
	ds_load_b128 v[132:135], v1 offset:896
	ds_load_b128 v[136:139], v1 offset:912
	s_waitcnt vmcnt(4)
	v_fma_f64 v[2:3], v[142:143], v[148:149], v[2:3]
	s_waitcnt lgkmcnt(1)
	s_delay_alu instid0(VALU_DEP_1) | instskip(SKIP_1) | instid1(VALU_DEP_1)
	v_fma_f64 v[2:3], v[144:145], v[132:133], v[2:3]
	s_waitcnt vmcnt(3)
	v_fma_f64 v[2:3], v[154:155], v[134:135], v[2:3]
	s_waitcnt lgkmcnt(0)
	s_delay_alu instid0(VALU_DEP_1) | instskip(SKIP_1) | instid1(VALU_DEP_1)
	v_fma_f64 v[2:3], v[156:157], v[136:137], v[2:3]
	s_waitcnt vmcnt(2)
	v_fma_f64 v[128:129], v[128:129], v[138:139], v[2:3]
	ds_load_b128 v[132:135], v1 offset:928
	ds_load_b128 v[1:4], v1 offset:944
	s_waitcnt lgkmcnt(1)
	v_fma_f64 v[128:129], v[130:131], v[132:133], v[128:129]
	s_waitcnt vmcnt(1)
	s_delay_alu instid0(VALU_DEP_1) | instskip(SKIP_1) | instid1(VALU_DEP_1)
	v_fma_f64 v[128:129], v[150:151], v[134:135], v[128:129]
	s_waitcnt lgkmcnt(0)
	v_fma_f64 v[1:2], v[152:153], v[1:2], v[128:129]
	s_waitcnt vmcnt(0)
	s_delay_alu instid0(VALU_DEP_1) | instskip(NEXT) | instid1(VALU_DEP_1)
	v_fma_f64 v[1:2], v[140:141], v[3:4], v[1:2]
	v_add_f64 v[1:2], v[126:127], -v[1:2]
	scratch_store_b64 off, v[1:2], off offset:344
	v_cmpx_lt_u32_e32 42, v0
	s_cbranch_execz .LBB123_285
; %bb.284:
	scratch_load_b64 v[1:2], off, off offset:336
	v_mov_b32_e32 v3, 0
	s_delay_alu instid0(VALU_DEP_1)
	v_mov_b32_e32 v4, v3
	scratch_store_b64 off, v[3:4], off offset:336
	s_waitcnt vmcnt(0)
	ds_store_b64 v5, v[1:2]
.LBB123_285:
	s_or_b32 exec_lo, exec_lo, s0
	s_waitcnt lgkmcnt(0)
	s_waitcnt_vscnt null, 0x0
	s_barrier
	buffer_gl0_inv
	s_clause 0x4
	scratch_load_b128 v[126:129], off, off offset:336
	scratch_load_b128 v[130:133], off, off offset:352
	;; [unrolled: 1-line block ×5, first 2 shown]
	v_mov_b32_e32 v1, 0
	ds_load_2addr_b64 v[146:149], v1 offset0:103 offset1:104
	ds_load_2addr_b64 v[150:153], v1 offset0:105 offset1:106
	scratch_load_b128 v[154:157], off, off offset:416
	s_mov_b32 s0, exec_lo
	s_waitcnt vmcnt(5) lgkmcnt(1)
	v_fma_f64 v[2:3], v[128:129], v[146:147], 0
	s_waitcnt vmcnt(4)
	s_delay_alu instid0(VALU_DEP_1) | instskip(SKIP_4) | instid1(VALU_DEP_1)
	v_fma_f64 v[2:3], v[130:131], v[148:149], v[2:3]
	scratch_load_b128 v[128:131], off, off offset:432
	s_waitcnt lgkmcnt(0)
	v_fma_f64 v[2:3], v[132:133], v[150:151], v[2:3]
	s_waitcnt vmcnt(4)
	v_fma_f64 v[2:3], v[134:135], v[152:153], v[2:3]
	ds_load_2addr_b64 v[132:135], v1 offset0:107 offset1:108
	ds_load_2addr_b64 v[146:149], v1 offset0:109 offset1:110
	scratch_load_b128 v[150:153], off, off offset:448
	s_waitcnt lgkmcnt(1)
	v_fma_f64 v[2:3], v[136:137], v[132:133], v[2:3]
	s_waitcnt vmcnt(4)
	s_delay_alu instid0(VALU_DEP_1) | instskip(SKIP_4) | instid1(VALU_DEP_1)
	v_fma_f64 v[2:3], v[138:139], v[134:135], v[2:3]
	scratch_load_b128 v[132:135], off, off offset:464
	s_waitcnt lgkmcnt(0)
	v_fma_f64 v[2:3], v[140:141], v[146:147], v[2:3]
	s_waitcnt vmcnt(4)
	v_fma_f64 v[2:3], v[142:143], v[148:149], v[2:3]
	ds_load_2addr_b64 v[136:139], v1 offset0:111 offset1:112
	ds_load_2addr_b64 v[140:143], v1 offset0:113 offset1:114
	s_waitcnt lgkmcnt(1)
	v_fma_f64 v[2:3], v[144:145], v[136:137], v[2:3]
	s_waitcnt vmcnt(3)
	s_delay_alu instid0(VALU_DEP_1) | instskip(SKIP_1) | instid1(VALU_DEP_1)
	v_fma_f64 v[2:3], v[154:155], v[138:139], v[2:3]
	s_waitcnt lgkmcnt(0)
	v_fma_f64 v[2:3], v[156:157], v[140:141], v[2:3]
	s_waitcnt vmcnt(2)
	s_delay_alu instid0(VALU_DEP_1)
	v_fma_f64 v[2:3], v[128:129], v[142:143], v[2:3]
	ds_load_2addr_b64 v[136:139], v1 offset0:115 offset1:116
	ds_load_2addr_b64 v[140:143], v1 offset0:117 offset1:118
	ds_load_b64 v[128:129], v1 offset:952
	s_waitcnt lgkmcnt(2)
	v_fma_f64 v[2:3], v[130:131], v[136:137], v[2:3]
	s_waitcnt vmcnt(1)
	s_delay_alu instid0(VALU_DEP_1) | instskip(SKIP_1) | instid1(VALU_DEP_1)
	v_fma_f64 v[2:3], v[150:151], v[138:139], v[2:3]
	s_waitcnt lgkmcnt(1)
	v_fma_f64 v[2:3], v[152:153], v[140:141], v[2:3]
	s_waitcnt vmcnt(0)
	s_delay_alu instid0(VALU_DEP_1) | instskip(SKIP_1) | instid1(VALU_DEP_1)
	v_fma_f64 v[2:3], v[132:133], v[142:143], v[2:3]
	s_waitcnt lgkmcnt(0)
	v_fma_f64 v[2:3], v[134:135], v[128:129], v[2:3]
	s_delay_alu instid0(VALU_DEP_1)
	v_add_f64 v[2:3], v[126:127], -v[2:3]
	scratch_store_b64 off, v[2:3], off offset:336
	v_cmpx_lt_u32_e32 41, v0
	s_cbranch_execz .LBB123_287
; %bb.286:
	scratch_load_b64 v[3:4], off, off offset:328
	v_mov_b32_e32 v2, v1
	scratch_store_b64 off, v[1:2], off offset:328
	s_waitcnt vmcnt(0)
	ds_store_b64 v5, v[3:4]
.LBB123_287:
	s_or_b32 exec_lo, exec_lo, s0
	s_waitcnt lgkmcnt(0)
	s_waitcnt_vscnt null, 0x0
	s_barrier
	buffer_gl0_inv
	s_clause 0x4
	scratch_load_b128 v[126:129], off, off offset:328
	scratch_load_b128 v[130:133], off, off offset:344
	;; [unrolled: 1-line block ×5, first 2 shown]
	ds_load_b128 v[146:149], v1 offset:816
	ds_load_b128 v[150:153], v1 offset:832
	scratch_load_b128 v[154:157], off, off offset:408
	s_mov_b32 s0, exec_lo
	s_waitcnt vmcnt(5) lgkmcnt(1)
	v_fma_f64 v[2:3], v[128:129], v[146:147], 0
	s_waitcnt vmcnt(4)
	s_delay_alu instid0(VALU_DEP_1) | instskip(SKIP_4) | instid1(VALU_DEP_1)
	v_fma_f64 v[2:3], v[130:131], v[148:149], v[2:3]
	scratch_load_b128 v[128:131], off, off offset:424
	s_waitcnt lgkmcnt(0)
	v_fma_f64 v[2:3], v[132:133], v[150:151], v[2:3]
	s_waitcnt vmcnt(4)
	v_fma_f64 v[2:3], v[134:135], v[152:153], v[2:3]
	ds_load_b128 v[132:135], v1 offset:848
	ds_load_b128 v[146:149], v1 offset:864
	scratch_load_b128 v[150:153], off, off offset:440
	s_waitcnt lgkmcnt(1)
	v_fma_f64 v[2:3], v[136:137], v[132:133], v[2:3]
	s_waitcnt vmcnt(4)
	s_delay_alu instid0(VALU_DEP_1) | instskip(SKIP_4) | instid1(VALU_DEP_1)
	v_fma_f64 v[2:3], v[138:139], v[134:135], v[2:3]
	scratch_load_b128 v[132:135], off, off offset:456
	s_waitcnt lgkmcnt(0)
	v_fma_f64 v[2:3], v[140:141], v[146:147], v[2:3]
	s_waitcnt vmcnt(4)
	v_fma_f64 v[2:3], v[142:143], v[148:149], v[2:3]
	ds_load_b128 v[136:139], v1 offset:880
	ds_load_b128 v[140:143], v1 offset:896
	s_waitcnt lgkmcnt(1)
	v_fma_f64 v[2:3], v[144:145], v[136:137], v[2:3]
	scratch_load_b64 v[144:145], off, off offset:472
	s_waitcnt vmcnt(4)
	v_fma_f64 v[2:3], v[154:155], v[138:139], v[2:3]
	s_waitcnt lgkmcnt(0)
	s_delay_alu instid0(VALU_DEP_1) | instskip(SKIP_1) | instid1(VALU_DEP_1)
	v_fma_f64 v[2:3], v[156:157], v[140:141], v[2:3]
	s_waitcnt vmcnt(3)
	v_fma_f64 v[2:3], v[128:129], v[142:143], v[2:3]
	ds_load_b128 v[136:139], v1 offset:912
	ds_load_b128 v[140:143], v1 offset:928
	s_waitcnt lgkmcnt(1)
	v_fma_f64 v[2:3], v[130:131], v[136:137], v[2:3]
	s_waitcnt vmcnt(2)
	s_delay_alu instid0(VALU_DEP_1) | instskip(SKIP_1) | instid1(VALU_DEP_1)
	v_fma_f64 v[2:3], v[150:151], v[138:139], v[2:3]
	s_waitcnt lgkmcnt(0)
	v_fma_f64 v[2:3], v[152:153], v[140:141], v[2:3]
	s_waitcnt vmcnt(1)
	s_delay_alu instid0(VALU_DEP_1) | instskip(SKIP_4) | instid1(VALU_DEP_1)
	v_fma_f64 v[128:129], v[132:133], v[142:143], v[2:3]
	ds_load_b128 v[1:4], v1 offset:944
	s_waitcnt lgkmcnt(0)
	v_fma_f64 v[1:2], v[134:135], v[1:2], v[128:129]
	s_waitcnt vmcnt(0)
	v_fma_f64 v[1:2], v[144:145], v[3:4], v[1:2]
	s_delay_alu instid0(VALU_DEP_1)
	v_add_f64 v[1:2], v[126:127], -v[1:2]
	scratch_store_b64 off, v[1:2], off offset:328
	v_cmpx_lt_u32_e32 40, v0
	s_cbranch_execz .LBB123_289
; %bb.288:
	scratch_load_b64 v[1:2], off, off offset:320
	v_mov_b32_e32 v3, 0
	s_delay_alu instid0(VALU_DEP_1)
	v_mov_b32_e32 v4, v3
	scratch_store_b64 off, v[3:4], off offset:320
	s_waitcnt vmcnt(0)
	ds_store_b64 v5, v[1:2]
.LBB123_289:
	s_or_b32 exec_lo, exec_lo, s0
	s_waitcnt lgkmcnt(0)
	s_waitcnt_vscnt null, 0x0
	s_barrier
	buffer_gl0_inv
	s_clause 0x4
	scratch_load_b128 v[126:129], off, off offset:320
	scratch_load_b128 v[130:133], off, off offset:336
	;; [unrolled: 1-line block ×5, first 2 shown]
	v_mov_b32_e32 v1, 0
	ds_load_2addr_b64 v[146:149], v1 offset0:101 offset1:102
	ds_load_2addr_b64 v[150:153], v1 offset0:103 offset1:104
	scratch_load_b128 v[154:157], off, off offset:400
	s_mov_b32 s0, exec_lo
	s_waitcnt vmcnt(5) lgkmcnt(1)
	v_fma_f64 v[2:3], v[128:129], v[146:147], 0
	s_waitcnt vmcnt(4)
	s_delay_alu instid0(VALU_DEP_1) | instskip(SKIP_4) | instid1(VALU_DEP_1)
	v_fma_f64 v[2:3], v[130:131], v[148:149], v[2:3]
	scratch_load_b128 v[128:131], off, off offset:416
	s_waitcnt lgkmcnt(0)
	v_fma_f64 v[2:3], v[132:133], v[150:151], v[2:3]
	s_waitcnt vmcnt(4)
	v_fma_f64 v[2:3], v[134:135], v[152:153], v[2:3]
	ds_load_2addr_b64 v[132:135], v1 offset0:105 offset1:106
	ds_load_2addr_b64 v[146:149], v1 offset0:107 offset1:108
	scratch_load_b128 v[150:153], off, off offset:432
	s_waitcnt lgkmcnt(1)
	v_fma_f64 v[2:3], v[136:137], v[132:133], v[2:3]
	s_waitcnt vmcnt(4)
	s_delay_alu instid0(VALU_DEP_1) | instskip(SKIP_4) | instid1(VALU_DEP_1)
	v_fma_f64 v[2:3], v[138:139], v[134:135], v[2:3]
	scratch_load_b128 v[132:135], off, off offset:448
	s_waitcnt lgkmcnt(0)
	v_fma_f64 v[2:3], v[140:141], v[146:147], v[2:3]
	s_waitcnt vmcnt(4)
	v_fma_f64 v[2:3], v[142:143], v[148:149], v[2:3]
	ds_load_2addr_b64 v[136:139], v1 offset0:109 offset1:110
	ds_load_2addr_b64 v[140:143], v1 offset0:111 offset1:112
	s_waitcnt lgkmcnt(1)
	v_fma_f64 v[2:3], v[144:145], v[136:137], v[2:3]
	scratch_load_b128 v[144:147], off, off offset:464
	s_waitcnt vmcnt(4)
	v_fma_f64 v[2:3], v[154:155], v[138:139], v[2:3]
	s_waitcnt lgkmcnt(0)
	s_delay_alu instid0(VALU_DEP_1) | instskip(SKIP_1) | instid1(VALU_DEP_1)
	v_fma_f64 v[2:3], v[156:157], v[140:141], v[2:3]
	s_waitcnt vmcnt(3)
	v_fma_f64 v[2:3], v[128:129], v[142:143], v[2:3]
	ds_load_2addr_b64 v[136:139], v1 offset0:113 offset1:114
	ds_load_2addr_b64 v[140:143], v1 offset0:115 offset1:116
	s_waitcnt lgkmcnt(1)
	v_fma_f64 v[2:3], v[130:131], v[136:137], v[2:3]
	s_waitcnt vmcnt(2)
	s_delay_alu instid0(VALU_DEP_1) | instskip(SKIP_1) | instid1(VALU_DEP_1)
	v_fma_f64 v[2:3], v[150:151], v[138:139], v[2:3]
	s_waitcnt lgkmcnt(0)
	v_fma_f64 v[2:3], v[152:153], v[140:141], v[2:3]
	s_waitcnt vmcnt(1)
	s_delay_alu instid0(VALU_DEP_1)
	v_fma_f64 v[2:3], v[132:133], v[142:143], v[2:3]
	ds_load_2addr_b64 v[128:131], v1 offset0:117 offset1:118
	ds_load_b64 v[132:133], v1 offset:952
	s_waitcnt lgkmcnt(1)
	v_fma_f64 v[2:3], v[134:135], v[128:129], v[2:3]
	s_waitcnt vmcnt(0)
	s_delay_alu instid0(VALU_DEP_1) | instskip(SKIP_1) | instid1(VALU_DEP_1)
	v_fma_f64 v[2:3], v[144:145], v[130:131], v[2:3]
	s_waitcnt lgkmcnt(0)
	v_fma_f64 v[2:3], v[146:147], v[132:133], v[2:3]
	s_delay_alu instid0(VALU_DEP_1)
	v_add_f64 v[2:3], v[126:127], -v[2:3]
	scratch_store_b64 off, v[2:3], off offset:320
	v_cmpx_lt_u32_e32 39, v0
	s_cbranch_execz .LBB123_291
; %bb.290:
	scratch_load_b64 v[3:4], off, off offset:312
	v_mov_b32_e32 v2, v1
	scratch_store_b64 off, v[1:2], off offset:312
	s_waitcnt vmcnt(0)
	ds_store_b64 v5, v[3:4]
.LBB123_291:
	s_or_b32 exec_lo, exec_lo, s0
	s_waitcnt lgkmcnt(0)
	s_waitcnt_vscnt null, 0x0
	s_barrier
	buffer_gl0_inv
	s_clause 0x4
	scratch_load_b128 v[126:129], off, off offset:312
	scratch_load_b128 v[130:133], off, off offset:328
	;; [unrolled: 1-line block ×5, first 2 shown]
	ds_load_b128 v[146:149], v1 offset:800
	ds_load_b128 v[150:153], v1 offset:816
	scratch_load_b128 v[154:157], off, off offset:392
	s_mov_b32 s0, exec_lo
	s_waitcnt vmcnt(5) lgkmcnt(1)
	v_fma_f64 v[2:3], v[128:129], v[146:147], 0
	s_waitcnt vmcnt(4)
	s_delay_alu instid0(VALU_DEP_1) | instskip(SKIP_4) | instid1(VALU_DEP_1)
	v_fma_f64 v[2:3], v[130:131], v[148:149], v[2:3]
	scratch_load_b128 v[128:131], off, off offset:408
	s_waitcnt lgkmcnt(0)
	v_fma_f64 v[2:3], v[132:133], v[150:151], v[2:3]
	s_waitcnt vmcnt(4)
	v_fma_f64 v[2:3], v[134:135], v[152:153], v[2:3]
	ds_load_b128 v[132:135], v1 offset:832
	ds_load_b128 v[146:149], v1 offset:848
	scratch_load_b128 v[150:153], off, off offset:424
	s_waitcnt lgkmcnt(1)
	v_fma_f64 v[2:3], v[136:137], v[132:133], v[2:3]
	s_waitcnt vmcnt(4)
	s_delay_alu instid0(VALU_DEP_1) | instskip(SKIP_4) | instid1(VALU_DEP_1)
	v_fma_f64 v[2:3], v[138:139], v[134:135], v[2:3]
	scratch_load_b128 v[132:135], off, off offset:440
	s_waitcnt lgkmcnt(0)
	v_fma_f64 v[2:3], v[140:141], v[146:147], v[2:3]
	s_waitcnt vmcnt(4)
	v_fma_f64 v[2:3], v[142:143], v[148:149], v[2:3]
	ds_load_b128 v[136:139], v1 offset:864
	ds_load_b128 v[140:143], v1 offset:880
	scratch_load_b64 v[148:149], off, off offset:472
	s_waitcnt lgkmcnt(1)
	v_fma_f64 v[2:3], v[144:145], v[136:137], v[2:3]
	scratch_load_b128 v[144:147], off, off offset:456
	s_waitcnt vmcnt(5)
	v_fma_f64 v[2:3], v[154:155], v[138:139], v[2:3]
	s_waitcnt lgkmcnt(0)
	s_delay_alu instid0(VALU_DEP_1) | instskip(SKIP_1) | instid1(VALU_DEP_1)
	v_fma_f64 v[2:3], v[156:157], v[140:141], v[2:3]
	s_waitcnt vmcnt(4)
	v_fma_f64 v[2:3], v[128:129], v[142:143], v[2:3]
	ds_load_b128 v[136:139], v1 offset:896
	ds_load_b128 v[140:143], v1 offset:912
	s_waitcnt lgkmcnt(1)
	v_fma_f64 v[2:3], v[130:131], v[136:137], v[2:3]
	s_waitcnt vmcnt(3)
	s_delay_alu instid0(VALU_DEP_1) | instskip(SKIP_1) | instid1(VALU_DEP_1)
	v_fma_f64 v[2:3], v[150:151], v[138:139], v[2:3]
	s_waitcnt lgkmcnt(0)
	v_fma_f64 v[2:3], v[152:153], v[140:141], v[2:3]
	s_waitcnt vmcnt(2)
	s_delay_alu instid0(VALU_DEP_1)
	v_fma_f64 v[132:133], v[132:133], v[142:143], v[2:3]
	ds_load_b128 v[128:131], v1 offset:928
	ds_load_b128 v[1:4], v1 offset:944
	s_waitcnt lgkmcnt(1)
	v_fma_f64 v[128:129], v[134:135], v[128:129], v[132:133]
	s_waitcnt vmcnt(0)
	s_delay_alu instid0(VALU_DEP_1) | instskip(SKIP_1) | instid1(VALU_DEP_1)
	v_fma_f64 v[128:129], v[144:145], v[130:131], v[128:129]
	s_waitcnt lgkmcnt(0)
	v_fma_f64 v[1:2], v[146:147], v[1:2], v[128:129]
	s_delay_alu instid0(VALU_DEP_1) | instskip(NEXT) | instid1(VALU_DEP_1)
	v_fma_f64 v[1:2], v[148:149], v[3:4], v[1:2]
	v_add_f64 v[1:2], v[126:127], -v[1:2]
	scratch_store_b64 off, v[1:2], off offset:312
	v_cmpx_lt_u32_e32 38, v0
	s_cbranch_execz .LBB123_293
; %bb.292:
	scratch_load_b64 v[1:2], off, off offset:304
	v_mov_b32_e32 v3, 0
	s_delay_alu instid0(VALU_DEP_1)
	v_mov_b32_e32 v4, v3
	scratch_store_b64 off, v[3:4], off offset:304
	s_waitcnt vmcnt(0)
	ds_store_b64 v5, v[1:2]
.LBB123_293:
	s_or_b32 exec_lo, exec_lo, s0
	s_waitcnt lgkmcnt(0)
	s_waitcnt_vscnt null, 0x0
	s_barrier
	buffer_gl0_inv
	s_clause 0x4
	scratch_load_b128 v[126:129], off, off offset:304
	scratch_load_b128 v[130:133], off, off offset:320
	;; [unrolled: 1-line block ×5, first 2 shown]
	v_mov_b32_e32 v1, 0
	ds_load_2addr_b64 v[146:149], v1 offset0:99 offset1:100
	ds_load_2addr_b64 v[150:153], v1 offset0:101 offset1:102
	scratch_load_b128 v[154:157], off, off offset:384
	s_mov_b32 s0, exec_lo
	s_waitcnt vmcnt(5) lgkmcnt(1)
	v_fma_f64 v[2:3], v[128:129], v[146:147], 0
	s_waitcnt vmcnt(4)
	s_delay_alu instid0(VALU_DEP_1) | instskip(SKIP_4) | instid1(VALU_DEP_1)
	v_fma_f64 v[2:3], v[130:131], v[148:149], v[2:3]
	scratch_load_b128 v[128:131], off, off offset:400
	s_waitcnt lgkmcnt(0)
	v_fma_f64 v[2:3], v[132:133], v[150:151], v[2:3]
	s_waitcnt vmcnt(4)
	v_fma_f64 v[2:3], v[134:135], v[152:153], v[2:3]
	ds_load_2addr_b64 v[132:135], v1 offset0:103 offset1:104
	ds_load_2addr_b64 v[146:149], v1 offset0:105 offset1:106
	scratch_load_b128 v[150:153], off, off offset:416
	s_waitcnt lgkmcnt(1)
	v_fma_f64 v[2:3], v[136:137], v[132:133], v[2:3]
	s_waitcnt vmcnt(4)
	s_delay_alu instid0(VALU_DEP_1) | instskip(SKIP_4) | instid1(VALU_DEP_1)
	v_fma_f64 v[2:3], v[138:139], v[134:135], v[2:3]
	scratch_load_b128 v[132:135], off, off offset:432
	s_waitcnt lgkmcnt(0)
	v_fma_f64 v[2:3], v[140:141], v[146:147], v[2:3]
	s_waitcnt vmcnt(4)
	v_fma_f64 v[2:3], v[142:143], v[148:149], v[2:3]
	ds_load_2addr_b64 v[136:139], v1 offset0:107 offset1:108
	ds_load_2addr_b64 v[140:143], v1 offset0:109 offset1:110
	s_waitcnt lgkmcnt(1)
	v_fma_f64 v[2:3], v[144:145], v[136:137], v[2:3]
	scratch_load_b128 v[144:147], off, off offset:448
	s_waitcnt vmcnt(4)
	v_fma_f64 v[2:3], v[154:155], v[138:139], v[2:3]
	scratch_load_b128 v[136:139], off, off offset:464
	s_waitcnt lgkmcnt(0)
	v_fma_f64 v[2:3], v[156:157], v[140:141], v[2:3]
	s_waitcnt vmcnt(4)
	s_delay_alu instid0(VALU_DEP_1)
	v_fma_f64 v[2:3], v[128:129], v[142:143], v[2:3]
	ds_load_2addr_b64 v[140:143], v1 offset0:111 offset1:112
	ds_load_2addr_b64 v[154:157], v1 offset0:113 offset1:114
	s_waitcnt lgkmcnt(1)
	v_fma_f64 v[2:3], v[130:131], v[140:141], v[2:3]
	s_waitcnt vmcnt(3)
	s_delay_alu instid0(VALU_DEP_1)
	v_fma_f64 v[2:3], v[150:151], v[142:143], v[2:3]
	ds_load_2addr_b64 v[128:131], v1 offset0:115 offset1:116
	ds_load_2addr_b64 v[140:143], v1 offset0:117 offset1:118
	s_waitcnt lgkmcnt(2)
	v_fma_f64 v[2:3], v[152:153], v[154:155], v[2:3]
	s_waitcnt vmcnt(2)
	s_delay_alu instid0(VALU_DEP_1) | instskip(SKIP_1) | instid1(VALU_DEP_1)
	v_fma_f64 v[2:3], v[132:133], v[156:157], v[2:3]
	s_waitcnt lgkmcnt(1)
	v_fma_f64 v[2:3], v[134:135], v[128:129], v[2:3]
	ds_load_b64 v[128:129], v1 offset:952
	s_waitcnt vmcnt(1)
	v_fma_f64 v[2:3], v[144:145], v[130:131], v[2:3]
	s_waitcnt lgkmcnt(1)
	s_delay_alu instid0(VALU_DEP_1) | instskip(SKIP_1) | instid1(VALU_DEP_1)
	v_fma_f64 v[2:3], v[146:147], v[140:141], v[2:3]
	s_waitcnt vmcnt(0)
	v_fma_f64 v[2:3], v[136:137], v[142:143], v[2:3]
	s_waitcnt lgkmcnt(0)
	s_delay_alu instid0(VALU_DEP_1) | instskip(NEXT) | instid1(VALU_DEP_1)
	v_fma_f64 v[2:3], v[138:139], v[128:129], v[2:3]
	v_add_f64 v[2:3], v[126:127], -v[2:3]
	scratch_store_b64 off, v[2:3], off offset:304
	v_cmpx_lt_u32_e32 37, v0
	s_cbranch_execz .LBB123_295
; %bb.294:
	scratch_load_b64 v[3:4], off, off offset:296
	v_mov_b32_e32 v2, v1
	scratch_store_b64 off, v[1:2], off offset:296
	s_waitcnt vmcnt(0)
	ds_store_b64 v5, v[3:4]
.LBB123_295:
	s_or_b32 exec_lo, exec_lo, s0
	s_waitcnt lgkmcnt(0)
	s_waitcnt_vscnt null, 0x0
	s_barrier
	buffer_gl0_inv
	s_clause 0x4
	scratch_load_b128 v[126:129], off, off offset:296
	scratch_load_b128 v[130:133], off, off offset:312
	;; [unrolled: 1-line block ×5, first 2 shown]
	ds_load_b128 v[146:149], v1 offset:784
	ds_load_b128 v[150:153], v1 offset:800
	scratch_load_b128 v[154:157], off, off offset:376
	s_mov_b32 s0, exec_lo
	s_waitcnt vmcnt(5) lgkmcnt(1)
	v_fma_f64 v[2:3], v[128:129], v[146:147], 0
	s_waitcnt vmcnt(4)
	s_delay_alu instid0(VALU_DEP_1) | instskip(SKIP_4) | instid1(VALU_DEP_1)
	v_fma_f64 v[2:3], v[130:131], v[148:149], v[2:3]
	scratch_load_b128 v[128:131], off, off offset:392
	s_waitcnt lgkmcnt(0)
	v_fma_f64 v[2:3], v[132:133], v[150:151], v[2:3]
	s_waitcnt vmcnt(4)
	v_fma_f64 v[2:3], v[134:135], v[152:153], v[2:3]
	ds_load_b128 v[132:135], v1 offset:816
	ds_load_b128 v[146:149], v1 offset:832
	scratch_load_b128 v[150:153], off, off offset:408
	s_waitcnt lgkmcnt(1)
	v_fma_f64 v[2:3], v[136:137], v[132:133], v[2:3]
	s_waitcnt vmcnt(4)
	s_delay_alu instid0(VALU_DEP_1) | instskip(SKIP_4) | instid1(VALU_DEP_1)
	v_fma_f64 v[2:3], v[138:139], v[134:135], v[2:3]
	scratch_load_b128 v[132:135], off, off offset:424
	s_waitcnt lgkmcnt(0)
	v_fma_f64 v[2:3], v[140:141], v[146:147], v[2:3]
	s_waitcnt vmcnt(4)
	v_fma_f64 v[2:3], v[142:143], v[148:149], v[2:3]
	ds_load_b128 v[136:139], v1 offset:848
	ds_load_b128 v[140:143], v1 offset:864
	s_waitcnt lgkmcnt(1)
	v_fma_f64 v[2:3], v[144:145], v[136:137], v[2:3]
	scratch_load_b128 v[144:147], off, off offset:440
	s_waitcnt vmcnt(4)
	v_fma_f64 v[2:3], v[154:155], v[138:139], v[2:3]
	scratch_load_b128 v[136:139], off, off offset:456
	s_waitcnt lgkmcnt(0)
	v_fma_f64 v[2:3], v[156:157], v[140:141], v[2:3]
	s_waitcnt vmcnt(4)
	s_delay_alu instid0(VALU_DEP_1)
	v_fma_f64 v[2:3], v[128:129], v[142:143], v[2:3]
	ds_load_b128 v[140:143], v1 offset:880
	ds_load_b128 v[154:157], v1 offset:896
	scratch_load_b64 v[148:149], off, off offset:472
	s_waitcnt lgkmcnt(1)
	v_fma_f64 v[2:3], v[130:131], v[140:141], v[2:3]
	s_waitcnt vmcnt(4)
	s_delay_alu instid0(VALU_DEP_1)
	v_fma_f64 v[2:3], v[150:151], v[142:143], v[2:3]
	ds_load_b128 v[128:131], v1 offset:912
	ds_load_b128 v[140:143], v1 offset:928
	s_waitcnt lgkmcnt(2)
	v_fma_f64 v[2:3], v[152:153], v[154:155], v[2:3]
	s_waitcnt vmcnt(3)
	s_delay_alu instid0(VALU_DEP_1) | instskip(SKIP_1) | instid1(VALU_DEP_1)
	v_fma_f64 v[2:3], v[132:133], v[156:157], v[2:3]
	s_waitcnt lgkmcnt(1)
	v_fma_f64 v[2:3], v[134:135], v[128:129], v[2:3]
	s_waitcnt vmcnt(2)
	s_delay_alu instid0(VALU_DEP_1) | instskip(SKIP_1) | instid1(VALU_DEP_1)
	v_fma_f64 v[2:3], v[144:145], v[130:131], v[2:3]
	s_waitcnt lgkmcnt(0)
	v_fma_f64 v[2:3], v[146:147], v[140:141], v[2:3]
	s_waitcnt vmcnt(1)
	s_delay_alu instid0(VALU_DEP_1) | instskip(SKIP_4) | instid1(VALU_DEP_1)
	v_fma_f64 v[128:129], v[136:137], v[142:143], v[2:3]
	ds_load_b128 v[1:4], v1 offset:944
	s_waitcnt lgkmcnt(0)
	v_fma_f64 v[1:2], v[138:139], v[1:2], v[128:129]
	s_waitcnt vmcnt(0)
	v_fma_f64 v[1:2], v[148:149], v[3:4], v[1:2]
	s_delay_alu instid0(VALU_DEP_1)
	v_add_f64 v[1:2], v[126:127], -v[1:2]
	scratch_store_b64 off, v[1:2], off offset:296
	v_cmpx_lt_u32_e32 36, v0
	s_cbranch_execz .LBB123_297
; %bb.296:
	scratch_load_b64 v[1:2], off, off offset:288
	v_mov_b32_e32 v3, 0
	s_delay_alu instid0(VALU_DEP_1)
	v_mov_b32_e32 v4, v3
	scratch_store_b64 off, v[3:4], off offset:288
	s_waitcnt vmcnt(0)
	ds_store_b64 v5, v[1:2]
.LBB123_297:
	s_or_b32 exec_lo, exec_lo, s0
	s_waitcnt lgkmcnt(0)
	s_waitcnt_vscnt null, 0x0
	s_barrier
	buffer_gl0_inv
	s_clause 0x4
	scratch_load_b128 v[126:129], off, off offset:288
	scratch_load_b128 v[130:133], off, off offset:304
	;; [unrolled: 1-line block ×5, first 2 shown]
	v_mov_b32_e32 v1, 0
	ds_load_2addr_b64 v[146:149], v1 offset0:97 offset1:98
	ds_load_2addr_b64 v[150:153], v1 offset0:99 offset1:100
	scratch_load_b128 v[154:157], off, off offset:368
	s_mov_b32 s0, exec_lo
	s_waitcnt vmcnt(5) lgkmcnt(1)
	v_fma_f64 v[2:3], v[128:129], v[146:147], 0
	s_waitcnt vmcnt(4)
	s_delay_alu instid0(VALU_DEP_1) | instskip(SKIP_4) | instid1(VALU_DEP_1)
	v_fma_f64 v[2:3], v[130:131], v[148:149], v[2:3]
	scratch_load_b128 v[128:131], off, off offset:384
	s_waitcnt lgkmcnt(0)
	v_fma_f64 v[2:3], v[132:133], v[150:151], v[2:3]
	s_waitcnt vmcnt(4)
	v_fma_f64 v[2:3], v[134:135], v[152:153], v[2:3]
	ds_load_2addr_b64 v[132:135], v1 offset0:101 offset1:102
	ds_load_2addr_b64 v[146:149], v1 offset0:103 offset1:104
	scratch_load_b128 v[150:153], off, off offset:400
	s_waitcnt lgkmcnt(1)
	v_fma_f64 v[2:3], v[136:137], v[132:133], v[2:3]
	s_waitcnt vmcnt(4)
	s_delay_alu instid0(VALU_DEP_1) | instskip(SKIP_4) | instid1(VALU_DEP_1)
	v_fma_f64 v[2:3], v[138:139], v[134:135], v[2:3]
	scratch_load_b128 v[132:135], off, off offset:416
	s_waitcnt lgkmcnt(0)
	v_fma_f64 v[2:3], v[140:141], v[146:147], v[2:3]
	s_waitcnt vmcnt(4)
	v_fma_f64 v[2:3], v[142:143], v[148:149], v[2:3]
	ds_load_2addr_b64 v[136:139], v1 offset0:105 offset1:106
	ds_load_2addr_b64 v[140:143], v1 offset0:107 offset1:108
	s_waitcnt lgkmcnt(1)
	v_fma_f64 v[2:3], v[144:145], v[136:137], v[2:3]
	scratch_load_b128 v[144:147], off, off offset:432
	s_waitcnt vmcnt(4)
	v_fma_f64 v[2:3], v[154:155], v[138:139], v[2:3]
	scratch_load_b128 v[136:139], off, off offset:448
	s_waitcnt lgkmcnt(0)
	v_fma_f64 v[2:3], v[156:157], v[140:141], v[2:3]
	s_waitcnt vmcnt(4)
	s_delay_alu instid0(VALU_DEP_1)
	v_fma_f64 v[2:3], v[128:129], v[142:143], v[2:3]
	ds_load_2addr_b64 v[140:143], v1 offset0:109 offset1:110
	ds_load_2addr_b64 v[154:157], v1 offset0:111 offset1:112
	s_waitcnt lgkmcnt(1)
	v_fma_f64 v[2:3], v[130:131], v[140:141], v[2:3]
	scratch_load_b128 v[128:131], off, off offset:464
	s_waitcnt vmcnt(4)
	v_fma_f64 v[2:3], v[150:151], v[142:143], v[2:3]
	ds_load_2addr_b64 v[140:143], v1 offset0:113 offset1:114
	ds_load_2addr_b64 v[148:151], v1 offset0:115 offset1:116
	s_waitcnt lgkmcnt(2)
	v_fma_f64 v[2:3], v[152:153], v[154:155], v[2:3]
	s_waitcnt vmcnt(3)
	s_delay_alu instid0(VALU_DEP_1) | instskip(SKIP_1) | instid1(VALU_DEP_1)
	v_fma_f64 v[2:3], v[132:133], v[156:157], v[2:3]
	s_waitcnt lgkmcnt(1)
	v_fma_f64 v[2:3], v[134:135], v[140:141], v[2:3]
	s_waitcnt vmcnt(2)
	s_delay_alu instid0(VALU_DEP_1) | instskip(SKIP_1) | instid1(VALU_DEP_1)
	v_fma_f64 v[2:3], v[144:145], v[142:143], v[2:3]
	s_waitcnt lgkmcnt(0)
	v_fma_f64 v[2:3], v[146:147], v[148:149], v[2:3]
	s_waitcnt vmcnt(1)
	s_delay_alu instid0(VALU_DEP_1)
	v_fma_f64 v[2:3], v[136:137], v[150:151], v[2:3]
	ds_load_2addr_b64 v[132:135], v1 offset0:117 offset1:118
	ds_load_b64 v[136:137], v1 offset:952
	s_waitcnt lgkmcnt(1)
	v_fma_f64 v[2:3], v[138:139], v[132:133], v[2:3]
	s_waitcnt vmcnt(0)
	s_delay_alu instid0(VALU_DEP_1) | instskip(SKIP_1) | instid1(VALU_DEP_1)
	v_fma_f64 v[2:3], v[128:129], v[134:135], v[2:3]
	s_waitcnt lgkmcnt(0)
	v_fma_f64 v[2:3], v[130:131], v[136:137], v[2:3]
	s_delay_alu instid0(VALU_DEP_1)
	v_add_f64 v[2:3], v[126:127], -v[2:3]
	scratch_store_b64 off, v[2:3], off offset:288
	v_cmpx_lt_u32_e32 35, v0
	s_cbranch_execz .LBB123_299
; %bb.298:
	scratch_load_b64 v[3:4], off, off offset:280
	v_mov_b32_e32 v2, v1
	scratch_store_b64 off, v[1:2], off offset:280
	s_waitcnt vmcnt(0)
	ds_store_b64 v5, v[3:4]
.LBB123_299:
	s_or_b32 exec_lo, exec_lo, s0
	s_waitcnt lgkmcnt(0)
	s_waitcnt_vscnt null, 0x0
	s_barrier
	buffer_gl0_inv
	s_clause 0x4
	scratch_load_b128 v[126:129], off, off offset:280
	scratch_load_b128 v[130:133], off, off offset:296
	scratch_load_b128 v[134:137], off, off offset:312
	scratch_load_b128 v[138:141], off, off offset:328
	scratch_load_b128 v[142:145], off, off offset:344
	ds_load_b128 v[146:149], v1 offset:768
	ds_load_b128 v[150:153], v1 offset:784
	scratch_load_b128 v[154:157], off, off offset:360
	s_mov_b32 s0, exec_lo
	s_waitcnt vmcnt(5) lgkmcnt(1)
	v_fma_f64 v[2:3], v[128:129], v[146:147], 0
	s_waitcnt vmcnt(4)
	s_delay_alu instid0(VALU_DEP_1) | instskip(SKIP_4) | instid1(VALU_DEP_1)
	v_fma_f64 v[2:3], v[130:131], v[148:149], v[2:3]
	scratch_load_b128 v[128:131], off, off offset:376
	s_waitcnt lgkmcnt(0)
	v_fma_f64 v[2:3], v[132:133], v[150:151], v[2:3]
	s_waitcnt vmcnt(4)
	v_fma_f64 v[2:3], v[134:135], v[152:153], v[2:3]
	ds_load_b128 v[132:135], v1 offset:800
	ds_load_b128 v[146:149], v1 offset:816
	scratch_load_b128 v[150:153], off, off offset:392
	s_waitcnt lgkmcnt(1)
	v_fma_f64 v[2:3], v[136:137], v[132:133], v[2:3]
	s_waitcnt vmcnt(4)
	s_delay_alu instid0(VALU_DEP_1) | instskip(SKIP_4) | instid1(VALU_DEP_1)
	v_fma_f64 v[2:3], v[138:139], v[134:135], v[2:3]
	scratch_load_b128 v[132:135], off, off offset:408
	s_waitcnt lgkmcnt(0)
	v_fma_f64 v[2:3], v[140:141], v[146:147], v[2:3]
	s_waitcnt vmcnt(4)
	v_fma_f64 v[2:3], v[142:143], v[148:149], v[2:3]
	ds_load_b128 v[136:139], v1 offset:832
	ds_load_b128 v[140:143], v1 offset:848
	s_waitcnt lgkmcnt(1)
	v_fma_f64 v[2:3], v[144:145], v[136:137], v[2:3]
	scratch_load_b128 v[144:147], off, off offset:424
	s_waitcnt vmcnt(4)
	v_fma_f64 v[2:3], v[154:155], v[138:139], v[2:3]
	scratch_load_b128 v[136:139], off, off offset:440
	s_waitcnt lgkmcnt(0)
	v_fma_f64 v[2:3], v[156:157], v[140:141], v[2:3]
	s_waitcnt vmcnt(4)
	s_delay_alu instid0(VALU_DEP_1)
	v_fma_f64 v[2:3], v[128:129], v[142:143], v[2:3]
	ds_load_b128 v[140:143], v1 offset:864
	ds_load_b128 v[154:157], v1 offset:880
	s_waitcnt lgkmcnt(1)
	v_fma_f64 v[2:3], v[130:131], v[140:141], v[2:3]
	scratch_load_b128 v[128:131], off, off offset:456
	s_waitcnt vmcnt(4)
	v_fma_f64 v[2:3], v[150:151], v[142:143], v[2:3]
	s_waitcnt lgkmcnt(0)
	s_delay_alu instid0(VALU_DEP_1)
	v_fma_f64 v[2:3], v[152:153], v[154:155], v[2:3]
	scratch_load_b64 v[152:153], off, off offset:472
	ds_load_b128 v[140:143], v1 offset:896
	ds_load_b128 v[148:151], v1 offset:912
	s_waitcnt vmcnt(4)
	v_fma_f64 v[2:3], v[132:133], v[156:157], v[2:3]
	s_waitcnt lgkmcnt(1)
	s_delay_alu instid0(VALU_DEP_1) | instskip(SKIP_1) | instid1(VALU_DEP_1)
	v_fma_f64 v[2:3], v[134:135], v[140:141], v[2:3]
	s_waitcnt vmcnt(3)
	v_fma_f64 v[2:3], v[144:145], v[142:143], v[2:3]
	s_waitcnt lgkmcnt(0)
	s_delay_alu instid0(VALU_DEP_1) | instskip(SKIP_1) | instid1(VALU_DEP_1)
	v_fma_f64 v[2:3], v[146:147], v[148:149], v[2:3]
	s_waitcnt vmcnt(2)
	v_fma_f64 v[136:137], v[136:137], v[150:151], v[2:3]
	ds_load_b128 v[132:135], v1 offset:928
	ds_load_b128 v[1:4], v1 offset:944
	s_waitcnt lgkmcnt(1)
	v_fma_f64 v[132:133], v[138:139], v[132:133], v[136:137]
	s_waitcnt vmcnt(1)
	s_delay_alu instid0(VALU_DEP_1) | instskip(SKIP_1) | instid1(VALU_DEP_1)
	v_fma_f64 v[128:129], v[128:129], v[134:135], v[132:133]
	s_waitcnt lgkmcnt(0)
	v_fma_f64 v[1:2], v[130:131], v[1:2], v[128:129]
	s_waitcnt vmcnt(0)
	s_delay_alu instid0(VALU_DEP_1) | instskip(NEXT) | instid1(VALU_DEP_1)
	v_fma_f64 v[1:2], v[152:153], v[3:4], v[1:2]
	v_add_f64 v[1:2], v[126:127], -v[1:2]
	scratch_store_b64 off, v[1:2], off offset:280
	v_cmpx_lt_u32_e32 34, v0
	s_cbranch_execz .LBB123_301
; %bb.300:
	scratch_load_b64 v[1:2], off, off offset:272
	v_mov_b32_e32 v3, 0
	s_delay_alu instid0(VALU_DEP_1)
	v_mov_b32_e32 v4, v3
	scratch_store_b64 off, v[3:4], off offset:272
	s_waitcnt vmcnt(0)
	ds_store_b64 v5, v[1:2]
.LBB123_301:
	s_or_b32 exec_lo, exec_lo, s0
	s_waitcnt lgkmcnt(0)
	s_waitcnt_vscnt null, 0x0
	s_barrier
	buffer_gl0_inv
	s_clause 0x4
	scratch_load_b128 v[126:129], off, off offset:272
	scratch_load_b128 v[130:133], off, off offset:288
	;; [unrolled: 1-line block ×5, first 2 shown]
	v_mov_b32_e32 v1, 0
	ds_load_2addr_b64 v[146:149], v1 offset0:95 offset1:96
	ds_load_2addr_b64 v[150:153], v1 offset0:97 offset1:98
	scratch_load_b128 v[154:157], off, off offset:352
	s_mov_b32 s0, exec_lo
	s_waitcnt vmcnt(5) lgkmcnt(1)
	v_fma_f64 v[2:3], v[128:129], v[146:147], 0
	s_waitcnt vmcnt(4)
	s_delay_alu instid0(VALU_DEP_1) | instskip(SKIP_4) | instid1(VALU_DEP_1)
	v_fma_f64 v[2:3], v[130:131], v[148:149], v[2:3]
	scratch_load_b128 v[128:131], off, off offset:368
	s_waitcnt lgkmcnt(0)
	v_fma_f64 v[2:3], v[132:133], v[150:151], v[2:3]
	s_waitcnt vmcnt(4)
	v_fma_f64 v[2:3], v[134:135], v[152:153], v[2:3]
	ds_load_2addr_b64 v[132:135], v1 offset0:99 offset1:100
	ds_load_2addr_b64 v[146:149], v1 offset0:101 offset1:102
	scratch_load_b128 v[150:153], off, off offset:384
	s_waitcnt lgkmcnt(1)
	v_fma_f64 v[2:3], v[136:137], v[132:133], v[2:3]
	s_waitcnt vmcnt(4)
	s_delay_alu instid0(VALU_DEP_1) | instskip(SKIP_4) | instid1(VALU_DEP_1)
	v_fma_f64 v[2:3], v[138:139], v[134:135], v[2:3]
	scratch_load_b128 v[132:135], off, off offset:400
	s_waitcnt lgkmcnt(0)
	v_fma_f64 v[2:3], v[140:141], v[146:147], v[2:3]
	s_waitcnt vmcnt(4)
	v_fma_f64 v[2:3], v[142:143], v[148:149], v[2:3]
	ds_load_2addr_b64 v[136:139], v1 offset0:103 offset1:104
	ds_load_2addr_b64 v[140:143], v1 offset0:105 offset1:106
	s_waitcnt lgkmcnt(1)
	v_fma_f64 v[2:3], v[144:145], v[136:137], v[2:3]
	scratch_load_b128 v[144:147], off, off offset:416
	s_waitcnt vmcnt(4)
	v_fma_f64 v[2:3], v[154:155], v[138:139], v[2:3]
	scratch_load_b128 v[136:139], off, off offset:432
	s_waitcnt lgkmcnt(0)
	v_fma_f64 v[2:3], v[156:157], v[140:141], v[2:3]
	s_waitcnt vmcnt(4)
	s_delay_alu instid0(VALU_DEP_1)
	v_fma_f64 v[2:3], v[128:129], v[142:143], v[2:3]
	ds_load_2addr_b64 v[140:143], v1 offset0:107 offset1:108
	ds_load_2addr_b64 v[154:157], v1 offset0:109 offset1:110
	s_waitcnt lgkmcnt(1)
	v_fma_f64 v[2:3], v[130:131], v[140:141], v[2:3]
	scratch_load_b128 v[128:131], off, off offset:448
	s_waitcnt vmcnt(4)
	v_fma_f64 v[2:3], v[150:151], v[142:143], v[2:3]
	scratch_load_b128 v[140:143], off, off offset:464
	s_waitcnt lgkmcnt(0)
	v_fma_f64 v[2:3], v[152:153], v[154:155], v[2:3]
	ds_load_2addr_b64 v[148:151], v1 offset0:111 offset1:112
	ds_load_2addr_b64 v[152:155], v1 offset0:113 offset1:114
	s_waitcnt vmcnt(4)
	v_fma_f64 v[2:3], v[132:133], v[156:157], v[2:3]
	s_waitcnt lgkmcnt(1)
	s_delay_alu instid0(VALU_DEP_1) | instskip(SKIP_1) | instid1(VALU_DEP_1)
	v_fma_f64 v[2:3], v[134:135], v[148:149], v[2:3]
	s_waitcnt vmcnt(3)
	v_fma_f64 v[2:3], v[144:145], v[150:151], v[2:3]
	s_waitcnt lgkmcnt(0)
	s_delay_alu instid0(VALU_DEP_1)
	v_fma_f64 v[2:3], v[146:147], v[152:153], v[2:3]
	ds_load_2addr_b64 v[132:135], v1 offset0:115 offset1:116
	ds_load_2addr_b64 v[144:147], v1 offset0:117 offset1:118
	s_waitcnt vmcnt(2)
	v_fma_f64 v[2:3], v[136:137], v[154:155], v[2:3]
	s_waitcnt lgkmcnt(1)
	s_delay_alu instid0(VALU_DEP_1) | instskip(SKIP_1) | instid1(VALU_DEP_1)
	v_fma_f64 v[2:3], v[138:139], v[132:133], v[2:3]
	s_waitcnt vmcnt(1)
	v_fma_f64 v[2:3], v[128:129], v[134:135], v[2:3]
	ds_load_b64 v[128:129], v1 offset:952
	s_waitcnt lgkmcnt(1)
	v_fma_f64 v[2:3], v[130:131], v[144:145], v[2:3]
	s_waitcnt vmcnt(0)
	s_delay_alu instid0(VALU_DEP_1) | instskip(SKIP_1) | instid1(VALU_DEP_1)
	v_fma_f64 v[2:3], v[140:141], v[146:147], v[2:3]
	s_waitcnt lgkmcnt(0)
	v_fma_f64 v[2:3], v[142:143], v[128:129], v[2:3]
	s_delay_alu instid0(VALU_DEP_1)
	v_add_f64 v[2:3], v[126:127], -v[2:3]
	scratch_store_b64 off, v[2:3], off offset:272
	v_cmpx_lt_u32_e32 33, v0
	s_cbranch_execz .LBB123_303
; %bb.302:
	scratch_load_b64 v[3:4], off, off offset:264
	v_mov_b32_e32 v2, v1
	scratch_store_b64 off, v[1:2], off offset:264
	s_waitcnt vmcnt(0)
	ds_store_b64 v5, v[3:4]
.LBB123_303:
	s_or_b32 exec_lo, exec_lo, s0
	s_waitcnt lgkmcnt(0)
	s_waitcnt_vscnt null, 0x0
	s_barrier
	buffer_gl0_inv
	s_clause 0x4
	scratch_load_b128 v[126:129], off, off offset:264
	scratch_load_b128 v[130:133], off, off offset:280
	;; [unrolled: 1-line block ×5, first 2 shown]
	ds_load_b128 v[146:149], v1 offset:752
	ds_load_b128 v[150:153], v1 offset:768
	scratch_load_b128 v[154:157], off, off offset:344
	s_mov_b32 s0, exec_lo
	s_waitcnt vmcnt(5) lgkmcnt(1)
	v_fma_f64 v[2:3], v[128:129], v[146:147], 0
	s_waitcnt vmcnt(4)
	s_delay_alu instid0(VALU_DEP_1) | instskip(SKIP_4) | instid1(VALU_DEP_1)
	v_fma_f64 v[2:3], v[130:131], v[148:149], v[2:3]
	scratch_load_b128 v[128:131], off, off offset:360
	s_waitcnt lgkmcnt(0)
	v_fma_f64 v[2:3], v[132:133], v[150:151], v[2:3]
	s_waitcnt vmcnt(4)
	v_fma_f64 v[2:3], v[134:135], v[152:153], v[2:3]
	ds_load_b128 v[132:135], v1 offset:784
	ds_load_b128 v[146:149], v1 offset:800
	scratch_load_b128 v[150:153], off, off offset:376
	s_waitcnt lgkmcnt(1)
	v_fma_f64 v[2:3], v[136:137], v[132:133], v[2:3]
	s_waitcnt vmcnt(4)
	s_delay_alu instid0(VALU_DEP_1) | instskip(SKIP_4) | instid1(VALU_DEP_1)
	v_fma_f64 v[2:3], v[138:139], v[134:135], v[2:3]
	scratch_load_b128 v[132:135], off, off offset:392
	s_waitcnt lgkmcnt(0)
	v_fma_f64 v[2:3], v[140:141], v[146:147], v[2:3]
	s_waitcnt vmcnt(4)
	v_fma_f64 v[2:3], v[142:143], v[148:149], v[2:3]
	ds_load_b128 v[136:139], v1 offset:816
	ds_load_b128 v[140:143], v1 offset:832
	s_waitcnt lgkmcnt(1)
	v_fma_f64 v[2:3], v[144:145], v[136:137], v[2:3]
	scratch_load_b128 v[144:147], off, off offset:408
	s_waitcnt vmcnt(4)
	v_fma_f64 v[2:3], v[154:155], v[138:139], v[2:3]
	scratch_load_b128 v[136:139], off, off offset:424
	s_waitcnt lgkmcnt(0)
	v_fma_f64 v[2:3], v[156:157], v[140:141], v[2:3]
	s_waitcnt vmcnt(4)
	s_delay_alu instid0(VALU_DEP_1)
	v_fma_f64 v[2:3], v[128:129], v[142:143], v[2:3]
	ds_load_b128 v[140:143], v1 offset:848
	ds_load_b128 v[154:157], v1 offset:864
	s_waitcnt lgkmcnt(1)
	v_fma_f64 v[2:3], v[130:131], v[140:141], v[2:3]
	scratch_load_b128 v[128:131], off, off offset:440
	s_waitcnt vmcnt(4)
	v_fma_f64 v[2:3], v[150:151], v[142:143], v[2:3]
	scratch_load_b128 v[140:143], off, off offset:456
	s_waitcnt lgkmcnt(0)
	v_fma_f64 v[2:3], v[152:153], v[154:155], v[2:3]
	ds_load_b128 v[148:151], v1 offset:880
	ds_load_b128 v[152:155], v1 offset:896
	s_waitcnt vmcnt(4)
	v_fma_f64 v[2:3], v[132:133], v[156:157], v[2:3]
	s_waitcnt lgkmcnt(1)
	s_delay_alu instid0(VALU_DEP_1) | instskip(SKIP_4) | instid1(VALU_DEP_1)
	v_fma_f64 v[2:3], v[134:135], v[148:149], v[2:3]
	scratch_load_b64 v[148:149], off, off offset:472
	s_waitcnt vmcnt(4)
	v_fma_f64 v[2:3], v[144:145], v[150:151], v[2:3]
	s_waitcnt lgkmcnt(0)
	v_fma_f64 v[2:3], v[146:147], v[152:153], v[2:3]
	ds_load_b128 v[132:135], v1 offset:912
	ds_load_b128 v[144:147], v1 offset:928
	s_waitcnt vmcnt(3)
	v_fma_f64 v[2:3], v[136:137], v[154:155], v[2:3]
	s_waitcnt lgkmcnt(1)
	s_delay_alu instid0(VALU_DEP_1) | instskip(SKIP_1) | instid1(VALU_DEP_1)
	v_fma_f64 v[2:3], v[138:139], v[132:133], v[2:3]
	s_waitcnt vmcnt(2)
	v_fma_f64 v[2:3], v[128:129], v[134:135], v[2:3]
	s_waitcnt lgkmcnt(0)
	s_delay_alu instid0(VALU_DEP_1) | instskip(SKIP_1) | instid1(VALU_DEP_1)
	v_fma_f64 v[2:3], v[130:131], v[144:145], v[2:3]
	s_waitcnt vmcnt(1)
	v_fma_f64 v[128:129], v[140:141], v[146:147], v[2:3]
	ds_load_b128 v[1:4], v1 offset:944
	s_waitcnt lgkmcnt(0)
	v_fma_f64 v[1:2], v[142:143], v[1:2], v[128:129]
	s_waitcnt vmcnt(0)
	s_delay_alu instid0(VALU_DEP_1) | instskip(NEXT) | instid1(VALU_DEP_1)
	v_fma_f64 v[1:2], v[148:149], v[3:4], v[1:2]
	v_add_f64 v[1:2], v[126:127], -v[1:2]
	scratch_store_b64 off, v[1:2], off offset:264
	v_cmpx_lt_u32_e32 32, v0
	s_cbranch_execz .LBB123_305
; %bb.304:
	scratch_load_b64 v[1:2], off, off offset:256
	v_mov_b32_e32 v3, 0
	s_delay_alu instid0(VALU_DEP_1)
	v_mov_b32_e32 v4, v3
	scratch_store_b64 off, v[3:4], off offset:256
	s_waitcnt vmcnt(0)
	ds_store_b64 v5, v[1:2]
.LBB123_305:
	s_or_b32 exec_lo, exec_lo, s0
	s_waitcnt lgkmcnt(0)
	s_waitcnt_vscnt null, 0x0
	s_barrier
	buffer_gl0_inv
	s_clause 0x4
	scratch_load_b128 v[126:129], off, off offset:256
	scratch_load_b128 v[130:133], off, off offset:272
	;; [unrolled: 1-line block ×5, first 2 shown]
	v_mov_b32_e32 v1, 0
	ds_load_2addr_b64 v[146:149], v1 offset0:93 offset1:94
	ds_load_2addr_b64 v[150:153], v1 offset0:95 offset1:96
	scratch_load_b128 v[154:157], off, off offset:336
	s_mov_b32 s0, exec_lo
	s_waitcnt vmcnt(5) lgkmcnt(1)
	v_fma_f64 v[2:3], v[128:129], v[146:147], 0
	s_waitcnt vmcnt(4)
	s_delay_alu instid0(VALU_DEP_1) | instskip(SKIP_4) | instid1(VALU_DEP_1)
	v_fma_f64 v[2:3], v[130:131], v[148:149], v[2:3]
	scratch_load_b128 v[128:131], off, off offset:352
	s_waitcnt lgkmcnt(0)
	v_fma_f64 v[2:3], v[132:133], v[150:151], v[2:3]
	s_waitcnt vmcnt(4)
	v_fma_f64 v[2:3], v[134:135], v[152:153], v[2:3]
	ds_load_2addr_b64 v[132:135], v1 offset0:97 offset1:98
	ds_load_2addr_b64 v[146:149], v1 offset0:99 offset1:100
	scratch_load_b128 v[150:153], off, off offset:368
	s_waitcnt lgkmcnt(1)
	v_fma_f64 v[2:3], v[136:137], v[132:133], v[2:3]
	s_waitcnt vmcnt(4)
	s_delay_alu instid0(VALU_DEP_1) | instskip(SKIP_4) | instid1(VALU_DEP_1)
	v_fma_f64 v[2:3], v[138:139], v[134:135], v[2:3]
	scratch_load_b128 v[132:135], off, off offset:384
	s_waitcnt lgkmcnt(0)
	v_fma_f64 v[2:3], v[140:141], v[146:147], v[2:3]
	s_waitcnt vmcnt(4)
	v_fma_f64 v[2:3], v[142:143], v[148:149], v[2:3]
	ds_load_2addr_b64 v[136:139], v1 offset0:101 offset1:102
	ds_load_2addr_b64 v[140:143], v1 offset0:103 offset1:104
	s_waitcnt lgkmcnt(1)
	v_fma_f64 v[2:3], v[144:145], v[136:137], v[2:3]
	scratch_load_b128 v[144:147], off, off offset:400
	s_waitcnt vmcnt(4)
	v_fma_f64 v[2:3], v[154:155], v[138:139], v[2:3]
	scratch_load_b128 v[136:139], off, off offset:416
	s_waitcnt lgkmcnt(0)
	v_fma_f64 v[2:3], v[156:157], v[140:141], v[2:3]
	s_waitcnt vmcnt(4)
	s_delay_alu instid0(VALU_DEP_1)
	v_fma_f64 v[2:3], v[128:129], v[142:143], v[2:3]
	ds_load_2addr_b64 v[140:143], v1 offset0:105 offset1:106
	ds_load_2addr_b64 v[154:157], v1 offset0:107 offset1:108
	s_waitcnt lgkmcnt(1)
	v_fma_f64 v[2:3], v[130:131], v[140:141], v[2:3]
	scratch_load_b128 v[128:131], off, off offset:432
	s_waitcnt vmcnt(4)
	v_fma_f64 v[2:3], v[150:151], v[142:143], v[2:3]
	scratch_load_b128 v[140:143], off, off offset:448
	s_waitcnt lgkmcnt(0)
	v_fma_f64 v[2:3], v[152:153], v[154:155], v[2:3]
	ds_load_2addr_b64 v[148:151], v1 offset0:109 offset1:110
	ds_load_2addr_b64 v[152:155], v1 offset0:111 offset1:112
	s_waitcnt vmcnt(4)
	v_fma_f64 v[2:3], v[132:133], v[156:157], v[2:3]
	s_waitcnt lgkmcnt(1)
	s_delay_alu instid0(VALU_DEP_1) | instskip(SKIP_4) | instid1(VALU_DEP_1)
	v_fma_f64 v[2:3], v[134:135], v[148:149], v[2:3]
	scratch_load_b128 v[132:135], off, off offset:464
	s_waitcnt vmcnt(4)
	v_fma_f64 v[2:3], v[144:145], v[150:151], v[2:3]
	s_waitcnt lgkmcnt(0)
	v_fma_f64 v[2:3], v[146:147], v[152:153], v[2:3]
	ds_load_2addr_b64 v[144:147], v1 offset0:113 offset1:114
	ds_load_2addr_b64 v[148:151], v1 offset0:115 offset1:116
	s_waitcnt vmcnt(3)
	v_fma_f64 v[2:3], v[136:137], v[154:155], v[2:3]
	s_waitcnt lgkmcnt(1)
	s_delay_alu instid0(VALU_DEP_1) | instskip(SKIP_1) | instid1(VALU_DEP_1)
	v_fma_f64 v[2:3], v[138:139], v[144:145], v[2:3]
	s_waitcnt vmcnt(2)
	v_fma_f64 v[2:3], v[128:129], v[146:147], v[2:3]
	s_waitcnt lgkmcnt(0)
	s_delay_alu instid0(VALU_DEP_1)
	v_fma_f64 v[2:3], v[130:131], v[148:149], v[2:3]
	ds_load_2addr_b64 v[128:131], v1 offset0:117 offset1:118
	ds_load_b64 v[136:137], v1 offset:952
	s_waitcnt vmcnt(1)
	v_fma_f64 v[2:3], v[140:141], v[150:151], v[2:3]
	s_waitcnt lgkmcnt(1)
	s_delay_alu instid0(VALU_DEP_1) | instskip(SKIP_1) | instid1(VALU_DEP_1)
	v_fma_f64 v[2:3], v[142:143], v[128:129], v[2:3]
	s_waitcnt vmcnt(0)
	v_fma_f64 v[2:3], v[132:133], v[130:131], v[2:3]
	s_waitcnt lgkmcnt(0)
	s_delay_alu instid0(VALU_DEP_1) | instskip(NEXT) | instid1(VALU_DEP_1)
	v_fma_f64 v[2:3], v[134:135], v[136:137], v[2:3]
	v_add_f64 v[2:3], v[126:127], -v[2:3]
	scratch_store_b64 off, v[2:3], off offset:256
	v_cmpx_lt_u32_e32 31, v0
	s_cbranch_execz .LBB123_307
; %bb.306:
	scratch_load_b64 v[3:4], off, off offset:248
	v_mov_b32_e32 v2, v1
	scratch_store_b64 off, v[1:2], off offset:248
	s_waitcnt vmcnt(0)
	ds_store_b64 v5, v[3:4]
.LBB123_307:
	s_or_b32 exec_lo, exec_lo, s0
	s_waitcnt lgkmcnt(0)
	s_waitcnt_vscnt null, 0x0
	s_barrier
	buffer_gl0_inv
	s_clause 0x4
	scratch_load_b128 v[126:129], off, off offset:248
	scratch_load_b128 v[130:133], off, off offset:264
	;; [unrolled: 1-line block ×5, first 2 shown]
	ds_load_b128 v[146:149], v1 offset:736
	ds_load_b128 v[150:153], v1 offset:752
	scratch_load_b128 v[154:157], off, off offset:328
	s_mov_b32 s0, exec_lo
	s_waitcnt vmcnt(5) lgkmcnt(1)
	v_fma_f64 v[2:3], v[128:129], v[146:147], 0
	s_waitcnt vmcnt(4)
	s_delay_alu instid0(VALU_DEP_1) | instskip(SKIP_4) | instid1(VALU_DEP_1)
	v_fma_f64 v[2:3], v[130:131], v[148:149], v[2:3]
	scratch_load_b128 v[128:131], off, off offset:344
	s_waitcnt lgkmcnt(0)
	v_fma_f64 v[2:3], v[132:133], v[150:151], v[2:3]
	s_waitcnt vmcnt(4)
	v_fma_f64 v[2:3], v[134:135], v[152:153], v[2:3]
	ds_load_b128 v[132:135], v1 offset:768
	ds_load_b128 v[146:149], v1 offset:784
	scratch_load_b128 v[150:153], off, off offset:360
	s_waitcnt lgkmcnt(1)
	v_fma_f64 v[2:3], v[136:137], v[132:133], v[2:3]
	s_waitcnt vmcnt(4)
	s_delay_alu instid0(VALU_DEP_1) | instskip(SKIP_4) | instid1(VALU_DEP_1)
	v_fma_f64 v[2:3], v[138:139], v[134:135], v[2:3]
	scratch_load_b128 v[132:135], off, off offset:376
	s_waitcnt lgkmcnt(0)
	v_fma_f64 v[2:3], v[140:141], v[146:147], v[2:3]
	s_waitcnt vmcnt(4)
	v_fma_f64 v[2:3], v[142:143], v[148:149], v[2:3]
	ds_load_b128 v[136:139], v1 offset:800
	ds_load_b128 v[140:143], v1 offset:816
	s_waitcnt lgkmcnt(1)
	v_fma_f64 v[2:3], v[144:145], v[136:137], v[2:3]
	scratch_load_b128 v[144:147], off, off offset:392
	s_waitcnt vmcnt(4)
	v_fma_f64 v[2:3], v[154:155], v[138:139], v[2:3]
	scratch_load_b128 v[136:139], off, off offset:408
	s_waitcnt lgkmcnt(0)
	v_fma_f64 v[2:3], v[156:157], v[140:141], v[2:3]
	s_waitcnt vmcnt(4)
	s_delay_alu instid0(VALU_DEP_1)
	v_fma_f64 v[2:3], v[128:129], v[142:143], v[2:3]
	ds_load_b128 v[140:143], v1 offset:832
	ds_load_b128 v[154:157], v1 offset:848
	s_waitcnt lgkmcnt(1)
	v_fma_f64 v[2:3], v[130:131], v[140:141], v[2:3]
	scratch_load_b128 v[128:131], off, off offset:424
	s_waitcnt vmcnt(4)
	v_fma_f64 v[2:3], v[150:151], v[142:143], v[2:3]
	scratch_load_b128 v[140:143], off, off offset:440
	s_waitcnt lgkmcnt(0)
	v_fma_f64 v[2:3], v[152:153], v[154:155], v[2:3]
	ds_load_b128 v[148:151], v1 offset:864
	ds_load_b128 v[152:155], v1 offset:880
	s_waitcnt vmcnt(4)
	v_fma_f64 v[2:3], v[132:133], v[156:157], v[2:3]
	s_waitcnt lgkmcnt(1)
	s_delay_alu instid0(VALU_DEP_1) | instskip(SKIP_4) | instid1(VALU_DEP_1)
	v_fma_f64 v[2:3], v[134:135], v[148:149], v[2:3]
	scratch_load_b128 v[132:135], off, off offset:456
	s_waitcnt vmcnt(4)
	v_fma_f64 v[2:3], v[144:145], v[150:151], v[2:3]
	s_waitcnt lgkmcnt(0)
	v_fma_f64 v[2:3], v[146:147], v[152:153], v[2:3]
	scratch_load_b64 v[152:153], off, off offset:472
	ds_load_b128 v[144:147], v1 offset:896
	ds_load_b128 v[148:151], v1 offset:912
	s_waitcnt vmcnt(4)
	v_fma_f64 v[2:3], v[136:137], v[154:155], v[2:3]
	s_waitcnt lgkmcnt(1)
	s_delay_alu instid0(VALU_DEP_1) | instskip(SKIP_1) | instid1(VALU_DEP_1)
	v_fma_f64 v[2:3], v[138:139], v[144:145], v[2:3]
	s_waitcnt vmcnt(3)
	v_fma_f64 v[2:3], v[128:129], v[146:147], v[2:3]
	s_waitcnt lgkmcnt(0)
	s_delay_alu instid0(VALU_DEP_1) | instskip(SKIP_1) | instid1(VALU_DEP_1)
	v_fma_f64 v[2:3], v[130:131], v[148:149], v[2:3]
	s_waitcnt vmcnt(2)
	v_fma_f64 v[136:137], v[140:141], v[150:151], v[2:3]
	ds_load_b128 v[128:131], v1 offset:928
	ds_load_b128 v[1:4], v1 offset:944
	s_waitcnt lgkmcnt(1)
	v_fma_f64 v[128:129], v[142:143], v[128:129], v[136:137]
	s_waitcnt vmcnt(1)
	s_delay_alu instid0(VALU_DEP_1) | instskip(SKIP_1) | instid1(VALU_DEP_1)
	v_fma_f64 v[128:129], v[132:133], v[130:131], v[128:129]
	s_waitcnt lgkmcnt(0)
	v_fma_f64 v[1:2], v[134:135], v[1:2], v[128:129]
	s_waitcnt vmcnt(0)
	s_delay_alu instid0(VALU_DEP_1) | instskip(NEXT) | instid1(VALU_DEP_1)
	v_fma_f64 v[1:2], v[152:153], v[3:4], v[1:2]
	v_add_f64 v[1:2], v[126:127], -v[1:2]
	scratch_store_b64 off, v[1:2], off offset:248
	v_cmpx_lt_u32_e32 30, v0
	s_cbranch_execz .LBB123_309
; %bb.308:
	scratch_load_b64 v[1:2], off, off offset:240
	v_mov_b32_e32 v3, 0
	s_delay_alu instid0(VALU_DEP_1)
	v_mov_b32_e32 v4, v3
	scratch_store_b64 off, v[3:4], off offset:240
	s_waitcnt vmcnt(0)
	ds_store_b64 v5, v[1:2]
.LBB123_309:
	s_or_b32 exec_lo, exec_lo, s0
	s_waitcnt lgkmcnt(0)
	s_waitcnt_vscnt null, 0x0
	s_barrier
	buffer_gl0_inv
	s_clause 0x4
	scratch_load_b128 v[126:129], off, off offset:240
	scratch_load_b128 v[130:133], off, off offset:256
	;; [unrolled: 1-line block ×5, first 2 shown]
	v_mov_b32_e32 v1, 0
	ds_load_2addr_b64 v[146:149], v1 offset0:91 offset1:92
	ds_load_2addr_b64 v[150:153], v1 offset0:93 offset1:94
	scratch_load_b128 v[154:157], off, off offset:320
	s_mov_b32 s0, exec_lo
	s_waitcnt vmcnt(5) lgkmcnt(1)
	v_fma_f64 v[2:3], v[128:129], v[146:147], 0
	s_waitcnt vmcnt(4)
	s_delay_alu instid0(VALU_DEP_1) | instskip(SKIP_4) | instid1(VALU_DEP_1)
	v_fma_f64 v[2:3], v[130:131], v[148:149], v[2:3]
	scratch_load_b128 v[128:131], off, off offset:336
	s_waitcnt lgkmcnt(0)
	v_fma_f64 v[2:3], v[132:133], v[150:151], v[2:3]
	s_waitcnt vmcnt(4)
	v_fma_f64 v[2:3], v[134:135], v[152:153], v[2:3]
	ds_load_2addr_b64 v[132:135], v1 offset0:95 offset1:96
	ds_load_2addr_b64 v[146:149], v1 offset0:97 offset1:98
	scratch_load_b128 v[150:153], off, off offset:352
	s_waitcnt lgkmcnt(1)
	v_fma_f64 v[2:3], v[136:137], v[132:133], v[2:3]
	s_waitcnt vmcnt(4)
	s_delay_alu instid0(VALU_DEP_1) | instskip(SKIP_4) | instid1(VALU_DEP_1)
	v_fma_f64 v[2:3], v[138:139], v[134:135], v[2:3]
	scratch_load_b128 v[132:135], off, off offset:368
	s_waitcnt lgkmcnt(0)
	v_fma_f64 v[2:3], v[140:141], v[146:147], v[2:3]
	s_waitcnt vmcnt(4)
	v_fma_f64 v[2:3], v[142:143], v[148:149], v[2:3]
	ds_load_2addr_b64 v[136:139], v1 offset0:99 offset1:100
	ds_load_2addr_b64 v[140:143], v1 offset0:101 offset1:102
	s_waitcnt lgkmcnt(1)
	v_fma_f64 v[2:3], v[144:145], v[136:137], v[2:3]
	scratch_load_b128 v[144:147], off, off offset:384
	s_waitcnt vmcnt(4)
	v_fma_f64 v[2:3], v[154:155], v[138:139], v[2:3]
	scratch_load_b128 v[136:139], off, off offset:400
	s_waitcnt lgkmcnt(0)
	v_fma_f64 v[2:3], v[156:157], v[140:141], v[2:3]
	s_waitcnt vmcnt(4)
	s_delay_alu instid0(VALU_DEP_1)
	v_fma_f64 v[2:3], v[128:129], v[142:143], v[2:3]
	ds_load_2addr_b64 v[140:143], v1 offset0:103 offset1:104
	ds_load_2addr_b64 v[154:157], v1 offset0:105 offset1:106
	s_waitcnt lgkmcnt(1)
	v_fma_f64 v[2:3], v[130:131], v[140:141], v[2:3]
	scratch_load_b128 v[128:131], off, off offset:416
	s_waitcnt vmcnt(4)
	v_fma_f64 v[2:3], v[150:151], v[142:143], v[2:3]
	scratch_load_b128 v[140:143], off, off offset:432
	s_waitcnt lgkmcnt(0)
	v_fma_f64 v[2:3], v[152:153], v[154:155], v[2:3]
	ds_load_2addr_b64 v[148:151], v1 offset0:107 offset1:108
	ds_load_2addr_b64 v[152:155], v1 offset0:109 offset1:110
	s_waitcnt vmcnt(4)
	v_fma_f64 v[2:3], v[132:133], v[156:157], v[2:3]
	s_waitcnt lgkmcnt(1)
	s_delay_alu instid0(VALU_DEP_1) | instskip(SKIP_4) | instid1(VALU_DEP_1)
	v_fma_f64 v[2:3], v[134:135], v[148:149], v[2:3]
	scratch_load_b128 v[132:135], off, off offset:448
	s_waitcnt vmcnt(4)
	v_fma_f64 v[2:3], v[144:145], v[150:151], v[2:3]
	s_waitcnt lgkmcnt(0)
	v_fma_f64 v[2:3], v[146:147], v[152:153], v[2:3]
	scratch_load_b128 v[144:147], off, off offset:464
	s_waitcnt vmcnt(4)
	v_fma_f64 v[2:3], v[136:137], v[154:155], v[2:3]
	ds_load_2addr_b64 v[148:151], v1 offset0:111 offset1:112
	ds_load_2addr_b64 v[152:155], v1 offset0:113 offset1:114
	s_waitcnt lgkmcnt(1)
	v_fma_f64 v[2:3], v[138:139], v[148:149], v[2:3]
	s_waitcnt vmcnt(3)
	s_delay_alu instid0(VALU_DEP_1) | instskip(SKIP_1) | instid1(VALU_DEP_1)
	v_fma_f64 v[2:3], v[128:129], v[150:151], v[2:3]
	s_waitcnt lgkmcnt(0)
	v_fma_f64 v[2:3], v[130:131], v[152:153], v[2:3]
	ds_load_2addr_b64 v[128:131], v1 offset0:115 offset1:116
	ds_load_2addr_b64 v[136:139], v1 offset0:117 offset1:118
	s_waitcnt vmcnt(2)
	v_fma_f64 v[2:3], v[140:141], v[154:155], v[2:3]
	s_waitcnt lgkmcnt(1)
	s_delay_alu instid0(VALU_DEP_1) | instskip(SKIP_4) | instid1(VALU_DEP_1)
	v_fma_f64 v[2:3], v[142:143], v[128:129], v[2:3]
	ds_load_b64 v[128:129], v1 offset:952
	s_waitcnt vmcnt(1)
	v_fma_f64 v[2:3], v[132:133], v[130:131], v[2:3]
	s_waitcnt lgkmcnt(1)
	v_fma_f64 v[2:3], v[134:135], v[136:137], v[2:3]
	s_waitcnt vmcnt(0)
	s_delay_alu instid0(VALU_DEP_1) | instskip(SKIP_1) | instid1(VALU_DEP_1)
	v_fma_f64 v[2:3], v[144:145], v[138:139], v[2:3]
	s_waitcnt lgkmcnt(0)
	v_fma_f64 v[2:3], v[146:147], v[128:129], v[2:3]
	s_delay_alu instid0(VALU_DEP_1)
	v_add_f64 v[2:3], v[126:127], -v[2:3]
	scratch_store_b64 off, v[2:3], off offset:240
	v_cmpx_lt_u32_e32 29, v0
	s_cbranch_execz .LBB123_311
; %bb.310:
	scratch_load_b64 v[3:4], off, off offset:232
	v_mov_b32_e32 v2, v1
	scratch_store_b64 off, v[1:2], off offset:232
	s_waitcnt vmcnt(0)
	ds_store_b64 v5, v[3:4]
.LBB123_311:
	s_or_b32 exec_lo, exec_lo, s0
	s_waitcnt lgkmcnt(0)
	s_waitcnt_vscnt null, 0x0
	s_barrier
	buffer_gl0_inv
	s_clause 0x4
	scratch_load_b128 v[126:129], off, off offset:232
	scratch_load_b128 v[130:133], off, off offset:248
	;; [unrolled: 1-line block ×5, first 2 shown]
	ds_load_b128 v[146:149], v1 offset:720
	ds_load_b128 v[150:153], v1 offset:736
	scratch_load_b128 v[154:157], off, off offset:312
	s_mov_b32 s0, exec_lo
	s_waitcnt vmcnt(5) lgkmcnt(1)
	v_fma_f64 v[2:3], v[128:129], v[146:147], 0
	s_waitcnt vmcnt(4)
	s_delay_alu instid0(VALU_DEP_1) | instskip(SKIP_4) | instid1(VALU_DEP_1)
	v_fma_f64 v[2:3], v[130:131], v[148:149], v[2:3]
	scratch_load_b128 v[128:131], off, off offset:328
	s_waitcnt lgkmcnt(0)
	v_fma_f64 v[2:3], v[132:133], v[150:151], v[2:3]
	s_waitcnt vmcnt(4)
	v_fma_f64 v[2:3], v[134:135], v[152:153], v[2:3]
	ds_load_b128 v[132:135], v1 offset:752
	ds_load_b128 v[146:149], v1 offset:768
	scratch_load_b128 v[150:153], off, off offset:344
	s_waitcnt lgkmcnt(1)
	v_fma_f64 v[2:3], v[136:137], v[132:133], v[2:3]
	s_waitcnt vmcnt(4)
	s_delay_alu instid0(VALU_DEP_1) | instskip(SKIP_4) | instid1(VALU_DEP_1)
	v_fma_f64 v[2:3], v[138:139], v[134:135], v[2:3]
	scratch_load_b128 v[132:135], off, off offset:360
	s_waitcnt lgkmcnt(0)
	v_fma_f64 v[2:3], v[140:141], v[146:147], v[2:3]
	s_waitcnt vmcnt(4)
	v_fma_f64 v[2:3], v[142:143], v[148:149], v[2:3]
	ds_load_b128 v[136:139], v1 offset:784
	ds_load_b128 v[140:143], v1 offset:800
	s_waitcnt lgkmcnt(1)
	v_fma_f64 v[2:3], v[144:145], v[136:137], v[2:3]
	scratch_load_b128 v[144:147], off, off offset:376
	s_waitcnt vmcnt(4)
	v_fma_f64 v[2:3], v[154:155], v[138:139], v[2:3]
	scratch_load_b128 v[136:139], off, off offset:392
	s_waitcnt lgkmcnt(0)
	v_fma_f64 v[2:3], v[156:157], v[140:141], v[2:3]
	s_waitcnt vmcnt(4)
	s_delay_alu instid0(VALU_DEP_1)
	v_fma_f64 v[2:3], v[128:129], v[142:143], v[2:3]
	ds_load_b128 v[140:143], v1 offset:816
	ds_load_b128 v[154:157], v1 offset:832
	s_waitcnt lgkmcnt(1)
	v_fma_f64 v[2:3], v[130:131], v[140:141], v[2:3]
	scratch_load_b128 v[128:131], off, off offset:408
	s_waitcnt vmcnt(4)
	v_fma_f64 v[2:3], v[150:151], v[142:143], v[2:3]
	scratch_load_b128 v[140:143], off, off offset:424
	s_waitcnt lgkmcnt(0)
	v_fma_f64 v[2:3], v[152:153], v[154:155], v[2:3]
	ds_load_b128 v[148:151], v1 offset:848
	ds_load_b128 v[152:155], v1 offset:864
	s_waitcnt vmcnt(4)
	v_fma_f64 v[2:3], v[132:133], v[156:157], v[2:3]
	s_waitcnt lgkmcnt(1)
	s_delay_alu instid0(VALU_DEP_1) | instskip(SKIP_4) | instid1(VALU_DEP_1)
	v_fma_f64 v[2:3], v[134:135], v[148:149], v[2:3]
	scratch_load_b128 v[132:135], off, off offset:440
	s_waitcnt vmcnt(4)
	v_fma_f64 v[2:3], v[144:145], v[150:151], v[2:3]
	s_waitcnt lgkmcnt(0)
	v_fma_f64 v[2:3], v[146:147], v[152:153], v[2:3]
	scratch_load_b128 v[144:147], off, off offset:456
	s_waitcnt vmcnt(4)
	v_fma_f64 v[2:3], v[136:137], v[154:155], v[2:3]
	ds_load_b128 v[148:151], v1 offset:880
	ds_load_b128 v[152:155], v1 offset:896
	s_waitcnt lgkmcnt(1)
	v_fma_f64 v[2:3], v[138:139], v[148:149], v[2:3]
	scratch_load_b64 v[148:149], off, off offset:472
	s_waitcnt vmcnt(4)
	v_fma_f64 v[2:3], v[128:129], v[150:151], v[2:3]
	s_waitcnt lgkmcnt(0)
	s_delay_alu instid0(VALU_DEP_1)
	v_fma_f64 v[2:3], v[130:131], v[152:153], v[2:3]
	ds_load_b128 v[128:131], v1 offset:912
	ds_load_b128 v[136:139], v1 offset:928
	s_waitcnt vmcnt(3)
	v_fma_f64 v[2:3], v[140:141], v[154:155], v[2:3]
	s_waitcnt lgkmcnt(1)
	s_delay_alu instid0(VALU_DEP_1) | instskip(SKIP_1) | instid1(VALU_DEP_1)
	v_fma_f64 v[2:3], v[142:143], v[128:129], v[2:3]
	s_waitcnt vmcnt(2)
	v_fma_f64 v[2:3], v[132:133], v[130:131], v[2:3]
	s_waitcnt lgkmcnt(0)
	s_delay_alu instid0(VALU_DEP_1) | instskip(SKIP_1) | instid1(VALU_DEP_1)
	v_fma_f64 v[2:3], v[134:135], v[136:137], v[2:3]
	s_waitcnt vmcnt(1)
	v_fma_f64 v[128:129], v[144:145], v[138:139], v[2:3]
	ds_load_b128 v[1:4], v1 offset:944
	s_waitcnt lgkmcnt(0)
	v_fma_f64 v[1:2], v[146:147], v[1:2], v[128:129]
	s_waitcnt vmcnt(0)
	s_delay_alu instid0(VALU_DEP_1) | instskip(NEXT) | instid1(VALU_DEP_1)
	v_fma_f64 v[1:2], v[148:149], v[3:4], v[1:2]
	v_add_f64 v[1:2], v[126:127], -v[1:2]
	scratch_store_b64 off, v[1:2], off offset:232
	v_cmpx_lt_u32_e32 28, v0
	s_cbranch_execz .LBB123_313
; %bb.312:
	scratch_load_b64 v[1:2], off, off offset:224
	v_mov_b32_e32 v3, 0
	s_delay_alu instid0(VALU_DEP_1)
	v_mov_b32_e32 v4, v3
	scratch_store_b64 off, v[3:4], off offset:224
	s_waitcnt vmcnt(0)
	ds_store_b64 v5, v[1:2]
.LBB123_313:
	s_or_b32 exec_lo, exec_lo, s0
	s_waitcnt lgkmcnt(0)
	s_waitcnt_vscnt null, 0x0
	s_barrier
	buffer_gl0_inv
	s_clause 0x4
	scratch_load_b128 v[126:129], off, off offset:224
	scratch_load_b128 v[130:133], off, off offset:240
	scratch_load_b128 v[134:137], off, off offset:256
	scratch_load_b128 v[138:141], off, off offset:272
	scratch_load_b128 v[142:145], off, off offset:288
	v_mov_b32_e32 v1, 0
	ds_load_2addr_b64 v[146:149], v1 offset0:89 offset1:90
	ds_load_2addr_b64 v[150:153], v1 offset0:91 offset1:92
	scratch_load_b128 v[154:157], off, off offset:304
	s_mov_b32 s0, exec_lo
	s_waitcnt vmcnt(5) lgkmcnt(1)
	v_fma_f64 v[2:3], v[128:129], v[146:147], 0
	s_waitcnt vmcnt(4)
	s_delay_alu instid0(VALU_DEP_1) | instskip(SKIP_4) | instid1(VALU_DEP_1)
	v_fma_f64 v[2:3], v[130:131], v[148:149], v[2:3]
	scratch_load_b128 v[128:131], off, off offset:320
	s_waitcnt lgkmcnt(0)
	v_fma_f64 v[2:3], v[132:133], v[150:151], v[2:3]
	s_waitcnt vmcnt(4)
	v_fma_f64 v[2:3], v[134:135], v[152:153], v[2:3]
	ds_load_2addr_b64 v[132:135], v1 offset0:93 offset1:94
	ds_load_2addr_b64 v[146:149], v1 offset0:95 offset1:96
	scratch_load_b128 v[150:153], off, off offset:336
	s_waitcnt lgkmcnt(1)
	v_fma_f64 v[2:3], v[136:137], v[132:133], v[2:3]
	s_waitcnt vmcnt(4)
	s_delay_alu instid0(VALU_DEP_1) | instskip(SKIP_4) | instid1(VALU_DEP_1)
	v_fma_f64 v[2:3], v[138:139], v[134:135], v[2:3]
	scratch_load_b128 v[132:135], off, off offset:352
	s_waitcnt lgkmcnt(0)
	v_fma_f64 v[2:3], v[140:141], v[146:147], v[2:3]
	s_waitcnt vmcnt(4)
	v_fma_f64 v[2:3], v[142:143], v[148:149], v[2:3]
	ds_load_2addr_b64 v[136:139], v1 offset0:97 offset1:98
	ds_load_2addr_b64 v[140:143], v1 offset0:99 offset1:100
	s_waitcnt lgkmcnt(1)
	v_fma_f64 v[2:3], v[144:145], v[136:137], v[2:3]
	scratch_load_b128 v[144:147], off, off offset:368
	s_waitcnt vmcnt(4)
	v_fma_f64 v[2:3], v[154:155], v[138:139], v[2:3]
	scratch_load_b128 v[136:139], off, off offset:384
	s_waitcnt lgkmcnt(0)
	v_fma_f64 v[2:3], v[156:157], v[140:141], v[2:3]
	s_waitcnt vmcnt(4)
	s_delay_alu instid0(VALU_DEP_1)
	v_fma_f64 v[2:3], v[128:129], v[142:143], v[2:3]
	ds_load_2addr_b64 v[140:143], v1 offset0:101 offset1:102
	ds_load_2addr_b64 v[154:157], v1 offset0:103 offset1:104
	s_waitcnt lgkmcnt(1)
	v_fma_f64 v[2:3], v[130:131], v[140:141], v[2:3]
	scratch_load_b128 v[128:131], off, off offset:400
	s_waitcnt vmcnt(4)
	v_fma_f64 v[2:3], v[150:151], v[142:143], v[2:3]
	scratch_load_b128 v[140:143], off, off offset:416
	s_waitcnt lgkmcnt(0)
	v_fma_f64 v[2:3], v[152:153], v[154:155], v[2:3]
	ds_load_2addr_b64 v[148:151], v1 offset0:105 offset1:106
	ds_load_2addr_b64 v[152:155], v1 offset0:107 offset1:108
	s_waitcnt vmcnt(4)
	v_fma_f64 v[2:3], v[132:133], v[156:157], v[2:3]
	s_waitcnt lgkmcnt(1)
	s_delay_alu instid0(VALU_DEP_1) | instskip(SKIP_4) | instid1(VALU_DEP_1)
	v_fma_f64 v[2:3], v[134:135], v[148:149], v[2:3]
	scratch_load_b128 v[132:135], off, off offset:432
	s_waitcnt vmcnt(4)
	v_fma_f64 v[2:3], v[144:145], v[150:151], v[2:3]
	s_waitcnt lgkmcnt(0)
	v_fma_f64 v[2:3], v[146:147], v[152:153], v[2:3]
	scratch_load_b128 v[144:147], off, off offset:448
	s_waitcnt vmcnt(4)
	v_fma_f64 v[2:3], v[136:137], v[154:155], v[2:3]
	ds_load_2addr_b64 v[148:151], v1 offset0:109 offset1:110
	ds_load_2addr_b64 v[152:155], v1 offset0:111 offset1:112
	s_waitcnt lgkmcnt(1)
	v_fma_f64 v[2:3], v[138:139], v[148:149], v[2:3]
	scratch_load_b128 v[136:139], off, off offset:464
	s_waitcnt vmcnt(4)
	v_fma_f64 v[2:3], v[128:129], v[150:151], v[2:3]
	s_waitcnt lgkmcnt(0)
	s_delay_alu instid0(VALU_DEP_1)
	v_fma_f64 v[2:3], v[130:131], v[152:153], v[2:3]
	ds_load_2addr_b64 v[128:131], v1 offset0:113 offset1:114
	ds_load_2addr_b64 v[148:151], v1 offset0:115 offset1:116
	s_waitcnt vmcnt(3)
	v_fma_f64 v[2:3], v[140:141], v[154:155], v[2:3]
	s_waitcnt lgkmcnt(1)
	s_delay_alu instid0(VALU_DEP_1) | instskip(SKIP_1) | instid1(VALU_DEP_1)
	v_fma_f64 v[2:3], v[142:143], v[128:129], v[2:3]
	s_waitcnt vmcnt(2)
	v_fma_f64 v[2:3], v[132:133], v[130:131], v[2:3]
	ds_load_2addr_b64 v[128:131], v1 offset0:117 offset1:118
	ds_load_b64 v[132:133], v1 offset:952
	s_waitcnt lgkmcnt(2)
	v_fma_f64 v[2:3], v[134:135], v[148:149], v[2:3]
	s_waitcnt vmcnt(1)
	s_delay_alu instid0(VALU_DEP_1) | instskip(SKIP_1) | instid1(VALU_DEP_1)
	v_fma_f64 v[2:3], v[144:145], v[150:151], v[2:3]
	s_waitcnt lgkmcnt(1)
	v_fma_f64 v[2:3], v[146:147], v[128:129], v[2:3]
	s_waitcnt vmcnt(0)
	s_delay_alu instid0(VALU_DEP_1) | instskip(SKIP_1) | instid1(VALU_DEP_1)
	v_fma_f64 v[2:3], v[136:137], v[130:131], v[2:3]
	s_waitcnt lgkmcnt(0)
	v_fma_f64 v[2:3], v[138:139], v[132:133], v[2:3]
	s_delay_alu instid0(VALU_DEP_1)
	v_add_f64 v[2:3], v[126:127], -v[2:3]
	scratch_store_b64 off, v[2:3], off offset:224
	v_cmpx_lt_u32_e32 27, v0
	s_cbranch_execz .LBB123_315
; %bb.314:
	scratch_load_b64 v[3:4], off, off offset:216
	v_mov_b32_e32 v2, v1
	scratch_store_b64 off, v[1:2], off offset:216
	s_waitcnt vmcnt(0)
	ds_store_b64 v5, v[3:4]
.LBB123_315:
	s_or_b32 exec_lo, exec_lo, s0
	s_waitcnt lgkmcnt(0)
	s_waitcnt_vscnt null, 0x0
	s_barrier
	buffer_gl0_inv
	s_clause 0x4
	scratch_load_b128 v[126:129], off, off offset:216
	scratch_load_b128 v[130:133], off, off offset:232
	;; [unrolled: 1-line block ×5, first 2 shown]
	ds_load_b128 v[146:149], v1 offset:704
	ds_load_b128 v[150:153], v1 offset:720
	scratch_load_b128 v[154:157], off, off offset:296
	s_mov_b32 s0, exec_lo
	s_waitcnt vmcnt(5) lgkmcnt(1)
	v_fma_f64 v[2:3], v[128:129], v[146:147], 0
	s_waitcnt vmcnt(4)
	s_delay_alu instid0(VALU_DEP_1) | instskip(SKIP_4) | instid1(VALU_DEP_1)
	v_fma_f64 v[2:3], v[130:131], v[148:149], v[2:3]
	scratch_load_b128 v[128:131], off, off offset:312
	s_waitcnt lgkmcnt(0)
	v_fma_f64 v[2:3], v[132:133], v[150:151], v[2:3]
	s_waitcnt vmcnt(4)
	v_fma_f64 v[2:3], v[134:135], v[152:153], v[2:3]
	ds_load_b128 v[132:135], v1 offset:736
	ds_load_b128 v[146:149], v1 offset:752
	scratch_load_b128 v[150:153], off, off offset:328
	s_waitcnt lgkmcnt(1)
	v_fma_f64 v[2:3], v[136:137], v[132:133], v[2:3]
	s_waitcnt vmcnt(4)
	s_delay_alu instid0(VALU_DEP_1) | instskip(SKIP_4) | instid1(VALU_DEP_1)
	v_fma_f64 v[2:3], v[138:139], v[134:135], v[2:3]
	scratch_load_b128 v[132:135], off, off offset:344
	s_waitcnt lgkmcnt(0)
	v_fma_f64 v[2:3], v[140:141], v[146:147], v[2:3]
	s_waitcnt vmcnt(4)
	v_fma_f64 v[2:3], v[142:143], v[148:149], v[2:3]
	ds_load_b128 v[136:139], v1 offset:768
	ds_load_b128 v[140:143], v1 offset:784
	s_waitcnt lgkmcnt(1)
	v_fma_f64 v[2:3], v[144:145], v[136:137], v[2:3]
	scratch_load_b128 v[144:147], off, off offset:360
	s_waitcnt vmcnt(4)
	v_fma_f64 v[2:3], v[154:155], v[138:139], v[2:3]
	scratch_load_b128 v[136:139], off, off offset:376
	s_waitcnt lgkmcnt(0)
	v_fma_f64 v[2:3], v[156:157], v[140:141], v[2:3]
	s_waitcnt vmcnt(4)
	s_delay_alu instid0(VALU_DEP_1)
	v_fma_f64 v[2:3], v[128:129], v[142:143], v[2:3]
	ds_load_b128 v[140:143], v1 offset:800
	ds_load_b128 v[154:157], v1 offset:816
	s_waitcnt lgkmcnt(1)
	v_fma_f64 v[2:3], v[130:131], v[140:141], v[2:3]
	scratch_load_b128 v[128:131], off, off offset:392
	s_waitcnt vmcnt(4)
	v_fma_f64 v[2:3], v[150:151], v[142:143], v[2:3]
	scratch_load_b128 v[140:143], off, off offset:408
	s_waitcnt lgkmcnt(0)
	v_fma_f64 v[2:3], v[152:153], v[154:155], v[2:3]
	ds_load_b128 v[148:151], v1 offset:832
	ds_load_b128 v[152:155], v1 offset:848
	s_waitcnt vmcnt(4)
	v_fma_f64 v[2:3], v[132:133], v[156:157], v[2:3]
	s_waitcnt lgkmcnt(1)
	s_delay_alu instid0(VALU_DEP_1) | instskip(SKIP_4) | instid1(VALU_DEP_1)
	v_fma_f64 v[2:3], v[134:135], v[148:149], v[2:3]
	scratch_load_b128 v[132:135], off, off offset:424
	s_waitcnt vmcnt(4)
	v_fma_f64 v[2:3], v[144:145], v[150:151], v[2:3]
	s_waitcnt lgkmcnt(0)
	v_fma_f64 v[2:3], v[146:147], v[152:153], v[2:3]
	scratch_load_b128 v[144:147], off, off offset:440
	s_waitcnt vmcnt(4)
	v_fma_f64 v[2:3], v[136:137], v[154:155], v[2:3]
	ds_load_b128 v[148:151], v1 offset:864
	ds_load_b128 v[152:155], v1 offset:880
	s_waitcnt lgkmcnt(1)
	v_fma_f64 v[2:3], v[138:139], v[148:149], v[2:3]
	scratch_load_b128 v[136:139], off, off offset:456
	s_waitcnt vmcnt(4)
	v_fma_f64 v[2:3], v[128:129], v[150:151], v[2:3]
	s_waitcnt lgkmcnt(0)
	s_delay_alu instid0(VALU_DEP_1)
	v_fma_f64 v[2:3], v[130:131], v[152:153], v[2:3]
	scratch_load_b64 v[152:153], off, off offset:472
	ds_load_b128 v[128:131], v1 offset:896
	ds_load_b128 v[148:151], v1 offset:912
	s_waitcnt vmcnt(4)
	v_fma_f64 v[2:3], v[140:141], v[154:155], v[2:3]
	s_waitcnt lgkmcnt(1)
	s_delay_alu instid0(VALU_DEP_1) | instskip(SKIP_1) | instid1(VALU_DEP_1)
	v_fma_f64 v[2:3], v[142:143], v[128:129], v[2:3]
	s_waitcnt vmcnt(3)
	v_fma_f64 v[2:3], v[132:133], v[130:131], v[2:3]
	s_waitcnt lgkmcnt(0)
	s_delay_alu instid0(VALU_DEP_1) | instskip(SKIP_1) | instid1(VALU_DEP_1)
	v_fma_f64 v[2:3], v[134:135], v[148:149], v[2:3]
	s_waitcnt vmcnt(2)
	v_fma_f64 v[132:133], v[144:145], v[150:151], v[2:3]
	ds_load_b128 v[128:131], v1 offset:928
	ds_load_b128 v[1:4], v1 offset:944
	s_waitcnt lgkmcnt(1)
	v_fma_f64 v[128:129], v[146:147], v[128:129], v[132:133]
	s_waitcnt vmcnt(1)
	s_delay_alu instid0(VALU_DEP_1) | instskip(SKIP_1) | instid1(VALU_DEP_1)
	v_fma_f64 v[128:129], v[136:137], v[130:131], v[128:129]
	s_waitcnt lgkmcnt(0)
	v_fma_f64 v[1:2], v[138:139], v[1:2], v[128:129]
	s_waitcnt vmcnt(0)
	s_delay_alu instid0(VALU_DEP_1) | instskip(NEXT) | instid1(VALU_DEP_1)
	v_fma_f64 v[1:2], v[152:153], v[3:4], v[1:2]
	v_add_f64 v[1:2], v[126:127], -v[1:2]
	scratch_store_b64 off, v[1:2], off offset:216
	v_cmpx_lt_u32_e32 26, v0
	s_cbranch_execz .LBB123_317
; %bb.316:
	scratch_load_b64 v[1:2], off, off offset:208
	v_mov_b32_e32 v3, 0
	s_delay_alu instid0(VALU_DEP_1)
	v_mov_b32_e32 v4, v3
	scratch_store_b64 off, v[3:4], off offset:208
	s_waitcnt vmcnt(0)
	ds_store_b64 v5, v[1:2]
.LBB123_317:
	s_or_b32 exec_lo, exec_lo, s0
	s_waitcnt lgkmcnt(0)
	s_waitcnt_vscnt null, 0x0
	s_barrier
	buffer_gl0_inv
	s_clause 0x4
	scratch_load_b128 v[126:129], off, off offset:208
	scratch_load_b128 v[130:133], off, off offset:224
	;; [unrolled: 1-line block ×5, first 2 shown]
	v_mov_b32_e32 v1, 0
	ds_load_2addr_b64 v[146:149], v1 offset0:87 offset1:88
	ds_load_2addr_b64 v[150:153], v1 offset0:89 offset1:90
	scratch_load_b128 v[154:157], off, off offset:288
	s_mov_b32 s0, exec_lo
	s_waitcnt vmcnt(5) lgkmcnt(1)
	v_fma_f64 v[2:3], v[128:129], v[146:147], 0
	s_waitcnt vmcnt(4)
	s_delay_alu instid0(VALU_DEP_1) | instskip(SKIP_4) | instid1(VALU_DEP_1)
	v_fma_f64 v[2:3], v[130:131], v[148:149], v[2:3]
	scratch_load_b128 v[128:131], off, off offset:304
	s_waitcnt lgkmcnt(0)
	v_fma_f64 v[2:3], v[132:133], v[150:151], v[2:3]
	s_waitcnt vmcnt(4)
	v_fma_f64 v[2:3], v[134:135], v[152:153], v[2:3]
	ds_load_2addr_b64 v[132:135], v1 offset0:91 offset1:92
	ds_load_2addr_b64 v[146:149], v1 offset0:93 offset1:94
	scratch_load_b128 v[150:153], off, off offset:320
	s_waitcnt lgkmcnt(1)
	v_fma_f64 v[2:3], v[136:137], v[132:133], v[2:3]
	s_waitcnt vmcnt(4)
	s_delay_alu instid0(VALU_DEP_1) | instskip(SKIP_4) | instid1(VALU_DEP_1)
	v_fma_f64 v[2:3], v[138:139], v[134:135], v[2:3]
	scratch_load_b128 v[132:135], off, off offset:336
	s_waitcnt lgkmcnt(0)
	v_fma_f64 v[2:3], v[140:141], v[146:147], v[2:3]
	s_waitcnt vmcnt(4)
	v_fma_f64 v[2:3], v[142:143], v[148:149], v[2:3]
	ds_load_2addr_b64 v[136:139], v1 offset0:95 offset1:96
	ds_load_2addr_b64 v[140:143], v1 offset0:97 offset1:98
	s_waitcnt lgkmcnt(1)
	v_fma_f64 v[2:3], v[144:145], v[136:137], v[2:3]
	scratch_load_b128 v[144:147], off, off offset:352
	s_waitcnt vmcnt(4)
	v_fma_f64 v[2:3], v[154:155], v[138:139], v[2:3]
	scratch_load_b128 v[136:139], off, off offset:368
	s_waitcnt lgkmcnt(0)
	v_fma_f64 v[2:3], v[156:157], v[140:141], v[2:3]
	s_waitcnt vmcnt(4)
	s_delay_alu instid0(VALU_DEP_1)
	v_fma_f64 v[2:3], v[128:129], v[142:143], v[2:3]
	ds_load_2addr_b64 v[140:143], v1 offset0:99 offset1:100
	ds_load_2addr_b64 v[154:157], v1 offset0:101 offset1:102
	s_waitcnt lgkmcnt(1)
	v_fma_f64 v[2:3], v[130:131], v[140:141], v[2:3]
	scratch_load_b128 v[128:131], off, off offset:384
	s_waitcnt vmcnt(4)
	v_fma_f64 v[2:3], v[150:151], v[142:143], v[2:3]
	scratch_load_b128 v[140:143], off, off offset:400
	s_waitcnt lgkmcnt(0)
	v_fma_f64 v[2:3], v[152:153], v[154:155], v[2:3]
	ds_load_2addr_b64 v[148:151], v1 offset0:103 offset1:104
	ds_load_2addr_b64 v[152:155], v1 offset0:105 offset1:106
	s_waitcnt vmcnt(4)
	v_fma_f64 v[2:3], v[132:133], v[156:157], v[2:3]
	s_waitcnt lgkmcnt(1)
	s_delay_alu instid0(VALU_DEP_1) | instskip(SKIP_4) | instid1(VALU_DEP_1)
	v_fma_f64 v[2:3], v[134:135], v[148:149], v[2:3]
	scratch_load_b128 v[132:135], off, off offset:416
	s_waitcnt vmcnt(4)
	v_fma_f64 v[2:3], v[144:145], v[150:151], v[2:3]
	s_waitcnt lgkmcnt(0)
	v_fma_f64 v[2:3], v[146:147], v[152:153], v[2:3]
	scratch_load_b128 v[144:147], off, off offset:432
	s_waitcnt vmcnt(4)
	v_fma_f64 v[2:3], v[136:137], v[154:155], v[2:3]
	ds_load_2addr_b64 v[148:151], v1 offset0:107 offset1:108
	ds_load_2addr_b64 v[152:155], v1 offset0:109 offset1:110
	s_waitcnt lgkmcnt(1)
	v_fma_f64 v[2:3], v[138:139], v[148:149], v[2:3]
	scratch_load_b128 v[136:139], off, off offset:448
	s_waitcnt vmcnt(4)
	v_fma_f64 v[2:3], v[128:129], v[150:151], v[2:3]
	s_waitcnt lgkmcnt(0)
	s_delay_alu instid0(VALU_DEP_1)
	v_fma_f64 v[2:3], v[130:131], v[152:153], v[2:3]
	scratch_load_b128 v[128:131], off, off offset:464
	s_waitcnt vmcnt(4)
	v_fma_f64 v[2:3], v[140:141], v[154:155], v[2:3]
	ds_load_2addr_b64 v[148:151], v1 offset0:111 offset1:112
	ds_load_2addr_b64 v[152:155], v1 offset0:113 offset1:114
	s_waitcnt lgkmcnt(1)
	v_fma_f64 v[2:3], v[142:143], v[148:149], v[2:3]
	s_waitcnt vmcnt(3)
	s_delay_alu instid0(VALU_DEP_1) | instskip(SKIP_1) | instid1(VALU_DEP_1)
	v_fma_f64 v[2:3], v[132:133], v[150:151], v[2:3]
	s_waitcnt lgkmcnt(0)
	v_fma_f64 v[2:3], v[134:135], v[152:153], v[2:3]
	ds_load_2addr_b64 v[132:135], v1 offset0:115 offset1:116
	ds_load_2addr_b64 v[140:143], v1 offset0:117 offset1:118
	s_waitcnt vmcnt(2)
	v_fma_f64 v[2:3], v[144:145], v[154:155], v[2:3]
	s_waitcnt lgkmcnt(1)
	s_delay_alu instid0(VALU_DEP_1) | instskip(SKIP_1) | instid1(VALU_DEP_1)
	v_fma_f64 v[2:3], v[146:147], v[132:133], v[2:3]
	s_waitcnt vmcnt(1)
	v_fma_f64 v[2:3], v[136:137], v[134:135], v[2:3]
	s_waitcnt lgkmcnt(0)
	s_delay_alu instid0(VALU_DEP_1) | instskip(SKIP_1) | instid1(VALU_DEP_1)
	v_fma_f64 v[2:3], v[138:139], v[140:141], v[2:3]
	s_waitcnt vmcnt(0)
	v_fma_f64 v[2:3], v[128:129], v[142:143], v[2:3]
	ds_load_b64 v[128:129], v1 offset:952
	s_waitcnt lgkmcnt(0)
	v_fma_f64 v[2:3], v[130:131], v[128:129], v[2:3]
	s_delay_alu instid0(VALU_DEP_1)
	v_add_f64 v[2:3], v[126:127], -v[2:3]
	scratch_store_b64 off, v[2:3], off offset:208
	v_cmpx_lt_u32_e32 25, v0
	s_cbranch_execz .LBB123_319
; %bb.318:
	scratch_load_b64 v[3:4], off, off offset:200
	v_mov_b32_e32 v2, v1
	scratch_store_b64 off, v[1:2], off offset:200
	s_waitcnt vmcnt(0)
	ds_store_b64 v5, v[3:4]
.LBB123_319:
	s_or_b32 exec_lo, exec_lo, s0
	s_waitcnt lgkmcnt(0)
	s_waitcnt_vscnt null, 0x0
	s_barrier
	buffer_gl0_inv
	s_clause 0x4
	scratch_load_b128 v[126:129], off, off offset:200
	scratch_load_b128 v[130:133], off, off offset:216
	scratch_load_b128 v[134:137], off, off offset:232
	scratch_load_b128 v[138:141], off, off offset:248
	scratch_load_b128 v[142:145], off, off offset:264
	ds_load_b128 v[146:149], v1 offset:688
	ds_load_b128 v[150:153], v1 offset:704
	scratch_load_b128 v[154:157], off, off offset:280
	s_mov_b32 s0, exec_lo
	s_waitcnt vmcnt(5) lgkmcnt(1)
	v_fma_f64 v[2:3], v[128:129], v[146:147], 0
	s_waitcnt vmcnt(4)
	s_delay_alu instid0(VALU_DEP_1) | instskip(SKIP_4) | instid1(VALU_DEP_1)
	v_fma_f64 v[2:3], v[130:131], v[148:149], v[2:3]
	scratch_load_b128 v[128:131], off, off offset:296
	s_waitcnt lgkmcnt(0)
	v_fma_f64 v[2:3], v[132:133], v[150:151], v[2:3]
	s_waitcnt vmcnt(4)
	v_fma_f64 v[2:3], v[134:135], v[152:153], v[2:3]
	ds_load_b128 v[132:135], v1 offset:720
	ds_load_b128 v[146:149], v1 offset:736
	scratch_load_b128 v[150:153], off, off offset:312
	s_waitcnt lgkmcnt(1)
	v_fma_f64 v[2:3], v[136:137], v[132:133], v[2:3]
	s_waitcnt vmcnt(4)
	s_delay_alu instid0(VALU_DEP_1) | instskip(SKIP_4) | instid1(VALU_DEP_1)
	v_fma_f64 v[2:3], v[138:139], v[134:135], v[2:3]
	scratch_load_b128 v[132:135], off, off offset:328
	s_waitcnt lgkmcnt(0)
	v_fma_f64 v[2:3], v[140:141], v[146:147], v[2:3]
	s_waitcnt vmcnt(4)
	v_fma_f64 v[2:3], v[142:143], v[148:149], v[2:3]
	ds_load_b128 v[136:139], v1 offset:752
	ds_load_b128 v[140:143], v1 offset:768
	s_waitcnt lgkmcnt(1)
	v_fma_f64 v[2:3], v[144:145], v[136:137], v[2:3]
	scratch_load_b128 v[144:147], off, off offset:344
	s_waitcnt vmcnt(4)
	v_fma_f64 v[2:3], v[154:155], v[138:139], v[2:3]
	scratch_load_b128 v[136:139], off, off offset:360
	s_waitcnt lgkmcnt(0)
	v_fma_f64 v[2:3], v[156:157], v[140:141], v[2:3]
	s_waitcnt vmcnt(4)
	s_delay_alu instid0(VALU_DEP_1)
	v_fma_f64 v[2:3], v[128:129], v[142:143], v[2:3]
	ds_load_b128 v[140:143], v1 offset:784
	ds_load_b128 v[154:157], v1 offset:800
	s_waitcnt lgkmcnt(1)
	v_fma_f64 v[2:3], v[130:131], v[140:141], v[2:3]
	scratch_load_b128 v[128:131], off, off offset:376
	s_waitcnt vmcnt(4)
	v_fma_f64 v[2:3], v[150:151], v[142:143], v[2:3]
	scratch_load_b128 v[140:143], off, off offset:392
	s_waitcnt lgkmcnt(0)
	v_fma_f64 v[2:3], v[152:153], v[154:155], v[2:3]
	ds_load_b128 v[148:151], v1 offset:816
	ds_load_b128 v[152:155], v1 offset:832
	s_waitcnt vmcnt(4)
	v_fma_f64 v[2:3], v[132:133], v[156:157], v[2:3]
	s_waitcnt lgkmcnt(1)
	s_delay_alu instid0(VALU_DEP_1) | instskip(SKIP_4) | instid1(VALU_DEP_1)
	v_fma_f64 v[2:3], v[134:135], v[148:149], v[2:3]
	scratch_load_b128 v[132:135], off, off offset:408
	s_waitcnt vmcnt(4)
	v_fma_f64 v[2:3], v[144:145], v[150:151], v[2:3]
	s_waitcnt lgkmcnt(0)
	v_fma_f64 v[2:3], v[146:147], v[152:153], v[2:3]
	scratch_load_b128 v[144:147], off, off offset:424
	s_waitcnt vmcnt(4)
	v_fma_f64 v[2:3], v[136:137], v[154:155], v[2:3]
	ds_load_b128 v[148:151], v1 offset:848
	ds_load_b128 v[152:155], v1 offset:864
	s_waitcnt lgkmcnt(1)
	v_fma_f64 v[2:3], v[138:139], v[148:149], v[2:3]
	scratch_load_b128 v[136:139], off, off offset:440
	s_waitcnt vmcnt(4)
	v_fma_f64 v[2:3], v[128:129], v[150:151], v[2:3]
	s_waitcnt lgkmcnt(0)
	s_delay_alu instid0(VALU_DEP_1)
	v_fma_f64 v[2:3], v[130:131], v[152:153], v[2:3]
	scratch_load_b128 v[128:131], off, off offset:456
	s_waitcnt vmcnt(4)
	v_fma_f64 v[2:3], v[140:141], v[154:155], v[2:3]
	ds_load_b128 v[148:151], v1 offset:880
	ds_load_b128 v[152:155], v1 offset:896
	s_waitcnt lgkmcnt(1)
	v_fma_f64 v[2:3], v[142:143], v[148:149], v[2:3]
	scratch_load_b64 v[148:149], off, off offset:472
	s_waitcnt vmcnt(4)
	v_fma_f64 v[2:3], v[132:133], v[150:151], v[2:3]
	s_waitcnt lgkmcnt(0)
	s_delay_alu instid0(VALU_DEP_1)
	v_fma_f64 v[2:3], v[134:135], v[152:153], v[2:3]
	ds_load_b128 v[132:135], v1 offset:912
	ds_load_b128 v[140:143], v1 offset:928
	s_waitcnt vmcnt(3)
	v_fma_f64 v[2:3], v[144:145], v[154:155], v[2:3]
	s_waitcnt lgkmcnt(1)
	s_delay_alu instid0(VALU_DEP_1) | instskip(SKIP_1) | instid1(VALU_DEP_1)
	v_fma_f64 v[2:3], v[146:147], v[132:133], v[2:3]
	s_waitcnt vmcnt(2)
	v_fma_f64 v[2:3], v[136:137], v[134:135], v[2:3]
	s_waitcnt lgkmcnt(0)
	s_delay_alu instid0(VALU_DEP_1) | instskip(SKIP_1) | instid1(VALU_DEP_1)
	v_fma_f64 v[2:3], v[138:139], v[140:141], v[2:3]
	s_waitcnt vmcnt(1)
	v_fma_f64 v[128:129], v[128:129], v[142:143], v[2:3]
	ds_load_b128 v[1:4], v1 offset:944
	s_waitcnt lgkmcnt(0)
	v_fma_f64 v[1:2], v[130:131], v[1:2], v[128:129]
	s_waitcnt vmcnt(0)
	s_delay_alu instid0(VALU_DEP_1) | instskip(NEXT) | instid1(VALU_DEP_1)
	v_fma_f64 v[1:2], v[148:149], v[3:4], v[1:2]
	v_add_f64 v[1:2], v[126:127], -v[1:2]
	scratch_store_b64 off, v[1:2], off offset:200
	v_cmpx_lt_u32_e32 24, v0
	s_cbranch_execz .LBB123_321
; %bb.320:
	scratch_load_b64 v[1:2], off, off offset:192
	v_mov_b32_e32 v3, 0
	s_delay_alu instid0(VALU_DEP_1)
	v_mov_b32_e32 v4, v3
	scratch_store_b64 off, v[3:4], off offset:192
	s_waitcnt vmcnt(0)
	ds_store_b64 v5, v[1:2]
.LBB123_321:
	s_or_b32 exec_lo, exec_lo, s0
	s_waitcnt lgkmcnt(0)
	s_waitcnt_vscnt null, 0x0
	s_barrier
	buffer_gl0_inv
	s_clause 0x4
	scratch_load_b128 v[126:129], off, off offset:192
	scratch_load_b128 v[130:133], off, off offset:208
	scratch_load_b128 v[134:137], off, off offset:224
	scratch_load_b128 v[138:141], off, off offset:240
	scratch_load_b128 v[142:145], off, off offset:256
	v_mov_b32_e32 v1, 0
	ds_load_2addr_b64 v[146:149], v1 offset0:85 offset1:86
	ds_load_2addr_b64 v[150:153], v1 offset0:87 offset1:88
	scratch_load_b128 v[154:157], off, off offset:272
	s_mov_b32 s0, exec_lo
	s_waitcnt vmcnt(5) lgkmcnt(1)
	v_fma_f64 v[2:3], v[128:129], v[146:147], 0
	s_waitcnt vmcnt(4)
	s_delay_alu instid0(VALU_DEP_1) | instskip(SKIP_4) | instid1(VALU_DEP_1)
	v_fma_f64 v[2:3], v[130:131], v[148:149], v[2:3]
	scratch_load_b128 v[128:131], off, off offset:288
	s_waitcnt lgkmcnt(0)
	v_fma_f64 v[2:3], v[132:133], v[150:151], v[2:3]
	s_waitcnt vmcnt(4)
	v_fma_f64 v[2:3], v[134:135], v[152:153], v[2:3]
	ds_load_2addr_b64 v[132:135], v1 offset0:89 offset1:90
	ds_load_2addr_b64 v[146:149], v1 offset0:91 offset1:92
	scratch_load_b128 v[150:153], off, off offset:304
	s_waitcnt lgkmcnt(1)
	v_fma_f64 v[2:3], v[136:137], v[132:133], v[2:3]
	s_waitcnt vmcnt(4)
	s_delay_alu instid0(VALU_DEP_1) | instskip(SKIP_4) | instid1(VALU_DEP_1)
	v_fma_f64 v[2:3], v[138:139], v[134:135], v[2:3]
	scratch_load_b128 v[132:135], off, off offset:320
	s_waitcnt lgkmcnt(0)
	v_fma_f64 v[2:3], v[140:141], v[146:147], v[2:3]
	s_waitcnt vmcnt(4)
	v_fma_f64 v[2:3], v[142:143], v[148:149], v[2:3]
	ds_load_2addr_b64 v[136:139], v1 offset0:93 offset1:94
	ds_load_2addr_b64 v[140:143], v1 offset0:95 offset1:96
	s_waitcnt lgkmcnt(1)
	v_fma_f64 v[2:3], v[144:145], v[136:137], v[2:3]
	scratch_load_b128 v[144:147], off, off offset:336
	s_waitcnt vmcnt(4)
	v_fma_f64 v[2:3], v[154:155], v[138:139], v[2:3]
	scratch_load_b128 v[136:139], off, off offset:352
	s_waitcnt lgkmcnt(0)
	v_fma_f64 v[2:3], v[156:157], v[140:141], v[2:3]
	s_waitcnt vmcnt(4)
	s_delay_alu instid0(VALU_DEP_1)
	v_fma_f64 v[2:3], v[128:129], v[142:143], v[2:3]
	ds_load_2addr_b64 v[140:143], v1 offset0:97 offset1:98
	ds_load_2addr_b64 v[154:157], v1 offset0:99 offset1:100
	s_waitcnt lgkmcnt(1)
	v_fma_f64 v[2:3], v[130:131], v[140:141], v[2:3]
	scratch_load_b128 v[128:131], off, off offset:368
	s_waitcnt vmcnt(4)
	v_fma_f64 v[2:3], v[150:151], v[142:143], v[2:3]
	scratch_load_b128 v[140:143], off, off offset:384
	s_waitcnt lgkmcnt(0)
	v_fma_f64 v[2:3], v[152:153], v[154:155], v[2:3]
	ds_load_2addr_b64 v[148:151], v1 offset0:101 offset1:102
	ds_load_2addr_b64 v[152:155], v1 offset0:103 offset1:104
	s_waitcnt vmcnt(4)
	v_fma_f64 v[2:3], v[132:133], v[156:157], v[2:3]
	s_waitcnt lgkmcnt(1)
	s_delay_alu instid0(VALU_DEP_1) | instskip(SKIP_4) | instid1(VALU_DEP_1)
	v_fma_f64 v[2:3], v[134:135], v[148:149], v[2:3]
	scratch_load_b128 v[132:135], off, off offset:400
	s_waitcnt vmcnt(4)
	v_fma_f64 v[2:3], v[144:145], v[150:151], v[2:3]
	s_waitcnt lgkmcnt(0)
	v_fma_f64 v[2:3], v[146:147], v[152:153], v[2:3]
	scratch_load_b128 v[144:147], off, off offset:416
	s_waitcnt vmcnt(4)
	v_fma_f64 v[2:3], v[136:137], v[154:155], v[2:3]
	ds_load_2addr_b64 v[148:151], v1 offset0:105 offset1:106
	ds_load_2addr_b64 v[152:155], v1 offset0:107 offset1:108
	s_waitcnt lgkmcnt(1)
	v_fma_f64 v[2:3], v[138:139], v[148:149], v[2:3]
	scratch_load_b128 v[136:139], off, off offset:432
	s_waitcnt vmcnt(4)
	v_fma_f64 v[2:3], v[128:129], v[150:151], v[2:3]
	s_waitcnt lgkmcnt(0)
	s_delay_alu instid0(VALU_DEP_1)
	v_fma_f64 v[2:3], v[130:131], v[152:153], v[2:3]
	scratch_load_b128 v[128:131], off, off offset:448
	s_waitcnt vmcnt(4)
	v_fma_f64 v[2:3], v[140:141], v[154:155], v[2:3]
	ds_load_2addr_b64 v[148:151], v1 offset0:109 offset1:110
	ds_load_2addr_b64 v[152:155], v1 offset0:111 offset1:112
	s_waitcnt lgkmcnt(1)
	v_fma_f64 v[2:3], v[142:143], v[148:149], v[2:3]
	scratch_load_b128 v[140:143], off, off offset:464
	s_waitcnt vmcnt(4)
	v_fma_f64 v[2:3], v[132:133], v[150:151], v[2:3]
	s_waitcnt lgkmcnt(0)
	s_delay_alu instid0(VALU_DEP_1)
	v_fma_f64 v[2:3], v[134:135], v[152:153], v[2:3]
	ds_load_2addr_b64 v[132:135], v1 offset0:113 offset1:114
	ds_load_2addr_b64 v[148:151], v1 offset0:115 offset1:116
	s_waitcnt vmcnt(3)
	v_fma_f64 v[2:3], v[144:145], v[154:155], v[2:3]
	s_waitcnt lgkmcnt(1)
	s_delay_alu instid0(VALU_DEP_1) | instskip(SKIP_1) | instid1(VALU_DEP_1)
	v_fma_f64 v[2:3], v[146:147], v[132:133], v[2:3]
	s_waitcnt vmcnt(2)
	v_fma_f64 v[2:3], v[136:137], v[134:135], v[2:3]
	s_waitcnt lgkmcnt(0)
	s_delay_alu instid0(VALU_DEP_1) | instskip(SKIP_1) | instid1(VALU_DEP_1)
	v_fma_f64 v[2:3], v[138:139], v[148:149], v[2:3]
	s_waitcnt vmcnt(1)
	v_fma_f64 v[2:3], v[128:129], v[150:151], v[2:3]
	ds_load_2addr_b64 v[132:135], v1 offset0:117 offset1:118
	ds_load_b64 v[128:129], v1 offset:952
	s_waitcnt lgkmcnt(1)
	v_fma_f64 v[2:3], v[130:131], v[132:133], v[2:3]
	s_waitcnt vmcnt(0)
	s_delay_alu instid0(VALU_DEP_1) | instskip(SKIP_1) | instid1(VALU_DEP_1)
	v_fma_f64 v[2:3], v[140:141], v[134:135], v[2:3]
	s_waitcnt lgkmcnt(0)
	v_fma_f64 v[2:3], v[142:143], v[128:129], v[2:3]
	s_delay_alu instid0(VALU_DEP_1)
	v_add_f64 v[2:3], v[126:127], -v[2:3]
	scratch_store_b64 off, v[2:3], off offset:192
	v_cmpx_lt_u32_e32 23, v0
	s_cbranch_execz .LBB123_323
; %bb.322:
	scratch_load_b64 v[3:4], off, off offset:184
	v_mov_b32_e32 v2, v1
	scratch_store_b64 off, v[1:2], off offset:184
	s_waitcnt vmcnt(0)
	ds_store_b64 v5, v[3:4]
.LBB123_323:
	s_or_b32 exec_lo, exec_lo, s0
	s_waitcnt lgkmcnt(0)
	s_waitcnt_vscnt null, 0x0
	s_barrier
	buffer_gl0_inv
	s_clause 0x4
	scratch_load_b128 v[126:129], off, off offset:184
	scratch_load_b128 v[130:133], off, off offset:200
	;; [unrolled: 1-line block ×5, first 2 shown]
	ds_load_b128 v[146:149], v1 offset:672
	ds_load_b128 v[150:153], v1 offset:688
	scratch_load_b128 v[154:157], off, off offset:264
	s_mov_b32 s0, exec_lo
	s_waitcnt vmcnt(5) lgkmcnt(1)
	v_fma_f64 v[2:3], v[128:129], v[146:147], 0
	s_waitcnt vmcnt(4)
	s_delay_alu instid0(VALU_DEP_1) | instskip(SKIP_4) | instid1(VALU_DEP_1)
	v_fma_f64 v[2:3], v[130:131], v[148:149], v[2:3]
	scratch_load_b128 v[128:131], off, off offset:280
	s_waitcnt lgkmcnt(0)
	v_fma_f64 v[2:3], v[132:133], v[150:151], v[2:3]
	s_waitcnt vmcnt(4)
	v_fma_f64 v[2:3], v[134:135], v[152:153], v[2:3]
	ds_load_b128 v[132:135], v1 offset:704
	ds_load_b128 v[146:149], v1 offset:720
	scratch_load_b128 v[150:153], off, off offset:296
	s_waitcnt lgkmcnt(1)
	v_fma_f64 v[2:3], v[136:137], v[132:133], v[2:3]
	s_waitcnt vmcnt(4)
	s_delay_alu instid0(VALU_DEP_1) | instskip(SKIP_4) | instid1(VALU_DEP_1)
	v_fma_f64 v[2:3], v[138:139], v[134:135], v[2:3]
	scratch_load_b128 v[132:135], off, off offset:312
	s_waitcnt lgkmcnt(0)
	v_fma_f64 v[2:3], v[140:141], v[146:147], v[2:3]
	s_waitcnt vmcnt(4)
	v_fma_f64 v[2:3], v[142:143], v[148:149], v[2:3]
	ds_load_b128 v[136:139], v1 offset:736
	ds_load_b128 v[140:143], v1 offset:752
	s_waitcnt lgkmcnt(1)
	v_fma_f64 v[2:3], v[144:145], v[136:137], v[2:3]
	scratch_load_b128 v[144:147], off, off offset:328
	s_waitcnt vmcnt(4)
	v_fma_f64 v[2:3], v[154:155], v[138:139], v[2:3]
	scratch_load_b128 v[136:139], off, off offset:344
	s_waitcnt lgkmcnt(0)
	v_fma_f64 v[2:3], v[156:157], v[140:141], v[2:3]
	s_waitcnt vmcnt(4)
	s_delay_alu instid0(VALU_DEP_1)
	v_fma_f64 v[2:3], v[128:129], v[142:143], v[2:3]
	ds_load_b128 v[140:143], v1 offset:768
	ds_load_b128 v[154:157], v1 offset:784
	s_waitcnt lgkmcnt(1)
	v_fma_f64 v[2:3], v[130:131], v[140:141], v[2:3]
	scratch_load_b128 v[128:131], off, off offset:360
	s_waitcnt vmcnt(4)
	v_fma_f64 v[2:3], v[150:151], v[142:143], v[2:3]
	scratch_load_b128 v[140:143], off, off offset:376
	s_waitcnt lgkmcnt(0)
	v_fma_f64 v[2:3], v[152:153], v[154:155], v[2:3]
	ds_load_b128 v[148:151], v1 offset:800
	ds_load_b128 v[152:155], v1 offset:816
	s_waitcnt vmcnt(4)
	v_fma_f64 v[2:3], v[132:133], v[156:157], v[2:3]
	s_waitcnt lgkmcnt(1)
	s_delay_alu instid0(VALU_DEP_1) | instskip(SKIP_4) | instid1(VALU_DEP_1)
	v_fma_f64 v[2:3], v[134:135], v[148:149], v[2:3]
	scratch_load_b128 v[132:135], off, off offset:392
	s_waitcnt vmcnt(4)
	v_fma_f64 v[2:3], v[144:145], v[150:151], v[2:3]
	s_waitcnt lgkmcnt(0)
	v_fma_f64 v[2:3], v[146:147], v[152:153], v[2:3]
	scratch_load_b128 v[144:147], off, off offset:408
	s_waitcnt vmcnt(4)
	v_fma_f64 v[2:3], v[136:137], v[154:155], v[2:3]
	ds_load_b128 v[148:151], v1 offset:832
	ds_load_b128 v[152:155], v1 offset:848
	s_waitcnt lgkmcnt(1)
	v_fma_f64 v[2:3], v[138:139], v[148:149], v[2:3]
	scratch_load_b128 v[136:139], off, off offset:424
	s_waitcnt vmcnt(4)
	v_fma_f64 v[2:3], v[128:129], v[150:151], v[2:3]
	s_waitcnt lgkmcnt(0)
	s_delay_alu instid0(VALU_DEP_1)
	v_fma_f64 v[2:3], v[130:131], v[152:153], v[2:3]
	scratch_load_b128 v[128:131], off, off offset:440
	s_waitcnt vmcnt(4)
	v_fma_f64 v[2:3], v[140:141], v[154:155], v[2:3]
	ds_load_b128 v[148:151], v1 offset:864
	ds_load_b128 v[152:155], v1 offset:880
	s_waitcnt lgkmcnt(1)
	v_fma_f64 v[2:3], v[142:143], v[148:149], v[2:3]
	scratch_load_b128 v[140:143], off, off offset:456
	s_waitcnt vmcnt(4)
	v_fma_f64 v[2:3], v[132:133], v[150:151], v[2:3]
	s_waitcnt lgkmcnt(0)
	s_delay_alu instid0(VALU_DEP_1)
	v_fma_f64 v[2:3], v[134:135], v[152:153], v[2:3]
	scratch_load_b64 v[152:153], off, off offset:472
	ds_load_b128 v[132:135], v1 offset:896
	ds_load_b128 v[148:151], v1 offset:912
	s_waitcnt vmcnt(4)
	v_fma_f64 v[2:3], v[144:145], v[154:155], v[2:3]
	s_waitcnt lgkmcnt(1)
	s_delay_alu instid0(VALU_DEP_1) | instskip(SKIP_1) | instid1(VALU_DEP_1)
	v_fma_f64 v[2:3], v[146:147], v[132:133], v[2:3]
	s_waitcnt vmcnt(3)
	v_fma_f64 v[2:3], v[136:137], v[134:135], v[2:3]
	s_waitcnt lgkmcnt(0)
	s_delay_alu instid0(VALU_DEP_1) | instskip(SKIP_1) | instid1(VALU_DEP_1)
	v_fma_f64 v[2:3], v[138:139], v[148:149], v[2:3]
	s_waitcnt vmcnt(2)
	v_fma_f64 v[128:129], v[128:129], v[150:151], v[2:3]
	ds_load_b128 v[132:135], v1 offset:928
	ds_load_b128 v[1:4], v1 offset:944
	s_waitcnt lgkmcnt(1)
	v_fma_f64 v[128:129], v[130:131], v[132:133], v[128:129]
	s_waitcnt vmcnt(1)
	s_delay_alu instid0(VALU_DEP_1) | instskip(SKIP_1) | instid1(VALU_DEP_1)
	v_fma_f64 v[128:129], v[140:141], v[134:135], v[128:129]
	s_waitcnt lgkmcnt(0)
	v_fma_f64 v[1:2], v[142:143], v[1:2], v[128:129]
	s_waitcnt vmcnt(0)
	s_delay_alu instid0(VALU_DEP_1) | instskip(NEXT) | instid1(VALU_DEP_1)
	v_fma_f64 v[1:2], v[152:153], v[3:4], v[1:2]
	v_add_f64 v[1:2], v[126:127], -v[1:2]
	scratch_store_b64 off, v[1:2], off offset:184
	v_cmpx_lt_u32_e32 22, v0
	s_cbranch_execz .LBB123_325
; %bb.324:
	scratch_load_b64 v[1:2], off, off offset:176
	v_mov_b32_e32 v3, 0
	s_delay_alu instid0(VALU_DEP_1)
	v_mov_b32_e32 v4, v3
	scratch_store_b64 off, v[3:4], off offset:176
	s_waitcnt vmcnt(0)
	ds_store_b64 v5, v[1:2]
.LBB123_325:
	s_or_b32 exec_lo, exec_lo, s0
	s_waitcnt lgkmcnt(0)
	s_waitcnt_vscnt null, 0x0
	s_barrier
	buffer_gl0_inv
	s_clause 0x4
	scratch_load_b128 v[126:129], off, off offset:176
	scratch_load_b128 v[130:133], off, off offset:192
	;; [unrolled: 1-line block ×5, first 2 shown]
	v_mov_b32_e32 v1, 0
	ds_load_2addr_b64 v[146:149], v1 offset0:83 offset1:84
	ds_load_2addr_b64 v[150:153], v1 offset0:85 offset1:86
	scratch_load_b128 v[154:157], off, off offset:256
	s_mov_b32 s0, exec_lo
	s_waitcnt vmcnt(5) lgkmcnt(1)
	v_fma_f64 v[2:3], v[128:129], v[146:147], 0
	s_waitcnt vmcnt(4)
	s_delay_alu instid0(VALU_DEP_1) | instskip(SKIP_4) | instid1(VALU_DEP_1)
	v_fma_f64 v[2:3], v[130:131], v[148:149], v[2:3]
	scratch_load_b128 v[128:131], off, off offset:272
	s_waitcnt lgkmcnt(0)
	v_fma_f64 v[2:3], v[132:133], v[150:151], v[2:3]
	s_waitcnt vmcnt(4)
	v_fma_f64 v[2:3], v[134:135], v[152:153], v[2:3]
	ds_load_2addr_b64 v[132:135], v1 offset0:87 offset1:88
	ds_load_2addr_b64 v[146:149], v1 offset0:89 offset1:90
	scratch_load_b128 v[150:153], off, off offset:288
	s_waitcnt lgkmcnt(1)
	v_fma_f64 v[2:3], v[136:137], v[132:133], v[2:3]
	s_waitcnt vmcnt(4)
	s_delay_alu instid0(VALU_DEP_1) | instskip(SKIP_4) | instid1(VALU_DEP_1)
	v_fma_f64 v[2:3], v[138:139], v[134:135], v[2:3]
	scratch_load_b128 v[132:135], off, off offset:304
	s_waitcnt lgkmcnt(0)
	v_fma_f64 v[2:3], v[140:141], v[146:147], v[2:3]
	s_waitcnt vmcnt(4)
	v_fma_f64 v[2:3], v[142:143], v[148:149], v[2:3]
	ds_load_2addr_b64 v[136:139], v1 offset0:91 offset1:92
	ds_load_2addr_b64 v[140:143], v1 offset0:93 offset1:94
	s_waitcnt lgkmcnt(1)
	v_fma_f64 v[2:3], v[144:145], v[136:137], v[2:3]
	scratch_load_b128 v[144:147], off, off offset:320
	s_waitcnt vmcnt(4)
	v_fma_f64 v[2:3], v[154:155], v[138:139], v[2:3]
	scratch_load_b128 v[136:139], off, off offset:336
	s_waitcnt lgkmcnt(0)
	v_fma_f64 v[2:3], v[156:157], v[140:141], v[2:3]
	s_waitcnt vmcnt(4)
	s_delay_alu instid0(VALU_DEP_1)
	v_fma_f64 v[2:3], v[128:129], v[142:143], v[2:3]
	ds_load_2addr_b64 v[140:143], v1 offset0:95 offset1:96
	ds_load_2addr_b64 v[154:157], v1 offset0:97 offset1:98
	s_waitcnt lgkmcnt(1)
	v_fma_f64 v[2:3], v[130:131], v[140:141], v[2:3]
	scratch_load_b128 v[128:131], off, off offset:352
	s_waitcnt vmcnt(4)
	v_fma_f64 v[2:3], v[150:151], v[142:143], v[2:3]
	scratch_load_b128 v[140:143], off, off offset:368
	s_waitcnt lgkmcnt(0)
	v_fma_f64 v[2:3], v[152:153], v[154:155], v[2:3]
	ds_load_2addr_b64 v[148:151], v1 offset0:99 offset1:100
	ds_load_2addr_b64 v[152:155], v1 offset0:101 offset1:102
	s_waitcnt vmcnt(4)
	v_fma_f64 v[2:3], v[132:133], v[156:157], v[2:3]
	s_waitcnt lgkmcnt(1)
	s_delay_alu instid0(VALU_DEP_1) | instskip(SKIP_4) | instid1(VALU_DEP_1)
	v_fma_f64 v[2:3], v[134:135], v[148:149], v[2:3]
	scratch_load_b128 v[132:135], off, off offset:384
	s_waitcnt vmcnt(4)
	v_fma_f64 v[2:3], v[144:145], v[150:151], v[2:3]
	s_waitcnt lgkmcnt(0)
	v_fma_f64 v[2:3], v[146:147], v[152:153], v[2:3]
	scratch_load_b128 v[144:147], off, off offset:400
	s_waitcnt vmcnt(4)
	v_fma_f64 v[2:3], v[136:137], v[154:155], v[2:3]
	ds_load_2addr_b64 v[148:151], v1 offset0:103 offset1:104
	ds_load_2addr_b64 v[152:155], v1 offset0:105 offset1:106
	s_waitcnt lgkmcnt(1)
	v_fma_f64 v[2:3], v[138:139], v[148:149], v[2:3]
	scratch_load_b128 v[136:139], off, off offset:416
	s_waitcnt vmcnt(4)
	v_fma_f64 v[2:3], v[128:129], v[150:151], v[2:3]
	s_waitcnt lgkmcnt(0)
	s_delay_alu instid0(VALU_DEP_1)
	v_fma_f64 v[2:3], v[130:131], v[152:153], v[2:3]
	scratch_load_b128 v[128:131], off, off offset:432
	s_waitcnt vmcnt(4)
	v_fma_f64 v[2:3], v[140:141], v[154:155], v[2:3]
	ds_load_2addr_b64 v[148:151], v1 offset0:107 offset1:108
	ds_load_2addr_b64 v[152:155], v1 offset0:109 offset1:110
	s_waitcnt lgkmcnt(1)
	v_fma_f64 v[2:3], v[142:143], v[148:149], v[2:3]
	scratch_load_b128 v[140:143], off, off offset:448
	s_waitcnt vmcnt(4)
	v_fma_f64 v[2:3], v[132:133], v[150:151], v[2:3]
	s_waitcnt lgkmcnt(0)
	s_delay_alu instid0(VALU_DEP_1)
	v_fma_f64 v[2:3], v[134:135], v[152:153], v[2:3]
	scratch_load_b128 v[132:135], off, off offset:464
	s_waitcnt vmcnt(4)
	v_fma_f64 v[2:3], v[144:145], v[154:155], v[2:3]
	ds_load_2addr_b64 v[148:151], v1 offset0:111 offset1:112
	ds_load_2addr_b64 v[152:155], v1 offset0:113 offset1:114
	s_waitcnt lgkmcnt(1)
	v_fma_f64 v[2:3], v[146:147], v[148:149], v[2:3]
	s_waitcnt vmcnt(3)
	s_delay_alu instid0(VALU_DEP_1) | instskip(SKIP_1) | instid1(VALU_DEP_1)
	v_fma_f64 v[2:3], v[136:137], v[150:151], v[2:3]
	s_waitcnt lgkmcnt(0)
	v_fma_f64 v[2:3], v[138:139], v[152:153], v[2:3]
	ds_load_2addr_b64 v[136:139], v1 offset0:115 offset1:116
	ds_load_2addr_b64 v[144:147], v1 offset0:117 offset1:118
	s_waitcnt vmcnt(2)
	v_fma_f64 v[2:3], v[128:129], v[154:155], v[2:3]
	ds_load_b64 v[128:129], v1 offset:952
	s_waitcnt lgkmcnt(2)
	v_fma_f64 v[2:3], v[130:131], v[136:137], v[2:3]
	s_waitcnt vmcnt(1)
	s_delay_alu instid0(VALU_DEP_1) | instskip(SKIP_1) | instid1(VALU_DEP_1)
	v_fma_f64 v[2:3], v[140:141], v[138:139], v[2:3]
	s_waitcnt lgkmcnt(1)
	v_fma_f64 v[2:3], v[142:143], v[144:145], v[2:3]
	s_waitcnt vmcnt(0)
	s_delay_alu instid0(VALU_DEP_1) | instskip(SKIP_1) | instid1(VALU_DEP_1)
	v_fma_f64 v[2:3], v[132:133], v[146:147], v[2:3]
	s_waitcnt lgkmcnt(0)
	v_fma_f64 v[2:3], v[134:135], v[128:129], v[2:3]
	s_delay_alu instid0(VALU_DEP_1)
	v_add_f64 v[2:3], v[126:127], -v[2:3]
	scratch_store_b64 off, v[2:3], off offset:176
	v_cmpx_lt_u32_e32 21, v0
	s_cbranch_execz .LBB123_327
; %bb.326:
	scratch_load_b64 v[3:4], off, off offset:168
	v_mov_b32_e32 v2, v1
	scratch_store_b64 off, v[1:2], off offset:168
	s_waitcnt vmcnt(0)
	ds_store_b64 v5, v[3:4]
.LBB123_327:
	s_or_b32 exec_lo, exec_lo, s0
	s_waitcnt lgkmcnt(0)
	s_waitcnt_vscnt null, 0x0
	s_barrier
	buffer_gl0_inv
	s_clause 0x4
	scratch_load_b128 v[126:129], off, off offset:168
	scratch_load_b128 v[130:133], off, off offset:184
	;; [unrolled: 1-line block ×5, first 2 shown]
	ds_load_b128 v[146:149], v1 offset:656
	ds_load_b128 v[150:153], v1 offset:672
	scratch_load_b128 v[154:157], off, off offset:248
	s_mov_b32 s0, exec_lo
	s_waitcnt vmcnt(5) lgkmcnt(1)
	v_fma_f64 v[2:3], v[128:129], v[146:147], 0
	s_waitcnt vmcnt(4)
	s_delay_alu instid0(VALU_DEP_1) | instskip(SKIP_4) | instid1(VALU_DEP_1)
	v_fma_f64 v[2:3], v[130:131], v[148:149], v[2:3]
	scratch_load_b128 v[128:131], off, off offset:264
	s_waitcnt lgkmcnt(0)
	v_fma_f64 v[2:3], v[132:133], v[150:151], v[2:3]
	s_waitcnt vmcnt(4)
	v_fma_f64 v[2:3], v[134:135], v[152:153], v[2:3]
	ds_load_b128 v[132:135], v1 offset:688
	ds_load_b128 v[146:149], v1 offset:704
	scratch_load_b128 v[150:153], off, off offset:280
	s_waitcnt lgkmcnt(1)
	v_fma_f64 v[2:3], v[136:137], v[132:133], v[2:3]
	s_waitcnt vmcnt(4)
	s_delay_alu instid0(VALU_DEP_1) | instskip(SKIP_4) | instid1(VALU_DEP_1)
	v_fma_f64 v[2:3], v[138:139], v[134:135], v[2:3]
	scratch_load_b128 v[132:135], off, off offset:296
	s_waitcnt lgkmcnt(0)
	v_fma_f64 v[2:3], v[140:141], v[146:147], v[2:3]
	s_waitcnt vmcnt(4)
	v_fma_f64 v[2:3], v[142:143], v[148:149], v[2:3]
	ds_load_b128 v[136:139], v1 offset:720
	ds_load_b128 v[140:143], v1 offset:736
	s_waitcnt lgkmcnt(1)
	v_fma_f64 v[2:3], v[144:145], v[136:137], v[2:3]
	scratch_load_b128 v[144:147], off, off offset:312
	s_waitcnt vmcnt(4)
	v_fma_f64 v[2:3], v[154:155], v[138:139], v[2:3]
	scratch_load_b128 v[136:139], off, off offset:328
	s_waitcnt lgkmcnt(0)
	v_fma_f64 v[2:3], v[156:157], v[140:141], v[2:3]
	s_waitcnt vmcnt(4)
	s_delay_alu instid0(VALU_DEP_1)
	v_fma_f64 v[2:3], v[128:129], v[142:143], v[2:3]
	ds_load_b128 v[140:143], v1 offset:752
	ds_load_b128 v[154:157], v1 offset:768
	s_waitcnt lgkmcnt(1)
	v_fma_f64 v[2:3], v[130:131], v[140:141], v[2:3]
	scratch_load_b128 v[128:131], off, off offset:344
	s_waitcnt vmcnt(4)
	v_fma_f64 v[2:3], v[150:151], v[142:143], v[2:3]
	scratch_load_b128 v[140:143], off, off offset:360
	s_waitcnt lgkmcnt(0)
	v_fma_f64 v[2:3], v[152:153], v[154:155], v[2:3]
	ds_load_b128 v[148:151], v1 offset:784
	ds_load_b128 v[152:155], v1 offset:800
	s_waitcnt vmcnt(4)
	v_fma_f64 v[2:3], v[132:133], v[156:157], v[2:3]
	s_waitcnt lgkmcnt(1)
	s_delay_alu instid0(VALU_DEP_1) | instskip(SKIP_4) | instid1(VALU_DEP_1)
	v_fma_f64 v[2:3], v[134:135], v[148:149], v[2:3]
	scratch_load_b128 v[132:135], off, off offset:376
	s_waitcnt vmcnt(4)
	v_fma_f64 v[2:3], v[144:145], v[150:151], v[2:3]
	s_waitcnt lgkmcnt(0)
	v_fma_f64 v[2:3], v[146:147], v[152:153], v[2:3]
	scratch_load_b128 v[144:147], off, off offset:392
	s_waitcnt vmcnt(4)
	v_fma_f64 v[2:3], v[136:137], v[154:155], v[2:3]
	ds_load_b128 v[148:151], v1 offset:816
	ds_load_b128 v[152:155], v1 offset:832
	s_waitcnt lgkmcnt(1)
	v_fma_f64 v[2:3], v[138:139], v[148:149], v[2:3]
	scratch_load_b128 v[136:139], off, off offset:408
	s_waitcnt vmcnt(4)
	v_fma_f64 v[2:3], v[128:129], v[150:151], v[2:3]
	s_waitcnt lgkmcnt(0)
	s_delay_alu instid0(VALU_DEP_1)
	v_fma_f64 v[2:3], v[130:131], v[152:153], v[2:3]
	scratch_load_b128 v[128:131], off, off offset:424
	s_waitcnt vmcnt(4)
	v_fma_f64 v[2:3], v[140:141], v[154:155], v[2:3]
	ds_load_b128 v[148:151], v1 offset:848
	ds_load_b128 v[152:155], v1 offset:864
	s_waitcnt lgkmcnt(1)
	v_fma_f64 v[2:3], v[142:143], v[148:149], v[2:3]
	scratch_load_b128 v[140:143], off, off offset:440
	s_waitcnt vmcnt(4)
	v_fma_f64 v[2:3], v[132:133], v[150:151], v[2:3]
	s_waitcnt lgkmcnt(0)
	s_delay_alu instid0(VALU_DEP_1)
	v_fma_f64 v[2:3], v[134:135], v[152:153], v[2:3]
	scratch_load_b128 v[132:135], off, off offset:456
	s_waitcnt vmcnt(4)
	v_fma_f64 v[2:3], v[144:145], v[154:155], v[2:3]
	ds_load_b128 v[148:151], v1 offset:880
	ds_load_b128 v[152:155], v1 offset:896
	s_waitcnt lgkmcnt(1)
	v_fma_f64 v[2:3], v[146:147], v[148:149], v[2:3]
	scratch_load_b64 v[148:149], off, off offset:472
	s_waitcnt vmcnt(4)
	v_fma_f64 v[2:3], v[136:137], v[150:151], v[2:3]
	s_waitcnt lgkmcnt(0)
	s_delay_alu instid0(VALU_DEP_1)
	v_fma_f64 v[2:3], v[138:139], v[152:153], v[2:3]
	ds_load_b128 v[136:139], v1 offset:912
	ds_load_b128 v[144:147], v1 offset:928
	s_waitcnt vmcnt(3)
	v_fma_f64 v[2:3], v[128:129], v[154:155], v[2:3]
	s_waitcnt lgkmcnt(1)
	s_delay_alu instid0(VALU_DEP_1) | instskip(SKIP_1) | instid1(VALU_DEP_1)
	v_fma_f64 v[2:3], v[130:131], v[136:137], v[2:3]
	s_waitcnt vmcnt(2)
	v_fma_f64 v[2:3], v[140:141], v[138:139], v[2:3]
	s_waitcnt lgkmcnt(0)
	s_delay_alu instid0(VALU_DEP_1) | instskip(SKIP_1) | instid1(VALU_DEP_1)
	v_fma_f64 v[2:3], v[142:143], v[144:145], v[2:3]
	s_waitcnt vmcnt(1)
	v_fma_f64 v[128:129], v[132:133], v[146:147], v[2:3]
	ds_load_b128 v[1:4], v1 offset:944
	s_waitcnt lgkmcnt(0)
	v_fma_f64 v[1:2], v[134:135], v[1:2], v[128:129]
	s_waitcnt vmcnt(0)
	s_delay_alu instid0(VALU_DEP_1) | instskip(NEXT) | instid1(VALU_DEP_1)
	v_fma_f64 v[1:2], v[148:149], v[3:4], v[1:2]
	v_add_f64 v[1:2], v[126:127], -v[1:2]
	scratch_store_b64 off, v[1:2], off offset:168
	v_cmpx_lt_u32_e32 20, v0
	s_cbranch_execz .LBB123_329
; %bb.328:
	scratch_load_b64 v[1:2], off, off offset:160
	v_mov_b32_e32 v3, 0
	s_delay_alu instid0(VALU_DEP_1)
	v_mov_b32_e32 v4, v3
	scratch_store_b64 off, v[3:4], off offset:160
	s_waitcnt vmcnt(0)
	ds_store_b64 v5, v[1:2]
.LBB123_329:
	s_or_b32 exec_lo, exec_lo, s0
	s_waitcnt lgkmcnt(0)
	s_waitcnt_vscnt null, 0x0
	s_barrier
	buffer_gl0_inv
	s_clause 0x4
	scratch_load_b128 v[126:129], off, off offset:160
	scratch_load_b128 v[130:133], off, off offset:176
	;; [unrolled: 1-line block ×5, first 2 shown]
	v_mov_b32_e32 v1, 0
	ds_load_2addr_b64 v[146:149], v1 offset0:81 offset1:82
	ds_load_2addr_b64 v[150:153], v1 offset0:83 offset1:84
	scratch_load_b128 v[154:157], off, off offset:240
	s_mov_b32 s0, exec_lo
	s_waitcnt vmcnt(5) lgkmcnt(1)
	v_fma_f64 v[2:3], v[128:129], v[146:147], 0
	s_waitcnt vmcnt(4)
	s_delay_alu instid0(VALU_DEP_1) | instskip(SKIP_4) | instid1(VALU_DEP_1)
	v_fma_f64 v[2:3], v[130:131], v[148:149], v[2:3]
	scratch_load_b128 v[128:131], off, off offset:256
	s_waitcnt lgkmcnt(0)
	v_fma_f64 v[2:3], v[132:133], v[150:151], v[2:3]
	s_waitcnt vmcnt(4)
	v_fma_f64 v[2:3], v[134:135], v[152:153], v[2:3]
	ds_load_2addr_b64 v[132:135], v1 offset0:85 offset1:86
	ds_load_2addr_b64 v[146:149], v1 offset0:87 offset1:88
	scratch_load_b128 v[150:153], off, off offset:272
	s_waitcnt lgkmcnt(1)
	v_fma_f64 v[2:3], v[136:137], v[132:133], v[2:3]
	s_waitcnt vmcnt(4)
	s_delay_alu instid0(VALU_DEP_1) | instskip(SKIP_4) | instid1(VALU_DEP_1)
	v_fma_f64 v[2:3], v[138:139], v[134:135], v[2:3]
	scratch_load_b128 v[132:135], off, off offset:288
	s_waitcnt lgkmcnt(0)
	v_fma_f64 v[2:3], v[140:141], v[146:147], v[2:3]
	s_waitcnt vmcnt(4)
	v_fma_f64 v[2:3], v[142:143], v[148:149], v[2:3]
	ds_load_2addr_b64 v[136:139], v1 offset0:89 offset1:90
	ds_load_2addr_b64 v[140:143], v1 offset0:91 offset1:92
	s_waitcnt lgkmcnt(1)
	v_fma_f64 v[2:3], v[144:145], v[136:137], v[2:3]
	scratch_load_b128 v[144:147], off, off offset:304
	s_waitcnt vmcnt(4)
	v_fma_f64 v[2:3], v[154:155], v[138:139], v[2:3]
	scratch_load_b128 v[136:139], off, off offset:320
	s_waitcnt lgkmcnt(0)
	v_fma_f64 v[2:3], v[156:157], v[140:141], v[2:3]
	s_waitcnt vmcnt(4)
	s_delay_alu instid0(VALU_DEP_1)
	v_fma_f64 v[2:3], v[128:129], v[142:143], v[2:3]
	ds_load_2addr_b64 v[140:143], v1 offset0:93 offset1:94
	ds_load_2addr_b64 v[154:157], v1 offset0:95 offset1:96
	s_waitcnt lgkmcnt(1)
	v_fma_f64 v[2:3], v[130:131], v[140:141], v[2:3]
	scratch_load_b128 v[128:131], off, off offset:336
	s_waitcnt vmcnt(4)
	v_fma_f64 v[2:3], v[150:151], v[142:143], v[2:3]
	scratch_load_b128 v[140:143], off, off offset:352
	s_waitcnt lgkmcnt(0)
	v_fma_f64 v[2:3], v[152:153], v[154:155], v[2:3]
	ds_load_2addr_b64 v[148:151], v1 offset0:97 offset1:98
	ds_load_2addr_b64 v[152:155], v1 offset0:99 offset1:100
	s_waitcnt vmcnt(4)
	v_fma_f64 v[2:3], v[132:133], v[156:157], v[2:3]
	s_waitcnt lgkmcnt(1)
	s_delay_alu instid0(VALU_DEP_1) | instskip(SKIP_4) | instid1(VALU_DEP_1)
	v_fma_f64 v[2:3], v[134:135], v[148:149], v[2:3]
	scratch_load_b128 v[132:135], off, off offset:368
	s_waitcnt vmcnt(4)
	v_fma_f64 v[2:3], v[144:145], v[150:151], v[2:3]
	s_waitcnt lgkmcnt(0)
	v_fma_f64 v[2:3], v[146:147], v[152:153], v[2:3]
	scratch_load_b128 v[144:147], off, off offset:384
	s_waitcnt vmcnt(4)
	v_fma_f64 v[2:3], v[136:137], v[154:155], v[2:3]
	ds_load_2addr_b64 v[148:151], v1 offset0:101 offset1:102
	ds_load_2addr_b64 v[152:155], v1 offset0:103 offset1:104
	s_waitcnt lgkmcnt(1)
	v_fma_f64 v[2:3], v[138:139], v[148:149], v[2:3]
	scratch_load_b128 v[136:139], off, off offset:400
	s_waitcnt vmcnt(4)
	v_fma_f64 v[2:3], v[128:129], v[150:151], v[2:3]
	s_waitcnt lgkmcnt(0)
	s_delay_alu instid0(VALU_DEP_1)
	v_fma_f64 v[2:3], v[130:131], v[152:153], v[2:3]
	scratch_load_b128 v[128:131], off, off offset:416
	s_waitcnt vmcnt(4)
	v_fma_f64 v[2:3], v[140:141], v[154:155], v[2:3]
	ds_load_2addr_b64 v[148:151], v1 offset0:105 offset1:106
	ds_load_2addr_b64 v[152:155], v1 offset0:107 offset1:108
	s_waitcnt lgkmcnt(1)
	v_fma_f64 v[2:3], v[142:143], v[148:149], v[2:3]
	scratch_load_b128 v[140:143], off, off offset:432
	s_waitcnt vmcnt(4)
	v_fma_f64 v[2:3], v[132:133], v[150:151], v[2:3]
	s_waitcnt lgkmcnt(0)
	s_delay_alu instid0(VALU_DEP_1)
	;; [unrolled: 13-line block ×3, first 2 shown]
	v_fma_f64 v[2:3], v[138:139], v[152:153], v[2:3]
	ds_load_2addr_b64 v[136:139], v1 offset0:113 offset1:114
	ds_load_2addr_b64 v[148:151], v1 offset0:115 offset1:116
	s_waitcnt vmcnt(3)
	v_fma_f64 v[2:3], v[128:129], v[154:155], v[2:3]
	s_waitcnt lgkmcnt(1)
	s_delay_alu instid0(VALU_DEP_1) | instskip(SKIP_1) | instid1(VALU_DEP_1)
	v_fma_f64 v[2:3], v[130:131], v[136:137], v[2:3]
	s_waitcnt vmcnt(2)
	v_fma_f64 v[2:3], v[140:141], v[138:139], v[2:3]
	s_waitcnt lgkmcnt(0)
	s_delay_alu instid0(VALU_DEP_1) | instskip(SKIP_1) | instid1(VALU_DEP_1)
	v_fma_f64 v[2:3], v[142:143], v[148:149], v[2:3]
	s_waitcnt vmcnt(1)
	v_fma_f64 v[2:3], v[132:133], v[150:151], v[2:3]
	ds_load_2addr_b64 v[128:131], v1 offset0:117 offset1:118
	ds_load_b64 v[132:133], v1 offset:952
	s_waitcnt lgkmcnt(1)
	v_fma_f64 v[2:3], v[134:135], v[128:129], v[2:3]
	s_waitcnt vmcnt(0)
	s_delay_alu instid0(VALU_DEP_1) | instskip(SKIP_1) | instid1(VALU_DEP_1)
	v_fma_f64 v[2:3], v[144:145], v[130:131], v[2:3]
	s_waitcnt lgkmcnt(0)
	v_fma_f64 v[2:3], v[146:147], v[132:133], v[2:3]
	s_delay_alu instid0(VALU_DEP_1)
	v_add_f64 v[2:3], v[126:127], -v[2:3]
	scratch_store_b64 off, v[2:3], off offset:160
	v_cmpx_lt_u32_e32 19, v0
	s_cbranch_execz .LBB123_331
; %bb.330:
	scratch_load_b64 v[3:4], off, off offset:152
	v_mov_b32_e32 v2, v1
	scratch_store_b64 off, v[1:2], off offset:152
	s_waitcnt vmcnt(0)
	ds_store_b64 v5, v[3:4]
.LBB123_331:
	s_or_b32 exec_lo, exec_lo, s0
	s_waitcnt lgkmcnt(0)
	s_waitcnt_vscnt null, 0x0
	s_barrier
	buffer_gl0_inv
	s_clause 0x4
	scratch_load_b128 v[126:129], off, off offset:152
	scratch_load_b128 v[130:133], off, off offset:168
	;; [unrolled: 1-line block ×5, first 2 shown]
	ds_load_b128 v[146:149], v1 offset:640
	ds_load_b128 v[150:153], v1 offset:656
	scratch_load_b128 v[154:157], off, off offset:232
	s_mov_b32 s0, exec_lo
	s_waitcnt vmcnt(5) lgkmcnt(1)
	v_fma_f64 v[2:3], v[128:129], v[146:147], 0
	s_waitcnt vmcnt(4)
	s_delay_alu instid0(VALU_DEP_1) | instskip(SKIP_4) | instid1(VALU_DEP_1)
	v_fma_f64 v[2:3], v[130:131], v[148:149], v[2:3]
	scratch_load_b128 v[128:131], off, off offset:248
	s_waitcnt lgkmcnt(0)
	v_fma_f64 v[2:3], v[132:133], v[150:151], v[2:3]
	s_waitcnt vmcnt(4)
	v_fma_f64 v[2:3], v[134:135], v[152:153], v[2:3]
	ds_load_b128 v[132:135], v1 offset:672
	ds_load_b128 v[146:149], v1 offset:688
	scratch_load_b128 v[150:153], off, off offset:264
	s_waitcnt lgkmcnt(1)
	v_fma_f64 v[2:3], v[136:137], v[132:133], v[2:3]
	s_waitcnt vmcnt(4)
	s_delay_alu instid0(VALU_DEP_1) | instskip(SKIP_4) | instid1(VALU_DEP_1)
	v_fma_f64 v[2:3], v[138:139], v[134:135], v[2:3]
	scratch_load_b128 v[132:135], off, off offset:280
	s_waitcnt lgkmcnt(0)
	v_fma_f64 v[2:3], v[140:141], v[146:147], v[2:3]
	s_waitcnt vmcnt(4)
	v_fma_f64 v[2:3], v[142:143], v[148:149], v[2:3]
	ds_load_b128 v[136:139], v1 offset:704
	ds_load_b128 v[140:143], v1 offset:720
	s_waitcnt lgkmcnt(1)
	v_fma_f64 v[2:3], v[144:145], v[136:137], v[2:3]
	scratch_load_b128 v[144:147], off, off offset:296
	s_waitcnt vmcnt(4)
	v_fma_f64 v[2:3], v[154:155], v[138:139], v[2:3]
	scratch_load_b128 v[136:139], off, off offset:312
	s_waitcnt lgkmcnt(0)
	v_fma_f64 v[2:3], v[156:157], v[140:141], v[2:3]
	s_waitcnt vmcnt(4)
	s_delay_alu instid0(VALU_DEP_1)
	v_fma_f64 v[2:3], v[128:129], v[142:143], v[2:3]
	ds_load_b128 v[140:143], v1 offset:736
	ds_load_b128 v[154:157], v1 offset:752
	s_waitcnt lgkmcnt(1)
	v_fma_f64 v[2:3], v[130:131], v[140:141], v[2:3]
	scratch_load_b128 v[128:131], off, off offset:328
	s_waitcnt vmcnt(4)
	v_fma_f64 v[2:3], v[150:151], v[142:143], v[2:3]
	scratch_load_b128 v[140:143], off, off offset:344
	s_waitcnt lgkmcnt(0)
	v_fma_f64 v[2:3], v[152:153], v[154:155], v[2:3]
	ds_load_b128 v[148:151], v1 offset:768
	ds_load_b128 v[152:155], v1 offset:784
	s_waitcnt vmcnt(4)
	v_fma_f64 v[2:3], v[132:133], v[156:157], v[2:3]
	s_waitcnt lgkmcnt(1)
	s_delay_alu instid0(VALU_DEP_1) | instskip(SKIP_4) | instid1(VALU_DEP_1)
	v_fma_f64 v[2:3], v[134:135], v[148:149], v[2:3]
	scratch_load_b128 v[132:135], off, off offset:360
	s_waitcnt vmcnt(4)
	v_fma_f64 v[2:3], v[144:145], v[150:151], v[2:3]
	s_waitcnt lgkmcnt(0)
	v_fma_f64 v[2:3], v[146:147], v[152:153], v[2:3]
	scratch_load_b128 v[144:147], off, off offset:376
	s_waitcnt vmcnt(4)
	v_fma_f64 v[2:3], v[136:137], v[154:155], v[2:3]
	ds_load_b128 v[148:151], v1 offset:800
	ds_load_b128 v[152:155], v1 offset:816
	s_waitcnt lgkmcnt(1)
	v_fma_f64 v[2:3], v[138:139], v[148:149], v[2:3]
	scratch_load_b128 v[136:139], off, off offset:392
	s_waitcnt vmcnt(4)
	v_fma_f64 v[2:3], v[128:129], v[150:151], v[2:3]
	s_waitcnt lgkmcnt(0)
	s_delay_alu instid0(VALU_DEP_1)
	v_fma_f64 v[2:3], v[130:131], v[152:153], v[2:3]
	scratch_load_b128 v[128:131], off, off offset:408
	s_waitcnt vmcnt(4)
	v_fma_f64 v[2:3], v[140:141], v[154:155], v[2:3]
	ds_load_b128 v[148:151], v1 offset:832
	ds_load_b128 v[152:155], v1 offset:848
	s_waitcnt lgkmcnt(1)
	v_fma_f64 v[2:3], v[142:143], v[148:149], v[2:3]
	scratch_load_b128 v[140:143], off, off offset:424
	s_waitcnt vmcnt(4)
	v_fma_f64 v[2:3], v[132:133], v[150:151], v[2:3]
	s_waitcnt lgkmcnt(0)
	s_delay_alu instid0(VALU_DEP_1)
	;; [unrolled: 13-line block ×3, first 2 shown]
	v_fma_f64 v[2:3], v[138:139], v[152:153], v[2:3]
	scratch_load_b64 v[152:153], off, off offset:472
	ds_load_b128 v[136:139], v1 offset:896
	ds_load_b128 v[148:151], v1 offset:912
	s_waitcnt vmcnt(4)
	v_fma_f64 v[2:3], v[128:129], v[154:155], v[2:3]
	s_waitcnt lgkmcnt(1)
	s_delay_alu instid0(VALU_DEP_1) | instskip(SKIP_1) | instid1(VALU_DEP_1)
	v_fma_f64 v[2:3], v[130:131], v[136:137], v[2:3]
	s_waitcnt vmcnt(3)
	v_fma_f64 v[2:3], v[140:141], v[138:139], v[2:3]
	s_waitcnt lgkmcnt(0)
	s_delay_alu instid0(VALU_DEP_1) | instskip(SKIP_1) | instid1(VALU_DEP_1)
	v_fma_f64 v[2:3], v[142:143], v[148:149], v[2:3]
	s_waitcnt vmcnt(2)
	v_fma_f64 v[132:133], v[132:133], v[150:151], v[2:3]
	ds_load_b128 v[128:131], v1 offset:928
	ds_load_b128 v[1:4], v1 offset:944
	s_waitcnt lgkmcnt(1)
	v_fma_f64 v[128:129], v[134:135], v[128:129], v[132:133]
	s_waitcnt vmcnt(1)
	s_delay_alu instid0(VALU_DEP_1) | instskip(SKIP_1) | instid1(VALU_DEP_1)
	v_fma_f64 v[128:129], v[144:145], v[130:131], v[128:129]
	s_waitcnt lgkmcnt(0)
	v_fma_f64 v[1:2], v[146:147], v[1:2], v[128:129]
	s_waitcnt vmcnt(0)
	s_delay_alu instid0(VALU_DEP_1) | instskip(NEXT) | instid1(VALU_DEP_1)
	v_fma_f64 v[1:2], v[152:153], v[3:4], v[1:2]
	v_add_f64 v[1:2], v[126:127], -v[1:2]
	scratch_store_b64 off, v[1:2], off offset:152
	v_cmpx_lt_u32_e32 18, v0
	s_cbranch_execz .LBB123_333
; %bb.332:
	scratch_load_b64 v[1:2], off, off offset:144
	v_mov_b32_e32 v3, 0
	s_delay_alu instid0(VALU_DEP_1)
	v_mov_b32_e32 v4, v3
	scratch_store_b64 off, v[3:4], off offset:144
	s_waitcnt vmcnt(0)
	ds_store_b64 v5, v[1:2]
.LBB123_333:
	s_or_b32 exec_lo, exec_lo, s0
	s_waitcnt lgkmcnt(0)
	s_waitcnt_vscnt null, 0x0
	s_barrier
	buffer_gl0_inv
	s_clause 0x4
	scratch_load_b128 v[126:129], off, off offset:144
	scratch_load_b128 v[130:133], off, off offset:160
	;; [unrolled: 1-line block ×5, first 2 shown]
	v_mov_b32_e32 v1, 0
	ds_load_2addr_b64 v[146:149], v1 offset0:79 offset1:80
	ds_load_2addr_b64 v[150:153], v1 offset0:81 offset1:82
	scratch_load_b128 v[154:157], off, off offset:224
	s_mov_b32 s0, exec_lo
	s_waitcnt vmcnt(5) lgkmcnt(1)
	v_fma_f64 v[2:3], v[128:129], v[146:147], 0
	s_waitcnt vmcnt(4)
	s_delay_alu instid0(VALU_DEP_1) | instskip(SKIP_4) | instid1(VALU_DEP_1)
	v_fma_f64 v[2:3], v[130:131], v[148:149], v[2:3]
	scratch_load_b128 v[128:131], off, off offset:240
	s_waitcnt lgkmcnt(0)
	v_fma_f64 v[2:3], v[132:133], v[150:151], v[2:3]
	s_waitcnt vmcnt(4)
	v_fma_f64 v[2:3], v[134:135], v[152:153], v[2:3]
	ds_load_2addr_b64 v[132:135], v1 offset0:83 offset1:84
	ds_load_2addr_b64 v[146:149], v1 offset0:85 offset1:86
	scratch_load_b128 v[150:153], off, off offset:256
	s_waitcnt lgkmcnt(1)
	v_fma_f64 v[2:3], v[136:137], v[132:133], v[2:3]
	s_waitcnt vmcnt(4)
	s_delay_alu instid0(VALU_DEP_1) | instskip(SKIP_4) | instid1(VALU_DEP_1)
	v_fma_f64 v[2:3], v[138:139], v[134:135], v[2:3]
	scratch_load_b128 v[132:135], off, off offset:272
	s_waitcnt lgkmcnt(0)
	v_fma_f64 v[2:3], v[140:141], v[146:147], v[2:3]
	s_waitcnt vmcnt(4)
	v_fma_f64 v[2:3], v[142:143], v[148:149], v[2:3]
	ds_load_2addr_b64 v[136:139], v1 offset0:87 offset1:88
	ds_load_2addr_b64 v[140:143], v1 offset0:89 offset1:90
	s_waitcnt lgkmcnt(1)
	v_fma_f64 v[2:3], v[144:145], v[136:137], v[2:3]
	scratch_load_b128 v[144:147], off, off offset:288
	s_waitcnt vmcnt(4)
	v_fma_f64 v[2:3], v[154:155], v[138:139], v[2:3]
	scratch_load_b128 v[136:139], off, off offset:304
	s_waitcnt lgkmcnt(0)
	v_fma_f64 v[2:3], v[156:157], v[140:141], v[2:3]
	s_waitcnt vmcnt(4)
	s_delay_alu instid0(VALU_DEP_1)
	v_fma_f64 v[2:3], v[128:129], v[142:143], v[2:3]
	ds_load_2addr_b64 v[140:143], v1 offset0:91 offset1:92
	ds_load_2addr_b64 v[154:157], v1 offset0:93 offset1:94
	s_waitcnt lgkmcnt(1)
	v_fma_f64 v[2:3], v[130:131], v[140:141], v[2:3]
	scratch_load_b128 v[128:131], off, off offset:320
	s_waitcnt vmcnt(4)
	v_fma_f64 v[2:3], v[150:151], v[142:143], v[2:3]
	scratch_load_b128 v[140:143], off, off offset:336
	s_waitcnt lgkmcnt(0)
	v_fma_f64 v[2:3], v[152:153], v[154:155], v[2:3]
	ds_load_2addr_b64 v[148:151], v1 offset0:95 offset1:96
	ds_load_2addr_b64 v[152:155], v1 offset0:97 offset1:98
	s_waitcnt vmcnt(4)
	v_fma_f64 v[2:3], v[132:133], v[156:157], v[2:3]
	s_waitcnt lgkmcnt(1)
	s_delay_alu instid0(VALU_DEP_1) | instskip(SKIP_4) | instid1(VALU_DEP_1)
	v_fma_f64 v[2:3], v[134:135], v[148:149], v[2:3]
	scratch_load_b128 v[132:135], off, off offset:352
	s_waitcnt vmcnt(4)
	v_fma_f64 v[2:3], v[144:145], v[150:151], v[2:3]
	s_waitcnt lgkmcnt(0)
	v_fma_f64 v[2:3], v[146:147], v[152:153], v[2:3]
	scratch_load_b128 v[144:147], off, off offset:368
	s_waitcnt vmcnt(4)
	v_fma_f64 v[2:3], v[136:137], v[154:155], v[2:3]
	ds_load_2addr_b64 v[148:151], v1 offset0:99 offset1:100
	ds_load_2addr_b64 v[152:155], v1 offset0:101 offset1:102
	s_waitcnt lgkmcnt(1)
	v_fma_f64 v[2:3], v[138:139], v[148:149], v[2:3]
	scratch_load_b128 v[136:139], off, off offset:384
	s_waitcnt vmcnt(4)
	v_fma_f64 v[2:3], v[128:129], v[150:151], v[2:3]
	s_waitcnt lgkmcnt(0)
	s_delay_alu instid0(VALU_DEP_1)
	v_fma_f64 v[2:3], v[130:131], v[152:153], v[2:3]
	scratch_load_b128 v[128:131], off, off offset:400
	s_waitcnt vmcnt(4)
	v_fma_f64 v[2:3], v[140:141], v[154:155], v[2:3]
	ds_load_2addr_b64 v[148:151], v1 offset0:103 offset1:104
	ds_load_2addr_b64 v[152:155], v1 offset0:105 offset1:106
	s_waitcnt lgkmcnt(1)
	v_fma_f64 v[2:3], v[142:143], v[148:149], v[2:3]
	scratch_load_b128 v[140:143], off, off offset:416
	s_waitcnt vmcnt(4)
	v_fma_f64 v[2:3], v[132:133], v[150:151], v[2:3]
	s_waitcnt lgkmcnt(0)
	s_delay_alu instid0(VALU_DEP_1)
	;; [unrolled: 13-line block ×3, first 2 shown]
	v_fma_f64 v[2:3], v[138:139], v[152:153], v[2:3]
	scratch_load_b128 v[136:139], off, off offset:464
	s_waitcnt vmcnt(4)
	v_fma_f64 v[2:3], v[128:129], v[154:155], v[2:3]
	ds_load_2addr_b64 v[148:151], v1 offset0:111 offset1:112
	ds_load_2addr_b64 v[152:155], v1 offset0:113 offset1:114
	s_waitcnt lgkmcnt(1)
	v_fma_f64 v[2:3], v[130:131], v[148:149], v[2:3]
	s_waitcnt vmcnt(3)
	s_delay_alu instid0(VALU_DEP_1) | instskip(SKIP_1) | instid1(VALU_DEP_1)
	v_fma_f64 v[2:3], v[140:141], v[150:151], v[2:3]
	s_waitcnt lgkmcnt(0)
	v_fma_f64 v[2:3], v[142:143], v[152:153], v[2:3]
	ds_load_2addr_b64 v[128:131], v1 offset0:115 offset1:116
	ds_load_2addr_b64 v[140:143], v1 offset0:117 offset1:118
	s_waitcnt vmcnt(2)
	v_fma_f64 v[2:3], v[132:133], v[154:155], v[2:3]
	s_waitcnt lgkmcnt(1)
	s_delay_alu instid0(VALU_DEP_1) | instskip(SKIP_4) | instid1(VALU_DEP_1)
	v_fma_f64 v[2:3], v[134:135], v[128:129], v[2:3]
	ds_load_b64 v[128:129], v1 offset:952
	s_waitcnt vmcnt(1)
	v_fma_f64 v[2:3], v[144:145], v[130:131], v[2:3]
	s_waitcnt lgkmcnt(1)
	v_fma_f64 v[2:3], v[146:147], v[140:141], v[2:3]
	s_waitcnt vmcnt(0)
	s_delay_alu instid0(VALU_DEP_1) | instskip(SKIP_1) | instid1(VALU_DEP_1)
	v_fma_f64 v[2:3], v[136:137], v[142:143], v[2:3]
	s_waitcnt lgkmcnt(0)
	v_fma_f64 v[2:3], v[138:139], v[128:129], v[2:3]
	s_delay_alu instid0(VALU_DEP_1)
	v_add_f64 v[2:3], v[126:127], -v[2:3]
	scratch_store_b64 off, v[2:3], off offset:144
	v_cmpx_lt_u32_e32 17, v0
	s_cbranch_execz .LBB123_335
; %bb.334:
	scratch_load_b64 v[3:4], off, off offset:136
	v_mov_b32_e32 v2, v1
	scratch_store_b64 off, v[1:2], off offset:136
	s_waitcnt vmcnt(0)
	ds_store_b64 v5, v[3:4]
.LBB123_335:
	s_or_b32 exec_lo, exec_lo, s0
	s_waitcnt lgkmcnt(0)
	s_waitcnt_vscnt null, 0x0
	s_barrier
	buffer_gl0_inv
	s_clause 0x4
	scratch_load_b128 v[126:129], off, off offset:136
	scratch_load_b128 v[130:133], off, off offset:152
	;; [unrolled: 1-line block ×5, first 2 shown]
	ds_load_b128 v[146:149], v1 offset:624
	ds_load_b128 v[150:153], v1 offset:640
	scratch_load_b128 v[154:157], off, off offset:216
	s_mov_b32 s0, exec_lo
	s_waitcnt vmcnt(5) lgkmcnt(1)
	v_fma_f64 v[2:3], v[128:129], v[146:147], 0
	s_waitcnt vmcnt(4)
	s_delay_alu instid0(VALU_DEP_1) | instskip(SKIP_4) | instid1(VALU_DEP_1)
	v_fma_f64 v[2:3], v[130:131], v[148:149], v[2:3]
	scratch_load_b128 v[128:131], off, off offset:232
	s_waitcnt lgkmcnt(0)
	v_fma_f64 v[2:3], v[132:133], v[150:151], v[2:3]
	s_waitcnt vmcnt(4)
	v_fma_f64 v[2:3], v[134:135], v[152:153], v[2:3]
	ds_load_b128 v[132:135], v1 offset:656
	ds_load_b128 v[146:149], v1 offset:672
	scratch_load_b128 v[150:153], off, off offset:248
	s_waitcnt lgkmcnt(1)
	v_fma_f64 v[2:3], v[136:137], v[132:133], v[2:3]
	s_waitcnt vmcnt(4)
	s_delay_alu instid0(VALU_DEP_1) | instskip(SKIP_4) | instid1(VALU_DEP_1)
	v_fma_f64 v[2:3], v[138:139], v[134:135], v[2:3]
	scratch_load_b128 v[132:135], off, off offset:264
	s_waitcnt lgkmcnt(0)
	v_fma_f64 v[2:3], v[140:141], v[146:147], v[2:3]
	s_waitcnt vmcnt(4)
	v_fma_f64 v[2:3], v[142:143], v[148:149], v[2:3]
	ds_load_b128 v[136:139], v1 offset:688
	ds_load_b128 v[140:143], v1 offset:704
	s_waitcnt lgkmcnt(1)
	v_fma_f64 v[2:3], v[144:145], v[136:137], v[2:3]
	scratch_load_b128 v[144:147], off, off offset:280
	s_waitcnt vmcnt(4)
	v_fma_f64 v[2:3], v[154:155], v[138:139], v[2:3]
	scratch_load_b128 v[136:139], off, off offset:296
	s_waitcnt lgkmcnt(0)
	v_fma_f64 v[2:3], v[156:157], v[140:141], v[2:3]
	s_waitcnt vmcnt(4)
	s_delay_alu instid0(VALU_DEP_1)
	v_fma_f64 v[2:3], v[128:129], v[142:143], v[2:3]
	ds_load_b128 v[140:143], v1 offset:720
	ds_load_b128 v[154:157], v1 offset:736
	s_waitcnt lgkmcnt(1)
	v_fma_f64 v[2:3], v[130:131], v[140:141], v[2:3]
	scratch_load_b128 v[128:131], off, off offset:312
	s_waitcnt vmcnt(4)
	v_fma_f64 v[2:3], v[150:151], v[142:143], v[2:3]
	scratch_load_b128 v[140:143], off, off offset:328
	s_waitcnt lgkmcnt(0)
	v_fma_f64 v[2:3], v[152:153], v[154:155], v[2:3]
	ds_load_b128 v[148:151], v1 offset:752
	ds_load_b128 v[152:155], v1 offset:768
	s_waitcnt vmcnt(4)
	v_fma_f64 v[2:3], v[132:133], v[156:157], v[2:3]
	s_waitcnt lgkmcnt(1)
	s_delay_alu instid0(VALU_DEP_1) | instskip(SKIP_4) | instid1(VALU_DEP_1)
	v_fma_f64 v[2:3], v[134:135], v[148:149], v[2:3]
	scratch_load_b128 v[132:135], off, off offset:344
	s_waitcnt vmcnt(4)
	v_fma_f64 v[2:3], v[144:145], v[150:151], v[2:3]
	s_waitcnt lgkmcnt(0)
	v_fma_f64 v[2:3], v[146:147], v[152:153], v[2:3]
	scratch_load_b128 v[144:147], off, off offset:360
	s_waitcnt vmcnt(4)
	v_fma_f64 v[2:3], v[136:137], v[154:155], v[2:3]
	ds_load_b128 v[148:151], v1 offset:784
	ds_load_b128 v[152:155], v1 offset:800
	s_waitcnt lgkmcnt(1)
	v_fma_f64 v[2:3], v[138:139], v[148:149], v[2:3]
	scratch_load_b128 v[136:139], off, off offset:376
	s_waitcnt vmcnt(4)
	v_fma_f64 v[2:3], v[128:129], v[150:151], v[2:3]
	s_waitcnt lgkmcnt(0)
	s_delay_alu instid0(VALU_DEP_1)
	v_fma_f64 v[2:3], v[130:131], v[152:153], v[2:3]
	scratch_load_b128 v[128:131], off, off offset:392
	s_waitcnt vmcnt(4)
	v_fma_f64 v[2:3], v[140:141], v[154:155], v[2:3]
	ds_load_b128 v[148:151], v1 offset:816
	ds_load_b128 v[152:155], v1 offset:832
	s_waitcnt lgkmcnt(1)
	v_fma_f64 v[2:3], v[142:143], v[148:149], v[2:3]
	scratch_load_b128 v[140:143], off, off offset:408
	s_waitcnt vmcnt(4)
	v_fma_f64 v[2:3], v[132:133], v[150:151], v[2:3]
	s_waitcnt lgkmcnt(0)
	s_delay_alu instid0(VALU_DEP_1)
	;; [unrolled: 13-line block ×3, first 2 shown]
	v_fma_f64 v[2:3], v[138:139], v[152:153], v[2:3]
	scratch_load_b128 v[136:139], off, off offset:456
	s_waitcnt vmcnt(4)
	v_fma_f64 v[2:3], v[128:129], v[154:155], v[2:3]
	ds_load_b128 v[148:151], v1 offset:880
	ds_load_b128 v[152:155], v1 offset:896
	s_waitcnt lgkmcnt(1)
	v_fma_f64 v[2:3], v[130:131], v[148:149], v[2:3]
	scratch_load_b64 v[148:149], off, off offset:472
	s_waitcnt vmcnt(4)
	v_fma_f64 v[2:3], v[140:141], v[150:151], v[2:3]
	s_waitcnt lgkmcnt(0)
	s_delay_alu instid0(VALU_DEP_1)
	v_fma_f64 v[2:3], v[142:143], v[152:153], v[2:3]
	ds_load_b128 v[128:131], v1 offset:912
	ds_load_b128 v[140:143], v1 offset:928
	s_waitcnt vmcnt(3)
	v_fma_f64 v[2:3], v[132:133], v[154:155], v[2:3]
	s_waitcnt lgkmcnt(1)
	s_delay_alu instid0(VALU_DEP_1) | instskip(SKIP_1) | instid1(VALU_DEP_1)
	v_fma_f64 v[2:3], v[134:135], v[128:129], v[2:3]
	s_waitcnt vmcnt(2)
	v_fma_f64 v[2:3], v[144:145], v[130:131], v[2:3]
	s_waitcnt lgkmcnt(0)
	s_delay_alu instid0(VALU_DEP_1) | instskip(SKIP_1) | instid1(VALU_DEP_1)
	v_fma_f64 v[2:3], v[146:147], v[140:141], v[2:3]
	s_waitcnt vmcnt(1)
	v_fma_f64 v[128:129], v[136:137], v[142:143], v[2:3]
	ds_load_b128 v[1:4], v1 offset:944
	s_waitcnt lgkmcnt(0)
	v_fma_f64 v[1:2], v[138:139], v[1:2], v[128:129]
	s_waitcnt vmcnt(0)
	s_delay_alu instid0(VALU_DEP_1) | instskip(NEXT) | instid1(VALU_DEP_1)
	v_fma_f64 v[1:2], v[148:149], v[3:4], v[1:2]
	v_add_f64 v[1:2], v[126:127], -v[1:2]
	scratch_store_b64 off, v[1:2], off offset:136
	v_cmpx_lt_u32_e32 16, v0
	s_cbranch_execz .LBB123_337
; %bb.336:
	scratch_load_b64 v[1:2], off, off offset:128
	v_mov_b32_e32 v3, 0
	s_delay_alu instid0(VALU_DEP_1)
	v_mov_b32_e32 v4, v3
	scratch_store_b64 off, v[3:4], off offset:128
	s_waitcnt vmcnt(0)
	ds_store_b64 v5, v[1:2]
.LBB123_337:
	s_or_b32 exec_lo, exec_lo, s0
	s_waitcnt lgkmcnt(0)
	s_waitcnt_vscnt null, 0x0
	s_barrier
	buffer_gl0_inv
	s_clause 0x4
	scratch_load_b128 v[126:129], off, off offset:128
	scratch_load_b128 v[130:133], off, off offset:144
	;; [unrolled: 1-line block ×5, first 2 shown]
	v_mov_b32_e32 v1, 0
	ds_load_2addr_b64 v[146:149], v1 offset0:77 offset1:78
	ds_load_2addr_b64 v[150:153], v1 offset0:79 offset1:80
	scratch_load_b128 v[154:157], off, off offset:208
	s_mov_b32 s0, exec_lo
	s_waitcnt vmcnt(5) lgkmcnt(1)
	v_fma_f64 v[2:3], v[128:129], v[146:147], 0
	s_waitcnt vmcnt(4)
	s_delay_alu instid0(VALU_DEP_1) | instskip(SKIP_4) | instid1(VALU_DEP_1)
	v_fma_f64 v[2:3], v[130:131], v[148:149], v[2:3]
	scratch_load_b128 v[128:131], off, off offset:224
	s_waitcnt lgkmcnt(0)
	v_fma_f64 v[2:3], v[132:133], v[150:151], v[2:3]
	s_waitcnt vmcnt(4)
	v_fma_f64 v[2:3], v[134:135], v[152:153], v[2:3]
	ds_load_2addr_b64 v[132:135], v1 offset0:81 offset1:82
	ds_load_2addr_b64 v[146:149], v1 offset0:83 offset1:84
	scratch_load_b128 v[150:153], off, off offset:240
	s_waitcnt lgkmcnt(1)
	v_fma_f64 v[2:3], v[136:137], v[132:133], v[2:3]
	s_waitcnt vmcnt(4)
	s_delay_alu instid0(VALU_DEP_1) | instskip(SKIP_4) | instid1(VALU_DEP_1)
	v_fma_f64 v[2:3], v[138:139], v[134:135], v[2:3]
	scratch_load_b128 v[132:135], off, off offset:256
	s_waitcnt lgkmcnt(0)
	v_fma_f64 v[2:3], v[140:141], v[146:147], v[2:3]
	s_waitcnt vmcnt(4)
	v_fma_f64 v[2:3], v[142:143], v[148:149], v[2:3]
	ds_load_2addr_b64 v[136:139], v1 offset0:85 offset1:86
	ds_load_2addr_b64 v[140:143], v1 offset0:87 offset1:88
	s_waitcnt lgkmcnt(1)
	v_fma_f64 v[2:3], v[144:145], v[136:137], v[2:3]
	scratch_load_b128 v[144:147], off, off offset:272
	s_waitcnt vmcnt(4)
	v_fma_f64 v[2:3], v[154:155], v[138:139], v[2:3]
	scratch_load_b128 v[136:139], off, off offset:288
	s_waitcnt lgkmcnt(0)
	v_fma_f64 v[2:3], v[156:157], v[140:141], v[2:3]
	s_waitcnt vmcnt(4)
	s_delay_alu instid0(VALU_DEP_1)
	v_fma_f64 v[2:3], v[128:129], v[142:143], v[2:3]
	ds_load_2addr_b64 v[140:143], v1 offset0:89 offset1:90
	ds_load_2addr_b64 v[154:157], v1 offset0:91 offset1:92
	s_waitcnt lgkmcnt(1)
	v_fma_f64 v[2:3], v[130:131], v[140:141], v[2:3]
	scratch_load_b128 v[128:131], off, off offset:304
	s_waitcnt vmcnt(4)
	v_fma_f64 v[2:3], v[150:151], v[142:143], v[2:3]
	scratch_load_b128 v[140:143], off, off offset:320
	s_waitcnt lgkmcnt(0)
	v_fma_f64 v[2:3], v[152:153], v[154:155], v[2:3]
	ds_load_2addr_b64 v[148:151], v1 offset0:93 offset1:94
	ds_load_2addr_b64 v[152:155], v1 offset0:95 offset1:96
	s_waitcnt vmcnt(4)
	v_fma_f64 v[2:3], v[132:133], v[156:157], v[2:3]
	s_waitcnt lgkmcnt(1)
	s_delay_alu instid0(VALU_DEP_1) | instskip(SKIP_4) | instid1(VALU_DEP_1)
	v_fma_f64 v[2:3], v[134:135], v[148:149], v[2:3]
	scratch_load_b128 v[132:135], off, off offset:336
	s_waitcnt vmcnt(4)
	v_fma_f64 v[2:3], v[144:145], v[150:151], v[2:3]
	s_waitcnt lgkmcnt(0)
	v_fma_f64 v[2:3], v[146:147], v[152:153], v[2:3]
	scratch_load_b128 v[144:147], off, off offset:352
	s_waitcnt vmcnt(4)
	v_fma_f64 v[2:3], v[136:137], v[154:155], v[2:3]
	ds_load_2addr_b64 v[148:151], v1 offset0:97 offset1:98
	ds_load_2addr_b64 v[152:155], v1 offset0:99 offset1:100
	s_waitcnt lgkmcnt(1)
	v_fma_f64 v[2:3], v[138:139], v[148:149], v[2:3]
	scratch_load_b128 v[136:139], off, off offset:368
	s_waitcnt vmcnt(4)
	v_fma_f64 v[2:3], v[128:129], v[150:151], v[2:3]
	s_waitcnt lgkmcnt(0)
	s_delay_alu instid0(VALU_DEP_1)
	v_fma_f64 v[2:3], v[130:131], v[152:153], v[2:3]
	scratch_load_b128 v[128:131], off, off offset:384
	s_waitcnt vmcnt(4)
	v_fma_f64 v[2:3], v[140:141], v[154:155], v[2:3]
	ds_load_2addr_b64 v[148:151], v1 offset0:101 offset1:102
	ds_load_2addr_b64 v[152:155], v1 offset0:103 offset1:104
	s_waitcnt lgkmcnt(1)
	v_fma_f64 v[2:3], v[142:143], v[148:149], v[2:3]
	scratch_load_b128 v[140:143], off, off offset:400
	s_waitcnt vmcnt(4)
	v_fma_f64 v[2:3], v[132:133], v[150:151], v[2:3]
	s_waitcnt lgkmcnt(0)
	s_delay_alu instid0(VALU_DEP_1)
	;; [unrolled: 13-line block ×4, first 2 shown]
	v_fma_f64 v[2:3], v[142:143], v[152:153], v[2:3]
	ds_load_2addr_b64 v[140:143], v1 offset0:113 offset1:114
	ds_load_2addr_b64 v[148:151], v1 offset0:115 offset1:116
	s_waitcnt vmcnt(3)
	v_fma_f64 v[2:3], v[132:133], v[154:155], v[2:3]
	s_waitcnt lgkmcnt(1)
	s_delay_alu instid0(VALU_DEP_1) | instskip(SKIP_1) | instid1(VALU_DEP_1)
	v_fma_f64 v[2:3], v[134:135], v[140:141], v[2:3]
	s_waitcnt vmcnt(2)
	v_fma_f64 v[2:3], v[144:145], v[142:143], v[2:3]
	s_waitcnt lgkmcnt(0)
	s_delay_alu instid0(VALU_DEP_1) | instskip(SKIP_1) | instid1(VALU_DEP_1)
	v_fma_f64 v[2:3], v[146:147], v[148:149], v[2:3]
	s_waitcnt vmcnt(1)
	v_fma_f64 v[2:3], v[136:137], v[150:151], v[2:3]
	ds_load_2addr_b64 v[132:135], v1 offset0:117 offset1:118
	ds_load_b64 v[136:137], v1 offset:952
	s_waitcnt lgkmcnt(1)
	v_fma_f64 v[2:3], v[138:139], v[132:133], v[2:3]
	s_waitcnt vmcnt(0)
	s_delay_alu instid0(VALU_DEP_1) | instskip(SKIP_1) | instid1(VALU_DEP_1)
	v_fma_f64 v[2:3], v[128:129], v[134:135], v[2:3]
	s_waitcnt lgkmcnt(0)
	v_fma_f64 v[2:3], v[130:131], v[136:137], v[2:3]
	s_delay_alu instid0(VALU_DEP_1)
	v_add_f64 v[2:3], v[126:127], -v[2:3]
	scratch_store_b64 off, v[2:3], off offset:128
	v_cmpx_lt_u32_e32 15, v0
	s_cbranch_execz .LBB123_339
; %bb.338:
	scratch_load_b64 v[3:4], off, off offset:120
	v_mov_b32_e32 v2, v1
	scratch_store_b64 off, v[1:2], off offset:120
	s_waitcnt vmcnt(0)
	ds_store_b64 v5, v[3:4]
.LBB123_339:
	s_or_b32 exec_lo, exec_lo, s0
	s_waitcnt lgkmcnt(0)
	s_waitcnt_vscnt null, 0x0
	s_barrier
	buffer_gl0_inv
	s_clause 0x4
	scratch_load_b128 v[126:129], off, off offset:120
	scratch_load_b128 v[130:133], off, off offset:136
	;; [unrolled: 1-line block ×5, first 2 shown]
	ds_load_b128 v[146:149], v1 offset:608
	ds_load_b128 v[150:153], v1 offset:624
	scratch_load_b128 v[154:157], off, off offset:200
	s_mov_b32 s0, exec_lo
	s_waitcnt vmcnt(5) lgkmcnt(1)
	v_fma_f64 v[2:3], v[128:129], v[146:147], 0
	s_waitcnt vmcnt(4)
	s_delay_alu instid0(VALU_DEP_1) | instskip(SKIP_4) | instid1(VALU_DEP_1)
	v_fma_f64 v[2:3], v[130:131], v[148:149], v[2:3]
	scratch_load_b128 v[128:131], off, off offset:216
	s_waitcnt lgkmcnt(0)
	v_fma_f64 v[2:3], v[132:133], v[150:151], v[2:3]
	s_waitcnt vmcnt(4)
	v_fma_f64 v[2:3], v[134:135], v[152:153], v[2:3]
	ds_load_b128 v[132:135], v1 offset:640
	ds_load_b128 v[146:149], v1 offset:656
	scratch_load_b128 v[150:153], off, off offset:232
	s_waitcnt lgkmcnt(1)
	v_fma_f64 v[2:3], v[136:137], v[132:133], v[2:3]
	s_waitcnt vmcnt(4)
	s_delay_alu instid0(VALU_DEP_1) | instskip(SKIP_4) | instid1(VALU_DEP_1)
	v_fma_f64 v[2:3], v[138:139], v[134:135], v[2:3]
	scratch_load_b128 v[132:135], off, off offset:248
	s_waitcnt lgkmcnt(0)
	v_fma_f64 v[2:3], v[140:141], v[146:147], v[2:3]
	s_waitcnt vmcnt(4)
	v_fma_f64 v[2:3], v[142:143], v[148:149], v[2:3]
	ds_load_b128 v[136:139], v1 offset:672
	ds_load_b128 v[140:143], v1 offset:688
	s_waitcnt lgkmcnt(1)
	v_fma_f64 v[2:3], v[144:145], v[136:137], v[2:3]
	scratch_load_b128 v[144:147], off, off offset:264
	s_waitcnt vmcnt(4)
	v_fma_f64 v[2:3], v[154:155], v[138:139], v[2:3]
	scratch_load_b128 v[136:139], off, off offset:280
	s_waitcnt lgkmcnt(0)
	v_fma_f64 v[2:3], v[156:157], v[140:141], v[2:3]
	s_waitcnt vmcnt(4)
	s_delay_alu instid0(VALU_DEP_1)
	v_fma_f64 v[2:3], v[128:129], v[142:143], v[2:3]
	ds_load_b128 v[140:143], v1 offset:704
	ds_load_b128 v[154:157], v1 offset:720
	s_waitcnt lgkmcnt(1)
	v_fma_f64 v[2:3], v[130:131], v[140:141], v[2:3]
	scratch_load_b128 v[128:131], off, off offset:296
	s_waitcnt vmcnt(4)
	v_fma_f64 v[2:3], v[150:151], v[142:143], v[2:3]
	scratch_load_b128 v[140:143], off, off offset:312
	s_waitcnt lgkmcnt(0)
	v_fma_f64 v[2:3], v[152:153], v[154:155], v[2:3]
	ds_load_b128 v[148:151], v1 offset:736
	ds_load_b128 v[152:155], v1 offset:752
	s_waitcnt vmcnt(4)
	v_fma_f64 v[2:3], v[132:133], v[156:157], v[2:3]
	s_waitcnt lgkmcnt(1)
	s_delay_alu instid0(VALU_DEP_1) | instskip(SKIP_4) | instid1(VALU_DEP_1)
	v_fma_f64 v[2:3], v[134:135], v[148:149], v[2:3]
	scratch_load_b128 v[132:135], off, off offset:328
	s_waitcnt vmcnt(4)
	v_fma_f64 v[2:3], v[144:145], v[150:151], v[2:3]
	s_waitcnt lgkmcnt(0)
	v_fma_f64 v[2:3], v[146:147], v[152:153], v[2:3]
	scratch_load_b128 v[144:147], off, off offset:344
	s_waitcnt vmcnt(4)
	v_fma_f64 v[2:3], v[136:137], v[154:155], v[2:3]
	ds_load_b128 v[148:151], v1 offset:768
	ds_load_b128 v[152:155], v1 offset:784
	s_waitcnt lgkmcnt(1)
	v_fma_f64 v[2:3], v[138:139], v[148:149], v[2:3]
	scratch_load_b128 v[136:139], off, off offset:360
	s_waitcnt vmcnt(4)
	v_fma_f64 v[2:3], v[128:129], v[150:151], v[2:3]
	s_waitcnt lgkmcnt(0)
	s_delay_alu instid0(VALU_DEP_1)
	v_fma_f64 v[2:3], v[130:131], v[152:153], v[2:3]
	scratch_load_b128 v[128:131], off, off offset:376
	s_waitcnt vmcnt(4)
	v_fma_f64 v[2:3], v[140:141], v[154:155], v[2:3]
	ds_load_b128 v[148:151], v1 offset:800
	ds_load_b128 v[152:155], v1 offset:816
	s_waitcnt lgkmcnt(1)
	v_fma_f64 v[2:3], v[142:143], v[148:149], v[2:3]
	scratch_load_b128 v[140:143], off, off offset:392
	s_waitcnt vmcnt(4)
	v_fma_f64 v[2:3], v[132:133], v[150:151], v[2:3]
	s_waitcnt lgkmcnt(0)
	s_delay_alu instid0(VALU_DEP_1)
	;; [unrolled: 13-line block ×4, first 2 shown]
	v_fma_f64 v[2:3], v[142:143], v[152:153], v[2:3]
	scratch_load_b64 v[152:153], off, off offset:472
	ds_load_b128 v[140:143], v1 offset:896
	ds_load_b128 v[148:151], v1 offset:912
	s_waitcnt vmcnt(4)
	v_fma_f64 v[2:3], v[132:133], v[154:155], v[2:3]
	s_waitcnt lgkmcnt(1)
	s_delay_alu instid0(VALU_DEP_1) | instskip(SKIP_1) | instid1(VALU_DEP_1)
	v_fma_f64 v[2:3], v[134:135], v[140:141], v[2:3]
	s_waitcnt vmcnt(3)
	v_fma_f64 v[2:3], v[144:145], v[142:143], v[2:3]
	s_waitcnt lgkmcnt(0)
	s_delay_alu instid0(VALU_DEP_1) | instskip(SKIP_1) | instid1(VALU_DEP_1)
	v_fma_f64 v[2:3], v[146:147], v[148:149], v[2:3]
	s_waitcnt vmcnt(2)
	v_fma_f64 v[136:137], v[136:137], v[150:151], v[2:3]
	ds_load_b128 v[132:135], v1 offset:928
	ds_load_b128 v[1:4], v1 offset:944
	s_waitcnt lgkmcnt(1)
	v_fma_f64 v[132:133], v[138:139], v[132:133], v[136:137]
	s_waitcnt vmcnt(1)
	s_delay_alu instid0(VALU_DEP_1) | instskip(SKIP_1) | instid1(VALU_DEP_1)
	v_fma_f64 v[128:129], v[128:129], v[134:135], v[132:133]
	s_waitcnt lgkmcnt(0)
	v_fma_f64 v[1:2], v[130:131], v[1:2], v[128:129]
	s_waitcnt vmcnt(0)
	s_delay_alu instid0(VALU_DEP_1) | instskip(NEXT) | instid1(VALU_DEP_1)
	v_fma_f64 v[1:2], v[152:153], v[3:4], v[1:2]
	v_add_f64 v[1:2], v[126:127], -v[1:2]
	scratch_store_b64 off, v[1:2], off offset:120
	v_cmpx_lt_u32_e32 14, v0
	s_cbranch_execz .LBB123_341
; %bb.340:
	scratch_load_b64 v[1:2], off, off offset:112
	v_mov_b32_e32 v3, 0
	s_delay_alu instid0(VALU_DEP_1)
	v_mov_b32_e32 v4, v3
	scratch_store_b64 off, v[3:4], off offset:112
	s_waitcnt vmcnt(0)
	ds_store_b64 v5, v[1:2]
.LBB123_341:
	s_or_b32 exec_lo, exec_lo, s0
	s_waitcnt lgkmcnt(0)
	s_waitcnt_vscnt null, 0x0
	s_barrier
	buffer_gl0_inv
	s_clause 0x4
	scratch_load_b128 v[1:4], off, off offset:112
	scratch_load_b128 v[127:130], off, off offset:128
	;; [unrolled: 1-line block ×5, first 2 shown]
	v_mov_b32_e32 v126, 0
	ds_load_2addr_b64 v[143:146], v126 offset0:75 offset1:76
	ds_load_2addr_b64 v[147:150], v126 offset0:77 offset1:78
	scratch_load_b128 v[151:154], off, off offset:192
	s_mov_b32 s0, exec_lo
	s_waitcnt vmcnt(5) lgkmcnt(1)
	v_fma_f64 v[3:4], v[3:4], v[143:144], 0
	s_waitcnt vmcnt(4)
	s_delay_alu instid0(VALU_DEP_1) | instskip(SKIP_1) | instid1(VALU_DEP_1)
	v_fma_f64 v[3:4], v[127:128], v[145:146], v[3:4]
	s_waitcnt lgkmcnt(0)
	v_fma_f64 v[3:4], v[129:130], v[147:148], v[3:4]
	scratch_load_b128 v[127:130], off, off offset:208
	s_waitcnt vmcnt(4)
	v_fma_f64 v[3:4], v[131:132], v[149:150], v[3:4]
	ds_load_2addr_b64 v[143:146], v126 offset0:79 offset1:80
	ds_load_2addr_b64 v[147:150], v126 offset0:81 offset1:82
	s_waitcnt lgkmcnt(1)
	v_fma_f64 v[3:4], v[133:134], v[143:144], v[3:4]
	scratch_load_b128 v[131:134], off, off offset:224
	s_waitcnt vmcnt(4)
	v_fma_f64 v[3:4], v[135:136], v[145:146], v[3:4]
	s_waitcnt lgkmcnt(0)
	s_delay_alu instid0(VALU_DEP_1)
	v_fma_f64 v[3:4], v[137:138], v[147:148], v[3:4]
	scratch_load_b128 v[135:138], off, off offset:240
	s_waitcnt vmcnt(4)
	v_fma_f64 v[3:4], v[139:140], v[149:150], v[3:4]
	ds_load_2addr_b64 v[143:146], v126 offset0:83 offset1:84
	ds_load_2addr_b64 v[147:150], v126 offset0:85 offset1:86
	s_waitcnt lgkmcnt(1)
	v_fma_f64 v[3:4], v[141:142], v[143:144], v[3:4]
	scratch_load_b128 v[139:142], off, off offset:256
	s_waitcnt vmcnt(4)
	v_fma_f64 v[3:4], v[151:152], v[145:146], v[3:4]
	scratch_load_b128 v[143:146], off, off offset:272
	s_waitcnt lgkmcnt(0)
	v_fma_f64 v[3:4], v[153:154], v[147:148], v[3:4]
	s_waitcnt vmcnt(4)
	s_delay_alu instid0(VALU_DEP_1)
	v_fma_f64 v[3:4], v[127:128], v[149:150], v[3:4]
	ds_load_2addr_b64 v[147:150], v126 offset0:87 offset1:88
	ds_load_2addr_b64 v[151:154], v126 offset0:89 offset1:90
	s_waitcnt lgkmcnt(1)
	v_fma_f64 v[3:4], v[129:130], v[147:148], v[3:4]
	scratch_load_b128 v[127:130], off, off offset:288
	s_waitcnt vmcnt(4)
	v_fma_f64 v[3:4], v[131:132], v[149:150], v[3:4]
	s_waitcnt lgkmcnt(0)
	s_delay_alu instid0(VALU_DEP_1)
	v_fma_f64 v[3:4], v[133:134], v[151:152], v[3:4]
	scratch_load_b128 v[131:134], off, off offset:304
	s_waitcnt vmcnt(4)
	v_fma_f64 v[3:4], v[135:136], v[153:154], v[3:4]
	ds_load_2addr_b64 v[147:150], v126 offset0:91 offset1:92
	ds_load_2addr_b64 v[151:154], v126 offset0:93 offset1:94
	s_waitcnt lgkmcnt(1)
	v_fma_f64 v[3:4], v[137:138], v[147:148], v[3:4]
	scratch_load_b128 v[135:138], off, off offset:320
	s_waitcnt vmcnt(4)
	v_fma_f64 v[3:4], v[139:140], v[149:150], v[3:4]
	s_waitcnt lgkmcnt(0)
	s_delay_alu instid0(VALU_DEP_1)
	v_fma_f64 v[3:4], v[141:142], v[151:152], v[3:4]
	scratch_load_b128 v[139:142], off, off offset:336
	s_waitcnt vmcnt(4)
	;; [unrolled: 13-line block ×6, first 2 shown]
	v_fma_f64 v[3:4], v[135:136], v[153:154], v[3:4]
	ds_load_2addr_b64 v[147:150], v126 offset0:111 offset1:112
	ds_load_2addr_b64 v[151:154], v126 offset0:113 offset1:114
	s_waitcnt lgkmcnt(1)
	v_fma_f64 v[3:4], v[137:138], v[147:148], v[3:4]
	s_waitcnt vmcnt(3)
	s_delay_alu instid0(VALU_DEP_1) | instskip(SKIP_1) | instid1(VALU_DEP_1)
	v_fma_f64 v[3:4], v[139:140], v[149:150], v[3:4]
	s_waitcnt lgkmcnt(0)
	v_fma_f64 v[3:4], v[141:142], v[151:152], v[3:4]
	ds_load_2addr_b64 v[135:138], v126 offset0:115 offset1:116
	ds_load_2addr_b64 v[139:142], v126 offset0:117 offset1:118
	s_waitcnt vmcnt(2)
	v_fma_f64 v[3:4], v[143:144], v[153:154], v[3:4]
	s_waitcnt lgkmcnt(1)
	s_delay_alu instid0(VALU_DEP_1) | instskip(SKIP_1) | instid1(VALU_DEP_1)
	v_fma_f64 v[3:4], v[145:146], v[135:136], v[3:4]
	s_waitcnt vmcnt(1)
	v_fma_f64 v[3:4], v[127:128], v[137:138], v[3:4]
	ds_load_b64 v[127:128], v126 offset:952
	s_waitcnt lgkmcnt(1)
	v_fma_f64 v[3:4], v[129:130], v[139:140], v[3:4]
	s_waitcnt vmcnt(0)
	s_delay_alu instid0(VALU_DEP_1) | instskip(SKIP_1) | instid1(VALU_DEP_1)
	v_fma_f64 v[3:4], v[131:132], v[141:142], v[3:4]
	s_waitcnt lgkmcnt(0)
	v_fma_f64 v[3:4], v[133:134], v[127:128], v[3:4]
	s_delay_alu instid0(VALU_DEP_1)
	v_add_f64 v[1:2], v[1:2], -v[3:4]
	scratch_store_b64 off, v[1:2], off offset:112
	v_cmpx_lt_u32_e32 13, v0
	s_cbranch_execz .LBB123_343
; %bb.342:
	scratch_load_b64 v[1:2], off, off offset:104
	v_mov_b32_e32 v127, v126
	scratch_store_b64 off, v[126:127], off offset:104
	s_waitcnt vmcnt(0)
	ds_store_b64 v5, v[1:2]
.LBB123_343:
	s_or_b32 exec_lo, exec_lo, s0
	s_waitcnt lgkmcnt(0)
	s_waitcnt_vscnt null, 0x0
	s_barrier
	buffer_gl0_inv
	s_clause 0x4
	scratch_load_b128 v[1:4], off, off offset:104
	scratch_load_b128 v[127:130], off, off offset:120
	;; [unrolled: 1-line block ×5, first 2 shown]
	ds_load_b128 v[143:146], v126 offset:592
	ds_load_b128 v[147:150], v126 offset:608
	scratch_load_b128 v[151:154], off, off offset:184
	s_mov_b32 s0, exec_lo
	s_waitcnt vmcnt(5) lgkmcnt(1)
	v_fma_f64 v[3:4], v[3:4], v[143:144], 0
	s_waitcnt vmcnt(4)
	s_delay_alu instid0(VALU_DEP_1) | instskip(SKIP_1) | instid1(VALU_DEP_1)
	v_fma_f64 v[3:4], v[127:128], v[145:146], v[3:4]
	s_waitcnt lgkmcnt(0)
	v_fma_f64 v[3:4], v[129:130], v[147:148], v[3:4]
	scratch_load_b128 v[127:130], off, off offset:200
	s_waitcnt vmcnt(4)
	v_fma_f64 v[3:4], v[131:132], v[149:150], v[3:4]
	ds_load_b128 v[143:146], v126 offset:624
	ds_load_b128 v[147:150], v126 offset:640
	s_waitcnt lgkmcnt(1)
	v_fma_f64 v[3:4], v[133:134], v[143:144], v[3:4]
	scratch_load_b128 v[131:134], off, off offset:216
	s_waitcnt vmcnt(4)
	v_fma_f64 v[3:4], v[135:136], v[145:146], v[3:4]
	s_waitcnt lgkmcnt(0)
	s_delay_alu instid0(VALU_DEP_1)
	v_fma_f64 v[3:4], v[137:138], v[147:148], v[3:4]
	scratch_load_b128 v[135:138], off, off offset:232
	s_waitcnt vmcnt(4)
	v_fma_f64 v[3:4], v[139:140], v[149:150], v[3:4]
	ds_load_b128 v[143:146], v126 offset:656
	ds_load_b128 v[147:150], v126 offset:672
	s_waitcnt lgkmcnt(1)
	v_fma_f64 v[3:4], v[141:142], v[143:144], v[3:4]
	scratch_load_b128 v[139:142], off, off offset:248
	s_waitcnt vmcnt(4)
	v_fma_f64 v[3:4], v[151:152], v[145:146], v[3:4]
	scratch_load_b128 v[143:146], off, off offset:264
	s_waitcnt lgkmcnt(0)
	v_fma_f64 v[3:4], v[153:154], v[147:148], v[3:4]
	s_waitcnt vmcnt(4)
	s_delay_alu instid0(VALU_DEP_1)
	v_fma_f64 v[3:4], v[127:128], v[149:150], v[3:4]
	ds_load_b128 v[147:150], v126 offset:688
	ds_load_b128 v[151:154], v126 offset:704
	s_waitcnt lgkmcnt(1)
	v_fma_f64 v[3:4], v[129:130], v[147:148], v[3:4]
	scratch_load_b128 v[127:130], off, off offset:280
	s_waitcnt vmcnt(4)
	v_fma_f64 v[3:4], v[131:132], v[149:150], v[3:4]
	s_waitcnt lgkmcnt(0)
	s_delay_alu instid0(VALU_DEP_1)
	v_fma_f64 v[3:4], v[133:134], v[151:152], v[3:4]
	scratch_load_b128 v[131:134], off, off offset:296
	s_waitcnt vmcnt(4)
	v_fma_f64 v[3:4], v[135:136], v[153:154], v[3:4]
	ds_load_b128 v[147:150], v126 offset:720
	ds_load_b128 v[151:154], v126 offset:736
	s_waitcnt lgkmcnt(1)
	v_fma_f64 v[3:4], v[137:138], v[147:148], v[3:4]
	scratch_load_b128 v[135:138], off, off offset:312
	s_waitcnt vmcnt(4)
	v_fma_f64 v[3:4], v[139:140], v[149:150], v[3:4]
	s_waitcnt lgkmcnt(0)
	s_delay_alu instid0(VALU_DEP_1)
	v_fma_f64 v[3:4], v[141:142], v[151:152], v[3:4]
	scratch_load_b128 v[139:142], off, off offset:328
	s_waitcnt vmcnt(4)
	;; [unrolled: 13-line block ×6, first 2 shown]
	v_fma_f64 v[3:4], v[135:136], v[153:154], v[3:4]
	ds_load_b128 v[147:150], v126 offset:880
	ds_load_b128 v[151:154], v126 offset:896
	s_waitcnt lgkmcnt(1)
	v_fma_f64 v[3:4], v[137:138], v[147:148], v[3:4]
	scratch_load_b64 v[147:148], off, off offset:472
	s_waitcnt vmcnt(4)
	v_fma_f64 v[3:4], v[139:140], v[149:150], v[3:4]
	s_waitcnt lgkmcnt(0)
	s_delay_alu instid0(VALU_DEP_1)
	v_fma_f64 v[3:4], v[141:142], v[151:152], v[3:4]
	ds_load_b128 v[135:138], v126 offset:912
	ds_load_b128 v[139:142], v126 offset:928
	s_waitcnt vmcnt(3)
	v_fma_f64 v[3:4], v[143:144], v[153:154], v[3:4]
	s_waitcnt lgkmcnt(1)
	s_delay_alu instid0(VALU_DEP_1) | instskip(SKIP_1) | instid1(VALU_DEP_1)
	v_fma_f64 v[3:4], v[145:146], v[135:136], v[3:4]
	s_waitcnt vmcnt(2)
	v_fma_f64 v[3:4], v[127:128], v[137:138], v[3:4]
	s_waitcnt lgkmcnt(0)
	s_delay_alu instid0(VALU_DEP_1) | instskip(SKIP_4) | instid1(VALU_DEP_1)
	v_fma_f64 v[3:4], v[129:130], v[139:140], v[3:4]
	ds_load_b128 v[126:129], v126 offset:944
	s_waitcnt vmcnt(1)
	v_fma_f64 v[3:4], v[131:132], v[141:142], v[3:4]
	s_waitcnt lgkmcnt(0)
	v_fma_f64 v[3:4], v[133:134], v[126:127], v[3:4]
	s_waitcnt vmcnt(0)
	s_delay_alu instid0(VALU_DEP_1) | instskip(NEXT) | instid1(VALU_DEP_1)
	v_fma_f64 v[3:4], v[147:148], v[128:129], v[3:4]
	v_add_f64 v[1:2], v[1:2], -v[3:4]
	scratch_store_b64 off, v[1:2], off offset:104
	v_cmpx_lt_u32_e32 12, v0
	s_cbranch_execz .LBB123_345
; %bb.344:
	scratch_load_b64 v[1:2], off, off offset:96
	v_mov_b32_e32 v3, 0
	s_delay_alu instid0(VALU_DEP_1)
	v_mov_b32_e32 v4, v3
	scratch_store_b64 off, v[3:4], off offset:96
	s_waitcnt vmcnt(0)
	ds_store_b64 v5, v[1:2]
.LBB123_345:
	s_or_b32 exec_lo, exec_lo, s0
	s_waitcnt lgkmcnt(0)
	s_waitcnt_vscnt null, 0x0
	s_barrier
	buffer_gl0_inv
	s_clause 0x4
	scratch_load_b128 v[1:4], off, off offset:96
	scratch_load_b128 v[127:130], off, off offset:112
	;; [unrolled: 1-line block ×5, first 2 shown]
	v_mov_b32_e32 v126, 0
	ds_load_2addr_b64 v[143:146], v126 offset0:73 offset1:74
	ds_load_2addr_b64 v[147:150], v126 offset0:75 offset1:76
	scratch_load_b128 v[151:154], off, off offset:176
	s_mov_b32 s0, exec_lo
	s_waitcnt vmcnt(5) lgkmcnt(1)
	v_fma_f64 v[3:4], v[3:4], v[143:144], 0
	s_waitcnt vmcnt(4)
	s_delay_alu instid0(VALU_DEP_1) | instskip(SKIP_1) | instid1(VALU_DEP_1)
	v_fma_f64 v[3:4], v[127:128], v[145:146], v[3:4]
	s_waitcnt lgkmcnt(0)
	v_fma_f64 v[3:4], v[129:130], v[147:148], v[3:4]
	scratch_load_b128 v[127:130], off, off offset:192
	s_waitcnt vmcnt(4)
	v_fma_f64 v[3:4], v[131:132], v[149:150], v[3:4]
	ds_load_2addr_b64 v[143:146], v126 offset0:77 offset1:78
	ds_load_2addr_b64 v[147:150], v126 offset0:79 offset1:80
	s_waitcnt lgkmcnt(1)
	v_fma_f64 v[3:4], v[133:134], v[143:144], v[3:4]
	scratch_load_b128 v[131:134], off, off offset:208
	s_waitcnt vmcnt(4)
	v_fma_f64 v[3:4], v[135:136], v[145:146], v[3:4]
	s_waitcnt lgkmcnt(0)
	s_delay_alu instid0(VALU_DEP_1)
	v_fma_f64 v[3:4], v[137:138], v[147:148], v[3:4]
	scratch_load_b128 v[135:138], off, off offset:224
	s_waitcnt vmcnt(4)
	v_fma_f64 v[3:4], v[139:140], v[149:150], v[3:4]
	ds_load_2addr_b64 v[143:146], v126 offset0:81 offset1:82
	ds_load_2addr_b64 v[147:150], v126 offset0:83 offset1:84
	s_waitcnt lgkmcnt(1)
	v_fma_f64 v[3:4], v[141:142], v[143:144], v[3:4]
	scratch_load_b128 v[139:142], off, off offset:240
	s_waitcnt vmcnt(4)
	v_fma_f64 v[3:4], v[151:152], v[145:146], v[3:4]
	scratch_load_b128 v[143:146], off, off offset:256
	s_waitcnt lgkmcnt(0)
	v_fma_f64 v[3:4], v[153:154], v[147:148], v[3:4]
	s_waitcnt vmcnt(4)
	s_delay_alu instid0(VALU_DEP_1)
	v_fma_f64 v[3:4], v[127:128], v[149:150], v[3:4]
	ds_load_2addr_b64 v[147:150], v126 offset0:85 offset1:86
	ds_load_2addr_b64 v[151:154], v126 offset0:87 offset1:88
	s_waitcnt lgkmcnt(1)
	v_fma_f64 v[3:4], v[129:130], v[147:148], v[3:4]
	scratch_load_b128 v[127:130], off, off offset:272
	s_waitcnt vmcnt(4)
	v_fma_f64 v[3:4], v[131:132], v[149:150], v[3:4]
	s_waitcnt lgkmcnt(0)
	s_delay_alu instid0(VALU_DEP_1)
	v_fma_f64 v[3:4], v[133:134], v[151:152], v[3:4]
	scratch_load_b128 v[131:134], off, off offset:288
	s_waitcnt vmcnt(4)
	v_fma_f64 v[3:4], v[135:136], v[153:154], v[3:4]
	ds_load_2addr_b64 v[147:150], v126 offset0:89 offset1:90
	ds_load_2addr_b64 v[151:154], v126 offset0:91 offset1:92
	s_waitcnt lgkmcnt(1)
	v_fma_f64 v[3:4], v[137:138], v[147:148], v[3:4]
	scratch_load_b128 v[135:138], off, off offset:304
	s_waitcnt vmcnt(4)
	v_fma_f64 v[3:4], v[139:140], v[149:150], v[3:4]
	s_waitcnt lgkmcnt(0)
	s_delay_alu instid0(VALU_DEP_1)
	v_fma_f64 v[3:4], v[141:142], v[151:152], v[3:4]
	scratch_load_b128 v[139:142], off, off offset:320
	s_waitcnt vmcnt(4)
	;; [unrolled: 13-line block ×6, first 2 shown]
	v_fma_f64 v[3:4], v[135:136], v[153:154], v[3:4]
	ds_load_2addr_b64 v[147:150], v126 offset0:109 offset1:110
	ds_load_2addr_b64 v[151:154], v126 offset0:111 offset1:112
	s_waitcnt lgkmcnt(1)
	v_fma_f64 v[3:4], v[137:138], v[147:148], v[3:4]
	scratch_load_b128 v[135:138], off, off offset:464
	s_waitcnt vmcnt(4)
	v_fma_f64 v[3:4], v[139:140], v[149:150], v[3:4]
	s_waitcnt lgkmcnt(0)
	s_delay_alu instid0(VALU_DEP_1)
	v_fma_f64 v[3:4], v[141:142], v[151:152], v[3:4]
	ds_load_2addr_b64 v[139:142], v126 offset0:113 offset1:114
	ds_load_2addr_b64 v[147:150], v126 offset0:115 offset1:116
	s_waitcnt vmcnt(3)
	v_fma_f64 v[3:4], v[143:144], v[153:154], v[3:4]
	s_waitcnt lgkmcnt(1)
	s_delay_alu instid0(VALU_DEP_1) | instskip(SKIP_1) | instid1(VALU_DEP_1)
	v_fma_f64 v[3:4], v[145:146], v[139:140], v[3:4]
	s_waitcnt vmcnt(2)
	v_fma_f64 v[3:4], v[127:128], v[141:142], v[3:4]
	s_waitcnt lgkmcnt(0)
	s_delay_alu instid0(VALU_DEP_1) | instskip(SKIP_1) | instid1(VALU_DEP_1)
	v_fma_f64 v[3:4], v[129:130], v[147:148], v[3:4]
	s_waitcnt vmcnt(1)
	v_fma_f64 v[3:4], v[131:132], v[149:150], v[3:4]
	ds_load_2addr_b64 v[127:130], v126 offset0:117 offset1:118
	ds_load_b64 v[131:132], v126 offset:952
	s_waitcnt lgkmcnt(1)
	v_fma_f64 v[3:4], v[133:134], v[127:128], v[3:4]
	s_waitcnt vmcnt(0)
	s_delay_alu instid0(VALU_DEP_1) | instskip(SKIP_1) | instid1(VALU_DEP_1)
	v_fma_f64 v[3:4], v[135:136], v[129:130], v[3:4]
	s_waitcnt lgkmcnt(0)
	v_fma_f64 v[3:4], v[137:138], v[131:132], v[3:4]
	s_delay_alu instid0(VALU_DEP_1)
	v_add_f64 v[1:2], v[1:2], -v[3:4]
	scratch_store_b64 off, v[1:2], off offset:96
	v_cmpx_lt_u32_e32 11, v0
	s_cbranch_execz .LBB123_347
; %bb.346:
	scratch_load_b64 v[1:2], off, off offset:88
	v_mov_b32_e32 v127, v126
	scratch_store_b64 off, v[126:127], off offset:88
	s_waitcnt vmcnt(0)
	ds_store_b64 v5, v[1:2]
.LBB123_347:
	s_or_b32 exec_lo, exec_lo, s0
	s_waitcnt lgkmcnt(0)
	s_waitcnt_vscnt null, 0x0
	s_barrier
	buffer_gl0_inv
	s_clause 0x4
	scratch_load_b128 v[1:4], off, off offset:88
	scratch_load_b128 v[127:130], off, off offset:104
	;; [unrolled: 1-line block ×5, first 2 shown]
	ds_load_b128 v[143:146], v126 offset:576
	ds_load_b128 v[147:150], v126 offset:592
	scratch_load_b128 v[151:154], off, off offset:168
	s_mov_b32 s0, exec_lo
	s_waitcnt vmcnt(5) lgkmcnt(1)
	v_fma_f64 v[3:4], v[3:4], v[143:144], 0
	s_waitcnt vmcnt(4)
	s_delay_alu instid0(VALU_DEP_1) | instskip(SKIP_1) | instid1(VALU_DEP_1)
	v_fma_f64 v[3:4], v[127:128], v[145:146], v[3:4]
	s_waitcnt lgkmcnt(0)
	v_fma_f64 v[3:4], v[129:130], v[147:148], v[3:4]
	scratch_load_b128 v[127:130], off, off offset:184
	s_waitcnt vmcnt(4)
	v_fma_f64 v[3:4], v[131:132], v[149:150], v[3:4]
	ds_load_b128 v[143:146], v126 offset:608
	ds_load_b128 v[147:150], v126 offset:624
	s_waitcnt lgkmcnt(1)
	v_fma_f64 v[3:4], v[133:134], v[143:144], v[3:4]
	scratch_load_b128 v[131:134], off, off offset:200
	s_waitcnt vmcnt(4)
	v_fma_f64 v[3:4], v[135:136], v[145:146], v[3:4]
	s_waitcnt lgkmcnt(0)
	s_delay_alu instid0(VALU_DEP_1)
	v_fma_f64 v[3:4], v[137:138], v[147:148], v[3:4]
	scratch_load_b128 v[135:138], off, off offset:216
	s_waitcnt vmcnt(4)
	v_fma_f64 v[3:4], v[139:140], v[149:150], v[3:4]
	ds_load_b128 v[143:146], v126 offset:640
	ds_load_b128 v[147:150], v126 offset:656
	s_waitcnt lgkmcnt(1)
	v_fma_f64 v[3:4], v[141:142], v[143:144], v[3:4]
	scratch_load_b128 v[139:142], off, off offset:232
	s_waitcnt vmcnt(4)
	v_fma_f64 v[3:4], v[151:152], v[145:146], v[3:4]
	scratch_load_b128 v[143:146], off, off offset:248
	s_waitcnt lgkmcnt(0)
	v_fma_f64 v[3:4], v[153:154], v[147:148], v[3:4]
	s_waitcnt vmcnt(4)
	s_delay_alu instid0(VALU_DEP_1)
	v_fma_f64 v[3:4], v[127:128], v[149:150], v[3:4]
	ds_load_b128 v[147:150], v126 offset:672
	ds_load_b128 v[151:154], v126 offset:688
	s_waitcnt lgkmcnt(1)
	v_fma_f64 v[3:4], v[129:130], v[147:148], v[3:4]
	scratch_load_b128 v[127:130], off, off offset:264
	s_waitcnt vmcnt(4)
	v_fma_f64 v[3:4], v[131:132], v[149:150], v[3:4]
	s_waitcnt lgkmcnt(0)
	s_delay_alu instid0(VALU_DEP_1)
	v_fma_f64 v[3:4], v[133:134], v[151:152], v[3:4]
	scratch_load_b128 v[131:134], off, off offset:280
	s_waitcnt vmcnt(4)
	v_fma_f64 v[3:4], v[135:136], v[153:154], v[3:4]
	ds_load_b128 v[147:150], v126 offset:704
	ds_load_b128 v[151:154], v126 offset:720
	s_waitcnt lgkmcnt(1)
	v_fma_f64 v[3:4], v[137:138], v[147:148], v[3:4]
	scratch_load_b128 v[135:138], off, off offset:296
	s_waitcnt vmcnt(4)
	v_fma_f64 v[3:4], v[139:140], v[149:150], v[3:4]
	s_waitcnt lgkmcnt(0)
	s_delay_alu instid0(VALU_DEP_1)
	v_fma_f64 v[3:4], v[141:142], v[151:152], v[3:4]
	scratch_load_b128 v[139:142], off, off offset:312
	s_waitcnt vmcnt(4)
	;; [unrolled: 13-line block ×6, first 2 shown]
	v_fma_f64 v[3:4], v[135:136], v[153:154], v[3:4]
	ds_load_b128 v[147:150], v126 offset:864
	ds_load_b128 v[151:154], v126 offset:880
	s_waitcnt lgkmcnt(1)
	v_fma_f64 v[3:4], v[137:138], v[147:148], v[3:4]
	scratch_load_b128 v[135:138], off, off offset:456
	s_waitcnt vmcnt(4)
	v_fma_f64 v[3:4], v[139:140], v[149:150], v[3:4]
	s_waitcnt lgkmcnt(0)
	s_delay_alu instid0(VALU_DEP_1)
	v_fma_f64 v[3:4], v[141:142], v[151:152], v[3:4]
	scratch_load_b64 v[151:152], off, off offset:472
	ds_load_b128 v[139:142], v126 offset:896
	ds_load_b128 v[147:150], v126 offset:912
	s_waitcnt vmcnt(4)
	v_fma_f64 v[3:4], v[143:144], v[153:154], v[3:4]
	s_waitcnt lgkmcnt(1)
	s_delay_alu instid0(VALU_DEP_1) | instskip(SKIP_1) | instid1(VALU_DEP_1)
	v_fma_f64 v[3:4], v[145:146], v[139:140], v[3:4]
	s_waitcnt vmcnt(3)
	v_fma_f64 v[3:4], v[127:128], v[141:142], v[3:4]
	s_waitcnt lgkmcnt(0)
	s_delay_alu instid0(VALU_DEP_1)
	v_fma_f64 v[3:4], v[129:130], v[147:148], v[3:4]
	ds_load_b128 v[127:130], v126 offset:928
	ds_load_b128 v[139:142], v126 offset:944
	s_waitcnt vmcnt(2)
	v_fma_f64 v[3:4], v[131:132], v[149:150], v[3:4]
	s_waitcnt lgkmcnt(1)
	s_delay_alu instid0(VALU_DEP_1) | instskip(SKIP_1) | instid1(VALU_DEP_1)
	v_fma_f64 v[3:4], v[133:134], v[127:128], v[3:4]
	s_waitcnt vmcnt(1)
	v_fma_f64 v[3:4], v[135:136], v[129:130], v[3:4]
	s_waitcnt lgkmcnt(0)
	s_delay_alu instid0(VALU_DEP_1) | instskip(SKIP_1) | instid1(VALU_DEP_1)
	v_fma_f64 v[3:4], v[137:138], v[139:140], v[3:4]
	s_waitcnt vmcnt(0)
	v_fma_f64 v[3:4], v[151:152], v[141:142], v[3:4]
	s_delay_alu instid0(VALU_DEP_1)
	v_add_f64 v[1:2], v[1:2], -v[3:4]
	scratch_store_b64 off, v[1:2], off offset:88
	v_cmpx_lt_u32_e32 10, v0
	s_cbranch_execz .LBB123_349
; %bb.348:
	scratch_load_b64 v[1:2], off, off offset:80
	v_mov_b32_e32 v3, 0
	s_delay_alu instid0(VALU_DEP_1)
	v_mov_b32_e32 v4, v3
	scratch_store_b64 off, v[3:4], off offset:80
	s_waitcnt vmcnt(0)
	ds_store_b64 v5, v[1:2]
.LBB123_349:
	s_or_b32 exec_lo, exec_lo, s0
	s_waitcnt lgkmcnt(0)
	s_waitcnt_vscnt null, 0x0
	s_barrier
	buffer_gl0_inv
	s_clause 0x4
	scratch_load_b128 v[1:4], off, off offset:80
	scratch_load_b128 v[127:130], off, off offset:96
	;; [unrolled: 1-line block ×5, first 2 shown]
	v_mov_b32_e32 v126, 0
	ds_load_2addr_b64 v[143:146], v126 offset0:71 offset1:72
	ds_load_2addr_b64 v[147:150], v126 offset0:73 offset1:74
	scratch_load_b128 v[151:154], off, off offset:160
	s_mov_b32 s0, exec_lo
	s_waitcnt vmcnt(5) lgkmcnt(1)
	v_fma_f64 v[3:4], v[3:4], v[143:144], 0
	s_waitcnt vmcnt(4)
	s_delay_alu instid0(VALU_DEP_1) | instskip(SKIP_1) | instid1(VALU_DEP_1)
	v_fma_f64 v[3:4], v[127:128], v[145:146], v[3:4]
	s_waitcnt lgkmcnt(0)
	v_fma_f64 v[3:4], v[129:130], v[147:148], v[3:4]
	scratch_load_b128 v[127:130], off, off offset:176
	s_waitcnt vmcnt(4)
	v_fma_f64 v[3:4], v[131:132], v[149:150], v[3:4]
	ds_load_2addr_b64 v[143:146], v126 offset0:75 offset1:76
	ds_load_2addr_b64 v[147:150], v126 offset0:77 offset1:78
	s_waitcnt lgkmcnt(1)
	v_fma_f64 v[3:4], v[133:134], v[143:144], v[3:4]
	scratch_load_b128 v[131:134], off, off offset:192
	s_waitcnt vmcnt(4)
	v_fma_f64 v[3:4], v[135:136], v[145:146], v[3:4]
	s_waitcnt lgkmcnt(0)
	s_delay_alu instid0(VALU_DEP_1)
	v_fma_f64 v[3:4], v[137:138], v[147:148], v[3:4]
	scratch_load_b128 v[135:138], off, off offset:208
	s_waitcnt vmcnt(4)
	v_fma_f64 v[3:4], v[139:140], v[149:150], v[3:4]
	ds_load_2addr_b64 v[143:146], v126 offset0:79 offset1:80
	ds_load_2addr_b64 v[147:150], v126 offset0:81 offset1:82
	s_waitcnt lgkmcnt(1)
	v_fma_f64 v[3:4], v[141:142], v[143:144], v[3:4]
	scratch_load_b128 v[139:142], off, off offset:224
	s_waitcnt vmcnt(4)
	v_fma_f64 v[3:4], v[151:152], v[145:146], v[3:4]
	scratch_load_b128 v[143:146], off, off offset:240
	s_waitcnt lgkmcnt(0)
	v_fma_f64 v[3:4], v[153:154], v[147:148], v[3:4]
	s_waitcnt vmcnt(4)
	s_delay_alu instid0(VALU_DEP_1)
	v_fma_f64 v[3:4], v[127:128], v[149:150], v[3:4]
	ds_load_2addr_b64 v[147:150], v126 offset0:83 offset1:84
	ds_load_2addr_b64 v[151:154], v126 offset0:85 offset1:86
	s_waitcnt lgkmcnt(1)
	v_fma_f64 v[3:4], v[129:130], v[147:148], v[3:4]
	scratch_load_b128 v[127:130], off, off offset:256
	s_waitcnt vmcnt(4)
	v_fma_f64 v[3:4], v[131:132], v[149:150], v[3:4]
	s_waitcnt lgkmcnt(0)
	s_delay_alu instid0(VALU_DEP_1)
	v_fma_f64 v[3:4], v[133:134], v[151:152], v[3:4]
	scratch_load_b128 v[131:134], off, off offset:272
	s_waitcnt vmcnt(4)
	v_fma_f64 v[3:4], v[135:136], v[153:154], v[3:4]
	ds_load_2addr_b64 v[147:150], v126 offset0:87 offset1:88
	ds_load_2addr_b64 v[151:154], v126 offset0:89 offset1:90
	s_waitcnt lgkmcnt(1)
	v_fma_f64 v[3:4], v[137:138], v[147:148], v[3:4]
	scratch_load_b128 v[135:138], off, off offset:288
	s_waitcnt vmcnt(4)
	v_fma_f64 v[3:4], v[139:140], v[149:150], v[3:4]
	s_waitcnt lgkmcnt(0)
	s_delay_alu instid0(VALU_DEP_1)
	v_fma_f64 v[3:4], v[141:142], v[151:152], v[3:4]
	scratch_load_b128 v[139:142], off, off offset:304
	s_waitcnt vmcnt(4)
	;; [unrolled: 13-line block ×7, first 2 shown]
	v_fma_f64 v[3:4], v[143:144], v[153:154], v[3:4]
	ds_load_2addr_b64 v[147:150], v126 offset0:111 offset1:112
	ds_load_2addr_b64 v[151:154], v126 offset0:113 offset1:114
	s_waitcnt lgkmcnt(1)
	v_fma_f64 v[3:4], v[145:146], v[147:148], v[3:4]
	s_waitcnt vmcnt(3)
	s_delay_alu instid0(VALU_DEP_1) | instskip(SKIP_1) | instid1(VALU_DEP_1)
	v_fma_f64 v[3:4], v[127:128], v[149:150], v[3:4]
	s_waitcnt lgkmcnt(0)
	v_fma_f64 v[3:4], v[129:130], v[151:152], v[3:4]
	ds_load_2addr_b64 v[127:130], v126 offset0:115 offset1:116
	ds_load_2addr_b64 v[143:146], v126 offset0:117 offset1:118
	s_waitcnt vmcnt(2)
	v_fma_f64 v[3:4], v[131:132], v[153:154], v[3:4]
	s_waitcnt lgkmcnt(1)
	s_delay_alu instid0(VALU_DEP_1) | instskip(SKIP_4) | instid1(VALU_DEP_1)
	v_fma_f64 v[3:4], v[133:134], v[127:128], v[3:4]
	ds_load_b64 v[127:128], v126 offset:952
	s_waitcnt vmcnt(1)
	v_fma_f64 v[3:4], v[135:136], v[129:130], v[3:4]
	s_waitcnt lgkmcnt(1)
	v_fma_f64 v[3:4], v[137:138], v[143:144], v[3:4]
	s_waitcnt vmcnt(0)
	s_delay_alu instid0(VALU_DEP_1) | instskip(SKIP_1) | instid1(VALU_DEP_1)
	v_fma_f64 v[3:4], v[139:140], v[145:146], v[3:4]
	s_waitcnt lgkmcnt(0)
	v_fma_f64 v[3:4], v[141:142], v[127:128], v[3:4]
	s_delay_alu instid0(VALU_DEP_1)
	v_add_f64 v[1:2], v[1:2], -v[3:4]
	scratch_store_b64 off, v[1:2], off offset:80
	v_cmpx_lt_u32_e32 9, v0
	s_cbranch_execz .LBB123_351
; %bb.350:
	scratch_load_b64 v[1:2], off, off offset:72
	v_mov_b32_e32 v127, v126
	scratch_store_b64 off, v[126:127], off offset:72
	s_waitcnt vmcnt(0)
	ds_store_b64 v5, v[1:2]
.LBB123_351:
	s_or_b32 exec_lo, exec_lo, s0
	s_waitcnt lgkmcnt(0)
	s_waitcnt_vscnt null, 0x0
	s_barrier
	buffer_gl0_inv
	s_clause 0x4
	scratch_load_b128 v[1:4], off, off offset:72
	scratch_load_b128 v[127:130], off, off offset:88
	;; [unrolled: 1-line block ×5, first 2 shown]
	ds_load_b128 v[143:146], v126 offset:560
	ds_load_b128 v[147:150], v126 offset:576
	scratch_load_b128 v[151:154], off, off offset:152
	s_mov_b32 s0, exec_lo
	s_waitcnt vmcnt(5) lgkmcnt(1)
	v_fma_f64 v[3:4], v[3:4], v[143:144], 0
	s_waitcnt vmcnt(4)
	s_delay_alu instid0(VALU_DEP_1) | instskip(SKIP_1) | instid1(VALU_DEP_1)
	v_fma_f64 v[3:4], v[127:128], v[145:146], v[3:4]
	s_waitcnt lgkmcnt(0)
	v_fma_f64 v[3:4], v[129:130], v[147:148], v[3:4]
	scratch_load_b128 v[127:130], off, off offset:168
	s_waitcnt vmcnt(4)
	v_fma_f64 v[3:4], v[131:132], v[149:150], v[3:4]
	ds_load_b128 v[143:146], v126 offset:592
	ds_load_b128 v[147:150], v126 offset:608
	s_waitcnt lgkmcnt(1)
	v_fma_f64 v[3:4], v[133:134], v[143:144], v[3:4]
	scratch_load_b128 v[131:134], off, off offset:184
	s_waitcnt vmcnt(4)
	v_fma_f64 v[3:4], v[135:136], v[145:146], v[3:4]
	s_waitcnt lgkmcnt(0)
	s_delay_alu instid0(VALU_DEP_1)
	v_fma_f64 v[3:4], v[137:138], v[147:148], v[3:4]
	scratch_load_b128 v[135:138], off, off offset:200
	s_waitcnt vmcnt(4)
	v_fma_f64 v[3:4], v[139:140], v[149:150], v[3:4]
	ds_load_b128 v[143:146], v126 offset:624
	ds_load_b128 v[147:150], v126 offset:640
	s_waitcnt lgkmcnt(1)
	v_fma_f64 v[3:4], v[141:142], v[143:144], v[3:4]
	scratch_load_b128 v[139:142], off, off offset:216
	s_waitcnt vmcnt(4)
	v_fma_f64 v[3:4], v[151:152], v[145:146], v[3:4]
	scratch_load_b128 v[143:146], off, off offset:232
	s_waitcnt lgkmcnt(0)
	v_fma_f64 v[3:4], v[153:154], v[147:148], v[3:4]
	s_waitcnt vmcnt(4)
	s_delay_alu instid0(VALU_DEP_1)
	v_fma_f64 v[3:4], v[127:128], v[149:150], v[3:4]
	ds_load_b128 v[147:150], v126 offset:656
	ds_load_b128 v[151:154], v126 offset:672
	s_waitcnt lgkmcnt(1)
	v_fma_f64 v[3:4], v[129:130], v[147:148], v[3:4]
	scratch_load_b128 v[127:130], off, off offset:248
	s_waitcnt vmcnt(4)
	v_fma_f64 v[3:4], v[131:132], v[149:150], v[3:4]
	s_waitcnt lgkmcnt(0)
	s_delay_alu instid0(VALU_DEP_1)
	v_fma_f64 v[3:4], v[133:134], v[151:152], v[3:4]
	scratch_load_b128 v[131:134], off, off offset:264
	s_waitcnt vmcnt(4)
	v_fma_f64 v[3:4], v[135:136], v[153:154], v[3:4]
	ds_load_b128 v[147:150], v126 offset:688
	ds_load_b128 v[151:154], v126 offset:704
	s_waitcnt lgkmcnt(1)
	v_fma_f64 v[3:4], v[137:138], v[147:148], v[3:4]
	scratch_load_b128 v[135:138], off, off offset:280
	s_waitcnt vmcnt(4)
	v_fma_f64 v[3:4], v[139:140], v[149:150], v[3:4]
	s_waitcnt lgkmcnt(0)
	s_delay_alu instid0(VALU_DEP_1)
	v_fma_f64 v[3:4], v[141:142], v[151:152], v[3:4]
	scratch_load_b128 v[139:142], off, off offset:296
	s_waitcnt vmcnt(4)
	;; [unrolled: 13-line block ×7, first 2 shown]
	v_fma_f64 v[3:4], v[143:144], v[153:154], v[3:4]
	ds_load_b128 v[147:150], v126 offset:880
	ds_load_b128 v[151:154], v126 offset:896
	s_waitcnt lgkmcnt(1)
	v_fma_f64 v[3:4], v[145:146], v[147:148], v[3:4]
	scratch_load_b64 v[147:148], off, off offset:472
	s_waitcnt vmcnt(4)
	v_fma_f64 v[3:4], v[127:128], v[149:150], v[3:4]
	s_waitcnt lgkmcnt(0)
	s_delay_alu instid0(VALU_DEP_1)
	v_fma_f64 v[3:4], v[129:130], v[151:152], v[3:4]
	ds_load_b128 v[127:130], v126 offset:912
	ds_load_b128 v[143:146], v126 offset:928
	s_waitcnt vmcnt(3)
	v_fma_f64 v[3:4], v[131:132], v[153:154], v[3:4]
	s_waitcnt lgkmcnt(1)
	s_delay_alu instid0(VALU_DEP_1) | instskip(SKIP_1) | instid1(VALU_DEP_1)
	v_fma_f64 v[3:4], v[133:134], v[127:128], v[3:4]
	s_waitcnt vmcnt(2)
	v_fma_f64 v[3:4], v[135:136], v[129:130], v[3:4]
	ds_load_b128 v[126:129], v126 offset:944
	s_waitcnt lgkmcnt(1)
	v_fma_f64 v[3:4], v[137:138], v[143:144], v[3:4]
	s_waitcnt vmcnt(1)
	s_delay_alu instid0(VALU_DEP_1) | instskip(SKIP_1) | instid1(VALU_DEP_1)
	v_fma_f64 v[3:4], v[139:140], v[145:146], v[3:4]
	s_waitcnt lgkmcnt(0)
	v_fma_f64 v[3:4], v[141:142], v[126:127], v[3:4]
	s_waitcnt vmcnt(0)
	s_delay_alu instid0(VALU_DEP_1) | instskip(NEXT) | instid1(VALU_DEP_1)
	v_fma_f64 v[3:4], v[147:148], v[128:129], v[3:4]
	v_add_f64 v[1:2], v[1:2], -v[3:4]
	scratch_store_b64 off, v[1:2], off offset:72
	v_cmpx_lt_u32_e32 8, v0
	s_cbranch_execz .LBB123_353
; %bb.352:
	scratch_load_b64 v[1:2], off, off offset:64
	v_mov_b32_e32 v3, 0
	s_delay_alu instid0(VALU_DEP_1)
	v_mov_b32_e32 v4, v3
	scratch_store_b64 off, v[3:4], off offset:64
	s_waitcnt vmcnt(0)
	ds_store_b64 v5, v[1:2]
.LBB123_353:
	s_or_b32 exec_lo, exec_lo, s0
	s_waitcnt lgkmcnt(0)
	s_waitcnt_vscnt null, 0x0
	s_barrier
	buffer_gl0_inv
	s_clause 0x4
	scratch_load_b128 v[1:4], off, off offset:64
	scratch_load_b128 v[127:130], off, off offset:80
	;; [unrolled: 1-line block ×5, first 2 shown]
	v_mov_b32_e32 v126, 0
	ds_load_2addr_b64 v[143:146], v126 offset0:69 offset1:70
	ds_load_2addr_b64 v[147:150], v126 offset0:71 offset1:72
	scratch_load_b128 v[151:154], off, off offset:144
	s_mov_b32 s0, exec_lo
	s_waitcnt vmcnt(5) lgkmcnt(1)
	v_fma_f64 v[3:4], v[3:4], v[143:144], 0
	s_waitcnt vmcnt(4)
	s_delay_alu instid0(VALU_DEP_1) | instskip(SKIP_1) | instid1(VALU_DEP_1)
	v_fma_f64 v[3:4], v[127:128], v[145:146], v[3:4]
	s_waitcnt lgkmcnt(0)
	v_fma_f64 v[3:4], v[129:130], v[147:148], v[3:4]
	scratch_load_b128 v[127:130], off, off offset:160
	s_waitcnt vmcnt(4)
	v_fma_f64 v[3:4], v[131:132], v[149:150], v[3:4]
	ds_load_2addr_b64 v[143:146], v126 offset0:73 offset1:74
	ds_load_2addr_b64 v[147:150], v126 offset0:75 offset1:76
	s_waitcnt lgkmcnt(1)
	v_fma_f64 v[3:4], v[133:134], v[143:144], v[3:4]
	scratch_load_b128 v[131:134], off, off offset:176
	s_waitcnt vmcnt(4)
	v_fma_f64 v[3:4], v[135:136], v[145:146], v[3:4]
	s_waitcnt lgkmcnt(0)
	s_delay_alu instid0(VALU_DEP_1)
	v_fma_f64 v[3:4], v[137:138], v[147:148], v[3:4]
	scratch_load_b128 v[135:138], off, off offset:192
	s_waitcnt vmcnt(4)
	v_fma_f64 v[3:4], v[139:140], v[149:150], v[3:4]
	ds_load_2addr_b64 v[143:146], v126 offset0:77 offset1:78
	ds_load_2addr_b64 v[147:150], v126 offset0:79 offset1:80
	s_waitcnt lgkmcnt(1)
	v_fma_f64 v[3:4], v[141:142], v[143:144], v[3:4]
	scratch_load_b128 v[139:142], off, off offset:208
	s_waitcnt vmcnt(4)
	v_fma_f64 v[3:4], v[151:152], v[145:146], v[3:4]
	scratch_load_b128 v[143:146], off, off offset:224
	s_waitcnt lgkmcnt(0)
	v_fma_f64 v[3:4], v[153:154], v[147:148], v[3:4]
	s_waitcnt vmcnt(4)
	s_delay_alu instid0(VALU_DEP_1)
	v_fma_f64 v[3:4], v[127:128], v[149:150], v[3:4]
	ds_load_2addr_b64 v[147:150], v126 offset0:81 offset1:82
	ds_load_2addr_b64 v[151:154], v126 offset0:83 offset1:84
	s_waitcnt lgkmcnt(1)
	v_fma_f64 v[3:4], v[129:130], v[147:148], v[3:4]
	scratch_load_b128 v[127:130], off, off offset:240
	s_waitcnt vmcnt(4)
	v_fma_f64 v[3:4], v[131:132], v[149:150], v[3:4]
	s_waitcnt lgkmcnt(0)
	s_delay_alu instid0(VALU_DEP_1)
	v_fma_f64 v[3:4], v[133:134], v[151:152], v[3:4]
	scratch_load_b128 v[131:134], off, off offset:256
	s_waitcnt vmcnt(4)
	v_fma_f64 v[3:4], v[135:136], v[153:154], v[3:4]
	ds_load_2addr_b64 v[147:150], v126 offset0:85 offset1:86
	ds_load_2addr_b64 v[151:154], v126 offset0:87 offset1:88
	s_waitcnt lgkmcnt(1)
	v_fma_f64 v[3:4], v[137:138], v[147:148], v[3:4]
	scratch_load_b128 v[135:138], off, off offset:272
	s_waitcnt vmcnt(4)
	v_fma_f64 v[3:4], v[139:140], v[149:150], v[3:4]
	s_waitcnt lgkmcnt(0)
	s_delay_alu instid0(VALU_DEP_1)
	v_fma_f64 v[3:4], v[141:142], v[151:152], v[3:4]
	scratch_load_b128 v[139:142], off, off offset:288
	s_waitcnt vmcnt(4)
	;; [unrolled: 13-line block ×7, first 2 shown]
	v_fma_f64 v[3:4], v[143:144], v[153:154], v[3:4]
	ds_load_2addr_b64 v[147:150], v126 offset0:109 offset1:110
	ds_load_2addr_b64 v[151:154], v126 offset0:111 offset1:112
	s_waitcnt lgkmcnt(1)
	v_fma_f64 v[3:4], v[145:146], v[147:148], v[3:4]
	scratch_load_b128 v[143:146], off, off offset:464
	s_waitcnt vmcnt(4)
	v_fma_f64 v[3:4], v[127:128], v[149:150], v[3:4]
	s_waitcnt lgkmcnt(0)
	s_delay_alu instid0(VALU_DEP_1)
	v_fma_f64 v[3:4], v[129:130], v[151:152], v[3:4]
	ds_load_2addr_b64 v[127:130], v126 offset0:113 offset1:114
	ds_load_2addr_b64 v[147:150], v126 offset0:115 offset1:116
	s_waitcnt vmcnt(3)
	v_fma_f64 v[3:4], v[131:132], v[153:154], v[3:4]
	s_waitcnt lgkmcnt(1)
	s_delay_alu instid0(VALU_DEP_1) | instskip(SKIP_1) | instid1(VALU_DEP_1)
	v_fma_f64 v[3:4], v[133:134], v[127:128], v[3:4]
	s_waitcnt vmcnt(2)
	v_fma_f64 v[3:4], v[135:136], v[129:130], v[3:4]
	ds_load_2addr_b64 v[127:130], v126 offset0:117 offset1:118
	ds_load_b64 v[131:132], v126 offset:952
	s_waitcnt lgkmcnt(2)
	v_fma_f64 v[3:4], v[137:138], v[147:148], v[3:4]
	s_waitcnt vmcnt(1)
	s_delay_alu instid0(VALU_DEP_1) | instskip(SKIP_1) | instid1(VALU_DEP_1)
	v_fma_f64 v[3:4], v[139:140], v[149:150], v[3:4]
	s_waitcnt lgkmcnt(1)
	v_fma_f64 v[3:4], v[141:142], v[127:128], v[3:4]
	s_waitcnt vmcnt(0)
	s_delay_alu instid0(VALU_DEP_1) | instskip(SKIP_1) | instid1(VALU_DEP_1)
	v_fma_f64 v[3:4], v[143:144], v[129:130], v[3:4]
	s_waitcnt lgkmcnt(0)
	v_fma_f64 v[3:4], v[145:146], v[131:132], v[3:4]
	s_delay_alu instid0(VALU_DEP_1)
	v_add_f64 v[1:2], v[1:2], -v[3:4]
	scratch_store_b64 off, v[1:2], off offset:64
	v_cmpx_lt_u32_e32 7, v0
	s_cbranch_execz .LBB123_355
; %bb.354:
	scratch_load_b64 v[1:2], off, off offset:56
	v_mov_b32_e32 v127, v126
	scratch_store_b64 off, v[126:127], off offset:56
	s_waitcnt vmcnt(0)
	ds_store_b64 v5, v[1:2]
.LBB123_355:
	s_or_b32 exec_lo, exec_lo, s0
	s_waitcnt lgkmcnt(0)
	s_waitcnt_vscnt null, 0x0
	s_barrier
	buffer_gl0_inv
	s_clause 0x4
	scratch_load_b128 v[1:4], off, off offset:56
	scratch_load_b128 v[127:130], off, off offset:72
	scratch_load_b128 v[131:134], off, off offset:88
	scratch_load_b128 v[135:138], off, off offset:104
	scratch_load_b128 v[139:142], off, off offset:120
	ds_load_b128 v[143:146], v126 offset:544
	ds_load_b128 v[147:150], v126 offset:560
	scratch_load_b128 v[151:154], off, off offset:136
	s_mov_b32 s0, exec_lo
	s_waitcnt vmcnt(5) lgkmcnt(1)
	v_fma_f64 v[3:4], v[3:4], v[143:144], 0
	s_waitcnt vmcnt(4)
	s_delay_alu instid0(VALU_DEP_1) | instskip(SKIP_1) | instid1(VALU_DEP_1)
	v_fma_f64 v[3:4], v[127:128], v[145:146], v[3:4]
	s_waitcnt lgkmcnt(0)
	v_fma_f64 v[3:4], v[129:130], v[147:148], v[3:4]
	scratch_load_b128 v[127:130], off, off offset:152
	s_waitcnt vmcnt(4)
	v_fma_f64 v[3:4], v[131:132], v[149:150], v[3:4]
	ds_load_b128 v[143:146], v126 offset:576
	ds_load_b128 v[147:150], v126 offset:592
	s_waitcnt lgkmcnt(1)
	v_fma_f64 v[3:4], v[133:134], v[143:144], v[3:4]
	scratch_load_b128 v[131:134], off, off offset:168
	s_waitcnt vmcnt(4)
	v_fma_f64 v[3:4], v[135:136], v[145:146], v[3:4]
	s_waitcnt lgkmcnt(0)
	s_delay_alu instid0(VALU_DEP_1)
	v_fma_f64 v[3:4], v[137:138], v[147:148], v[3:4]
	scratch_load_b128 v[135:138], off, off offset:184
	s_waitcnt vmcnt(4)
	v_fma_f64 v[3:4], v[139:140], v[149:150], v[3:4]
	ds_load_b128 v[143:146], v126 offset:608
	ds_load_b128 v[147:150], v126 offset:624
	s_waitcnt lgkmcnt(1)
	v_fma_f64 v[3:4], v[141:142], v[143:144], v[3:4]
	scratch_load_b128 v[139:142], off, off offset:200
	s_waitcnt vmcnt(4)
	v_fma_f64 v[3:4], v[151:152], v[145:146], v[3:4]
	scratch_load_b128 v[143:146], off, off offset:216
	s_waitcnt lgkmcnt(0)
	v_fma_f64 v[3:4], v[153:154], v[147:148], v[3:4]
	s_waitcnt vmcnt(4)
	s_delay_alu instid0(VALU_DEP_1)
	v_fma_f64 v[3:4], v[127:128], v[149:150], v[3:4]
	ds_load_b128 v[147:150], v126 offset:640
	ds_load_b128 v[151:154], v126 offset:656
	s_waitcnt lgkmcnt(1)
	v_fma_f64 v[3:4], v[129:130], v[147:148], v[3:4]
	scratch_load_b128 v[127:130], off, off offset:232
	s_waitcnt vmcnt(4)
	v_fma_f64 v[3:4], v[131:132], v[149:150], v[3:4]
	s_waitcnt lgkmcnt(0)
	s_delay_alu instid0(VALU_DEP_1)
	v_fma_f64 v[3:4], v[133:134], v[151:152], v[3:4]
	scratch_load_b128 v[131:134], off, off offset:248
	s_waitcnt vmcnt(4)
	v_fma_f64 v[3:4], v[135:136], v[153:154], v[3:4]
	ds_load_b128 v[147:150], v126 offset:672
	ds_load_b128 v[151:154], v126 offset:688
	s_waitcnt lgkmcnt(1)
	v_fma_f64 v[3:4], v[137:138], v[147:148], v[3:4]
	scratch_load_b128 v[135:138], off, off offset:264
	s_waitcnt vmcnt(4)
	v_fma_f64 v[3:4], v[139:140], v[149:150], v[3:4]
	s_waitcnt lgkmcnt(0)
	s_delay_alu instid0(VALU_DEP_1)
	v_fma_f64 v[3:4], v[141:142], v[151:152], v[3:4]
	scratch_load_b128 v[139:142], off, off offset:280
	s_waitcnt vmcnt(4)
	;; [unrolled: 13-line block ×7, first 2 shown]
	v_fma_f64 v[3:4], v[143:144], v[153:154], v[3:4]
	ds_load_b128 v[147:150], v126 offset:864
	ds_load_b128 v[151:154], v126 offset:880
	s_waitcnt lgkmcnt(1)
	v_fma_f64 v[3:4], v[145:146], v[147:148], v[3:4]
	scratch_load_b128 v[143:146], off, off offset:456
	s_waitcnt vmcnt(4)
	v_fma_f64 v[3:4], v[127:128], v[149:150], v[3:4]
	s_waitcnt lgkmcnt(0)
	s_delay_alu instid0(VALU_DEP_1)
	v_fma_f64 v[3:4], v[129:130], v[151:152], v[3:4]
	scratch_load_b64 v[151:152], off, off offset:472
	ds_load_b128 v[127:130], v126 offset:896
	ds_load_b128 v[147:150], v126 offset:912
	s_waitcnt vmcnt(4)
	v_fma_f64 v[3:4], v[131:132], v[153:154], v[3:4]
	s_waitcnt lgkmcnt(1)
	s_delay_alu instid0(VALU_DEP_1) | instskip(SKIP_1) | instid1(VALU_DEP_1)
	v_fma_f64 v[3:4], v[133:134], v[127:128], v[3:4]
	s_waitcnt vmcnt(3)
	v_fma_f64 v[3:4], v[135:136], v[129:130], v[3:4]
	ds_load_b128 v[127:130], v126 offset:928
	ds_load_b128 v[131:134], v126 offset:944
	s_waitcnt lgkmcnt(2)
	v_fma_f64 v[3:4], v[137:138], v[147:148], v[3:4]
	s_waitcnt vmcnt(2)
	s_delay_alu instid0(VALU_DEP_1) | instskip(SKIP_1) | instid1(VALU_DEP_1)
	v_fma_f64 v[3:4], v[139:140], v[149:150], v[3:4]
	s_waitcnt lgkmcnt(1)
	v_fma_f64 v[3:4], v[141:142], v[127:128], v[3:4]
	s_waitcnt vmcnt(1)
	s_delay_alu instid0(VALU_DEP_1) | instskip(SKIP_1) | instid1(VALU_DEP_1)
	v_fma_f64 v[3:4], v[143:144], v[129:130], v[3:4]
	s_waitcnt lgkmcnt(0)
	v_fma_f64 v[3:4], v[145:146], v[131:132], v[3:4]
	s_waitcnt vmcnt(0)
	s_delay_alu instid0(VALU_DEP_1) | instskip(NEXT) | instid1(VALU_DEP_1)
	v_fma_f64 v[3:4], v[151:152], v[133:134], v[3:4]
	v_add_f64 v[1:2], v[1:2], -v[3:4]
	scratch_store_b64 off, v[1:2], off offset:56
	v_cmpx_lt_u32_e32 6, v0
	s_cbranch_execz .LBB123_357
; %bb.356:
	scratch_load_b64 v[1:2], off, off offset:48
	v_mov_b32_e32 v3, 0
	s_delay_alu instid0(VALU_DEP_1)
	v_mov_b32_e32 v4, v3
	scratch_store_b64 off, v[3:4], off offset:48
	s_waitcnt vmcnt(0)
	ds_store_b64 v5, v[1:2]
.LBB123_357:
	s_or_b32 exec_lo, exec_lo, s0
	s_waitcnt lgkmcnt(0)
	s_waitcnt_vscnt null, 0x0
	s_barrier
	buffer_gl0_inv
	s_clause 0x4
	scratch_load_b128 v[1:4], off, off offset:48
	scratch_load_b128 v[127:130], off, off offset:64
	;; [unrolled: 1-line block ×5, first 2 shown]
	v_mov_b32_e32 v126, 0
	ds_load_2addr_b64 v[143:146], v126 offset0:67 offset1:68
	ds_load_2addr_b64 v[147:150], v126 offset0:69 offset1:70
	scratch_load_b128 v[151:154], off, off offset:128
	s_mov_b32 s0, exec_lo
	s_waitcnt vmcnt(5) lgkmcnt(1)
	v_fma_f64 v[3:4], v[3:4], v[143:144], 0
	s_waitcnt vmcnt(4)
	s_delay_alu instid0(VALU_DEP_1) | instskip(SKIP_1) | instid1(VALU_DEP_1)
	v_fma_f64 v[3:4], v[127:128], v[145:146], v[3:4]
	s_waitcnt lgkmcnt(0)
	v_fma_f64 v[3:4], v[129:130], v[147:148], v[3:4]
	scratch_load_b128 v[127:130], off, off offset:144
	s_waitcnt vmcnt(4)
	v_fma_f64 v[3:4], v[131:132], v[149:150], v[3:4]
	ds_load_2addr_b64 v[143:146], v126 offset0:71 offset1:72
	ds_load_2addr_b64 v[147:150], v126 offset0:73 offset1:74
	s_waitcnt lgkmcnt(1)
	v_fma_f64 v[3:4], v[133:134], v[143:144], v[3:4]
	scratch_load_b128 v[131:134], off, off offset:160
	s_waitcnt vmcnt(4)
	v_fma_f64 v[3:4], v[135:136], v[145:146], v[3:4]
	s_waitcnt lgkmcnt(0)
	s_delay_alu instid0(VALU_DEP_1)
	v_fma_f64 v[3:4], v[137:138], v[147:148], v[3:4]
	scratch_load_b128 v[135:138], off, off offset:176
	s_waitcnt vmcnt(4)
	v_fma_f64 v[3:4], v[139:140], v[149:150], v[3:4]
	ds_load_2addr_b64 v[143:146], v126 offset0:75 offset1:76
	ds_load_2addr_b64 v[147:150], v126 offset0:77 offset1:78
	s_waitcnt lgkmcnt(1)
	v_fma_f64 v[3:4], v[141:142], v[143:144], v[3:4]
	scratch_load_b128 v[139:142], off, off offset:192
	s_waitcnt vmcnt(4)
	v_fma_f64 v[3:4], v[151:152], v[145:146], v[3:4]
	scratch_load_b128 v[143:146], off, off offset:208
	s_waitcnt lgkmcnt(0)
	v_fma_f64 v[3:4], v[153:154], v[147:148], v[3:4]
	s_waitcnt vmcnt(4)
	s_delay_alu instid0(VALU_DEP_1)
	v_fma_f64 v[3:4], v[127:128], v[149:150], v[3:4]
	ds_load_2addr_b64 v[147:150], v126 offset0:79 offset1:80
	ds_load_2addr_b64 v[151:154], v126 offset0:81 offset1:82
	s_waitcnt lgkmcnt(1)
	v_fma_f64 v[3:4], v[129:130], v[147:148], v[3:4]
	scratch_load_b128 v[127:130], off, off offset:224
	s_waitcnt vmcnt(4)
	v_fma_f64 v[3:4], v[131:132], v[149:150], v[3:4]
	s_waitcnt lgkmcnt(0)
	s_delay_alu instid0(VALU_DEP_1)
	v_fma_f64 v[3:4], v[133:134], v[151:152], v[3:4]
	scratch_load_b128 v[131:134], off, off offset:240
	s_waitcnt vmcnt(4)
	v_fma_f64 v[3:4], v[135:136], v[153:154], v[3:4]
	ds_load_2addr_b64 v[147:150], v126 offset0:83 offset1:84
	ds_load_2addr_b64 v[151:154], v126 offset0:85 offset1:86
	s_waitcnt lgkmcnt(1)
	v_fma_f64 v[3:4], v[137:138], v[147:148], v[3:4]
	scratch_load_b128 v[135:138], off, off offset:256
	s_waitcnt vmcnt(4)
	v_fma_f64 v[3:4], v[139:140], v[149:150], v[3:4]
	s_waitcnt lgkmcnt(0)
	s_delay_alu instid0(VALU_DEP_1)
	v_fma_f64 v[3:4], v[141:142], v[151:152], v[3:4]
	scratch_load_b128 v[139:142], off, off offset:272
	s_waitcnt vmcnt(4)
	v_fma_f64 v[3:4], v[143:144], v[153:154], v[3:4]
	ds_load_2addr_b64 v[147:150], v126 offset0:87 offset1:88
	ds_load_2addr_b64 v[151:154], v126 offset0:89 offset1:90
	s_waitcnt lgkmcnt(1)
	v_fma_f64 v[3:4], v[145:146], v[147:148], v[3:4]
	scratch_load_b128 v[143:146], off, off offset:288
	s_waitcnt vmcnt(4)
	v_fma_f64 v[3:4], v[127:128], v[149:150], v[3:4]
	s_waitcnt lgkmcnt(0)
	s_delay_alu instid0(VALU_DEP_1)
	v_fma_f64 v[3:4], v[129:130], v[151:152], v[3:4]
	scratch_load_b128 v[127:130], off, off offset:304
	s_waitcnt vmcnt(4)
	v_fma_f64 v[3:4], v[131:132], v[153:154], v[3:4]
	ds_load_2addr_b64 v[147:150], v126 offset0:91 offset1:92
	ds_load_2addr_b64 v[151:154], v126 offset0:93 offset1:94
	s_waitcnt lgkmcnt(1)
	v_fma_f64 v[3:4], v[133:134], v[147:148], v[3:4]
	scratch_load_b128 v[131:134], off, off offset:320
	s_waitcnt vmcnt(4)
	v_fma_f64 v[3:4], v[135:136], v[149:150], v[3:4]
	s_waitcnt lgkmcnt(0)
	s_delay_alu instid0(VALU_DEP_1)
	v_fma_f64 v[3:4], v[137:138], v[151:152], v[3:4]
	scratch_load_b128 v[135:138], off, off offset:336
	s_waitcnt vmcnt(4)
	v_fma_f64 v[3:4], v[139:140], v[153:154], v[3:4]
	ds_load_2addr_b64 v[147:150], v126 offset0:95 offset1:96
	ds_load_2addr_b64 v[151:154], v126 offset0:97 offset1:98
	s_waitcnt lgkmcnt(1)
	v_fma_f64 v[3:4], v[141:142], v[147:148], v[3:4]
	scratch_load_b128 v[139:142], off, off offset:352
	s_waitcnt vmcnt(4)
	v_fma_f64 v[3:4], v[143:144], v[149:150], v[3:4]
	s_waitcnt lgkmcnt(0)
	s_delay_alu instid0(VALU_DEP_1)
	v_fma_f64 v[3:4], v[145:146], v[151:152], v[3:4]
	scratch_load_b128 v[143:146], off, off offset:368
	s_waitcnt vmcnt(4)
	v_fma_f64 v[3:4], v[127:128], v[153:154], v[3:4]
	ds_load_2addr_b64 v[147:150], v126 offset0:99 offset1:100
	ds_load_2addr_b64 v[151:154], v126 offset0:101 offset1:102
	s_waitcnt lgkmcnt(1)
	v_fma_f64 v[3:4], v[129:130], v[147:148], v[3:4]
	scratch_load_b128 v[127:130], off, off offset:384
	s_waitcnt vmcnt(4)
	v_fma_f64 v[3:4], v[131:132], v[149:150], v[3:4]
	s_waitcnt lgkmcnt(0)
	s_delay_alu instid0(VALU_DEP_1)
	v_fma_f64 v[3:4], v[133:134], v[151:152], v[3:4]
	scratch_load_b128 v[131:134], off, off offset:400
	s_waitcnt vmcnt(4)
	v_fma_f64 v[3:4], v[135:136], v[153:154], v[3:4]
	ds_load_2addr_b64 v[147:150], v126 offset0:103 offset1:104
	ds_load_2addr_b64 v[151:154], v126 offset0:105 offset1:106
	s_waitcnt lgkmcnt(1)
	v_fma_f64 v[3:4], v[137:138], v[147:148], v[3:4]
	scratch_load_b128 v[135:138], off, off offset:416
	s_waitcnt vmcnt(4)
	v_fma_f64 v[3:4], v[139:140], v[149:150], v[3:4]
	s_waitcnt lgkmcnt(0)
	s_delay_alu instid0(VALU_DEP_1)
	v_fma_f64 v[3:4], v[141:142], v[151:152], v[3:4]
	scratch_load_b128 v[139:142], off, off offset:432
	s_waitcnt vmcnt(4)
	v_fma_f64 v[3:4], v[143:144], v[153:154], v[3:4]
	ds_load_2addr_b64 v[147:150], v126 offset0:107 offset1:108
	ds_load_2addr_b64 v[151:154], v126 offset0:109 offset1:110
	s_waitcnt lgkmcnt(1)
	v_fma_f64 v[3:4], v[145:146], v[147:148], v[3:4]
	scratch_load_b128 v[143:146], off, off offset:448
	s_waitcnt vmcnt(4)
	v_fma_f64 v[3:4], v[127:128], v[149:150], v[3:4]
	s_waitcnt lgkmcnt(0)
	s_delay_alu instid0(VALU_DEP_1)
	v_fma_f64 v[3:4], v[129:130], v[151:152], v[3:4]
	scratch_load_b128 v[127:130], off, off offset:464
	s_waitcnt vmcnt(4)
	v_fma_f64 v[3:4], v[131:132], v[153:154], v[3:4]
	ds_load_2addr_b64 v[147:150], v126 offset0:111 offset1:112
	ds_load_2addr_b64 v[151:154], v126 offset0:113 offset1:114
	s_waitcnt lgkmcnt(1)
	v_fma_f64 v[3:4], v[133:134], v[147:148], v[3:4]
	s_waitcnt vmcnt(3)
	s_delay_alu instid0(VALU_DEP_1) | instskip(SKIP_1) | instid1(VALU_DEP_1)
	v_fma_f64 v[3:4], v[135:136], v[149:150], v[3:4]
	s_waitcnt lgkmcnt(0)
	v_fma_f64 v[3:4], v[137:138], v[151:152], v[3:4]
	ds_load_2addr_b64 v[131:134], v126 offset0:115 offset1:116
	ds_load_2addr_b64 v[135:138], v126 offset0:117 offset1:118
	s_waitcnt vmcnt(2)
	v_fma_f64 v[3:4], v[139:140], v[153:154], v[3:4]
	s_waitcnt lgkmcnt(1)
	s_delay_alu instid0(VALU_DEP_1) | instskip(SKIP_1) | instid1(VALU_DEP_1)
	v_fma_f64 v[3:4], v[141:142], v[131:132], v[3:4]
	s_waitcnt vmcnt(1)
	v_fma_f64 v[3:4], v[143:144], v[133:134], v[3:4]
	s_waitcnt lgkmcnt(0)
	s_delay_alu instid0(VALU_DEP_1) | instskip(SKIP_1) | instid1(VALU_DEP_1)
	v_fma_f64 v[3:4], v[145:146], v[135:136], v[3:4]
	s_waitcnt vmcnt(0)
	v_fma_f64 v[3:4], v[127:128], v[137:138], v[3:4]
	ds_load_b64 v[127:128], v126 offset:952
	s_waitcnt lgkmcnt(0)
	v_fma_f64 v[3:4], v[129:130], v[127:128], v[3:4]
	s_delay_alu instid0(VALU_DEP_1)
	v_add_f64 v[1:2], v[1:2], -v[3:4]
	scratch_store_b64 off, v[1:2], off offset:48
	v_cmpx_lt_u32_e32 5, v0
	s_cbranch_execz .LBB123_359
; %bb.358:
	scratch_load_b64 v[1:2], off, off offset:40
	v_mov_b32_e32 v127, v126
	scratch_store_b64 off, v[126:127], off offset:40
	s_waitcnt vmcnt(0)
	ds_store_b64 v5, v[1:2]
.LBB123_359:
	s_or_b32 exec_lo, exec_lo, s0
	s_waitcnt lgkmcnt(0)
	s_waitcnt_vscnt null, 0x0
	s_barrier
	buffer_gl0_inv
	s_clause 0x4
	scratch_load_b128 v[1:4], off, off offset:40
	scratch_load_b128 v[127:130], off, off offset:56
	;; [unrolled: 1-line block ×5, first 2 shown]
	ds_load_b128 v[143:146], v126 offset:528
	ds_load_b128 v[147:150], v126 offset:544
	scratch_load_b128 v[151:154], off, off offset:120
	s_mov_b32 s0, exec_lo
	s_waitcnt vmcnt(5) lgkmcnt(1)
	v_fma_f64 v[3:4], v[3:4], v[143:144], 0
	s_waitcnt vmcnt(4)
	s_delay_alu instid0(VALU_DEP_1) | instskip(SKIP_1) | instid1(VALU_DEP_1)
	v_fma_f64 v[3:4], v[127:128], v[145:146], v[3:4]
	s_waitcnt lgkmcnt(0)
	v_fma_f64 v[3:4], v[129:130], v[147:148], v[3:4]
	scratch_load_b128 v[127:130], off, off offset:136
	s_waitcnt vmcnt(4)
	v_fma_f64 v[3:4], v[131:132], v[149:150], v[3:4]
	ds_load_b128 v[143:146], v126 offset:560
	ds_load_b128 v[147:150], v126 offset:576
	s_waitcnt lgkmcnt(1)
	v_fma_f64 v[3:4], v[133:134], v[143:144], v[3:4]
	scratch_load_b128 v[131:134], off, off offset:152
	s_waitcnt vmcnt(4)
	v_fma_f64 v[3:4], v[135:136], v[145:146], v[3:4]
	s_waitcnt lgkmcnt(0)
	s_delay_alu instid0(VALU_DEP_1)
	v_fma_f64 v[3:4], v[137:138], v[147:148], v[3:4]
	scratch_load_b128 v[135:138], off, off offset:168
	s_waitcnt vmcnt(4)
	v_fma_f64 v[3:4], v[139:140], v[149:150], v[3:4]
	ds_load_b128 v[143:146], v126 offset:592
	ds_load_b128 v[147:150], v126 offset:608
	s_waitcnt lgkmcnt(1)
	v_fma_f64 v[3:4], v[141:142], v[143:144], v[3:4]
	scratch_load_b128 v[139:142], off, off offset:184
	s_waitcnt vmcnt(4)
	v_fma_f64 v[3:4], v[151:152], v[145:146], v[3:4]
	scratch_load_b128 v[143:146], off, off offset:200
	s_waitcnt lgkmcnt(0)
	v_fma_f64 v[3:4], v[153:154], v[147:148], v[3:4]
	s_waitcnt vmcnt(4)
	s_delay_alu instid0(VALU_DEP_1)
	v_fma_f64 v[3:4], v[127:128], v[149:150], v[3:4]
	ds_load_b128 v[147:150], v126 offset:624
	ds_load_b128 v[151:154], v126 offset:640
	s_waitcnt lgkmcnt(1)
	v_fma_f64 v[3:4], v[129:130], v[147:148], v[3:4]
	scratch_load_b128 v[127:130], off, off offset:216
	s_waitcnt vmcnt(4)
	v_fma_f64 v[3:4], v[131:132], v[149:150], v[3:4]
	s_waitcnt lgkmcnt(0)
	s_delay_alu instid0(VALU_DEP_1)
	v_fma_f64 v[3:4], v[133:134], v[151:152], v[3:4]
	scratch_load_b128 v[131:134], off, off offset:232
	s_waitcnt vmcnt(4)
	v_fma_f64 v[3:4], v[135:136], v[153:154], v[3:4]
	ds_load_b128 v[147:150], v126 offset:656
	ds_load_b128 v[151:154], v126 offset:672
	s_waitcnt lgkmcnt(1)
	v_fma_f64 v[3:4], v[137:138], v[147:148], v[3:4]
	scratch_load_b128 v[135:138], off, off offset:248
	s_waitcnt vmcnt(4)
	v_fma_f64 v[3:4], v[139:140], v[149:150], v[3:4]
	s_waitcnt lgkmcnt(0)
	s_delay_alu instid0(VALU_DEP_1)
	v_fma_f64 v[3:4], v[141:142], v[151:152], v[3:4]
	scratch_load_b128 v[139:142], off, off offset:264
	s_waitcnt vmcnt(4)
	;; [unrolled: 13-line block ×8, first 2 shown]
	v_fma_f64 v[3:4], v[131:132], v[153:154], v[3:4]
	ds_load_b128 v[147:150], v126 offset:880
	ds_load_b128 v[151:154], v126 offset:896
	s_waitcnt lgkmcnt(1)
	v_fma_f64 v[3:4], v[133:134], v[147:148], v[3:4]
	scratch_load_b64 v[147:148], off, off offset:472
	s_waitcnt vmcnt(4)
	v_fma_f64 v[3:4], v[135:136], v[149:150], v[3:4]
	s_waitcnt lgkmcnt(0)
	s_delay_alu instid0(VALU_DEP_1)
	v_fma_f64 v[3:4], v[137:138], v[151:152], v[3:4]
	ds_load_b128 v[131:134], v126 offset:912
	ds_load_b128 v[135:138], v126 offset:928
	s_waitcnt vmcnt(3)
	v_fma_f64 v[3:4], v[139:140], v[153:154], v[3:4]
	s_waitcnt lgkmcnt(1)
	s_delay_alu instid0(VALU_DEP_1) | instskip(SKIP_1) | instid1(VALU_DEP_1)
	v_fma_f64 v[3:4], v[141:142], v[131:132], v[3:4]
	s_waitcnt vmcnt(2)
	v_fma_f64 v[3:4], v[143:144], v[133:134], v[3:4]
	ds_load_b128 v[131:134], v126 offset:944
	s_waitcnt lgkmcnt(1)
	v_fma_f64 v[3:4], v[145:146], v[135:136], v[3:4]
	s_waitcnt vmcnt(1)
	s_delay_alu instid0(VALU_DEP_1) | instskip(SKIP_1) | instid1(VALU_DEP_1)
	v_fma_f64 v[3:4], v[127:128], v[137:138], v[3:4]
	s_waitcnt lgkmcnt(0)
	v_fma_f64 v[3:4], v[129:130], v[131:132], v[3:4]
	s_waitcnt vmcnt(0)
	s_delay_alu instid0(VALU_DEP_1) | instskip(NEXT) | instid1(VALU_DEP_1)
	v_fma_f64 v[3:4], v[147:148], v[133:134], v[3:4]
	v_add_f64 v[1:2], v[1:2], -v[3:4]
	scratch_store_b64 off, v[1:2], off offset:40
	v_cmpx_lt_u32_e32 4, v0
	s_cbranch_execz .LBB123_361
; %bb.360:
	scratch_load_b64 v[1:2], off, off offset:32
	v_mov_b32_e32 v3, 0
	s_delay_alu instid0(VALU_DEP_1)
	v_mov_b32_e32 v4, v3
	scratch_store_b64 off, v[3:4], off offset:32
	s_waitcnt vmcnt(0)
	ds_store_b64 v5, v[1:2]
.LBB123_361:
	s_or_b32 exec_lo, exec_lo, s0
	s_waitcnt lgkmcnt(0)
	s_waitcnt_vscnt null, 0x0
	s_barrier
	buffer_gl0_inv
	s_clause 0x4
	scratch_load_b128 v[1:4], off, off offset:32
	scratch_load_b128 v[127:130], off, off offset:48
	;; [unrolled: 1-line block ×5, first 2 shown]
	v_mov_b32_e32 v126, 0
	ds_load_2addr_b64 v[143:146], v126 offset0:65 offset1:66
	ds_load_2addr_b64 v[147:150], v126 offset0:67 offset1:68
	scratch_load_b128 v[151:154], off, off offset:112
	s_mov_b32 s0, exec_lo
	s_waitcnt vmcnt(5) lgkmcnt(1)
	v_fma_f64 v[3:4], v[3:4], v[143:144], 0
	s_waitcnt vmcnt(4)
	s_delay_alu instid0(VALU_DEP_1) | instskip(SKIP_1) | instid1(VALU_DEP_1)
	v_fma_f64 v[3:4], v[127:128], v[145:146], v[3:4]
	s_waitcnt lgkmcnt(0)
	v_fma_f64 v[3:4], v[129:130], v[147:148], v[3:4]
	scratch_load_b128 v[127:130], off, off offset:128
	s_waitcnt vmcnt(4)
	v_fma_f64 v[3:4], v[131:132], v[149:150], v[3:4]
	ds_load_2addr_b64 v[143:146], v126 offset0:69 offset1:70
	ds_load_2addr_b64 v[147:150], v126 offset0:71 offset1:72
	s_waitcnt lgkmcnt(1)
	v_fma_f64 v[3:4], v[133:134], v[143:144], v[3:4]
	scratch_load_b128 v[131:134], off, off offset:144
	s_waitcnt vmcnt(4)
	v_fma_f64 v[3:4], v[135:136], v[145:146], v[3:4]
	s_waitcnt lgkmcnt(0)
	s_delay_alu instid0(VALU_DEP_1)
	v_fma_f64 v[3:4], v[137:138], v[147:148], v[3:4]
	scratch_load_b128 v[135:138], off, off offset:160
	s_waitcnt vmcnt(4)
	v_fma_f64 v[3:4], v[139:140], v[149:150], v[3:4]
	ds_load_2addr_b64 v[143:146], v126 offset0:73 offset1:74
	ds_load_2addr_b64 v[147:150], v126 offset0:75 offset1:76
	s_waitcnt lgkmcnt(1)
	v_fma_f64 v[3:4], v[141:142], v[143:144], v[3:4]
	scratch_load_b128 v[139:142], off, off offset:176
	s_waitcnt vmcnt(4)
	v_fma_f64 v[3:4], v[151:152], v[145:146], v[3:4]
	scratch_load_b128 v[143:146], off, off offset:192
	s_waitcnt lgkmcnt(0)
	v_fma_f64 v[3:4], v[153:154], v[147:148], v[3:4]
	s_waitcnt vmcnt(4)
	s_delay_alu instid0(VALU_DEP_1)
	v_fma_f64 v[3:4], v[127:128], v[149:150], v[3:4]
	ds_load_2addr_b64 v[147:150], v126 offset0:77 offset1:78
	ds_load_2addr_b64 v[151:154], v126 offset0:79 offset1:80
	s_waitcnt lgkmcnt(1)
	v_fma_f64 v[3:4], v[129:130], v[147:148], v[3:4]
	scratch_load_b128 v[127:130], off, off offset:208
	s_waitcnt vmcnt(4)
	v_fma_f64 v[3:4], v[131:132], v[149:150], v[3:4]
	s_waitcnt lgkmcnt(0)
	s_delay_alu instid0(VALU_DEP_1)
	v_fma_f64 v[3:4], v[133:134], v[151:152], v[3:4]
	scratch_load_b128 v[131:134], off, off offset:224
	s_waitcnt vmcnt(4)
	v_fma_f64 v[3:4], v[135:136], v[153:154], v[3:4]
	ds_load_2addr_b64 v[147:150], v126 offset0:81 offset1:82
	ds_load_2addr_b64 v[151:154], v126 offset0:83 offset1:84
	s_waitcnt lgkmcnt(1)
	v_fma_f64 v[3:4], v[137:138], v[147:148], v[3:4]
	scratch_load_b128 v[135:138], off, off offset:240
	s_waitcnt vmcnt(4)
	v_fma_f64 v[3:4], v[139:140], v[149:150], v[3:4]
	s_waitcnt lgkmcnt(0)
	s_delay_alu instid0(VALU_DEP_1)
	v_fma_f64 v[3:4], v[141:142], v[151:152], v[3:4]
	scratch_load_b128 v[139:142], off, off offset:256
	s_waitcnt vmcnt(4)
	;; [unrolled: 13-line block ×8, first 2 shown]
	v_fma_f64 v[3:4], v[131:132], v[153:154], v[3:4]
	ds_load_2addr_b64 v[147:150], v126 offset0:109 offset1:110
	ds_load_2addr_b64 v[151:154], v126 offset0:111 offset1:112
	s_waitcnt lgkmcnt(1)
	v_fma_f64 v[3:4], v[133:134], v[147:148], v[3:4]
	scratch_load_b128 v[131:134], off, off offset:464
	s_waitcnt vmcnt(4)
	v_fma_f64 v[3:4], v[135:136], v[149:150], v[3:4]
	s_waitcnt lgkmcnt(0)
	s_delay_alu instid0(VALU_DEP_1)
	v_fma_f64 v[3:4], v[137:138], v[151:152], v[3:4]
	ds_load_2addr_b64 v[135:138], v126 offset0:113 offset1:114
	ds_load_2addr_b64 v[147:150], v126 offset0:115 offset1:116
	s_waitcnt vmcnt(3)
	v_fma_f64 v[3:4], v[139:140], v[153:154], v[3:4]
	s_waitcnt lgkmcnt(1)
	s_delay_alu instid0(VALU_DEP_1) | instskip(SKIP_1) | instid1(VALU_DEP_1)
	v_fma_f64 v[3:4], v[141:142], v[135:136], v[3:4]
	s_waitcnt vmcnt(2)
	v_fma_f64 v[3:4], v[143:144], v[137:138], v[3:4]
	s_waitcnt lgkmcnt(0)
	s_delay_alu instid0(VALU_DEP_1) | instskip(SKIP_1) | instid1(VALU_DEP_1)
	v_fma_f64 v[3:4], v[145:146], v[147:148], v[3:4]
	s_waitcnt vmcnt(1)
	v_fma_f64 v[3:4], v[127:128], v[149:150], v[3:4]
	ds_load_2addr_b64 v[135:138], v126 offset0:117 offset1:118
	ds_load_b64 v[127:128], v126 offset:952
	s_waitcnt lgkmcnt(1)
	v_fma_f64 v[3:4], v[129:130], v[135:136], v[3:4]
	s_waitcnt vmcnt(0)
	s_delay_alu instid0(VALU_DEP_1) | instskip(SKIP_1) | instid1(VALU_DEP_1)
	v_fma_f64 v[3:4], v[131:132], v[137:138], v[3:4]
	s_waitcnt lgkmcnt(0)
	v_fma_f64 v[3:4], v[133:134], v[127:128], v[3:4]
	s_delay_alu instid0(VALU_DEP_1)
	v_add_f64 v[1:2], v[1:2], -v[3:4]
	scratch_store_b64 off, v[1:2], off offset:32
	v_cmpx_lt_u32_e32 3, v0
	s_cbranch_execz .LBB123_363
; %bb.362:
	scratch_load_b64 v[1:2], off, off offset:24
	v_mov_b32_e32 v127, v126
	scratch_store_b64 off, v[126:127], off offset:24
	s_waitcnt vmcnt(0)
	ds_store_b64 v5, v[1:2]
.LBB123_363:
	s_or_b32 exec_lo, exec_lo, s0
	s_waitcnt lgkmcnt(0)
	s_waitcnt_vscnt null, 0x0
	s_barrier
	buffer_gl0_inv
	s_clause 0x4
	scratch_load_b128 v[1:4], off, off offset:24
	scratch_load_b128 v[127:130], off, off offset:40
	;; [unrolled: 1-line block ×5, first 2 shown]
	ds_load_b128 v[143:146], v126 offset:512
	ds_load_b128 v[147:150], v126 offset:528
	scratch_load_b128 v[151:154], off, off offset:104
	s_mov_b32 s0, exec_lo
	s_waitcnt vmcnt(5) lgkmcnt(1)
	v_fma_f64 v[3:4], v[3:4], v[143:144], 0
	s_waitcnt vmcnt(4)
	s_delay_alu instid0(VALU_DEP_1) | instskip(SKIP_1) | instid1(VALU_DEP_1)
	v_fma_f64 v[3:4], v[127:128], v[145:146], v[3:4]
	s_waitcnt lgkmcnt(0)
	v_fma_f64 v[3:4], v[129:130], v[147:148], v[3:4]
	scratch_load_b128 v[127:130], off, off offset:120
	s_waitcnt vmcnt(4)
	v_fma_f64 v[3:4], v[131:132], v[149:150], v[3:4]
	ds_load_b128 v[143:146], v126 offset:544
	ds_load_b128 v[147:150], v126 offset:560
	s_waitcnt lgkmcnt(1)
	v_fma_f64 v[3:4], v[133:134], v[143:144], v[3:4]
	scratch_load_b128 v[131:134], off, off offset:136
	s_waitcnt vmcnt(4)
	v_fma_f64 v[3:4], v[135:136], v[145:146], v[3:4]
	s_waitcnt lgkmcnt(0)
	s_delay_alu instid0(VALU_DEP_1)
	v_fma_f64 v[3:4], v[137:138], v[147:148], v[3:4]
	scratch_load_b128 v[135:138], off, off offset:152
	s_waitcnt vmcnt(4)
	v_fma_f64 v[3:4], v[139:140], v[149:150], v[3:4]
	ds_load_b128 v[143:146], v126 offset:576
	ds_load_b128 v[147:150], v126 offset:592
	s_waitcnt lgkmcnt(1)
	v_fma_f64 v[3:4], v[141:142], v[143:144], v[3:4]
	scratch_load_b128 v[139:142], off, off offset:168
	s_waitcnt vmcnt(4)
	v_fma_f64 v[3:4], v[151:152], v[145:146], v[3:4]
	scratch_load_b128 v[143:146], off, off offset:184
	s_waitcnt lgkmcnt(0)
	v_fma_f64 v[3:4], v[153:154], v[147:148], v[3:4]
	s_waitcnt vmcnt(4)
	s_delay_alu instid0(VALU_DEP_1)
	v_fma_f64 v[3:4], v[127:128], v[149:150], v[3:4]
	ds_load_b128 v[147:150], v126 offset:608
	ds_load_b128 v[151:154], v126 offset:624
	s_waitcnt lgkmcnt(1)
	v_fma_f64 v[3:4], v[129:130], v[147:148], v[3:4]
	scratch_load_b128 v[127:130], off, off offset:200
	s_waitcnt vmcnt(4)
	v_fma_f64 v[3:4], v[131:132], v[149:150], v[3:4]
	s_waitcnt lgkmcnt(0)
	s_delay_alu instid0(VALU_DEP_1)
	v_fma_f64 v[3:4], v[133:134], v[151:152], v[3:4]
	scratch_load_b128 v[131:134], off, off offset:216
	s_waitcnt vmcnt(4)
	v_fma_f64 v[3:4], v[135:136], v[153:154], v[3:4]
	ds_load_b128 v[147:150], v126 offset:640
	ds_load_b128 v[151:154], v126 offset:656
	s_waitcnt lgkmcnt(1)
	v_fma_f64 v[3:4], v[137:138], v[147:148], v[3:4]
	scratch_load_b128 v[135:138], off, off offset:232
	s_waitcnt vmcnt(4)
	v_fma_f64 v[3:4], v[139:140], v[149:150], v[3:4]
	s_waitcnt lgkmcnt(0)
	s_delay_alu instid0(VALU_DEP_1)
	v_fma_f64 v[3:4], v[141:142], v[151:152], v[3:4]
	scratch_load_b128 v[139:142], off, off offset:248
	s_waitcnt vmcnt(4)
	v_fma_f64 v[3:4], v[143:144], v[153:154], v[3:4]
	ds_load_b128 v[147:150], v126 offset:672
	ds_load_b128 v[151:154], v126 offset:688
	s_waitcnt lgkmcnt(1)
	v_fma_f64 v[3:4], v[145:146], v[147:148], v[3:4]
	scratch_load_b128 v[143:146], off, off offset:264
	s_waitcnt vmcnt(4)
	v_fma_f64 v[3:4], v[127:128], v[149:150], v[3:4]
	s_waitcnt lgkmcnt(0)
	s_delay_alu instid0(VALU_DEP_1)
	v_fma_f64 v[3:4], v[129:130], v[151:152], v[3:4]
	scratch_load_b128 v[127:130], off, off offset:280
	s_waitcnt vmcnt(4)
	v_fma_f64 v[3:4], v[131:132], v[153:154], v[3:4]
	ds_load_b128 v[147:150], v126 offset:704
	ds_load_b128 v[151:154], v126 offset:720
	s_waitcnt lgkmcnt(1)
	v_fma_f64 v[3:4], v[133:134], v[147:148], v[3:4]
	scratch_load_b128 v[131:134], off, off offset:296
	s_waitcnt vmcnt(4)
	v_fma_f64 v[3:4], v[135:136], v[149:150], v[3:4]
	s_waitcnt lgkmcnt(0)
	s_delay_alu instid0(VALU_DEP_1)
	v_fma_f64 v[3:4], v[137:138], v[151:152], v[3:4]
	scratch_load_b128 v[135:138], off, off offset:312
	s_waitcnt vmcnt(4)
	v_fma_f64 v[3:4], v[139:140], v[153:154], v[3:4]
	ds_load_b128 v[147:150], v126 offset:736
	ds_load_b128 v[151:154], v126 offset:752
	s_waitcnt lgkmcnt(1)
	v_fma_f64 v[3:4], v[141:142], v[147:148], v[3:4]
	scratch_load_b128 v[139:142], off, off offset:328
	s_waitcnt vmcnt(4)
	v_fma_f64 v[3:4], v[143:144], v[149:150], v[3:4]
	s_waitcnt lgkmcnt(0)
	s_delay_alu instid0(VALU_DEP_1)
	v_fma_f64 v[3:4], v[145:146], v[151:152], v[3:4]
	scratch_load_b128 v[143:146], off, off offset:344
	s_waitcnt vmcnt(4)
	v_fma_f64 v[3:4], v[127:128], v[153:154], v[3:4]
	ds_load_b128 v[147:150], v126 offset:768
	ds_load_b128 v[151:154], v126 offset:784
	s_waitcnt lgkmcnt(1)
	v_fma_f64 v[3:4], v[129:130], v[147:148], v[3:4]
	scratch_load_b128 v[127:130], off, off offset:360
	s_waitcnt vmcnt(4)
	v_fma_f64 v[3:4], v[131:132], v[149:150], v[3:4]
	s_waitcnt lgkmcnt(0)
	s_delay_alu instid0(VALU_DEP_1)
	v_fma_f64 v[3:4], v[133:134], v[151:152], v[3:4]
	scratch_load_b128 v[131:134], off, off offset:376
	s_waitcnt vmcnt(4)
	v_fma_f64 v[3:4], v[135:136], v[153:154], v[3:4]
	ds_load_b128 v[147:150], v126 offset:800
	ds_load_b128 v[151:154], v126 offset:816
	s_waitcnt lgkmcnt(1)
	v_fma_f64 v[3:4], v[137:138], v[147:148], v[3:4]
	scratch_load_b128 v[135:138], off, off offset:392
	s_waitcnt vmcnt(4)
	v_fma_f64 v[3:4], v[139:140], v[149:150], v[3:4]
	s_waitcnt lgkmcnt(0)
	s_delay_alu instid0(VALU_DEP_1)
	v_fma_f64 v[3:4], v[141:142], v[151:152], v[3:4]
	scratch_load_b128 v[139:142], off, off offset:408
	s_waitcnt vmcnt(4)
	v_fma_f64 v[3:4], v[143:144], v[153:154], v[3:4]
	ds_load_b128 v[147:150], v126 offset:832
	ds_load_b128 v[151:154], v126 offset:848
	s_waitcnt lgkmcnt(1)
	v_fma_f64 v[3:4], v[145:146], v[147:148], v[3:4]
	scratch_load_b128 v[143:146], off, off offset:424
	s_waitcnt vmcnt(4)
	v_fma_f64 v[3:4], v[127:128], v[149:150], v[3:4]
	s_waitcnt lgkmcnt(0)
	s_delay_alu instid0(VALU_DEP_1)
	v_fma_f64 v[3:4], v[129:130], v[151:152], v[3:4]
	scratch_load_b128 v[127:130], off, off offset:440
	s_waitcnt vmcnt(4)
	v_fma_f64 v[3:4], v[131:132], v[153:154], v[3:4]
	ds_load_b128 v[147:150], v126 offset:864
	ds_load_b128 v[151:154], v126 offset:880
	s_waitcnt lgkmcnt(1)
	v_fma_f64 v[3:4], v[133:134], v[147:148], v[3:4]
	scratch_load_b128 v[131:134], off, off offset:456
	s_waitcnt vmcnt(4)
	v_fma_f64 v[3:4], v[135:136], v[149:150], v[3:4]
	s_waitcnt lgkmcnt(0)
	s_delay_alu instid0(VALU_DEP_1)
	v_fma_f64 v[3:4], v[137:138], v[151:152], v[3:4]
	scratch_load_b64 v[151:152], off, off offset:472
	ds_load_b128 v[135:138], v126 offset:896
	ds_load_b128 v[147:150], v126 offset:912
	s_waitcnt vmcnt(4)
	v_fma_f64 v[3:4], v[139:140], v[153:154], v[3:4]
	s_waitcnt lgkmcnt(1)
	s_delay_alu instid0(VALU_DEP_1) | instskip(SKIP_1) | instid1(VALU_DEP_1)
	v_fma_f64 v[3:4], v[141:142], v[135:136], v[3:4]
	s_waitcnt vmcnt(3)
	v_fma_f64 v[3:4], v[143:144], v[137:138], v[3:4]
	ds_load_b128 v[135:138], v126 offset:928
	ds_load_b128 v[139:142], v126 offset:944
	s_waitcnt lgkmcnt(2)
	v_fma_f64 v[3:4], v[145:146], v[147:148], v[3:4]
	s_waitcnt vmcnt(2)
	s_delay_alu instid0(VALU_DEP_1) | instskip(SKIP_1) | instid1(VALU_DEP_1)
	v_fma_f64 v[3:4], v[127:128], v[149:150], v[3:4]
	s_waitcnt lgkmcnt(1)
	v_fma_f64 v[3:4], v[129:130], v[135:136], v[3:4]
	s_waitcnt vmcnt(1)
	s_delay_alu instid0(VALU_DEP_1) | instskip(SKIP_1) | instid1(VALU_DEP_1)
	v_fma_f64 v[3:4], v[131:132], v[137:138], v[3:4]
	s_waitcnt lgkmcnt(0)
	v_fma_f64 v[3:4], v[133:134], v[139:140], v[3:4]
	s_waitcnt vmcnt(0)
	s_delay_alu instid0(VALU_DEP_1) | instskip(NEXT) | instid1(VALU_DEP_1)
	v_fma_f64 v[3:4], v[151:152], v[141:142], v[3:4]
	v_add_f64 v[1:2], v[1:2], -v[3:4]
	scratch_store_b64 off, v[1:2], off offset:24
	v_cmpx_lt_u32_e32 2, v0
	s_cbranch_execz .LBB123_365
; %bb.364:
	scratch_load_b64 v[1:2], off, off offset:16
	v_mov_b32_e32 v3, 0
	s_delay_alu instid0(VALU_DEP_1)
	v_mov_b32_e32 v4, v3
	scratch_store_b64 off, v[3:4], off offset:16
	s_waitcnt vmcnt(0)
	ds_store_b64 v5, v[1:2]
.LBB123_365:
	s_or_b32 exec_lo, exec_lo, s0
	s_waitcnt lgkmcnt(0)
	s_waitcnt_vscnt null, 0x0
	s_barrier
	buffer_gl0_inv
	s_clause 0x4
	scratch_load_b128 v[1:4], off, off offset:16
	scratch_load_b128 v[127:130], off, off offset:32
	;; [unrolled: 1-line block ×5, first 2 shown]
	v_mov_b32_e32 v126, 0
	ds_load_2addr_b64 v[143:146], v126 offset0:63 offset1:64
	ds_load_2addr_b64 v[147:150], v126 offset0:65 offset1:66
	scratch_load_b128 v[151:154], off, off offset:96
	s_mov_b32 s0, exec_lo
	s_waitcnt vmcnt(5) lgkmcnt(1)
	v_fma_f64 v[3:4], v[3:4], v[143:144], 0
	s_waitcnt vmcnt(4)
	s_delay_alu instid0(VALU_DEP_1) | instskip(SKIP_1) | instid1(VALU_DEP_1)
	v_fma_f64 v[3:4], v[127:128], v[145:146], v[3:4]
	s_waitcnt lgkmcnt(0)
	v_fma_f64 v[3:4], v[129:130], v[147:148], v[3:4]
	scratch_load_b128 v[127:130], off, off offset:112
	s_waitcnt vmcnt(4)
	v_fma_f64 v[3:4], v[131:132], v[149:150], v[3:4]
	ds_load_2addr_b64 v[143:146], v126 offset0:67 offset1:68
	ds_load_2addr_b64 v[147:150], v126 offset0:69 offset1:70
	s_waitcnt lgkmcnt(1)
	v_fma_f64 v[3:4], v[133:134], v[143:144], v[3:4]
	scratch_load_b128 v[131:134], off, off offset:128
	s_waitcnt vmcnt(4)
	v_fma_f64 v[3:4], v[135:136], v[145:146], v[3:4]
	s_waitcnt lgkmcnt(0)
	s_delay_alu instid0(VALU_DEP_1)
	v_fma_f64 v[3:4], v[137:138], v[147:148], v[3:4]
	scratch_load_b128 v[135:138], off, off offset:144
	s_waitcnt vmcnt(4)
	v_fma_f64 v[3:4], v[139:140], v[149:150], v[3:4]
	ds_load_2addr_b64 v[143:146], v126 offset0:71 offset1:72
	ds_load_2addr_b64 v[147:150], v126 offset0:73 offset1:74
	s_waitcnt lgkmcnt(1)
	v_fma_f64 v[3:4], v[141:142], v[143:144], v[3:4]
	scratch_load_b128 v[139:142], off, off offset:160
	s_waitcnt vmcnt(4)
	v_fma_f64 v[3:4], v[151:152], v[145:146], v[3:4]
	scratch_load_b128 v[143:146], off, off offset:176
	s_waitcnt lgkmcnt(0)
	v_fma_f64 v[3:4], v[153:154], v[147:148], v[3:4]
	s_waitcnt vmcnt(4)
	s_delay_alu instid0(VALU_DEP_1)
	v_fma_f64 v[3:4], v[127:128], v[149:150], v[3:4]
	ds_load_2addr_b64 v[147:150], v126 offset0:75 offset1:76
	ds_load_2addr_b64 v[151:154], v126 offset0:77 offset1:78
	s_waitcnt lgkmcnt(1)
	v_fma_f64 v[3:4], v[129:130], v[147:148], v[3:4]
	scratch_load_b128 v[127:130], off, off offset:192
	s_waitcnt vmcnt(4)
	v_fma_f64 v[3:4], v[131:132], v[149:150], v[3:4]
	s_waitcnt lgkmcnt(0)
	s_delay_alu instid0(VALU_DEP_1)
	v_fma_f64 v[3:4], v[133:134], v[151:152], v[3:4]
	scratch_load_b128 v[131:134], off, off offset:208
	s_waitcnt vmcnt(4)
	v_fma_f64 v[3:4], v[135:136], v[153:154], v[3:4]
	ds_load_2addr_b64 v[147:150], v126 offset0:79 offset1:80
	ds_load_2addr_b64 v[151:154], v126 offset0:81 offset1:82
	s_waitcnt lgkmcnt(1)
	v_fma_f64 v[3:4], v[137:138], v[147:148], v[3:4]
	scratch_load_b128 v[135:138], off, off offset:224
	s_waitcnt vmcnt(4)
	v_fma_f64 v[3:4], v[139:140], v[149:150], v[3:4]
	s_waitcnt lgkmcnt(0)
	s_delay_alu instid0(VALU_DEP_1)
	v_fma_f64 v[3:4], v[141:142], v[151:152], v[3:4]
	scratch_load_b128 v[139:142], off, off offset:240
	s_waitcnt vmcnt(4)
	;; [unrolled: 13-line block ×9, first 2 shown]
	v_fma_f64 v[3:4], v[139:140], v[153:154], v[3:4]
	ds_load_2addr_b64 v[147:150], v126 offset0:111 offset1:112
	ds_load_2addr_b64 v[151:154], v126 offset0:113 offset1:114
	s_waitcnt lgkmcnt(1)
	v_fma_f64 v[3:4], v[141:142], v[147:148], v[3:4]
	s_waitcnt vmcnt(3)
	s_delay_alu instid0(VALU_DEP_1) | instskip(SKIP_1) | instid1(VALU_DEP_1)
	v_fma_f64 v[3:4], v[143:144], v[149:150], v[3:4]
	s_waitcnt lgkmcnt(0)
	v_fma_f64 v[3:4], v[145:146], v[151:152], v[3:4]
	ds_load_2addr_b64 v[139:142], v126 offset0:115 offset1:116
	ds_load_2addr_b64 v[143:146], v126 offset0:117 offset1:118
	s_waitcnt vmcnt(2)
	v_fma_f64 v[3:4], v[127:128], v[153:154], v[3:4]
	ds_load_b64 v[127:128], v126 offset:952
	s_waitcnt lgkmcnt(2)
	v_fma_f64 v[3:4], v[129:130], v[139:140], v[3:4]
	s_waitcnt vmcnt(1)
	s_delay_alu instid0(VALU_DEP_1) | instskip(SKIP_1) | instid1(VALU_DEP_1)
	v_fma_f64 v[3:4], v[131:132], v[141:142], v[3:4]
	s_waitcnt lgkmcnt(1)
	v_fma_f64 v[3:4], v[133:134], v[143:144], v[3:4]
	s_waitcnt vmcnt(0)
	s_delay_alu instid0(VALU_DEP_1) | instskip(SKIP_1) | instid1(VALU_DEP_1)
	v_fma_f64 v[3:4], v[135:136], v[145:146], v[3:4]
	s_waitcnt lgkmcnt(0)
	v_fma_f64 v[3:4], v[137:138], v[127:128], v[3:4]
	s_delay_alu instid0(VALU_DEP_1)
	v_add_f64 v[1:2], v[1:2], -v[3:4]
	scratch_store_b64 off, v[1:2], off offset:16
	v_cmpx_lt_u32_e32 1, v0
	s_cbranch_execz .LBB123_367
; %bb.366:
	scratch_load_b64 v[1:2], off, off offset:8
	v_mov_b32_e32 v127, v126
	scratch_store_b64 off, v[126:127], off offset:8
	s_waitcnt vmcnt(0)
	ds_store_b64 v5, v[1:2]
.LBB123_367:
	s_or_b32 exec_lo, exec_lo, s0
	s_waitcnt lgkmcnt(0)
	s_waitcnt_vscnt null, 0x0
	s_barrier
	buffer_gl0_inv
	s_clause 0x4
	scratch_load_b128 v[1:4], off, off offset:8
	scratch_load_b128 v[127:130], off, off offset:24
	;; [unrolled: 1-line block ×5, first 2 shown]
	ds_load_b128 v[143:146], v126 offset:496
	ds_load_b128 v[147:150], v126 offset:512
	scratch_load_b128 v[151:154], off, off offset:88
	s_mov_b32 s0, exec_lo
	s_waitcnt vmcnt(5) lgkmcnt(1)
	v_fma_f64 v[3:4], v[3:4], v[143:144], 0
	s_waitcnt vmcnt(4)
	s_delay_alu instid0(VALU_DEP_1) | instskip(SKIP_1) | instid1(VALU_DEP_1)
	v_fma_f64 v[3:4], v[127:128], v[145:146], v[3:4]
	s_waitcnt lgkmcnt(0)
	v_fma_f64 v[3:4], v[129:130], v[147:148], v[3:4]
	scratch_load_b128 v[127:130], off, off offset:104
	s_waitcnt vmcnt(4)
	v_fma_f64 v[3:4], v[131:132], v[149:150], v[3:4]
	ds_load_b128 v[143:146], v126 offset:528
	ds_load_b128 v[147:150], v126 offset:544
	s_waitcnt lgkmcnt(1)
	v_fma_f64 v[3:4], v[133:134], v[143:144], v[3:4]
	scratch_load_b128 v[131:134], off, off offset:120
	s_waitcnt vmcnt(4)
	v_fma_f64 v[3:4], v[135:136], v[145:146], v[3:4]
	s_waitcnt lgkmcnt(0)
	s_delay_alu instid0(VALU_DEP_1)
	v_fma_f64 v[3:4], v[137:138], v[147:148], v[3:4]
	scratch_load_b128 v[135:138], off, off offset:136
	s_waitcnt vmcnt(4)
	v_fma_f64 v[3:4], v[139:140], v[149:150], v[3:4]
	ds_load_b128 v[143:146], v126 offset:560
	ds_load_b128 v[147:150], v126 offset:576
	s_waitcnt lgkmcnt(1)
	v_fma_f64 v[3:4], v[141:142], v[143:144], v[3:4]
	scratch_load_b128 v[139:142], off, off offset:152
	s_waitcnt vmcnt(4)
	v_fma_f64 v[3:4], v[151:152], v[145:146], v[3:4]
	scratch_load_b128 v[143:146], off, off offset:168
	s_waitcnt lgkmcnt(0)
	v_fma_f64 v[3:4], v[153:154], v[147:148], v[3:4]
	s_waitcnt vmcnt(4)
	s_delay_alu instid0(VALU_DEP_1)
	v_fma_f64 v[3:4], v[127:128], v[149:150], v[3:4]
	ds_load_b128 v[147:150], v126 offset:592
	ds_load_b128 v[151:154], v126 offset:608
	s_waitcnt lgkmcnt(1)
	v_fma_f64 v[3:4], v[129:130], v[147:148], v[3:4]
	scratch_load_b128 v[127:130], off, off offset:184
	s_waitcnt vmcnt(4)
	v_fma_f64 v[3:4], v[131:132], v[149:150], v[3:4]
	s_waitcnt lgkmcnt(0)
	s_delay_alu instid0(VALU_DEP_1)
	v_fma_f64 v[3:4], v[133:134], v[151:152], v[3:4]
	scratch_load_b128 v[131:134], off, off offset:200
	s_waitcnt vmcnt(4)
	v_fma_f64 v[3:4], v[135:136], v[153:154], v[3:4]
	ds_load_b128 v[147:150], v126 offset:624
	ds_load_b128 v[151:154], v126 offset:640
	s_waitcnt lgkmcnt(1)
	v_fma_f64 v[3:4], v[137:138], v[147:148], v[3:4]
	scratch_load_b128 v[135:138], off, off offset:216
	s_waitcnt vmcnt(4)
	v_fma_f64 v[3:4], v[139:140], v[149:150], v[3:4]
	s_waitcnt lgkmcnt(0)
	s_delay_alu instid0(VALU_DEP_1)
	v_fma_f64 v[3:4], v[141:142], v[151:152], v[3:4]
	scratch_load_b128 v[139:142], off, off offset:232
	s_waitcnt vmcnt(4)
	;; [unrolled: 13-line block ×9, first 2 shown]
	v_fma_f64 v[3:4], v[139:140], v[153:154], v[3:4]
	ds_load_b128 v[147:150], v126 offset:880
	ds_load_b128 v[151:154], v126 offset:896
	s_waitcnt lgkmcnt(1)
	v_fma_f64 v[3:4], v[141:142], v[147:148], v[3:4]
	scratch_load_b64 v[147:148], off, off offset:472
	s_waitcnt vmcnt(4)
	v_fma_f64 v[3:4], v[143:144], v[149:150], v[3:4]
	s_waitcnt lgkmcnt(0)
	s_delay_alu instid0(VALU_DEP_1)
	v_fma_f64 v[3:4], v[145:146], v[151:152], v[3:4]
	ds_load_b128 v[139:142], v126 offset:912
	ds_load_b128 v[143:146], v126 offset:928
	s_waitcnt vmcnt(3)
	v_fma_f64 v[3:4], v[127:128], v[153:154], v[3:4]
	s_waitcnt lgkmcnt(1)
	s_delay_alu instid0(VALU_DEP_1) | instskip(SKIP_4) | instid1(VALU_DEP_1)
	v_fma_f64 v[3:4], v[129:130], v[139:140], v[3:4]
	ds_load_b128 v[126:129], v126 offset:944
	s_waitcnt vmcnt(2)
	v_fma_f64 v[3:4], v[131:132], v[141:142], v[3:4]
	s_waitcnt lgkmcnt(1)
	v_fma_f64 v[3:4], v[133:134], v[143:144], v[3:4]
	s_waitcnt vmcnt(1)
	s_delay_alu instid0(VALU_DEP_1) | instskip(SKIP_1) | instid1(VALU_DEP_1)
	v_fma_f64 v[3:4], v[135:136], v[145:146], v[3:4]
	s_waitcnt lgkmcnt(0)
	v_fma_f64 v[3:4], v[137:138], v[126:127], v[3:4]
	s_waitcnt vmcnt(0)
	s_delay_alu instid0(VALU_DEP_1) | instskip(NEXT) | instid1(VALU_DEP_1)
	v_fma_f64 v[3:4], v[147:148], v[128:129], v[3:4]
	v_add_f64 v[1:2], v[1:2], -v[3:4]
	scratch_store_b64 off, v[1:2], off offset:8
	v_cmpx_ne_u32_e32 0, v0
	s_cbranch_execz .LBB123_369
; %bb.368:
	scratch_load_b64 v[0:1], off, off
	v_mov_b32_e32 v2, 0
	s_delay_alu instid0(VALU_DEP_1)
	v_mov_b32_e32 v3, v2
	scratch_store_b64 off, v[2:3], off
	s_waitcnt vmcnt(0)
	ds_store_b64 v5, v[0:1]
.LBB123_369:
	s_or_b32 exec_lo, exec_lo, s0
	s_waitcnt lgkmcnt(0)
	s_waitcnt_vscnt null, 0x0
	s_barrier
	buffer_gl0_inv
	s_clause 0x4
	scratch_load_b128 v[0:3], off, off
	scratch_load_b128 v[127:130], off, off offset:16
	scratch_load_b128 v[131:134], off, off offset:32
	scratch_load_b128 v[135:138], off, off offset:48
	scratch_load_b128 v[139:142], off, off offset:64
	v_mov_b32_e32 v126, 0
	ds_load_2addr_b64 v[143:146], v126 offset0:61 offset1:62
	ds_load_2addr_b64 v[147:150], v126 offset0:63 offset1:64
	s_and_b32 vcc_lo, exec_lo, s12
	s_waitcnt vmcnt(4) lgkmcnt(1)
	v_fma_f64 v[143:144], v[2:3], v[143:144], 0
	scratch_load_b128 v[2:5], off, off offset:80
	s_waitcnt vmcnt(4)
	v_fma_f64 v[127:128], v[127:128], v[145:146], v[143:144]
	s_waitcnt lgkmcnt(0)
	s_delay_alu instid0(VALU_DEP_1)
	v_fma_f64 v[143:144], v[129:130], v[147:148], v[127:128]
	scratch_load_b128 v[127:130], off, off offset:96
	s_waitcnt vmcnt(4)
	v_fma_f64 v[131:132], v[131:132], v[149:150], v[143:144]
	ds_load_2addr_b64 v[143:146], v126 offset0:65 offset1:66
	ds_load_2addr_b64 v[147:150], v126 offset0:67 offset1:68
	s_waitcnt lgkmcnt(1)
	v_fma_f64 v[143:144], v[133:134], v[143:144], v[131:132]
	scratch_load_b128 v[131:134], off, off offset:112
	s_waitcnt vmcnt(4)
	v_fma_f64 v[135:136], v[135:136], v[145:146], v[143:144]
	s_waitcnt lgkmcnt(0)
	s_delay_alu instid0(VALU_DEP_1)
	v_fma_f64 v[143:144], v[137:138], v[147:148], v[135:136]
	scratch_load_b128 v[135:138], off, off offset:128
	s_waitcnt vmcnt(4)
	v_fma_f64 v[139:140], v[139:140], v[149:150], v[143:144]
	ds_load_2addr_b64 v[143:146], v126 offset0:69 offset1:70
	ds_load_2addr_b64 v[147:150], v126 offset0:71 offset1:72
	s_waitcnt lgkmcnt(1)
	;; [unrolled: 13-line block ×9, first 2 shown]
	v_fma_f64 v[143:144], v[137:138], v[143:144], v[135:136]
	scratch_load_b128 v[135:138], off, off offset:368
	s_waitcnt vmcnt(4)
	v_fma_f64 v[139:140], v[139:140], v[145:146], v[143:144]
	s_waitcnt lgkmcnt(0)
	s_delay_alu instid0(VALU_DEP_1)
	v_fma_f64 v[143:144], v[141:142], v[147:148], v[139:140]
	scratch_load_b128 v[139:142], off, off offset:384
	s_waitcnt vmcnt(4)
	v_fma_f64 v[2:3], v[2:3], v[149:150], v[143:144]
	ds_load_2addr_b64 v[143:146], v126 offset0:101 offset1:102
	ds_load_2addr_b64 v[147:150], v126 offset0:103 offset1:104
	scratch_load_b128 v[151:154], off, off offset:400
	s_waitcnt lgkmcnt(1)
	v_fma_f64 v[2:3], v[4:5], v[143:144], v[2:3]
	s_waitcnt vmcnt(4)
	s_delay_alu instid0(VALU_DEP_1) | instskip(SKIP_1) | instid1(VALU_DEP_1)
	v_fma_f64 v[2:3], v[127:128], v[145:146], v[2:3]
	s_waitcnt lgkmcnt(0)
	v_fma_f64 v[2:3], v[129:130], v[147:148], v[2:3]
	scratch_load_b128 v[127:130], off, off offset:416
	s_waitcnt vmcnt(4)
	v_fma_f64 v[131:132], v[131:132], v[149:150], v[2:3]
	ds_load_2addr_b64 v[2:5], v126 offset0:105 offset1:106
	ds_load_2addr_b64 v[143:146], v126 offset0:107 offset1:108
	s_waitcnt lgkmcnt(1)
	v_fma_f64 v[2:3], v[133:134], v[2:3], v[131:132]
	scratch_load_b128 v[131:134], off, off offset:432
	s_waitcnt vmcnt(4)
	v_fma_f64 v[2:3], v[135:136], v[4:5], v[2:3]
	s_waitcnt lgkmcnt(0)
	s_delay_alu instid0(VALU_DEP_1)
	v_fma_f64 v[2:3], v[137:138], v[143:144], v[2:3]
	scratch_load_b128 v[135:138], off, off offset:448
	s_waitcnt vmcnt(4)
	v_fma_f64 v[2:3], v[139:140], v[145:146], v[2:3]
	ds_load_2addr_b64 v[143:146], v126 offset0:109 offset1:110
	ds_load_2addr_b64 v[147:150], v126 offset0:111 offset1:112
	s_waitcnt lgkmcnt(1)
	v_fma_f64 v[139:140], v[141:142], v[143:144], v[2:3]
	scratch_load_b128 v[2:5], off, off offset:464
	s_waitcnt vmcnt(4)
	v_fma_f64 v[139:140], v[151:152], v[145:146], v[139:140]
	s_waitcnt lgkmcnt(0)
	s_delay_alu instid0(VALU_DEP_1) | instskip(SKIP_1) | instid1(VALU_DEP_1)
	v_fma_f64 v[139:140], v[153:154], v[147:148], v[139:140]
	s_waitcnt vmcnt(3)
	v_fma_f64 v[127:128], v[127:128], v[149:150], v[139:140]
	ds_load_2addr_b64 v[139:142], v126 offset0:113 offset1:114
	ds_load_2addr_b64 v[143:146], v126 offset0:115 offset1:116
	s_waitcnt lgkmcnt(1)
	v_fma_f64 v[127:128], v[129:130], v[139:140], v[127:128]
	s_waitcnt vmcnt(2)
	s_delay_alu instid0(VALU_DEP_1) | instskip(SKIP_1) | instid1(VALU_DEP_1)
	v_fma_f64 v[127:128], v[131:132], v[141:142], v[127:128]
	s_waitcnt lgkmcnt(0)
	v_fma_f64 v[127:128], v[133:134], v[143:144], v[127:128]
	s_waitcnt vmcnt(1)
	s_delay_alu instid0(VALU_DEP_1)
	v_fma_f64 v[131:132], v[135:136], v[145:146], v[127:128]
	ds_load_2addr_b64 v[127:130], v126 offset0:117 offset1:118
	ds_load_b64 v[133:134], v126 offset:952
	s_waitcnt lgkmcnt(1)
	v_fma_f64 v[126:127], v[137:138], v[127:128], v[131:132]
	s_waitcnt vmcnt(0)
	s_delay_alu instid0(VALU_DEP_1) | instskip(SKIP_1) | instid1(VALU_DEP_1)
	v_fma_f64 v[126:127], v[2:3], v[129:130], v[126:127]
	s_waitcnt lgkmcnt(0)
	v_fma_f64 v[4:5], v[4:5], v[133:134], v[126:127]
	s_delay_alu instid0(VALU_DEP_1)
	v_add_f64 v[0:1], v[0:1], -v[4:5]
	scratch_store_b64 off, v[0:1], off
	s_cbranch_vccz .LBB123_489
; %bb.370:
	v_dual_mov_b32 v0, s2 :: v_dual_mov_b32 v1, s3
	s_mov_b32 s0, exec_lo
	flat_load_b32 v0, v[0:1] offset:232
	s_waitcnt vmcnt(0) lgkmcnt(0)
	v_cmpx_ne_u32_e32 59, v0
	s_cbranch_execz .LBB123_372
; %bb.371:
	v_lshl_add_u32 v4, v0, 3, 0
	scratch_load_b64 v[0:1], v4, off offset:-8
	s_waitcnt vmcnt(0)
	scratch_store_b64 off, v[0:1], off offset:464
	scratch_store_b64 v4, v[2:3], off offset:-8
.LBB123_372:
	s_or_b32 exec_lo, exec_lo, s0
	v_dual_mov_b32 v0, s2 :: v_dual_mov_b32 v1, s3
	s_mov_b32 s0, exec_lo
	flat_load_b32 v0, v[0:1] offset:228
	s_waitcnt vmcnt(0) lgkmcnt(0)
	v_cmpx_ne_u32_e32 58, v0
	s_cbranch_execz .LBB123_374
; %bb.373:
	v_lshl_add_u32 v4, v0, 3, 0
	scratch_load_b64 v[0:1], v4, off offset:-8
	scratch_load_b64 v[2:3], off, off offset:456
	s_waitcnt vmcnt(1)
	scratch_store_b64 off, v[0:1], off offset:456
	s_waitcnt vmcnt(0)
	scratch_store_b64 v4, v[2:3], off offset:-8
.LBB123_374:
	s_or_b32 exec_lo, exec_lo, s0
	v_dual_mov_b32 v0, s2 :: v_dual_mov_b32 v1, s3
	s_mov_b32 s0, exec_lo
	flat_load_b32 v0, v[0:1] offset:224
	s_waitcnt vmcnt(0) lgkmcnt(0)
	v_cmpx_ne_u32_e32 57, v0
	s_cbranch_execz .LBB123_376
; %bb.375:
	v_lshl_add_u32 v4, v0, 3, 0
	scratch_load_b64 v[0:1], v4, off offset:-8
	scratch_load_b64 v[2:3], off, off offset:448
	s_waitcnt vmcnt(1)
	scratch_store_b64 off, v[0:1], off offset:448
	s_waitcnt vmcnt(0)
	scratch_store_b64 v4, v[2:3], off offset:-8
.LBB123_376:
	;; [unrolled: 16-line block ×57, first 2 shown]
	s_or_b32 exec_lo, exec_lo, s0
	v_dual_mov_b32 v0, s2 :: v_dual_mov_b32 v1, s3
	s_mov_b32 s0, exec_lo
	flat_load_b32 v2, v[0:1]
	scratch_load_b64 v[0:1], off, off
	s_waitcnt vmcnt(1) lgkmcnt(0)
	v_cmpx_ne_u32_e32 1, v2
	s_cbranch_execz .LBB123_488
; %bb.487:
	v_lshl_add_u32 v4, v2, 3, 0
	scratch_load_b64 v[2:3], v4, off offset:-8
	s_waitcnt vmcnt(0)
	scratch_store_b64 off, v[2:3], off
	scratch_store_b64 v4, v[0:1], off offset:-8
	scratch_load_b64 v[0:1], off, off
.LBB123_488:
	s_or_b32 exec_lo, exec_lo, s0
.LBB123_489:
	s_clause 0x9
	scratch_load_b128 v[2:5], off, off offset:8
	scratch_load_b128 v[126:129], off, off offset:24
	scratch_load_b128 v[130:133], off, off offset:40
	scratch_load_b128 v[134:137], off, off offset:56
	scratch_load_b128 v[138:141], off, off offset:72
	scratch_load_b128 v[142:145], off, off offset:88
	scratch_load_b128 v[146:149], off, off offset:104
	scratch_load_b128 v[150:153], off, off offset:120
	scratch_load_b128 v[154:157], off, off offset:136
	scratch_load_b128 v[158:161], off, off offset:152
	s_waitcnt vmcnt(10)
	global_store_b64 v[32:33], v[0:1], off
	s_clause 0x3
	scratch_load_b128 v[162:165], off, off offset:168
	scratch_load_b128 v[166:169], off, off offset:200
	;; [unrolled: 1-line block ×4, first 2 shown]
	s_waitcnt vmcnt(13)
	s_clause 0x1
	global_store_b64 v[20:21], v[2:3], off
	global_store_b64 v[14:15], v[4:5], off
	s_waitcnt vmcnt(12)
	s_clause 0x1
	global_store_b64 v[10:11], v[126:127], off
	global_store_b64 v[54:55], v[128:129], off
	;; [unrolled: 4-line block ×9, first 2 shown]
	s_clause 0xf
	scratch_load_b128 v[0:3], off, off offset:184
	scratch_load_b128 v[126:129], off, off offset:232
	scratch_load_b128 v[52:55], off, off offset:248
	scratch_load_b128 v[130:133], off, off offset:264
	scratch_load_b128 v[44:47], off, off offset:296
	scratch_load_b128 v[134:137], off, off offset:312
	scratch_load_b128 v[38:41], off, off offset:328
	scratch_load_b128 v[138:141], off, off offset:344
	scratch_load_b128 v[32:35], off, off offset:360
	scratch_load_b128 v[142:145], off, off offset:376
	scratch_load_b128 v[28:31], off, off offset:392
	scratch_load_b128 v[146:149], off, off offset:408
	scratch_load_b128 v[20:23], off, off offset:424
	scratch_load_b128 v[10:13], off, off offset:440
	scratch_load_b128 v[24:27], off, off offset:456
	scratch_load_b64 v[4:5], off, off offset:472
	s_waitcnt vmcnt(20)
	s_clause 0x1
	global_store_b64 v[8:9], v[158:159], off
	global_store_b64 v[16:17], v[160:161], off
	s_waitcnt vmcnt(19)
	s_clause 0x1
	global_store_b64 v[18:19], v[162:163], off
	global_store_b64 v[42:43], v[164:165], off
	;; [unrolled: 4-line block ×3, first 2 shown]
	global_store_b64 v[58:59], v[166:167], off
	global_store_b64 v[60:61], v[168:169], off
	;; [unrolled: 1-line block ×4, first 2 shown]
	s_waitcnt vmcnt(14)
	s_clause 0x1
	global_store_b64 v[66:67], v[126:127], off
	global_store_b64 v[68:69], v[128:129], off
	s_waitcnt vmcnt(13)
	s_clause 0x1
	global_store_b64 v[70:71], v[52:53], off
	global_store_b64 v[72:73], v[54:55], off
	;; [unrolled: 4-line block ×3, first 2 shown]
	global_store_b64 v[78:79], v[174:175], off
	global_store_b64 v[80:81], v[176:177], off
	s_waitcnt vmcnt(11)
	s_clause 0x1
	global_store_b64 v[82:83], v[44:45], off
	global_store_b64 v[84:85], v[46:47], off
	s_waitcnt vmcnt(10)
	s_clause 0x1
	;; [unrolled: 4-line block ×11, first 2 shown]
	global_store_b64 v[122:123], v[24:25], off
	global_store_b64 v[124:125], v[26:27], off
	s_waitcnt vmcnt(0)
	global_store_b64 v[6:7], v[4:5], off
	s_endpgm
	.section	.rodata,"a",@progbits
	.p2align	6, 0x0
	.amdhsa_kernel _ZN9rocsolver6v33100L18getri_kernel_smallILi60EdPKPdEEvT1_iilPiilS6_bb
		.amdhsa_group_segment_fixed_size 968
		.amdhsa_private_segment_fixed_size 496
		.amdhsa_kernarg_size 60
		.amdhsa_user_sgpr_count 15
		.amdhsa_user_sgpr_dispatch_ptr 0
		.amdhsa_user_sgpr_queue_ptr 0
		.amdhsa_user_sgpr_kernarg_segment_ptr 1
		.amdhsa_user_sgpr_dispatch_id 0
		.amdhsa_user_sgpr_private_segment_size 0
		.amdhsa_wavefront_size32 1
		.amdhsa_uses_dynamic_stack 0
		.amdhsa_enable_private_segment 1
		.amdhsa_system_sgpr_workgroup_id_x 1
		.amdhsa_system_sgpr_workgroup_id_y 0
		.amdhsa_system_sgpr_workgroup_id_z 0
		.amdhsa_system_sgpr_workgroup_info 0
		.amdhsa_system_vgpr_workitem_id 0
		.amdhsa_next_free_vgpr 178
		.amdhsa_next_free_sgpr 17
		.amdhsa_reserve_vcc 1
		.amdhsa_float_round_mode_32 0
		.amdhsa_float_round_mode_16_64 0
		.amdhsa_float_denorm_mode_32 3
		.amdhsa_float_denorm_mode_16_64 3
		.amdhsa_dx10_clamp 1
		.amdhsa_ieee_mode 1
		.amdhsa_fp16_overflow 0
		.amdhsa_workgroup_processor_mode 1
		.amdhsa_memory_ordered 1
		.amdhsa_forward_progress 0
		.amdhsa_shared_vgpr_count 0
		.amdhsa_exception_fp_ieee_invalid_op 0
		.amdhsa_exception_fp_denorm_src 0
		.amdhsa_exception_fp_ieee_div_zero 0
		.amdhsa_exception_fp_ieee_overflow 0
		.amdhsa_exception_fp_ieee_underflow 0
		.amdhsa_exception_fp_ieee_inexact 0
		.amdhsa_exception_int_div_zero 0
	.end_amdhsa_kernel
	.section	.text._ZN9rocsolver6v33100L18getri_kernel_smallILi60EdPKPdEEvT1_iilPiilS6_bb,"axG",@progbits,_ZN9rocsolver6v33100L18getri_kernel_smallILi60EdPKPdEEvT1_iilPiilS6_bb,comdat
.Lfunc_end123:
	.size	_ZN9rocsolver6v33100L18getri_kernel_smallILi60EdPKPdEEvT1_iilPiilS6_bb, .Lfunc_end123-_ZN9rocsolver6v33100L18getri_kernel_smallILi60EdPKPdEEvT1_iilPiilS6_bb
                                        ; -- End function
	.section	.AMDGPU.csdata,"",@progbits
; Kernel info:
; codeLenInByte = 64152
; NumSgprs: 19
; NumVgprs: 178
; ScratchSize: 496
; MemoryBound: 0
; FloatMode: 240
; IeeeMode: 1
; LDSByteSize: 968 bytes/workgroup (compile time only)
; SGPRBlocks: 2
; VGPRBlocks: 22
; NumSGPRsForWavesPerEU: 19
; NumVGPRsForWavesPerEU: 178
; Occupancy: 8
; WaveLimiterHint : 1
; COMPUTE_PGM_RSRC2:SCRATCH_EN: 1
; COMPUTE_PGM_RSRC2:USER_SGPR: 15
; COMPUTE_PGM_RSRC2:TRAP_HANDLER: 0
; COMPUTE_PGM_RSRC2:TGID_X_EN: 1
; COMPUTE_PGM_RSRC2:TGID_Y_EN: 0
; COMPUTE_PGM_RSRC2:TGID_Z_EN: 0
; COMPUTE_PGM_RSRC2:TIDIG_COMP_CNT: 0
	.section	.text._ZN9rocsolver6v33100L18getri_kernel_smallILi61EdPKPdEEvT1_iilPiilS6_bb,"axG",@progbits,_ZN9rocsolver6v33100L18getri_kernel_smallILi61EdPKPdEEvT1_iilPiilS6_bb,comdat
	.globl	_ZN9rocsolver6v33100L18getri_kernel_smallILi61EdPKPdEEvT1_iilPiilS6_bb ; -- Begin function _ZN9rocsolver6v33100L18getri_kernel_smallILi61EdPKPdEEvT1_iilPiilS6_bb
	.p2align	8
	.type	_ZN9rocsolver6v33100L18getri_kernel_smallILi61EdPKPdEEvT1_iilPiilS6_bb,@function
_ZN9rocsolver6v33100L18getri_kernel_smallILi61EdPKPdEEvT1_iilPiilS6_bb: ; @_ZN9rocsolver6v33100L18getri_kernel_smallILi61EdPKPdEEvT1_iilPiilS6_bb
; %bb.0:
	s_mov_b32 s2, exec_lo
	v_cmpx_gt_u32_e32 61, v0
	s_cbranch_execz .LBB124_254
; %bb.1:
	s_clause 0x1
	s_load_b32 s13, s[0:1], 0x38
	s_load_b64 s[2:3], s[0:1], 0x0
	s_mov_b32 s8, s15
	s_load_b128 s[4:7], s[0:1], 0x28
	s_waitcnt lgkmcnt(0)
	s_bitcmp1_b32 s13, 8
	s_cselect_b32 s12, -1, 0
	s_ashr_i32 s9, s15, 31
	s_delay_alu instid0(SALU_CYCLE_1) | instskip(NEXT) | instid1(SALU_CYCLE_1)
	s_lshl_b64 s[10:11], s[8:9], 3
	s_add_u32 s2, s2, s10
	s_addc_u32 s3, s3, s11
	s_load_b64 s[10:11], s[2:3], 0x0
	s_bfe_u32 s2, s13, 0x10008
	s_delay_alu instid0(SALU_CYCLE_1)
	s_cmp_eq_u32 s2, 0
                                        ; implicit-def: $sgpr2_sgpr3
	s_cbranch_scc1 .LBB124_3
; %bb.2:
	s_clause 0x1
	s_load_b32 s2, s[0:1], 0x20
	s_load_b64 s[14:15], s[0:1], 0x18
	s_mul_i32 s3, s8, s5
	s_mul_hi_u32 s5, s8, s4
	s_mul_i32 s16, s9, s4
	s_add_i32 s3, s5, s3
	s_mul_i32 s4, s8, s4
	s_add_i32 s5, s3, s16
	s_delay_alu instid0(SALU_CYCLE_1)
	s_lshl_b64 s[4:5], s[4:5], 2
	s_waitcnt lgkmcnt(0)
	s_ashr_i32 s3, s2, 31
	s_add_u32 s4, s14, s4
	s_addc_u32 s5, s15, s5
	s_lshl_b64 s[2:3], s[2:3], 2
	s_delay_alu instid0(SALU_CYCLE_1)
	s_add_u32 s2, s4, s2
	s_addc_u32 s3, s5, s3
.LBB124_3:
	s_load_b64 s[0:1], s[0:1], 0x8
	v_lshlrev_b32_e32 v147, 3, v0
	s_waitcnt lgkmcnt(0)
	v_add3_u32 v3, s1, s1, v0
	s_ashr_i32 s5, s0, 31
	s_mov_b32 s4, s0
	s_mov_b32 s14, s1
	s_lshl_b64 s[4:5], s[4:5], 3
	v_add_nc_u32_e32 v5, s1, v3
	v_ashrrev_i32_e32 v4, 31, v3
	s_add_u32 s4, s10, s4
	s_addc_u32 s5, s11, s5
	v_add_co_u32 v45, s0, s4, v147
	v_add_nc_u32_e32 v7, s1, v5
	s_ashr_i32 s15, s1, 31
	v_add_co_ci_u32_e64 v46, null, s5, 0, s0
	v_lshlrev_b64 v[3:4], 3, v[3:4]
	s_lshl_b64 s[10:11], s[14:15], 3
	v_add_nc_u32_e32 v9, s1, v7
	v_ashrrev_i32_e32 v6, 31, v5
	v_add_co_u32 v47, vcc_lo, v45, s10
	v_add_co_ci_u32_e32 v48, vcc_lo, s11, v46, vcc_lo
	v_ashrrev_i32_e32 v8, 31, v7
	v_add_co_u32 v49, vcc_lo, s4, v3
	v_add_nc_u32_e32 v3, s1, v9
	v_lshlrev_b64 v[5:6], 3, v[5:6]
	v_ashrrev_i32_e32 v10, 31, v9
	v_lshlrev_b64 v[7:8], 3, v[7:8]
	v_add_co_ci_u32_e32 v50, vcc_lo, s5, v4, vcc_lo
	v_add_nc_u32_e32 v13, s1, v3
	v_add_co_u32 v51, vcc_lo, s4, v5
	v_ashrrev_i32_e32 v4, 31, v3
	v_add_co_ci_u32_e32 v52, vcc_lo, s5, v6, vcc_lo
	v_lshlrev_b64 v[5:6], 3, v[9:10]
	v_add_co_u32 v53, vcc_lo, s4, v7
	v_add_nc_u32_e32 v15, s1, v13
	v_add_co_ci_u32_e32 v54, vcc_lo, s5, v8, vcc_lo
	v_lshlrev_b64 v[7:8], 3, v[3:4]
	v_ashrrev_i32_e32 v14, 31, v13
	v_add_co_u32 v55, vcc_lo, s4, v5
	v_ashrrev_i32_e32 v16, 31, v15
	v_add_nc_u32_e32 v17, s1, v15
	v_add_co_ci_u32_e32 v56, vcc_lo, s5, v6, vcc_lo
	v_lshlrev_b64 v[13:14], 3, v[13:14]
	v_add_co_u32 v57, vcc_lo, s4, v7
	v_add_co_ci_u32_e32 v58, vcc_lo, s5, v8, vcc_lo
	v_lshlrev_b64 v[7:8], 3, v[15:16]
	v_ashrrev_i32_e32 v18, 31, v17
	v_add_nc_u32_e32 v15, s1, v17
	v_add_co_u32 v59, vcc_lo, s4, v13
	v_add_co_ci_u32_e32 v60, vcc_lo, s5, v14, vcc_lo
	s_delay_alu instid0(VALU_DEP_4) | instskip(NEXT) | instid1(VALU_DEP_4)
	v_lshlrev_b64 v[13:14], 3, v[17:18]
	v_ashrrev_i32_e32 v16, 31, v15
	v_add_nc_u32_e32 v17, s1, v15
	v_add_co_u32 v61, vcc_lo, s4, v7
	v_add_co_ci_u32_e32 v62, vcc_lo, s5, v8, vcc_lo
	s_delay_alu instid0(VALU_DEP_4) | instskip(NEXT) | instid1(VALU_DEP_4)
	v_lshlrev_b64 v[7:8], 3, v[15:16]
	v_ashrrev_i32_e32 v18, 31, v17
	v_add_nc_u32_e32 v15, s1, v17
	v_add_co_u32 v63, vcc_lo, s4, v13
	v_add_co_ci_u32_e32 v64, vcc_lo, s5, v14, vcc_lo
	s_delay_alu instid0(VALU_DEP_4) | instskip(NEXT) | instid1(VALU_DEP_4)
	v_lshlrev_b64 v[13:14], 3, v[17:18]
	v_ashrrev_i32_e32 v16, 31, v15
	v_add_nc_u32_e32 v17, s1, v15
	v_add_co_u32 v65, vcc_lo, s4, v7
	v_add_co_ci_u32_e32 v66, vcc_lo, s5, v8, vcc_lo
	s_delay_alu instid0(VALU_DEP_4) | instskip(NEXT) | instid1(VALU_DEP_4)
	v_lshlrev_b64 v[7:8], 3, v[15:16]
	v_ashrrev_i32_e32 v18, 31, v17
	v_add_nc_u32_e32 v15, s1, v17
	v_add_co_u32 v67, vcc_lo, s4, v13
	v_add_co_ci_u32_e32 v68, vcc_lo, s5, v14, vcc_lo
	s_delay_alu instid0(VALU_DEP_4) | instskip(NEXT) | instid1(VALU_DEP_4)
	v_lshlrev_b64 v[13:14], 3, v[17:18]
	v_ashrrev_i32_e32 v16, 31, v15
	v_add_nc_u32_e32 v17, s1, v15
	v_add_co_u32 v69, vcc_lo, s4, v7
	v_add_co_ci_u32_e32 v70, vcc_lo, s5, v8, vcc_lo
	s_delay_alu instid0(VALU_DEP_4) | instskip(NEXT) | instid1(VALU_DEP_4)
	v_lshlrev_b64 v[7:8], 3, v[15:16]
	v_ashrrev_i32_e32 v18, 31, v17
	v_add_nc_u32_e32 v15, s1, v17
	v_add_co_u32 v71, vcc_lo, s4, v13
	v_add_co_ci_u32_e32 v72, vcc_lo, s5, v14, vcc_lo
	s_delay_alu instid0(VALU_DEP_4) | instskip(NEXT) | instid1(VALU_DEP_4)
	v_lshlrev_b64 v[13:14], 3, v[17:18]
	v_add_nc_u32_e32 v17, s1, v15
	v_ashrrev_i32_e32 v16, 31, v15
	v_add_co_u32 v73, vcc_lo, s4, v7
	global_load_b64 v[1:2], v147, s[4:5]
	v_ashrrev_i32_e32 v18, 31, v17
	v_add_co_ci_u32_e32 v74, vcc_lo, s5, v8, vcc_lo
	v_lshlrev_b64 v[15:16], 3, v[15:16]
	v_add_co_u32 v75, vcc_lo, s4, v13
	s_clause 0x3
	global_load_b64 v[3:4], v[47:48], off
	global_load_b64 v[9:10], v[49:50], off
	;; [unrolled: 1-line block ×4, first 2 shown]
	v_add_co_ci_u32_e32 v76, vcc_lo, s5, v14, vcc_lo
	v_lshlrev_b64 v[13:14], 3, v[17:18]
	s_clause 0x2
	global_load_b64 v[7:8], v[55:56], off
	global_load_b64 v[148:149], v[57:58], off
	;; [unrolled: 1-line block ×3, first 2 shown]
	v_add_co_u32 v93, vcc_lo, s4, v15
	s_clause 0x1
	global_load_b64 v[152:153], v[61:62], off
	global_load_b64 v[154:155], v[63:64], off
	v_add_co_ci_u32_e32 v94, vcc_lo, s5, v16, vcc_lo
	v_add_co_u32 v89, vcc_lo, s4, v13
	v_add_co_ci_u32_e32 v90, vcc_lo, s5, v14, vcc_lo
	s_clause 0x7
	global_load_b64 v[33:34], v[65:66], off
	global_load_b64 v[35:36], v[67:68], off
	global_load_b64 v[41:42], v[69:70], off
	global_load_b64 v[43:44], v[71:72], off
	global_load_b64 v[37:38], v[73:74], off
	global_load_b64 v[39:40], v[75:76], off
	global_load_b64 v[29:30], v[93:94], off
	global_load_b64 v[31:32], v[89:90], off
	v_add_nc_u32_e32 v19, s1, v17
	s_bitcmp0_b32 s13, 0
	s_delay_alu instid0(VALU_DEP_1) | instskip(SKIP_1) | instid1(VALU_DEP_2)
	v_ashrrev_i32_e32 v20, 31, v19
	v_add_nc_u32_e32 v17, s1, v19
	v_lshlrev_b64 v[15:16], 3, v[19:20]
	s_delay_alu instid0(VALU_DEP_2) | instskip(SKIP_1) | instid1(VALU_DEP_2)
	v_ashrrev_i32_e32 v18, 31, v17
	v_add_nc_u32_e32 v19, s1, v17
	v_lshlrev_b64 v[13:14], 3, v[17:18]
	s_delay_alu instid0(VALU_DEP_2) | instskip(SKIP_3) | instid1(VALU_DEP_4)
	v_add_nc_u32_e32 v17, s1, v19
	v_ashrrev_i32_e32 v20, 31, v19
	v_add_co_u32 v87, vcc_lo, s4, v15
	v_add_co_ci_u32_e32 v88, vcc_lo, s5, v16, vcc_lo
	v_ashrrev_i32_e32 v18, 31, v17
	s_delay_alu instid0(VALU_DEP_4) | instskip(SKIP_2) | instid1(VALU_DEP_4)
	v_lshlrev_b64 v[15:16], 3, v[19:20]
	v_add_co_u32 v83, vcc_lo, s4, v13
	v_add_co_ci_u32_e32 v84, vcc_lo, s5, v14, vcc_lo
	v_lshlrev_b64 v[13:14], 3, v[17:18]
	s_delay_alu instid0(VALU_DEP_4) | instskip(SKIP_1) | instid1(VALU_DEP_3)
	v_add_co_u32 v79, vcc_lo, s4, v15
	v_add_co_ci_u32_e32 v80, vcc_lo, s5, v16, vcc_lo
	v_add_co_u32 v77, vcc_lo, s4, v13
	v_add_nc_u32_e32 v13, s1, v17
	v_add_co_ci_u32_e32 v78, vcc_lo, s5, v14, vcc_lo
	s_clause 0x3
	global_load_b64 v[25:26], v[87:88], off
	global_load_b64 v[27:28], v[83:84], off
	global_load_b64 v[21:22], v[79:80], off
	global_load_b64 v[23:24], v[77:78], off
	v_add_nc_u32_e32 v15, s1, v13
	v_ashrrev_i32_e32 v14, 31, v13
	s_delay_alu instid0(VALU_DEP_2) | instskip(SKIP_1) | instid1(VALU_DEP_3)
	v_add_nc_u32_e32 v17, s1, v15
	v_ashrrev_i32_e32 v16, 31, v15
	v_lshlrev_b64 v[13:14], 3, v[13:14]
	s_delay_alu instid0(VALU_DEP_3) | instskip(SKIP_1) | instid1(VALU_DEP_4)
	v_ashrrev_i32_e32 v18, 31, v17
	v_add_nc_u32_e32 v19, s1, v17
	v_lshlrev_b64 v[15:16], 3, v[15:16]
	s_delay_alu instid0(VALU_DEP_4)
	v_add_co_u32 v81, vcc_lo, s4, v13
	v_add_co_ci_u32_e32 v82, vcc_lo, s5, v14, vcc_lo
	v_lshlrev_b64 v[13:14], 3, v[17:18]
	v_ashrrev_i32_e32 v20, 31, v19
	v_add_nc_u32_e32 v17, s1, v19
	v_add_co_u32 v85, vcc_lo, s4, v15
	v_add_co_ci_u32_e32 v86, vcc_lo, s5, v16, vcc_lo
	s_delay_alu instid0(VALU_DEP_4) | instskip(NEXT) | instid1(VALU_DEP_4)
	v_lshlrev_b64 v[15:16], 3, v[19:20]
	v_add_nc_u32_e32 v19, s1, v17
	v_ashrrev_i32_e32 v18, 31, v17
	v_add_co_u32 v91, vcc_lo, s4, v13
	v_add_co_ci_u32_e32 v92, vcc_lo, s5, v14, vcc_lo
	s_delay_alu instid0(VALU_DEP_4) | instskip(SKIP_3) | instid1(VALU_DEP_4)
	v_add_nc_u32_e32 v99, s1, v19
	v_ashrrev_i32_e32 v20, 31, v19
	v_lshlrev_b64 v[97:98], 3, v[17:18]
	v_add_co_u32 v95, vcc_lo, s4, v15
	v_add_nc_u32_e32 v101, s1, v99
	s_delay_alu instid0(VALU_DEP_4) | instskip(SKIP_2) | instid1(VALU_DEP_4)
	v_lshlrev_b64 v[19:20], 3, v[19:20]
	v_ashrrev_i32_e32 v100, 31, v99
	v_add_co_ci_u32_e32 v96, vcc_lo, s5, v16, vcc_lo
	v_add_nc_u32_e32 v105, s1, v101
	v_add_co_u32 v97, vcc_lo, s4, v97
	v_ashrrev_i32_e32 v102, 31, v101
	v_add_co_ci_u32_e32 v98, vcc_lo, s5, v98, vcc_lo
	s_delay_alu instid0(VALU_DEP_4) | instskip(SKIP_3) | instid1(VALU_DEP_4)
	v_add_nc_u32_e32 v107, s1, v105
	v_lshlrev_b64 v[103:104], 3, v[99:100]
	v_add_co_u32 v99, vcc_lo, s4, v19
	v_add_co_ci_u32_e32 v100, vcc_lo, s5, v20, vcc_lo
	v_add_nc_u32_e32 v109, s1, v107
	v_lshlrev_b64 v[19:20], 3, v[101:102]
	v_ashrrev_i32_e32 v106, 31, v105
	v_add_co_u32 v101, vcc_lo, s4, v103
	s_delay_alu instid0(VALU_DEP_4) | instskip(SKIP_3) | instid1(VALU_DEP_4)
	v_add_nc_u32_e32 v111, s1, v109
	v_ashrrev_i32_e32 v108, 31, v107
	v_add_co_ci_u32_e32 v102, vcc_lo, s5, v104, vcc_lo
	v_lshlrev_b64 v[105:106], 3, v[105:106]
	v_add_nc_u32_e32 v113, s1, v111
	v_add_co_u32 v103, vcc_lo, s4, v19
	v_add_co_ci_u32_e32 v104, vcc_lo, s5, v20, vcc_lo
	s_delay_alu instid0(VALU_DEP_3) | instskip(SKIP_3) | instid1(VALU_DEP_4)
	v_add_nc_u32_e32 v115, s1, v113
	v_lshlrev_b64 v[19:20], 3, v[107:108]
	v_ashrrev_i32_e32 v110, 31, v109
	v_add_co_u32 v105, vcc_lo, s4, v105
	v_add_nc_u32_e32 v117, s1, v115
	v_ashrrev_i32_e32 v112, 31, v111
	v_add_co_ci_u32_e32 v106, vcc_lo, s5, v106, vcc_lo
	v_lshlrev_b64 v[109:110], 3, v[109:110]
	s_delay_alu instid0(VALU_DEP_4) | instskip(SKIP_2) | instid1(VALU_DEP_3)
	v_add_nc_u32_e32 v119, s1, v117
	v_add_co_u32 v107, vcc_lo, s4, v19
	v_add_co_ci_u32_e32 v108, vcc_lo, s5, v20, vcc_lo
	v_add_nc_u32_e32 v121, s1, v119
	v_lshlrev_b64 v[19:20], 3, v[111:112]
	v_ashrrev_i32_e32 v114, 31, v113
	v_add_co_u32 v109, vcc_lo, s4, v109
	s_delay_alu instid0(VALU_DEP_4) | instskip(SKIP_3) | instid1(VALU_DEP_4)
	v_add_nc_u32_e32 v123, s1, v121
	v_ashrrev_i32_e32 v116, 31, v115
	v_add_co_ci_u32_e32 v110, vcc_lo, s5, v110, vcc_lo
	v_lshlrev_b64 v[113:114], 3, v[113:114]
	v_add_nc_u32_e32 v125, s1, v123
	v_add_co_u32 v111, vcc_lo, s4, v19
	v_add_co_ci_u32_e32 v112, vcc_lo, s5, v20, vcc_lo
	v_lshlrev_b64 v[19:20], 3, v[115:116]
	v_ashrrev_i32_e32 v118, 31, v117
	v_add_nc_u32_e32 v127, s1, v125
	v_add_co_u32 v113, vcc_lo, s4, v113
	v_ashrrev_i32_e32 v120, 31, v119
	v_add_co_ci_u32_e32 v114, vcc_lo, s5, v114, vcc_lo
	v_lshlrev_b64 v[117:118], 3, v[117:118]
	v_add_nc_u32_e32 v129, s1, v127
	v_add_co_u32 v115, vcc_lo, s4, v19
	v_add_co_ci_u32_e32 v116, vcc_lo, s5, v20, vcc_lo
	v_lshlrev_b64 v[19:20], 3, v[119:120]
	v_ashrrev_i32_e32 v122, 31, v121
	v_add_nc_u32_e32 v131, s1, v129
	v_add_co_u32 v117, vcc_lo, s4, v117
	v_ashrrev_i32_e32 v124, 31, v123
	v_add_co_ci_u32_e32 v118, vcc_lo, s5, v118, vcc_lo
	v_lshlrev_b64 v[121:122], 3, v[121:122]
	v_add_co_u32 v119, vcc_lo, s4, v19
	v_add_nc_u32_e32 v133, s1, v131
	v_add_co_ci_u32_e32 v120, vcc_lo, s5, v20, vcc_lo
	v_ashrrev_i32_e32 v126, 31, v125
	v_lshlrev_b64 v[19:20], 3, v[123:124]
	v_add_co_u32 v121, vcc_lo, s4, v121
	v_ashrrev_i32_e32 v128, 31, v127
	v_add_nc_u32_e32 v135, s1, v133
	v_add_co_ci_u32_e32 v122, vcc_lo, s5, v122, vcc_lo
	v_lshlrev_b64 v[125:126], 3, v[125:126]
	v_add_co_u32 v123, vcc_lo, s4, v19
	v_add_co_ci_u32_e32 v124, vcc_lo, s5, v20, vcc_lo
	v_lshlrev_b64 v[19:20], 3, v[127:128]
	v_ashrrev_i32_e32 v130, 31, v129
	v_add_nc_u32_e32 v137, s1, v135
	v_add_co_u32 v125, vcc_lo, s4, v125
	v_ashrrev_i32_e32 v132, 31, v131
	v_add_co_ci_u32_e32 v126, vcc_lo, s5, v126, vcc_lo
	v_lshlrev_b64 v[129:130], 3, v[129:130]
	v_add_co_u32 v127, vcc_lo, s4, v19
	v_add_nc_u32_e32 v139, s1, v137
	v_add_co_ci_u32_e32 v128, vcc_lo, s5, v20, vcc_lo
	v_lshlrev_b64 v[19:20], 3, v[131:132]
	v_ashrrev_i32_e32 v134, 31, v133
	v_add_co_u32 v129, vcc_lo, s4, v129
	v_ashrrev_i32_e32 v136, 31, v135
	v_add_nc_u32_e32 v141, s1, v139
	v_add_co_ci_u32_e32 v130, vcc_lo, s5, v130, vcc_lo
	v_lshlrev_b64 v[133:134], 3, v[133:134]
	v_add_co_u32 v131, vcc_lo, s4, v19
	v_add_co_ci_u32_e32 v132, vcc_lo, s5, v20, vcc_lo
	v_lshlrev_b64 v[19:20], 3, v[135:136]
	v_ashrrev_i32_e32 v138, 31, v137
	v_add_nc_u32_e32 v143, s1, v141
	v_add_co_u32 v133, vcc_lo, s4, v133
	v_ashrrev_i32_e32 v140, 31, v139
	v_add_co_ci_u32_e32 v134, vcc_lo, s5, v134, vcc_lo
	v_lshlrev_b64 v[137:138], 3, v[137:138]
	v_add_nc_u32_e32 v145, s1, v143
	v_add_co_u32 v135, vcc_lo, s4, v19
	v_add_co_ci_u32_e32 v136, vcc_lo, s5, v20, vcc_lo
	v_lshlrev_b64 v[19:20], 3, v[139:140]
	v_ashrrev_i32_e32 v142, 31, v141
	v_add_nc_u32_e32 v158, s1, v145
	v_add_co_u32 v137, vcc_lo, s4, v137
	v_ashrrev_i32_e32 v144, 31, v143
	v_add_co_ci_u32_e32 v138, vcc_lo, s5, v138, vcc_lo
	v_lshlrev_b64 v[141:142], 3, v[141:142]
	v_add_co_u32 v139, vcc_lo, s4, v19
	v_ashrrev_i32_e32 v146, 31, v145
	v_add_nc_u32_e32 v162, s1, v158
	v_add_co_ci_u32_e32 v140, vcc_lo, s5, v20, vcc_lo
	v_lshlrev_b64 v[19:20], 3, v[143:144]
	v_ashrrev_i32_e32 v159, 31, v158
	v_add_co_u32 v141, vcc_lo, s4, v141
	v_lshlrev_b64 v[145:146], 3, v[145:146]
	v_add_nc_u32_e32 v164, s1, v162
	v_add_co_ci_u32_e32 v142, vcc_lo, s5, v142, vcc_lo
	v_add_co_u32 v143, vcc_lo, s4, v19
	v_lshlrev_b64 v[158:159], 3, v[158:159]
	s_clause 0x2
	global_load_b64 v[13:14], v[81:82], off
	global_load_b64 v[15:16], v[85:86], off
	;; [unrolled: 1-line block ×3, first 2 shown]
	v_add_co_ci_u32_e32 v144, vcc_lo, s5, v20, vcc_lo
	v_add_nc_u32_e32 v166, s1, v164
	v_ashrrev_i32_e32 v163, 31, v162
	v_ashrrev_i32_e32 v165, 31, v164
	s_delay_alu instid0(VALU_DEP_3)
	v_ashrrev_i32_e32 v167, 31, v166
	s_waitcnt vmcnt(23)
	scratch_store_b128 off, v[1:4], off
	s_clause 0x3
	global_load_b64 v[19:20], v[95:96], off
	global_load_b64 v[1:2], v[97:98], off
	;; [unrolled: 1-line block ×4, first 2 shown]
	s_waitcnt vmcnt(25)
	scratch_store_b128 off, v[9:12], off offset:16
	v_add_co_u32 v9, vcc_lo, s4, v145
	v_add_co_ci_u32_e32 v10, vcc_lo, s5, v146, vcc_lo
	v_add_co_u32 v11, vcc_lo, s4, v158
	s_waitcnt vmcnt(23)
	scratch_store_b128 off, v[5:8], off offset:32
	s_waitcnt vmcnt(21)
	scratch_store_b128 off, v[148:151], off offset:48
	v_add_co_ci_u32_e32 v12, vcc_lo, s5, v159, vcc_lo
	s_clause 0x3
	global_load_b64 v[158:159], v[103:104], off
	global_load_b64 v[148:149], v[105:106], off
	;; [unrolled: 1-line block ×4, first 2 shown]
	s_waitcnt vmcnt(23)
	scratch_store_b128 off, v[152:155], off offset:64
	v_add_nc_u32_e32 v154, s1, v166
	s_waitcnt vmcnt(21)
	scratch_store_b128 off, v[33:36], off offset:80
	s_waitcnt vmcnt(19)
	scratch_store_b128 off, v[41:44], off offset:96
	v_lshlrev_b64 v[6:7], 3, v[162:163]
	v_ashrrev_i32_e32 v155, 31, v154
	s_clause 0x3
	global_load_b64 v[162:163], v[111:112], off
	global_load_b64 v[41:42], v[113:114], off
	;; [unrolled: 1-line block ×4, first 2 shown]
	s_waitcnt vmcnt(21)
	scratch_store_b128 off, v[37:40], off offset:112
	s_waitcnt vmcnt(19)
	scratch_store_b128 off, v[29:32], off offset:128
	v_lshlrev_b64 v[145:146], 3, v[164:165]
	v_add_nc_u32_e32 v164, s1, v154
	v_lshlrev_b64 v[35:36], 3, v[154:155]
	s_clause 0x2
	global_load_b64 v[154:155], v[119:120], off
	global_load_b64 v[37:38], v[121:122], off
	global_load_b64 v[39:40], v[123:124], off
	v_lshlrev_b64 v[33:34], 3, v[166:167]
	v_add_co_u32 v6, vcc_lo, s4, v6
	v_add_nc_u32_e32 v166, s1, v164
	v_ashrrev_i32_e32 v165, 31, v164
	v_add_co_ci_u32_e32 v7, vcc_lo, s5, v7, vcc_lo
	v_add_co_u32 v145, vcc_lo, s4, v145
	s_delay_alu instid0(VALU_DEP_4)
	v_add_nc_u32_e32 v168, s1, v166
	v_ashrrev_i32_e32 v167, 31, v166
	v_add_co_ci_u32_e32 v146, vcc_lo, s5, v146, vcc_lo
	v_add_co_u32 v33, vcc_lo, s4, v33
	v_lshlrev_b64 v[29:30], 3, v[164:165]
	v_ashrrev_i32_e32 v169, 31, v168
	v_add_co_ci_u32_e32 v34, vcc_lo, s5, v34, vcc_lo
	v_add_co_u32 v35, vcc_lo, s4, v35
	v_lshlrev_b64 v[31:32], 3, v[166:167]
	v_add_co_ci_u32_e32 v36, vcc_lo, s5, v36, vcc_lo
	s_waitcnt vmcnt(20)
	scratch_store_b128 off, v[25:28], off offset:144
	v_add_nc_u32_e32 v27, s1, v168
	s_waitcnt vmcnt(18)
	scratch_store_b128 off, v[21:24], off offset:160
	v_add_co_u32 v21, vcc_lo, s4, v29
	v_lshlrev_b64 v[23:24], 3, v[168:169]
	v_add_nc_u32_e32 v164, s1, v27
	v_ashrrev_i32_e32 v28, 31, v27
	v_add_co_ci_u32_e32 v22, vcc_lo, s5, v30, vcc_lo
	v_add_co_u32 v25, vcc_lo, s4, v31
	s_delay_alu instid0(VALU_DEP_4) | instskip(NEXT) | instid1(VALU_DEP_4)
	v_ashrrev_i32_e32 v165, 31, v164
	v_lshlrev_b64 v[27:28], 3, v[27:28]
	v_add_co_ci_u32_e32 v26, vcc_lo, s5, v32, vcc_lo
	v_add_co_u32 v29, vcc_lo, s4, v23
	s_delay_alu instid0(VALU_DEP_4) | instskip(SKIP_3) | instid1(VALU_DEP_4)
	v_lshlrev_b64 v[31:32], 3, v[164:165]
	v_add_co_ci_u32_e32 v30, vcc_lo, s5, v24, vcc_lo
	v_add_co_u32 v23, vcc_lo, s4, v27
	v_add_co_ci_u32_e32 v24, vcc_lo, s5, v28, vcc_lo
	v_add_co_u32 v27, vcc_lo, s4, v31
	v_add_co_ci_u32_e32 v28, vcc_lo, s5, v32, vcc_lo
	s_clause 0x1
	global_load_b64 v[164:165], v[125:126], off
	global_load_b64 v[166:167], v[127:128], off
	s_mov_b32 s1, -1
	s_waitcnt vmcnt(18)
	scratch_store_b128 off, v[13:16], off offset:176
	s_waitcnt vmcnt(16)
	scratch_store_b128 off, v[17:20], off offset:192
	s_clause 0x2
	global_load_b64 v[13:14], v[129:130], off
	global_load_b64 v[15:16], v[131:132], off
	global_load_b64 v[17:18], v[133:134], off
	s_waitcnt vmcnt(17)
	scratch_store_b128 off, v[1:4], off offset:208
	s_waitcnt vmcnt(15)
	scratch_store_b128 off, v[156:159], off offset:224
	s_clause 0x3
	global_load_b64 v[19:20], v[135:136], off
	global_load_b64 v[1:2], v[137:138], off
	global_load_b64 v[3:4], v[139:140], off
	global_load_b64 v[156:157], v[141:142], off
	s_waitcnt vmcnt(17)
	scratch_store_b128 off, v[148:151], off offset:240
	s_waitcnt vmcnt(15)
	scratch_store_b128 off, v[160:163], off offset:256
	s_clause 0x3
	global_load_b64 v[158:159], v[143:144], off
	;; [unrolled: 9-line block ×3, first 2 shown]
	global_load_b64 v[41:42], v[33:34], off
	global_load_b64 v[43:44], v[35:36], off
	;; [unrolled: 1-line block ×3, first 2 shown]
	s_waitcnt vmcnt(17)
	scratch_store_b128 off, v[37:40], off offset:304
	s_clause 0x3
	global_load_b64 v[154:155], v[25:26], off
	global_load_b64 v[37:38], v[29:30], off
	global_load_b64 v[39:40], v[23:24], off
	global_load_b64 v[31:32], v[27:28], off
	s_waitcnt vmcnt(19)
	scratch_store_b128 off, v[164:167], off offset:320
	s_waitcnt vmcnt(17)
	scratch_store_b128 off, v[13:16], off offset:336
	;; [unrolled: 2-line block ×10, first 2 shown]
	s_waitcnt vmcnt(0)
	scratch_store_b64 off, v[31:32], off offset:480
	s_cbranch_scc1 .LBB124_252
; %bb.4:
	v_cmp_eq_u32_e64 s0, 0, v0
	s_delay_alu instid0(VALU_DEP_1)
	s_and_saveexec_b32 s1, s0
	s_cbranch_execz .LBB124_6
; %bb.5:
	v_mov_b32_e32 v1, 0
	ds_store_b32 v1, v1 offset:488
.LBB124_6:
	s_or_b32 exec_lo, exec_lo, s1
	s_waitcnt lgkmcnt(0)
	s_waitcnt_vscnt null, 0x0
	s_barrier
	buffer_gl0_inv
	scratch_load_b64 v[1:2], v147, off
	s_mov_b32 s4, exec_lo
	s_waitcnt vmcnt(0)
	v_cmpx_eq_f64_e32 0, v[1:2]
	s_cbranch_execz .LBB124_10
; %bb.7:
	v_mov_b32_e32 v1, 0
	s_mov_b32 s5, 0
	ds_load_b32 v2, v1 offset:488
	s_waitcnt lgkmcnt(0)
	v_readfirstlane_b32 s1, v2
	v_add_nc_u32_e32 v2, 1, v0
	s_delay_alu instid0(VALU_DEP_2) | instskip(NEXT) | instid1(VALU_DEP_1)
	s_cmp_eq_u32 s1, 0
	v_cmp_gt_i32_e32 vcc_lo, s1, v2
	s_cselect_b32 s10, -1, 0
	s_delay_alu instid0(SALU_CYCLE_1) | instskip(NEXT) | instid1(SALU_CYCLE_1)
	s_or_b32 s10, s10, vcc_lo
	s_and_b32 exec_lo, exec_lo, s10
	s_cbranch_execz .LBB124_10
; %bb.8:
	v_mov_b32_e32 v3, s1
.LBB124_9:                              ; =>This Inner Loop Header: Depth=1
	ds_cmpstore_rtn_b32 v3, v1, v2, v3 offset:488
	s_waitcnt lgkmcnt(0)
	v_cmp_ne_u32_e32 vcc_lo, 0, v3
	v_cmp_le_i32_e64 s1, v3, v2
	s_delay_alu instid0(VALU_DEP_1) | instskip(NEXT) | instid1(SALU_CYCLE_1)
	s_and_b32 s1, vcc_lo, s1
	s_and_b32 s1, exec_lo, s1
	s_delay_alu instid0(SALU_CYCLE_1) | instskip(NEXT) | instid1(SALU_CYCLE_1)
	s_or_b32 s5, s1, s5
	s_and_not1_b32 exec_lo, exec_lo, s5
	s_cbranch_execnz .LBB124_9
.LBB124_10:
	s_or_b32 exec_lo, exec_lo, s4
	v_mov_b32_e32 v1, 0
	s_barrier
	buffer_gl0_inv
	ds_load_b32 v2, v1 offset:488
	s_and_saveexec_b32 s1, s0
	s_cbranch_execz .LBB124_12
; %bb.11:
	s_lshl_b64 s[4:5], s[8:9], 2
	s_delay_alu instid0(SALU_CYCLE_1)
	s_add_u32 s4, s6, s4
	s_addc_u32 s5, s7, s5
	s_waitcnt lgkmcnt(0)
	global_store_b32 v1, v2, s[4:5]
.LBB124_12:
	s_or_b32 exec_lo, exec_lo, s1
	s_waitcnt lgkmcnt(0)
	v_cmp_ne_u32_e32 vcc_lo, 0, v2
	s_mov_b32 s1, 0
	s_cbranch_vccnz .LBB124_252
; %bb.13:
	v_add_nc_u32_e32 v3, 0, v147
	scratch_load_b64 v[1:2], v3, off
	s_waitcnt vmcnt(0)
	v_div_scale_f64 v[4:5], null, v[1:2], v[1:2], 1.0
	v_div_scale_f64 v[17:18], vcc_lo, 1.0, v[1:2], 1.0
	s_delay_alu instid0(VALU_DEP_2) | instskip(SKIP_2) | instid1(VALU_DEP_1)
	v_rcp_f64_e32 v[13:14], v[4:5]
	s_waitcnt_depctr 0xfff
	v_fma_f64 v[15:16], -v[4:5], v[13:14], 1.0
	v_fma_f64 v[13:14], v[13:14], v[15:16], v[13:14]
	s_delay_alu instid0(VALU_DEP_1) | instskip(NEXT) | instid1(VALU_DEP_1)
	v_fma_f64 v[15:16], -v[4:5], v[13:14], 1.0
	v_fma_f64 v[13:14], v[13:14], v[15:16], v[13:14]
	s_delay_alu instid0(VALU_DEP_1) | instskip(NEXT) | instid1(VALU_DEP_1)
	v_mul_f64 v[15:16], v[17:18], v[13:14]
	v_fma_f64 v[4:5], -v[4:5], v[15:16], v[17:18]
	s_delay_alu instid0(VALU_DEP_1) | instskip(NEXT) | instid1(VALU_DEP_1)
	v_div_fmas_f64 v[4:5], v[4:5], v[13:14], v[15:16]
	v_div_fixup_f64 v[1:2], v[4:5], v[1:2], 1.0
	v_add_nc_u32_e32 v4, 0x1f0, v147
	scratch_store_b64 v3, v[1:2], off
	scratch_load_b64 v[13:14], off, off offset:8
	v_xor_b32_e32 v2, 0x80000000, v2
	s_waitcnt vmcnt(0)
	ds_store_2addr_b64 v147, v[1:2], v[13:14] offset1:62
	s_waitcnt lgkmcnt(0)
	s_waitcnt_vscnt null, 0x0
	s_barrier
	buffer_gl0_inv
	s_and_saveexec_b32 s1, s0
	s_cbranch_execz .LBB124_15
; %bb.14:
	scratch_load_b64 v[1:2], v3, off
	ds_load_b64 v[13:14], v4
	v_mov_b32_e32 v5, 0
	s_waitcnt vmcnt(0) lgkmcnt(0)
	v_fma_f64 v[1:2], v[1:2], v[13:14], 0
	ds_load_b64 v[13:14], v5 offset:8
	s_waitcnt lgkmcnt(0)
	v_mul_f64 v[1:2], v[1:2], v[13:14]
	scratch_store_b64 off, v[1:2], off offset:8
.LBB124_15:
	s_or_b32 exec_lo, exec_lo, s1
	s_waitcnt_vscnt null, 0x0
	s_barrier
	buffer_gl0_inv
	scratch_load_b64 v[1:2], off, off offset:16
	s_mov_b32 s1, exec_lo
	s_waitcnt vmcnt(0)
	ds_store_b64 v4, v[1:2]
	s_waitcnt lgkmcnt(0)
	s_barrier
	buffer_gl0_inv
	v_cmpx_gt_u32_e32 2, v0
	s_cbranch_execz .LBB124_19
; %bb.16:
	scratch_load_b64 v[1:2], v3, off
	ds_load_b64 v[13:14], v4
	s_waitcnt vmcnt(0) lgkmcnt(0)
	v_fma_f64 v[1:2], v[1:2], v[13:14], 0
	s_and_saveexec_b32 s4, s0
	s_cbranch_execz .LBB124_18
; %bb.17:
	scratch_load_b64 v[13:14], off, off offset:8
	v_mov_b32_e32 v5, 0
	ds_load_b64 v[15:16], v5 offset:504
	s_waitcnt vmcnt(0) lgkmcnt(0)
	v_fma_f64 v[1:2], v[13:14], v[15:16], v[1:2]
.LBB124_18:
	s_or_b32 exec_lo, exec_lo, s4
	v_mov_b32_e32 v5, 0
	ds_load_b64 v[13:14], v5 offset:16
	s_waitcnt lgkmcnt(0)
	v_mul_f64 v[1:2], v[1:2], v[13:14]
	scratch_store_b64 off, v[1:2], off offset:16
.LBB124_19:
	s_or_b32 exec_lo, exec_lo, s1
	s_waitcnt_vscnt null, 0x0
	s_barrier
	buffer_gl0_inv
	scratch_load_b64 v[1:2], off, off offset:24
	v_add_nc_u32_e32 v5, -1, v0
	s_mov_b32 s0, exec_lo
	s_waitcnt vmcnt(0)
	ds_store_b64 v4, v[1:2]
	s_waitcnt lgkmcnt(0)
	s_barrier
	buffer_gl0_inv
	v_cmpx_gt_u32_e32 3, v0
	s_cbranch_execz .LBB124_23
; %bb.20:
	v_dual_mov_b32 v1, 0 :: v_dual_add_nc_u32 v8, -1, v0
	v_dual_mov_b32 v2, 0 :: v_dual_add_nc_u32 v13, 0x1f0, v147
	v_add_nc_u32_e32 v14, 0, v147
	s_mov_b32 s1, 0
.LBB124_21:                             ; =>This Inner Loop Header: Depth=1
	scratch_load_b64 v[15:16], v14, off
	ds_load_b64 v[17:18], v13
	v_add_nc_u32_e32 v8, 1, v8
	v_add_nc_u32_e32 v13, 8, v13
	v_add_nc_u32_e32 v14, 8, v14
	s_delay_alu instid0(VALU_DEP_3)
	v_cmp_lt_u32_e32 vcc_lo, 1, v8
	s_or_b32 s1, vcc_lo, s1
	s_waitcnt vmcnt(0) lgkmcnt(0)
	v_fma_f64 v[1:2], v[15:16], v[17:18], v[1:2]
	s_and_not1_b32 exec_lo, exec_lo, s1
	s_cbranch_execnz .LBB124_21
; %bb.22:
	s_or_b32 exec_lo, exec_lo, s1
	v_mov_b32_e32 v8, 0
	ds_load_b64 v[13:14], v8 offset:24
	s_waitcnt lgkmcnt(0)
	v_mul_f64 v[1:2], v[1:2], v[13:14]
	scratch_store_b64 off, v[1:2], off offset:24
.LBB124_23:
	s_or_b32 exec_lo, exec_lo, s0
	s_waitcnt_vscnt null, 0x0
	s_barrier
	buffer_gl0_inv
	scratch_load_b64 v[1:2], off, off offset:32
	s_mov_b32 s0, exec_lo
	s_waitcnt vmcnt(0)
	ds_store_b64 v4, v[1:2]
	s_waitcnt lgkmcnt(0)
	s_barrier
	buffer_gl0_inv
	v_cmpx_gt_u32_e32 4, v0
	s_cbranch_execz .LBB124_27
; %bb.24:
	v_dual_mov_b32 v1, 0 :: v_dual_add_nc_u32 v8, -1, v0
	v_dual_mov_b32 v2, 0 :: v_dual_add_nc_u32 v13, 0x1f0, v147
	v_add_nc_u32_e32 v14, 0, v147
	s_mov_b32 s1, 0
.LBB124_25:                             ; =>This Inner Loop Header: Depth=1
	scratch_load_b64 v[15:16], v14, off
	ds_load_b64 v[17:18], v13
	v_add_nc_u32_e32 v8, 1, v8
	v_add_nc_u32_e32 v13, 8, v13
	v_add_nc_u32_e32 v14, 8, v14
	s_delay_alu instid0(VALU_DEP_3)
	v_cmp_lt_u32_e32 vcc_lo, 2, v8
	s_or_b32 s1, vcc_lo, s1
	s_waitcnt vmcnt(0) lgkmcnt(0)
	v_fma_f64 v[1:2], v[15:16], v[17:18], v[1:2]
	s_and_not1_b32 exec_lo, exec_lo, s1
	s_cbranch_execnz .LBB124_25
; %bb.26:
	s_or_b32 exec_lo, exec_lo, s1
	v_mov_b32_e32 v8, 0
	ds_load_b64 v[13:14], v8 offset:32
	s_waitcnt lgkmcnt(0)
	v_mul_f64 v[1:2], v[1:2], v[13:14]
	scratch_store_b64 off, v[1:2], off offset:32
.LBB124_27:
	s_or_b32 exec_lo, exec_lo, s0
	s_waitcnt_vscnt null, 0x0
	s_barrier
	buffer_gl0_inv
	scratch_load_b64 v[1:2], off, off offset:40
	s_mov_b32 s0, exec_lo
	s_waitcnt vmcnt(0)
	ds_store_b64 v4, v[1:2]
	s_waitcnt lgkmcnt(0)
	s_barrier
	buffer_gl0_inv
	v_cmpx_gt_u32_e32 5, v0
	s_cbranch_execz .LBB124_31
; %bb.28:
	v_dual_mov_b32 v1, 0 :: v_dual_add_nc_u32 v8, -1, v0
	v_dual_mov_b32 v2, 0 :: v_dual_add_nc_u32 v13, 0x1f0, v147
	v_add_nc_u32_e32 v14, 0, v147
	s_mov_b32 s1, 0
.LBB124_29:                             ; =>This Inner Loop Header: Depth=1
	scratch_load_b64 v[15:16], v14, off
	ds_load_b64 v[17:18], v13
	v_add_nc_u32_e32 v8, 1, v8
	v_add_nc_u32_e32 v13, 8, v13
	v_add_nc_u32_e32 v14, 8, v14
	s_delay_alu instid0(VALU_DEP_3)
	v_cmp_lt_u32_e32 vcc_lo, 3, v8
	s_or_b32 s1, vcc_lo, s1
	s_waitcnt vmcnt(0) lgkmcnt(0)
	v_fma_f64 v[1:2], v[15:16], v[17:18], v[1:2]
	s_and_not1_b32 exec_lo, exec_lo, s1
	s_cbranch_execnz .LBB124_29
; %bb.30:
	s_or_b32 exec_lo, exec_lo, s1
	v_mov_b32_e32 v8, 0
	ds_load_b64 v[13:14], v8 offset:40
	s_waitcnt lgkmcnt(0)
	v_mul_f64 v[1:2], v[1:2], v[13:14]
	scratch_store_b64 off, v[1:2], off offset:40
.LBB124_31:
	s_or_b32 exec_lo, exec_lo, s0
	s_waitcnt_vscnt null, 0x0
	s_barrier
	buffer_gl0_inv
	scratch_load_b64 v[1:2], off, off offset:48
	s_mov_b32 s0, exec_lo
	s_waitcnt vmcnt(0)
	ds_store_b64 v4, v[1:2]
	s_waitcnt lgkmcnt(0)
	s_barrier
	buffer_gl0_inv
	v_cmpx_gt_u32_e32 6, v0
	s_cbranch_execz .LBB124_35
; %bb.32:
	v_dual_mov_b32 v1, 0 :: v_dual_add_nc_u32 v8, -1, v0
	v_dual_mov_b32 v2, 0 :: v_dual_add_nc_u32 v13, 0x1f0, v147
	v_add_nc_u32_e32 v14, 0, v147
	s_mov_b32 s1, 0
.LBB124_33:                             ; =>This Inner Loop Header: Depth=1
	scratch_load_b64 v[15:16], v14, off
	ds_load_b64 v[17:18], v13
	v_add_nc_u32_e32 v8, 1, v8
	v_add_nc_u32_e32 v13, 8, v13
	v_add_nc_u32_e32 v14, 8, v14
	s_delay_alu instid0(VALU_DEP_3)
	v_cmp_lt_u32_e32 vcc_lo, 4, v8
	s_or_b32 s1, vcc_lo, s1
	s_waitcnt vmcnt(0) lgkmcnt(0)
	v_fma_f64 v[1:2], v[15:16], v[17:18], v[1:2]
	s_and_not1_b32 exec_lo, exec_lo, s1
	s_cbranch_execnz .LBB124_33
; %bb.34:
	s_or_b32 exec_lo, exec_lo, s1
	v_mov_b32_e32 v8, 0
	ds_load_b64 v[13:14], v8 offset:48
	s_waitcnt lgkmcnt(0)
	v_mul_f64 v[1:2], v[1:2], v[13:14]
	scratch_store_b64 off, v[1:2], off offset:48
.LBB124_35:
	s_or_b32 exec_lo, exec_lo, s0
	s_waitcnt_vscnt null, 0x0
	s_barrier
	buffer_gl0_inv
	scratch_load_b64 v[1:2], off, off offset:56
	s_mov_b32 s0, exec_lo
	s_waitcnt vmcnt(0)
	ds_store_b64 v4, v[1:2]
	s_waitcnt lgkmcnt(0)
	s_barrier
	buffer_gl0_inv
	v_cmpx_gt_u32_e32 7, v0
	s_cbranch_execz .LBB124_39
; %bb.36:
	v_dual_mov_b32 v1, 0 :: v_dual_add_nc_u32 v8, -1, v0
	v_dual_mov_b32 v2, 0 :: v_dual_add_nc_u32 v13, 0x1f0, v147
	v_add_nc_u32_e32 v14, 0, v147
	s_mov_b32 s1, 0
.LBB124_37:                             ; =>This Inner Loop Header: Depth=1
	scratch_load_b64 v[15:16], v14, off
	ds_load_b64 v[17:18], v13
	v_add_nc_u32_e32 v8, 1, v8
	v_add_nc_u32_e32 v13, 8, v13
	v_add_nc_u32_e32 v14, 8, v14
	s_delay_alu instid0(VALU_DEP_3)
	v_cmp_lt_u32_e32 vcc_lo, 5, v8
	s_or_b32 s1, vcc_lo, s1
	s_waitcnt vmcnt(0) lgkmcnt(0)
	v_fma_f64 v[1:2], v[15:16], v[17:18], v[1:2]
	s_and_not1_b32 exec_lo, exec_lo, s1
	s_cbranch_execnz .LBB124_37
; %bb.38:
	s_or_b32 exec_lo, exec_lo, s1
	v_mov_b32_e32 v8, 0
	ds_load_b64 v[13:14], v8 offset:56
	s_waitcnt lgkmcnt(0)
	v_mul_f64 v[1:2], v[1:2], v[13:14]
	scratch_store_b64 off, v[1:2], off offset:56
.LBB124_39:
	s_or_b32 exec_lo, exec_lo, s0
	s_waitcnt_vscnt null, 0x0
	s_barrier
	buffer_gl0_inv
	scratch_load_b64 v[1:2], off, off offset:64
	s_mov_b32 s0, exec_lo
	s_waitcnt vmcnt(0)
	ds_store_b64 v4, v[1:2]
	s_waitcnt lgkmcnt(0)
	s_barrier
	buffer_gl0_inv
	v_cmpx_gt_u32_e32 8, v0
	s_cbranch_execz .LBB124_43
; %bb.40:
	v_dual_mov_b32 v1, 0 :: v_dual_add_nc_u32 v8, -1, v0
	v_dual_mov_b32 v2, 0 :: v_dual_add_nc_u32 v13, 0x1f0, v147
	v_add_nc_u32_e32 v14, 0, v147
	s_mov_b32 s1, 0
.LBB124_41:                             ; =>This Inner Loop Header: Depth=1
	scratch_load_b64 v[15:16], v14, off
	ds_load_b64 v[17:18], v13
	v_add_nc_u32_e32 v8, 1, v8
	v_add_nc_u32_e32 v13, 8, v13
	v_add_nc_u32_e32 v14, 8, v14
	s_delay_alu instid0(VALU_DEP_3)
	v_cmp_lt_u32_e32 vcc_lo, 6, v8
	s_or_b32 s1, vcc_lo, s1
	s_waitcnt vmcnt(0) lgkmcnt(0)
	v_fma_f64 v[1:2], v[15:16], v[17:18], v[1:2]
	s_and_not1_b32 exec_lo, exec_lo, s1
	s_cbranch_execnz .LBB124_41
; %bb.42:
	s_or_b32 exec_lo, exec_lo, s1
	v_mov_b32_e32 v8, 0
	ds_load_b64 v[13:14], v8 offset:64
	s_waitcnt lgkmcnt(0)
	v_mul_f64 v[1:2], v[1:2], v[13:14]
	scratch_store_b64 off, v[1:2], off offset:64
.LBB124_43:
	s_or_b32 exec_lo, exec_lo, s0
	s_waitcnt_vscnt null, 0x0
	s_barrier
	buffer_gl0_inv
	scratch_load_b64 v[1:2], off, off offset:72
	s_mov_b32 s0, exec_lo
	s_waitcnt vmcnt(0)
	ds_store_b64 v4, v[1:2]
	s_waitcnt lgkmcnt(0)
	s_barrier
	buffer_gl0_inv
	v_cmpx_gt_u32_e32 9, v0
	s_cbranch_execz .LBB124_47
; %bb.44:
	v_dual_mov_b32 v1, 0 :: v_dual_add_nc_u32 v8, -1, v0
	v_dual_mov_b32 v2, 0 :: v_dual_add_nc_u32 v13, 0x1f0, v147
	v_add_nc_u32_e32 v14, 0, v147
	s_mov_b32 s1, 0
.LBB124_45:                             ; =>This Inner Loop Header: Depth=1
	scratch_load_b64 v[15:16], v14, off
	ds_load_b64 v[17:18], v13
	v_add_nc_u32_e32 v8, 1, v8
	v_add_nc_u32_e32 v13, 8, v13
	v_add_nc_u32_e32 v14, 8, v14
	s_delay_alu instid0(VALU_DEP_3)
	v_cmp_lt_u32_e32 vcc_lo, 7, v8
	s_or_b32 s1, vcc_lo, s1
	s_waitcnt vmcnt(0) lgkmcnt(0)
	v_fma_f64 v[1:2], v[15:16], v[17:18], v[1:2]
	s_and_not1_b32 exec_lo, exec_lo, s1
	s_cbranch_execnz .LBB124_45
; %bb.46:
	s_or_b32 exec_lo, exec_lo, s1
	v_mov_b32_e32 v8, 0
	ds_load_b64 v[13:14], v8 offset:72
	s_waitcnt lgkmcnt(0)
	v_mul_f64 v[1:2], v[1:2], v[13:14]
	scratch_store_b64 off, v[1:2], off offset:72
.LBB124_47:
	s_or_b32 exec_lo, exec_lo, s0
	s_waitcnt_vscnt null, 0x0
	s_barrier
	buffer_gl0_inv
	scratch_load_b64 v[1:2], off, off offset:80
	s_mov_b32 s0, exec_lo
	s_waitcnt vmcnt(0)
	ds_store_b64 v4, v[1:2]
	s_waitcnt lgkmcnt(0)
	s_barrier
	buffer_gl0_inv
	v_cmpx_gt_u32_e32 10, v0
	s_cbranch_execz .LBB124_51
; %bb.48:
	v_dual_mov_b32 v1, 0 :: v_dual_add_nc_u32 v8, -1, v0
	v_dual_mov_b32 v2, 0 :: v_dual_add_nc_u32 v13, 0x1f0, v147
	v_add_nc_u32_e32 v14, 0, v147
	s_mov_b32 s1, 0
.LBB124_49:                             ; =>This Inner Loop Header: Depth=1
	scratch_load_b64 v[15:16], v14, off
	ds_load_b64 v[17:18], v13
	v_add_nc_u32_e32 v8, 1, v8
	v_add_nc_u32_e32 v13, 8, v13
	v_add_nc_u32_e32 v14, 8, v14
	s_delay_alu instid0(VALU_DEP_3)
	v_cmp_lt_u32_e32 vcc_lo, 8, v8
	s_or_b32 s1, vcc_lo, s1
	s_waitcnt vmcnt(0) lgkmcnt(0)
	v_fma_f64 v[1:2], v[15:16], v[17:18], v[1:2]
	s_and_not1_b32 exec_lo, exec_lo, s1
	s_cbranch_execnz .LBB124_49
; %bb.50:
	s_or_b32 exec_lo, exec_lo, s1
	v_mov_b32_e32 v8, 0
	ds_load_b64 v[13:14], v8 offset:80
	s_waitcnt lgkmcnt(0)
	v_mul_f64 v[1:2], v[1:2], v[13:14]
	scratch_store_b64 off, v[1:2], off offset:80
.LBB124_51:
	s_or_b32 exec_lo, exec_lo, s0
	s_waitcnt_vscnt null, 0x0
	s_barrier
	buffer_gl0_inv
	scratch_load_b64 v[1:2], off, off offset:88
	s_mov_b32 s0, exec_lo
	s_waitcnt vmcnt(0)
	ds_store_b64 v4, v[1:2]
	s_waitcnt lgkmcnt(0)
	s_barrier
	buffer_gl0_inv
	v_cmpx_gt_u32_e32 11, v0
	s_cbranch_execz .LBB124_55
; %bb.52:
	v_dual_mov_b32 v1, 0 :: v_dual_add_nc_u32 v8, -1, v0
	v_dual_mov_b32 v2, 0 :: v_dual_add_nc_u32 v13, 0x1f0, v147
	v_add_nc_u32_e32 v14, 0, v147
	s_mov_b32 s1, 0
.LBB124_53:                             ; =>This Inner Loop Header: Depth=1
	scratch_load_b64 v[15:16], v14, off
	ds_load_b64 v[17:18], v13
	v_add_nc_u32_e32 v8, 1, v8
	v_add_nc_u32_e32 v13, 8, v13
	v_add_nc_u32_e32 v14, 8, v14
	s_delay_alu instid0(VALU_DEP_3)
	v_cmp_lt_u32_e32 vcc_lo, 9, v8
	s_or_b32 s1, vcc_lo, s1
	s_waitcnt vmcnt(0) lgkmcnt(0)
	v_fma_f64 v[1:2], v[15:16], v[17:18], v[1:2]
	s_and_not1_b32 exec_lo, exec_lo, s1
	s_cbranch_execnz .LBB124_53
; %bb.54:
	s_or_b32 exec_lo, exec_lo, s1
	v_mov_b32_e32 v8, 0
	ds_load_b64 v[13:14], v8 offset:88
	s_waitcnt lgkmcnt(0)
	v_mul_f64 v[1:2], v[1:2], v[13:14]
	scratch_store_b64 off, v[1:2], off offset:88
.LBB124_55:
	s_or_b32 exec_lo, exec_lo, s0
	s_waitcnt_vscnt null, 0x0
	s_barrier
	buffer_gl0_inv
	scratch_load_b64 v[1:2], off, off offset:96
	s_mov_b32 s0, exec_lo
	s_waitcnt vmcnt(0)
	ds_store_b64 v4, v[1:2]
	s_waitcnt lgkmcnt(0)
	s_barrier
	buffer_gl0_inv
	v_cmpx_gt_u32_e32 12, v0
	s_cbranch_execz .LBB124_59
; %bb.56:
	v_dual_mov_b32 v1, 0 :: v_dual_add_nc_u32 v8, -1, v0
	v_dual_mov_b32 v2, 0 :: v_dual_add_nc_u32 v13, 0x1f0, v147
	v_add_nc_u32_e32 v14, 0, v147
	s_mov_b32 s1, 0
.LBB124_57:                             ; =>This Inner Loop Header: Depth=1
	scratch_load_b64 v[15:16], v14, off
	ds_load_b64 v[17:18], v13
	v_add_nc_u32_e32 v8, 1, v8
	v_add_nc_u32_e32 v13, 8, v13
	v_add_nc_u32_e32 v14, 8, v14
	s_delay_alu instid0(VALU_DEP_3)
	v_cmp_lt_u32_e32 vcc_lo, 10, v8
	s_or_b32 s1, vcc_lo, s1
	s_waitcnt vmcnt(0) lgkmcnt(0)
	v_fma_f64 v[1:2], v[15:16], v[17:18], v[1:2]
	s_and_not1_b32 exec_lo, exec_lo, s1
	s_cbranch_execnz .LBB124_57
; %bb.58:
	s_or_b32 exec_lo, exec_lo, s1
	v_mov_b32_e32 v8, 0
	ds_load_b64 v[13:14], v8 offset:96
	s_waitcnt lgkmcnt(0)
	v_mul_f64 v[1:2], v[1:2], v[13:14]
	scratch_store_b64 off, v[1:2], off offset:96
.LBB124_59:
	s_or_b32 exec_lo, exec_lo, s0
	s_waitcnt_vscnt null, 0x0
	s_barrier
	buffer_gl0_inv
	scratch_load_b64 v[1:2], off, off offset:104
	s_mov_b32 s0, exec_lo
	s_waitcnt vmcnt(0)
	ds_store_b64 v4, v[1:2]
	s_waitcnt lgkmcnt(0)
	s_barrier
	buffer_gl0_inv
	v_cmpx_gt_u32_e32 13, v0
	s_cbranch_execz .LBB124_63
; %bb.60:
	v_dual_mov_b32 v1, 0 :: v_dual_add_nc_u32 v8, -1, v0
	v_dual_mov_b32 v2, 0 :: v_dual_add_nc_u32 v13, 0x1f0, v147
	v_add_nc_u32_e32 v14, 0, v147
	s_mov_b32 s1, 0
.LBB124_61:                             ; =>This Inner Loop Header: Depth=1
	scratch_load_b64 v[15:16], v14, off
	ds_load_b64 v[17:18], v13
	v_add_nc_u32_e32 v8, 1, v8
	v_add_nc_u32_e32 v13, 8, v13
	v_add_nc_u32_e32 v14, 8, v14
	s_delay_alu instid0(VALU_DEP_3)
	v_cmp_lt_u32_e32 vcc_lo, 11, v8
	s_or_b32 s1, vcc_lo, s1
	s_waitcnt vmcnt(0) lgkmcnt(0)
	v_fma_f64 v[1:2], v[15:16], v[17:18], v[1:2]
	s_and_not1_b32 exec_lo, exec_lo, s1
	s_cbranch_execnz .LBB124_61
; %bb.62:
	s_or_b32 exec_lo, exec_lo, s1
	v_mov_b32_e32 v8, 0
	ds_load_b64 v[13:14], v8 offset:104
	s_waitcnt lgkmcnt(0)
	v_mul_f64 v[1:2], v[1:2], v[13:14]
	scratch_store_b64 off, v[1:2], off offset:104
.LBB124_63:
	s_or_b32 exec_lo, exec_lo, s0
	s_waitcnt_vscnt null, 0x0
	s_barrier
	buffer_gl0_inv
	scratch_load_b64 v[1:2], off, off offset:112
	s_mov_b32 s0, exec_lo
	s_waitcnt vmcnt(0)
	ds_store_b64 v4, v[1:2]
	s_waitcnt lgkmcnt(0)
	s_barrier
	buffer_gl0_inv
	v_cmpx_gt_u32_e32 14, v0
	s_cbranch_execz .LBB124_67
; %bb.64:
	v_dual_mov_b32 v1, 0 :: v_dual_add_nc_u32 v8, -1, v0
	v_dual_mov_b32 v2, 0 :: v_dual_add_nc_u32 v13, 0x1f0, v147
	v_add_nc_u32_e32 v14, 0, v147
	s_mov_b32 s1, 0
.LBB124_65:                             ; =>This Inner Loop Header: Depth=1
	scratch_load_b64 v[15:16], v14, off
	ds_load_b64 v[17:18], v13
	v_add_nc_u32_e32 v8, 1, v8
	v_add_nc_u32_e32 v13, 8, v13
	v_add_nc_u32_e32 v14, 8, v14
	s_delay_alu instid0(VALU_DEP_3)
	v_cmp_lt_u32_e32 vcc_lo, 12, v8
	s_or_b32 s1, vcc_lo, s1
	s_waitcnt vmcnt(0) lgkmcnt(0)
	v_fma_f64 v[1:2], v[15:16], v[17:18], v[1:2]
	s_and_not1_b32 exec_lo, exec_lo, s1
	s_cbranch_execnz .LBB124_65
; %bb.66:
	s_or_b32 exec_lo, exec_lo, s1
	v_mov_b32_e32 v8, 0
	ds_load_b64 v[13:14], v8 offset:112
	s_waitcnt lgkmcnt(0)
	v_mul_f64 v[1:2], v[1:2], v[13:14]
	scratch_store_b64 off, v[1:2], off offset:112
.LBB124_67:
	s_or_b32 exec_lo, exec_lo, s0
	s_waitcnt_vscnt null, 0x0
	s_barrier
	buffer_gl0_inv
	scratch_load_b64 v[1:2], off, off offset:120
	s_mov_b32 s0, exec_lo
	s_waitcnt vmcnt(0)
	ds_store_b64 v4, v[1:2]
	s_waitcnt lgkmcnt(0)
	s_barrier
	buffer_gl0_inv
	v_cmpx_gt_u32_e32 15, v0
	s_cbranch_execz .LBB124_71
; %bb.68:
	v_dual_mov_b32 v1, 0 :: v_dual_add_nc_u32 v8, -1, v0
	v_dual_mov_b32 v2, 0 :: v_dual_add_nc_u32 v13, 0x1f0, v147
	v_add_nc_u32_e32 v14, 0, v147
	s_mov_b32 s1, 0
.LBB124_69:                             ; =>This Inner Loop Header: Depth=1
	scratch_load_b64 v[15:16], v14, off
	ds_load_b64 v[17:18], v13
	v_add_nc_u32_e32 v8, 1, v8
	v_add_nc_u32_e32 v13, 8, v13
	v_add_nc_u32_e32 v14, 8, v14
	s_delay_alu instid0(VALU_DEP_3)
	v_cmp_lt_u32_e32 vcc_lo, 13, v8
	s_or_b32 s1, vcc_lo, s1
	s_waitcnt vmcnt(0) lgkmcnt(0)
	v_fma_f64 v[1:2], v[15:16], v[17:18], v[1:2]
	s_and_not1_b32 exec_lo, exec_lo, s1
	s_cbranch_execnz .LBB124_69
; %bb.70:
	s_or_b32 exec_lo, exec_lo, s1
	v_mov_b32_e32 v8, 0
	ds_load_b64 v[13:14], v8 offset:120
	s_waitcnt lgkmcnt(0)
	v_mul_f64 v[1:2], v[1:2], v[13:14]
	scratch_store_b64 off, v[1:2], off offset:120
.LBB124_71:
	s_or_b32 exec_lo, exec_lo, s0
	s_waitcnt_vscnt null, 0x0
	s_barrier
	buffer_gl0_inv
	scratch_load_b64 v[1:2], off, off offset:128
	s_mov_b32 s0, exec_lo
	s_waitcnt vmcnt(0)
	ds_store_b64 v4, v[1:2]
	s_waitcnt lgkmcnt(0)
	s_barrier
	buffer_gl0_inv
	v_cmpx_gt_u32_e32 16, v0
	s_cbranch_execz .LBB124_75
; %bb.72:
	v_dual_mov_b32 v1, 0 :: v_dual_add_nc_u32 v8, -1, v0
	v_dual_mov_b32 v2, 0 :: v_dual_add_nc_u32 v13, 0x1f0, v147
	v_add_nc_u32_e32 v14, 0, v147
	s_mov_b32 s1, 0
.LBB124_73:                             ; =>This Inner Loop Header: Depth=1
	scratch_load_b64 v[15:16], v14, off
	ds_load_b64 v[17:18], v13
	v_add_nc_u32_e32 v8, 1, v8
	v_add_nc_u32_e32 v13, 8, v13
	v_add_nc_u32_e32 v14, 8, v14
	s_delay_alu instid0(VALU_DEP_3)
	v_cmp_lt_u32_e32 vcc_lo, 14, v8
	s_or_b32 s1, vcc_lo, s1
	s_waitcnt vmcnt(0) lgkmcnt(0)
	v_fma_f64 v[1:2], v[15:16], v[17:18], v[1:2]
	s_and_not1_b32 exec_lo, exec_lo, s1
	s_cbranch_execnz .LBB124_73
; %bb.74:
	s_or_b32 exec_lo, exec_lo, s1
	v_mov_b32_e32 v8, 0
	ds_load_b64 v[13:14], v8 offset:128
	s_waitcnt lgkmcnt(0)
	v_mul_f64 v[1:2], v[1:2], v[13:14]
	scratch_store_b64 off, v[1:2], off offset:128
.LBB124_75:
	s_or_b32 exec_lo, exec_lo, s0
	s_waitcnt_vscnt null, 0x0
	s_barrier
	buffer_gl0_inv
	scratch_load_b64 v[1:2], off, off offset:136
	s_mov_b32 s0, exec_lo
	s_waitcnt vmcnt(0)
	ds_store_b64 v4, v[1:2]
	s_waitcnt lgkmcnt(0)
	s_barrier
	buffer_gl0_inv
	v_cmpx_gt_u32_e32 17, v0
	s_cbranch_execz .LBB124_79
; %bb.76:
	v_dual_mov_b32 v1, 0 :: v_dual_add_nc_u32 v8, -1, v0
	v_dual_mov_b32 v2, 0 :: v_dual_add_nc_u32 v13, 0x1f0, v147
	v_add_nc_u32_e32 v14, 0, v147
	s_mov_b32 s1, 0
.LBB124_77:                             ; =>This Inner Loop Header: Depth=1
	scratch_load_b64 v[15:16], v14, off
	ds_load_b64 v[17:18], v13
	v_add_nc_u32_e32 v8, 1, v8
	v_add_nc_u32_e32 v13, 8, v13
	v_add_nc_u32_e32 v14, 8, v14
	s_delay_alu instid0(VALU_DEP_3)
	v_cmp_lt_u32_e32 vcc_lo, 15, v8
	s_or_b32 s1, vcc_lo, s1
	s_waitcnt vmcnt(0) lgkmcnt(0)
	v_fma_f64 v[1:2], v[15:16], v[17:18], v[1:2]
	s_and_not1_b32 exec_lo, exec_lo, s1
	s_cbranch_execnz .LBB124_77
; %bb.78:
	s_or_b32 exec_lo, exec_lo, s1
	v_mov_b32_e32 v8, 0
	ds_load_b64 v[13:14], v8 offset:136
	s_waitcnt lgkmcnt(0)
	v_mul_f64 v[1:2], v[1:2], v[13:14]
	scratch_store_b64 off, v[1:2], off offset:136
.LBB124_79:
	s_or_b32 exec_lo, exec_lo, s0
	s_waitcnt_vscnt null, 0x0
	s_barrier
	buffer_gl0_inv
	scratch_load_b64 v[1:2], off, off offset:144
	s_mov_b32 s0, exec_lo
	s_waitcnt vmcnt(0)
	ds_store_b64 v4, v[1:2]
	s_waitcnt lgkmcnt(0)
	s_barrier
	buffer_gl0_inv
	v_cmpx_gt_u32_e32 18, v0
	s_cbranch_execz .LBB124_83
; %bb.80:
	v_dual_mov_b32 v1, 0 :: v_dual_add_nc_u32 v8, -1, v0
	v_dual_mov_b32 v2, 0 :: v_dual_add_nc_u32 v13, 0x1f0, v147
	v_add_nc_u32_e32 v14, 0, v147
	s_mov_b32 s1, 0
.LBB124_81:                             ; =>This Inner Loop Header: Depth=1
	scratch_load_b64 v[15:16], v14, off
	ds_load_b64 v[17:18], v13
	v_add_nc_u32_e32 v8, 1, v8
	v_add_nc_u32_e32 v13, 8, v13
	v_add_nc_u32_e32 v14, 8, v14
	s_delay_alu instid0(VALU_DEP_3)
	v_cmp_lt_u32_e32 vcc_lo, 16, v8
	s_or_b32 s1, vcc_lo, s1
	s_waitcnt vmcnt(0) lgkmcnt(0)
	v_fma_f64 v[1:2], v[15:16], v[17:18], v[1:2]
	s_and_not1_b32 exec_lo, exec_lo, s1
	s_cbranch_execnz .LBB124_81
; %bb.82:
	s_or_b32 exec_lo, exec_lo, s1
	v_mov_b32_e32 v8, 0
	ds_load_b64 v[13:14], v8 offset:144
	s_waitcnt lgkmcnt(0)
	v_mul_f64 v[1:2], v[1:2], v[13:14]
	scratch_store_b64 off, v[1:2], off offset:144
.LBB124_83:
	s_or_b32 exec_lo, exec_lo, s0
	s_waitcnt_vscnt null, 0x0
	s_barrier
	buffer_gl0_inv
	scratch_load_b64 v[1:2], off, off offset:152
	s_mov_b32 s0, exec_lo
	s_waitcnt vmcnt(0)
	ds_store_b64 v4, v[1:2]
	s_waitcnt lgkmcnt(0)
	s_barrier
	buffer_gl0_inv
	v_cmpx_gt_u32_e32 19, v0
	s_cbranch_execz .LBB124_87
; %bb.84:
	v_dual_mov_b32 v1, 0 :: v_dual_add_nc_u32 v8, -1, v0
	v_dual_mov_b32 v2, 0 :: v_dual_add_nc_u32 v13, 0x1f0, v147
	v_add_nc_u32_e32 v14, 0, v147
	s_mov_b32 s1, 0
.LBB124_85:                             ; =>This Inner Loop Header: Depth=1
	scratch_load_b64 v[15:16], v14, off
	ds_load_b64 v[17:18], v13
	v_add_nc_u32_e32 v8, 1, v8
	v_add_nc_u32_e32 v13, 8, v13
	v_add_nc_u32_e32 v14, 8, v14
	s_delay_alu instid0(VALU_DEP_3)
	v_cmp_lt_u32_e32 vcc_lo, 17, v8
	s_or_b32 s1, vcc_lo, s1
	s_waitcnt vmcnt(0) lgkmcnt(0)
	v_fma_f64 v[1:2], v[15:16], v[17:18], v[1:2]
	s_and_not1_b32 exec_lo, exec_lo, s1
	s_cbranch_execnz .LBB124_85
; %bb.86:
	s_or_b32 exec_lo, exec_lo, s1
	v_mov_b32_e32 v8, 0
	ds_load_b64 v[13:14], v8 offset:152
	s_waitcnt lgkmcnt(0)
	v_mul_f64 v[1:2], v[1:2], v[13:14]
	scratch_store_b64 off, v[1:2], off offset:152
.LBB124_87:
	s_or_b32 exec_lo, exec_lo, s0
	s_waitcnt_vscnt null, 0x0
	s_barrier
	buffer_gl0_inv
	scratch_load_b64 v[1:2], off, off offset:160
	s_mov_b32 s0, exec_lo
	s_waitcnt vmcnt(0)
	ds_store_b64 v4, v[1:2]
	s_waitcnt lgkmcnt(0)
	s_barrier
	buffer_gl0_inv
	v_cmpx_gt_u32_e32 20, v0
	s_cbranch_execz .LBB124_91
; %bb.88:
	v_dual_mov_b32 v1, 0 :: v_dual_add_nc_u32 v8, -1, v0
	v_dual_mov_b32 v2, 0 :: v_dual_add_nc_u32 v13, 0x1f0, v147
	v_add_nc_u32_e32 v14, 0, v147
	s_mov_b32 s1, 0
.LBB124_89:                             ; =>This Inner Loop Header: Depth=1
	scratch_load_b64 v[15:16], v14, off
	ds_load_b64 v[17:18], v13
	v_add_nc_u32_e32 v8, 1, v8
	v_add_nc_u32_e32 v13, 8, v13
	v_add_nc_u32_e32 v14, 8, v14
	s_delay_alu instid0(VALU_DEP_3)
	v_cmp_lt_u32_e32 vcc_lo, 18, v8
	s_or_b32 s1, vcc_lo, s1
	s_waitcnt vmcnt(0) lgkmcnt(0)
	v_fma_f64 v[1:2], v[15:16], v[17:18], v[1:2]
	s_and_not1_b32 exec_lo, exec_lo, s1
	s_cbranch_execnz .LBB124_89
; %bb.90:
	s_or_b32 exec_lo, exec_lo, s1
	v_mov_b32_e32 v8, 0
	ds_load_b64 v[13:14], v8 offset:160
	s_waitcnt lgkmcnt(0)
	v_mul_f64 v[1:2], v[1:2], v[13:14]
	scratch_store_b64 off, v[1:2], off offset:160
.LBB124_91:
	s_or_b32 exec_lo, exec_lo, s0
	s_waitcnt_vscnt null, 0x0
	s_barrier
	buffer_gl0_inv
	scratch_load_b64 v[1:2], off, off offset:168
	s_mov_b32 s0, exec_lo
	s_waitcnt vmcnt(0)
	ds_store_b64 v4, v[1:2]
	s_waitcnt lgkmcnt(0)
	s_barrier
	buffer_gl0_inv
	v_cmpx_gt_u32_e32 21, v0
	s_cbranch_execz .LBB124_95
; %bb.92:
	v_dual_mov_b32 v1, 0 :: v_dual_add_nc_u32 v8, -1, v0
	v_dual_mov_b32 v2, 0 :: v_dual_add_nc_u32 v13, 0x1f0, v147
	v_add_nc_u32_e32 v14, 0, v147
	s_mov_b32 s1, 0
.LBB124_93:                             ; =>This Inner Loop Header: Depth=1
	scratch_load_b64 v[15:16], v14, off
	ds_load_b64 v[17:18], v13
	v_add_nc_u32_e32 v8, 1, v8
	v_add_nc_u32_e32 v13, 8, v13
	v_add_nc_u32_e32 v14, 8, v14
	s_delay_alu instid0(VALU_DEP_3)
	v_cmp_lt_u32_e32 vcc_lo, 19, v8
	s_or_b32 s1, vcc_lo, s1
	s_waitcnt vmcnt(0) lgkmcnt(0)
	v_fma_f64 v[1:2], v[15:16], v[17:18], v[1:2]
	s_and_not1_b32 exec_lo, exec_lo, s1
	s_cbranch_execnz .LBB124_93
; %bb.94:
	s_or_b32 exec_lo, exec_lo, s1
	v_mov_b32_e32 v8, 0
	ds_load_b64 v[13:14], v8 offset:168
	s_waitcnt lgkmcnt(0)
	v_mul_f64 v[1:2], v[1:2], v[13:14]
	scratch_store_b64 off, v[1:2], off offset:168
.LBB124_95:
	s_or_b32 exec_lo, exec_lo, s0
	s_waitcnt_vscnt null, 0x0
	s_barrier
	buffer_gl0_inv
	scratch_load_b64 v[1:2], off, off offset:176
	s_mov_b32 s0, exec_lo
	s_waitcnt vmcnt(0)
	ds_store_b64 v4, v[1:2]
	s_waitcnt lgkmcnt(0)
	s_barrier
	buffer_gl0_inv
	v_cmpx_gt_u32_e32 22, v0
	s_cbranch_execz .LBB124_99
; %bb.96:
	v_dual_mov_b32 v1, 0 :: v_dual_add_nc_u32 v8, -1, v0
	v_dual_mov_b32 v2, 0 :: v_dual_add_nc_u32 v13, 0x1f0, v147
	v_add_nc_u32_e32 v14, 0, v147
	s_mov_b32 s1, 0
.LBB124_97:                             ; =>This Inner Loop Header: Depth=1
	scratch_load_b64 v[15:16], v14, off
	ds_load_b64 v[17:18], v13
	v_add_nc_u32_e32 v8, 1, v8
	v_add_nc_u32_e32 v13, 8, v13
	v_add_nc_u32_e32 v14, 8, v14
	s_delay_alu instid0(VALU_DEP_3)
	v_cmp_lt_u32_e32 vcc_lo, 20, v8
	s_or_b32 s1, vcc_lo, s1
	s_waitcnt vmcnt(0) lgkmcnt(0)
	v_fma_f64 v[1:2], v[15:16], v[17:18], v[1:2]
	s_and_not1_b32 exec_lo, exec_lo, s1
	s_cbranch_execnz .LBB124_97
; %bb.98:
	s_or_b32 exec_lo, exec_lo, s1
	v_mov_b32_e32 v8, 0
	ds_load_b64 v[13:14], v8 offset:176
	s_waitcnt lgkmcnt(0)
	v_mul_f64 v[1:2], v[1:2], v[13:14]
	scratch_store_b64 off, v[1:2], off offset:176
.LBB124_99:
	s_or_b32 exec_lo, exec_lo, s0
	s_waitcnt_vscnt null, 0x0
	s_barrier
	buffer_gl0_inv
	scratch_load_b64 v[1:2], off, off offset:184
	s_mov_b32 s0, exec_lo
	s_waitcnt vmcnt(0)
	ds_store_b64 v4, v[1:2]
	s_waitcnt lgkmcnt(0)
	s_barrier
	buffer_gl0_inv
	v_cmpx_gt_u32_e32 23, v0
	s_cbranch_execz .LBB124_103
; %bb.100:
	v_dual_mov_b32 v1, 0 :: v_dual_add_nc_u32 v8, -1, v0
	v_dual_mov_b32 v2, 0 :: v_dual_add_nc_u32 v13, 0x1f0, v147
	v_add_nc_u32_e32 v14, 0, v147
	s_mov_b32 s1, 0
.LBB124_101:                            ; =>This Inner Loop Header: Depth=1
	scratch_load_b64 v[15:16], v14, off
	ds_load_b64 v[17:18], v13
	v_add_nc_u32_e32 v8, 1, v8
	v_add_nc_u32_e32 v13, 8, v13
	v_add_nc_u32_e32 v14, 8, v14
	s_delay_alu instid0(VALU_DEP_3)
	v_cmp_lt_u32_e32 vcc_lo, 21, v8
	s_or_b32 s1, vcc_lo, s1
	s_waitcnt vmcnt(0) lgkmcnt(0)
	v_fma_f64 v[1:2], v[15:16], v[17:18], v[1:2]
	s_and_not1_b32 exec_lo, exec_lo, s1
	s_cbranch_execnz .LBB124_101
; %bb.102:
	s_or_b32 exec_lo, exec_lo, s1
	v_mov_b32_e32 v8, 0
	ds_load_b64 v[13:14], v8 offset:184
	s_waitcnt lgkmcnt(0)
	v_mul_f64 v[1:2], v[1:2], v[13:14]
	scratch_store_b64 off, v[1:2], off offset:184
.LBB124_103:
	s_or_b32 exec_lo, exec_lo, s0
	s_waitcnt_vscnt null, 0x0
	s_barrier
	buffer_gl0_inv
	scratch_load_b64 v[1:2], off, off offset:192
	s_mov_b32 s0, exec_lo
	s_waitcnt vmcnt(0)
	ds_store_b64 v4, v[1:2]
	s_waitcnt lgkmcnt(0)
	s_barrier
	buffer_gl0_inv
	v_cmpx_gt_u32_e32 24, v0
	s_cbranch_execz .LBB124_107
; %bb.104:
	v_dual_mov_b32 v1, 0 :: v_dual_add_nc_u32 v8, -1, v0
	v_dual_mov_b32 v2, 0 :: v_dual_add_nc_u32 v13, 0x1f0, v147
	v_add_nc_u32_e32 v14, 0, v147
	s_mov_b32 s1, 0
.LBB124_105:                            ; =>This Inner Loop Header: Depth=1
	scratch_load_b64 v[15:16], v14, off
	ds_load_b64 v[17:18], v13
	v_add_nc_u32_e32 v8, 1, v8
	v_add_nc_u32_e32 v13, 8, v13
	v_add_nc_u32_e32 v14, 8, v14
	s_delay_alu instid0(VALU_DEP_3)
	v_cmp_lt_u32_e32 vcc_lo, 22, v8
	s_or_b32 s1, vcc_lo, s1
	s_waitcnt vmcnt(0) lgkmcnt(0)
	v_fma_f64 v[1:2], v[15:16], v[17:18], v[1:2]
	s_and_not1_b32 exec_lo, exec_lo, s1
	s_cbranch_execnz .LBB124_105
; %bb.106:
	s_or_b32 exec_lo, exec_lo, s1
	v_mov_b32_e32 v8, 0
	ds_load_b64 v[13:14], v8 offset:192
	s_waitcnt lgkmcnt(0)
	v_mul_f64 v[1:2], v[1:2], v[13:14]
	scratch_store_b64 off, v[1:2], off offset:192
.LBB124_107:
	s_or_b32 exec_lo, exec_lo, s0
	s_waitcnt_vscnt null, 0x0
	s_barrier
	buffer_gl0_inv
	scratch_load_b64 v[1:2], off, off offset:200
	;; [unrolled: 39-line block ×37, first 2 shown]
	s_mov_b32 s0, exec_lo
	s_waitcnt vmcnt(0)
	ds_store_b64 v4, v[1:2]
	s_waitcnt lgkmcnt(0)
	s_barrier
	buffer_gl0_inv
	v_cmpx_ne_u32_e32 60, v0
	s_cbranch_execz .LBB124_251
; %bb.248:
	v_mov_b32_e32 v1, 0
	v_mov_b32_e32 v2, 0
	s_mov_b32 s1, 0
.LBB124_249:                            ; =>This Inner Loop Header: Depth=1
	scratch_load_b64 v[13:14], v3, off
	ds_load_b64 v[15:16], v4
	v_add_nc_u32_e32 v5, 1, v5
	v_add_nc_u32_e32 v4, 8, v4
	;; [unrolled: 1-line block ×3, first 2 shown]
	s_delay_alu instid0(VALU_DEP_3)
	v_cmp_lt_u32_e32 vcc_lo, 58, v5
	s_or_b32 s1, vcc_lo, s1
	s_waitcnt vmcnt(0) lgkmcnt(0)
	v_fma_f64 v[1:2], v[13:14], v[15:16], v[1:2]
	s_and_not1_b32 exec_lo, exec_lo, s1
	s_cbranch_execnz .LBB124_249
; %bb.250:
	s_or_b32 exec_lo, exec_lo, s1
	v_mov_b32_e32 v3, 0
	ds_load_b64 v[3:4], v3 offset:480
	s_waitcnt lgkmcnt(0)
	v_mul_f64 v[1:2], v[1:2], v[3:4]
	scratch_store_b64 off, v[1:2], off offset:480
.LBB124_251:
	s_or_b32 exec_lo, exec_lo, s0
	s_mov_b32 s1, -1
	s_waitcnt_vscnt null, 0x0
	s_barrier
	buffer_gl0_inv
.LBB124_252:
	s_and_b32 vcc_lo, exec_lo, s1
	s_cbranch_vccz .LBB124_254
; %bb.253:
	s_lshl_b64 s[0:1], s[8:9], 2
	v_mov_b32_e32 v1, 0
	s_add_u32 s0, s6, s0
	s_addc_u32 s1, s7, s1
	global_load_b32 v1, v1, s[0:1]
	s_waitcnt vmcnt(0)
	v_cmp_ne_u32_e32 vcc_lo, 0, v1
	s_cbranch_vccz .LBB124_255
.LBB124_254:
	s_endpgm
.LBB124_255:
	v_lshl_add_u32 v5, v0, 3, 0x1f0
	s_mov_b32 s0, exec_lo
	v_cmpx_eq_u32_e32 60, v0
	s_cbranch_execz .LBB124_257
; %bb.256:
	scratch_load_b64 v[1:2], off, off offset:472
	v_mov_b32_e32 v3, 0
	s_delay_alu instid0(VALU_DEP_1)
	v_mov_b32_e32 v4, v3
	scratch_store_b64 off, v[3:4], off offset:472
	s_waitcnt vmcnt(0)
	ds_store_b64 v5, v[1:2]
.LBB124_257:
	s_or_b32 exec_lo, exec_lo, s0
	s_waitcnt lgkmcnt(0)
	s_waitcnt_vscnt null, 0x0
	s_barrier
	buffer_gl0_inv
	scratch_load_b128 v[13:16], off, off offset:472
	v_mov_b32_e32 v1, 0
	s_mov_b32 s0, exec_lo
	ds_load_b64 v[2:3], v1 offset:976
	s_waitcnt vmcnt(0) lgkmcnt(0)
	v_fma_f64 v[2:3], v[15:16], v[2:3], 0
	s_delay_alu instid0(VALU_DEP_1)
	v_add_f64 v[2:3], v[13:14], -v[2:3]
	scratch_store_b64 off, v[2:3], off offset:472
	v_cmpx_lt_u32_e32 58, v0
	s_cbranch_execz .LBB124_259
; %bb.258:
	scratch_load_b64 v[3:4], off, off offset:464
	v_mov_b32_e32 v2, v1
	scratch_store_b64 off, v[1:2], off offset:464
	s_waitcnt vmcnt(0)
	ds_store_b64 v5, v[3:4]
.LBB124_259:
	s_or_b32 exec_lo, exec_lo, s0
	s_waitcnt lgkmcnt(0)
	s_waitcnt_vscnt null, 0x0
	s_barrier
	buffer_gl0_inv
	s_clause 0x1
	scratch_load_b128 v[13:16], off, off offset:464
	scratch_load_b64 v[17:18], off, off offset:480
	ds_load_2addr_b64 v[1:4], v1 offset0:121 offset1:122
	s_mov_b32 s0, exec_lo
	s_waitcnt vmcnt(1) lgkmcnt(0)
	v_fma_f64 v[1:2], v[15:16], v[1:2], 0
	s_waitcnt vmcnt(0)
	s_delay_alu instid0(VALU_DEP_1) | instskip(NEXT) | instid1(VALU_DEP_1)
	v_fma_f64 v[1:2], v[17:18], v[3:4], v[1:2]
	v_add_f64 v[1:2], v[13:14], -v[1:2]
	scratch_store_b64 off, v[1:2], off offset:464
	v_cmpx_lt_u32_e32 57, v0
	s_cbranch_execz .LBB124_261
; %bb.260:
	scratch_load_b64 v[1:2], off, off offset:456
	v_mov_b32_e32 v3, 0
	s_delay_alu instid0(VALU_DEP_1)
	v_mov_b32_e32 v4, v3
	scratch_store_b64 off, v[3:4], off offset:456
	s_waitcnt vmcnt(0)
	ds_store_b64 v5, v[1:2]
.LBB124_261:
	s_or_b32 exec_lo, exec_lo, s0
	s_waitcnt lgkmcnt(0)
	s_waitcnt_vscnt null, 0x0
	s_barrier
	buffer_gl0_inv
	s_clause 0x1
	scratch_load_b128 v[13:16], off, off offset:456
	scratch_load_b128 v[17:20], off, off offset:472
	v_mov_b32_e32 v1, 0
	ds_load_b128 v[37:40], v1 offset:960
	ds_load_b64 v[2:3], v1 offset:976
	s_mov_b32 s0, exec_lo
	s_waitcnt vmcnt(1) lgkmcnt(1)
	v_fma_f64 v[15:16], v[15:16], v[37:38], 0
	s_waitcnt vmcnt(0)
	s_delay_alu instid0(VALU_DEP_1) | instskip(SKIP_1) | instid1(VALU_DEP_1)
	v_fma_f64 v[15:16], v[17:18], v[39:40], v[15:16]
	s_waitcnt lgkmcnt(0)
	v_fma_f64 v[2:3], v[19:20], v[2:3], v[15:16]
	s_delay_alu instid0(VALU_DEP_1)
	v_add_f64 v[2:3], v[13:14], -v[2:3]
	scratch_store_b64 off, v[2:3], off offset:456
	v_cmpx_lt_u32_e32 56, v0
	s_cbranch_execz .LBB124_263
; %bb.262:
	scratch_load_b64 v[3:4], off, off offset:448
	v_mov_b32_e32 v2, v1
	scratch_store_b64 off, v[1:2], off offset:448
	s_waitcnt vmcnt(0)
	ds_store_b64 v5, v[3:4]
.LBB124_263:
	s_or_b32 exec_lo, exec_lo, s0
	s_waitcnt lgkmcnt(0)
	s_waitcnt_vscnt null, 0x0
	s_barrier
	buffer_gl0_inv
	s_clause 0x2
	scratch_load_b128 v[13:16], off, off offset:448
	scratch_load_b128 v[17:20], off, off offset:464
	scratch_load_b64 v[31:32], off, off offset:480
	ds_load_2addr_b64 v[37:40], v1 offset0:119 offset1:120
	ds_load_2addr_b64 v[1:4], v1 offset0:121 offset1:122
	s_mov_b32 s0, exec_lo
	s_waitcnt vmcnt(2) lgkmcnt(1)
	v_fma_f64 v[15:16], v[15:16], v[37:38], 0
	s_waitcnt vmcnt(1)
	s_delay_alu instid0(VALU_DEP_1) | instskip(SKIP_1) | instid1(VALU_DEP_1)
	v_fma_f64 v[15:16], v[17:18], v[39:40], v[15:16]
	s_waitcnt lgkmcnt(0)
	v_fma_f64 v[1:2], v[19:20], v[1:2], v[15:16]
	s_waitcnt vmcnt(0)
	s_delay_alu instid0(VALU_DEP_1) | instskip(NEXT) | instid1(VALU_DEP_1)
	v_fma_f64 v[1:2], v[31:32], v[3:4], v[1:2]
	v_add_f64 v[1:2], v[13:14], -v[1:2]
	scratch_store_b64 off, v[1:2], off offset:448
	v_cmpx_lt_u32_e32 55, v0
	s_cbranch_execz .LBB124_265
; %bb.264:
	scratch_load_b64 v[1:2], off, off offset:440
	v_mov_b32_e32 v3, 0
	s_delay_alu instid0(VALU_DEP_1)
	v_mov_b32_e32 v4, v3
	scratch_store_b64 off, v[3:4], off offset:440
	s_waitcnt vmcnt(0)
	ds_store_b64 v5, v[1:2]
.LBB124_265:
	s_or_b32 exec_lo, exec_lo, s0
	s_waitcnt lgkmcnt(0)
	s_waitcnt_vscnt null, 0x0
	s_barrier
	buffer_gl0_inv
	s_clause 0x2
	scratch_load_b128 v[13:16], off, off offset:440
	scratch_load_b128 v[17:20], off, off offset:456
	;; [unrolled: 1-line block ×3, first 2 shown]
	v_mov_b32_e32 v1, 0
	s_mov_b32 s0, exec_lo
	ds_load_b128 v[41:44], v1 offset:944
	s_waitcnt vmcnt(2) lgkmcnt(0)
	v_fma_f64 v[2:3], v[15:16], v[41:42], 0
	s_waitcnt vmcnt(1)
	s_delay_alu instid0(VALU_DEP_1)
	v_fma_f64 v[2:3], v[17:18], v[43:44], v[2:3]
	ds_load_b128 v[15:18], v1 offset:960
	s_waitcnt lgkmcnt(0)
	v_fma_f64 v[2:3], v[19:20], v[15:16], v[2:3]
	ds_load_b64 v[15:16], v1 offset:976
	s_waitcnt vmcnt(0)
	v_fma_f64 v[2:3], v[37:38], v[17:18], v[2:3]
	s_waitcnt lgkmcnt(0)
	s_delay_alu instid0(VALU_DEP_1) | instskip(NEXT) | instid1(VALU_DEP_1)
	v_fma_f64 v[2:3], v[39:40], v[15:16], v[2:3]
	v_add_f64 v[2:3], v[13:14], -v[2:3]
	scratch_store_b64 off, v[2:3], off offset:440
	v_cmpx_lt_u32_e32 54, v0
	s_cbranch_execz .LBB124_267
; %bb.266:
	scratch_load_b64 v[3:4], off, off offset:432
	v_mov_b32_e32 v2, v1
	scratch_store_b64 off, v[1:2], off offset:432
	s_waitcnt vmcnt(0)
	ds_store_b64 v5, v[3:4]
.LBB124_267:
	s_or_b32 exec_lo, exec_lo, s0
	s_waitcnt lgkmcnt(0)
	s_waitcnt_vscnt null, 0x0
	s_barrier
	buffer_gl0_inv
	s_clause 0x3
	scratch_load_b128 v[13:16], off, off offset:432
	scratch_load_b128 v[17:20], off, off offset:448
	;; [unrolled: 1-line block ×3, first 2 shown]
	scratch_load_b64 v[31:32], off, off offset:480
	ds_load_2addr_b64 v[41:44], v1 offset0:117 offset1:118
	s_mov_b32 s0, exec_lo
	s_waitcnt vmcnt(3) lgkmcnt(0)
	v_fma_f64 v[2:3], v[15:16], v[41:42], 0
	s_waitcnt vmcnt(2)
	s_delay_alu instid0(VALU_DEP_1) | instskip(SKIP_4) | instid1(VALU_DEP_1)
	v_fma_f64 v[2:3], v[17:18], v[43:44], v[2:3]
	ds_load_2addr_b64 v[15:18], v1 offset0:119 offset1:120
	s_waitcnt lgkmcnt(0)
	v_fma_f64 v[2:3], v[19:20], v[15:16], v[2:3]
	s_waitcnt vmcnt(1)
	v_fma_f64 v[15:16], v[37:38], v[17:18], v[2:3]
	ds_load_2addr_b64 v[1:4], v1 offset0:121 offset1:122
	s_waitcnt lgkmcnt(0)
	v_fma_f64 v[1:2], v[39:40], v[1:2], v[15:16]
	s_waitcnt vmcnt(0)
	s_delay_alu instid0(VALU_DEP_1) | instskip(NEXT) | instid1(VALU_DEP_1)
	v_fma_f64 v[1:2], v[31:32], v[3:4], v[1:2]
	v_add_f64 v[1:2], v[13:14], -v[1:2]
	scratch_store_b64 off, v[1:2], off offset:432
	v_cmpx_lt_u32_e32 53, v0
	s_cbranch_execz .LBB124_269
; %bb.268:
	scratch_load_b64 v[1:2], off, off offset:424
	v_mov_b32_e32 v3, 0
	s_delay_alu instid0(VALU_DEP_1)
	v_mov_b32_e32 v4, v3
	scratch_store_b64 off, v[3:4], off offset:424
	s_waitcnt vmcnt(0)
	ds_store_b64 v5, v[1:2]
.LBB124_269:
	s_or_b32 exec_lo, exec_lo, s0
	s_waitcnt lgkmcnt(0)
	s_waitcnt_vscnt null, 0x0
	s_barrier
	buffer_gl0_inv
	s_clause 0x3
	scratch_load_b128 v[13:16], off, off offset:424
	scratch_load_b128 v[17:20], off, off offset:440
	;; [unrolled: 1-line block ×4, first 2 shown]
	v_mov_b32_e32 v1, 0
	ds_load_b128 v[147:150], v1 offset:928
	ds_load_b128 v[151:154], v1 offset:944
	s_mov_b32 s0, exec_lo
	s_waitcnt vmcnt(3) lgkmcnt(1)
	v_fma_f64 v[2:3], v[15:16], v[147:148], 0
	s_waitcnt vmcnt(2)
	s_delay_alu instid0(VALU_DEP_1) | instskip(SKIP_1) | instid1(VALU_DEP_1)
	v_fma_f64 v[2:3], v[17:18], v[149:150], v[2:3]
	s_waitcnt lgkmcnt(0)
	v_fma_f64 v[2:3], v[19:20], v[151:152], v[2:3]
	ds_load_b128 v[15:18], v1 offset:960
	ds_load_b64 v[19:20], v1 offset:976
	s_waitcnt vmcnt(1)
	v_fma_f64 v[2:3], v[37:38], v[153:154], v[2:3]
	s_waitcnt lgkmcnt(1)
	s_delay_alu instid0(VALU_DEP_1) | instskip(SKIP_1) | instid1(VALU_DEP_1)
	v_fma_f64 v[2:3], v[39:40], v[15:16], v[2:3]
	s_waitcnt vmcnt(0)
	v_fma_f64 v[2:3], v[41:42], v[17:18], v[2:3]
	s_waitcnt lgkmcnt(0)
	s_delay_alu instid0(VALU_DEP_1) | instskip(NEXT) | instid1(VALU_DEP_1)
	v_fma_f64 v[2:3], v[43:44], v[19:20], v[2:3]
	v_add_f64 v[2:3], v[13:14], -v[2:3]
	scratch_store_b64 off, v[2:3], off offset:424
	v_cmpx_lt_u32_e32 52, v0
	s_cbranch_execz .LBB124_271
; %bb.270:
	scratch_load_b64 v[3:4], off, off offset:416
	v_mov_b32_e32 v2, v1
	scratch_store_b64 off, v[1:2], off offset:416
	s_waitcnt vmcnt(0)
	ds_store_b64 v5, v[3:4]
.LBB124_271:
	s_or_b32 exec_lo, exec_lo, s0
	s_waitcnt lgkmcnt(0)
	s_waitcnt_vscnt null, 0x0
	s_barrier
	buffer_gl0_inv
	s_clause 0x4
	scratch_load_b128 v[13:16], off, off offset:416
	scratch_load_b128 v[17:20], off, off offset:432
	;; [unrolled: 1-line block ×4, first 2 shown]
	scratch_load_b64 v[31:32], off, off offset:480
	ds_load_2addr_b64 v[147:150], v1 offset0:115 offset1:116
	ds_load_2addr_b64 v[151:154], v1 offset0:117 offset1:118
	s_mov_b32 s0, exec_lo
	s_waitcnt vmcnt(4) lgkmcnt(1)
	v_fma_f64 v[2:3], v[15:16], v[147:148], 0
	s_waitcnt vmcnt(3)
	s_delay_alu instid0(VALU_DEP_1) | instskip(SKIP_1) | instid1(VALU_DEP_1)
	v_fma_f64 v[2:3], v[17:18], v[149:150], v[2:3]
	s_waitcnt lgkmcnt(0)
	v_fma_f64 v[2:3], v[19:20], v[151:152], v[2:3]
	s_waitcnt vmcnt(2)
	s_delay_alu instid0(VALU_DEP_1)
	v_fma_f64 v[19:20], v[37:38], v[153:154], v[2:3]
	ds_load_2addr_b64 v[15:18], v1 offset0:119 offset1:120
	ds_load_2addr_b64 v[1:4], v1 offset0:121 offset1:122
	s_waitcnt lgkmcnt(1)
	v_fma_f64 v[15:16], v[39:40], v[15:16], v[19:20]
	s_waitcnt vmcnt(1)
	s_delay_alu instid0(VALU_DEP_1) | instskip(SKIP_1) | instid1(VALU_DEP_1)
	v_fma_f64 v[15:16], v[41:42], v[17:18], v[15:16]
	s_waitcnt lgkmcnt(0)
	v_fma_f64 v[1:2], v[43:44], v[1:2], v[15:16]
	s_waitcnt vmcnt(0)
	s_delay_alu instid0(VALU_DEP_1) | instskip(NEXT) | instid1(VALU_DEP_1)
	v_fma_f64 v[1:2], v[31:32], v[3:4], v[1:2]
	v_add_f64 v[1:2], v[13:14], -v[1:2]
	scratch_store_b64 off, v[1:2], off offset:416
	v_cmpx_lt_u32_e32 51, v0
	s_cbranch_execz .LBB124_273
; %bb.272:
	scratch_load_b64 v[1:2], off, off offset:408
	v_mov_b32_e32 v3, 0
	s_delay_alu instid0(VALU_DEP_1)
	v_mov_b32_e32 v4, v3
	scratch_store_b64 off, v[3:4], off offset:408
	s_waitcnt vmcnt(0)
	ds_store_b64 v5, v[1:2]
.LBB124_273:
	s_or_b32 exec_lo, exec_lo, s0
	s_waitcnt lgkmcnt(0)
	s_waitcnt_vscnt null, 0x0
	s_barrier
	buffer_gl0_inv
	s_clause 0x4
	scratch_load_b128 v[13:16], off, off offset:408
	scratch_load_b128 v[17:20], off, off offset:424
	;; [unrolled: 1-line block ×5, first 2 shown]
	v_mov_b32_e32 v1, 0
	ds_load_b128 v[151:154], v1 offset:912
	ds_load_b128 v[155:158], v1 offset:928
	s_mov_b32 s0, exec_lo
	s_waitcnt vmcnt(4) lgkmcnt(1)
	v_fma_f64 v[2:3], v[15:16], v[151:152], 0
	s_waitcnt vmcnt(3)
	s_delay_alu instid0(VALU_DEP_1)
	v_fma_f64 v[2:3], v[17:18], v[153:154], v[2:3]
	ds_load_b128 v[15:18], v1 offset:944
	ds_load_b128 v[151:154], v1 offset:960
	s_waitcnt lgkmcnt(2)
	v_fma_f64 v[2:3], v[19:20], v[155:156], v[2:3]
	s_waitcnt vmcnt(2)
	s_delay_alu instid0(VALU_DEP_1) | instskip(SKIP_1) | instid1(VALU_DEP_1)
	v_fma_f64 v[2:3], v[37:38], v[157:158], v[2:3]
	s_waitcnt lgkmcnt(1)
	v_fma_f64 v[2:3], v[39:40], v[15:16], v[2:3]
	ds_load_b64 v[15:16], v1 offset:976
	s_waitcnt vmcnt(1)
	v_fma_f64 v[2:3], v[41:42], v[17:18], v[2:3]
	s_waitcnt lgkmcnt(1)
	s_delay_alu instid0(VALU_DEP_1) | instskip(SKIP_1) | instid1(VALU_DEP_1)
	v_fma_f64 v[2:3], v[43:44], v[151:152], v[2:3]
	s_waitcnt vmcnt(0)
	v_fma_f64 v[2:3], v[147:148], v[153:154], v[2:3]
	s_waitcnt lgkmcnt(0)
	s_delay_alu instid0(VALU_DEP_1) | instskip(NEXT) | instid1(VALU_DEP_1)
	v_fma_f64 v[2:3], v[149:150], v[15:16], v[2:3]
	v_add_f64 v[2:3], v[13:14], -v[2:3]
	scratch_store_b64 off, v[2:3], off offset:408
	v_cmpx_lt_u32_e32 50, v0
	s_cbranch_execz .LBB124_275
; %bb.274:
	scratch_load_b64 v[3:4], off, off offset:400
	v_mov_b32_e32 v2, v1
	scratch_store_b64 off, v[1:2], off offset:400
	s_waitcnt vmcnt(0)
	ds_store_b64 v5, v[3:4]
.LBB124_275:
	s_or_b32 exec_lo, exec_lo, s0
	s_waitcnt lgkmcnt(0)
	s_waitcnt_vscnt null, 0x0
	s_barrier
	buffer_gl0_inv
	s_clause 0x4
	scratch_load_b128 v[13:16], off, off offset:400
	scratch_load_b128 v[17:20], off, off offset:416
	scratch_load_b128 v[37:40], off, off offset:432
	scratch_load_b128 v[41:44], off, off offset:448
	scratch_load_b128 v[147:150], off, off offset:464
	ds_load_2addr_b64 v[151:154], v1 offset0:113 offset1:114
	ds_load_2addr_b64 v[155:158], v1 offset0:115 offset1:116
	scratch_load_b64 v[31:32], off, off offset:480
	s_mov_b32 s0, exec_lo
	s_waitcnt vmcnt(5) lgkmcnt(1)
	v_fma_f64 v[2:3], v[15:16], v[151:152], 0
	s_waitcnt vmcnt(4)
	s_delay_alu instid0(VALU_DEP_1)
	v_fma_f64 v[2:3], v[17:18], v[153:154], v[2:3]
	ds_load_2addr_b64 v[15:18], v1 offset0:117 offset1:118
	ds_load_2addr_b64 v[151:154], v1 offset0:119 offset1:120
	s_waitcnt lgkmcnt(2)
	v_fma_f64 v[2:3], v[19:20], v[155:156], v[2:3]
	s_waitcnt vmcnt(3)
	s_delay_alu instid0(VALU_DEP_1) | instskip(SKIP_1) | instid1(VALU_DEP_1)
	v_fma_f64 v[2:3], v[37:38], v[157:158], v[2:3]
	s_waitcnt lgkmcnt(1)
	v_fma_f64 v[2:3], v[39:40], v[15:16], v[2:3]
	s_waitcnt vmcnt(2)
	s_delay_alu instid0(VALU_DEP_1) | instskip(SKIP_1) | instid1(VALU_DEP_1)
	v_fma_f64 v[2:3], v[41:42], v[17:18], v[2:3]
	s_waitcnt lgkmcnt(0)
	v_fma_f64 v[2:3], v[43:44], v[151:152], v[2:3]
	s_waitcnt vmcnt(1)
	s_delay_alu instid0(VALU_DEP_1) | instskip(SKIP_4) | instid1(VALU_DEP_1)
	v_fma_f64 v[15:16], v[147:148], v[153:154], v[2:3]
	ds_load_2addr_b64 v[1:4], v1 offset0:121 offset1:122
	s_waitcnt lgkmcnt(0)
	v_fma_f64 v[1:2], v[149:150], v[1:2], v[15:16]
	s_waitcnt vmcnt(0)
	v_fma_f64 v[1:2], v[31:32], v[3:4], v[1:2]
	s_delay_alu instid0(VALU_DEP_1)
	v_add_f64 v[1:2], v[13:14], -v[1:2]
	scratch_store_b64 off, v[1:2], off offset:400
	v_cmpx_lt_u32_e32 49, v0
	s_cbranch_execz .LBB124_277
; %bb.276:
	scratch_load_b64 v[1:2], off, off offset:392
	v_mov_b32_e32 v3, 0
	s_delay_alu instid0(VALU_DEP_1)
	v_mov_b32_e32 v4, v3
	scratch_store_b64 off, v[3:4], off offset:392
	s_waitcnt vmcnt(0)
	ds_store_b64 v5, v[1:2]
.LBB124_277:
	s_or_b32 exec_lo, exec_lo, s0
	s_waitcnt lgkmcnt(0)
	s_waitcnt_vscnt null, 0x0
	s_barrier
	buffer_gl0_inv
	s_clause 0x4
	scratch_load_b128 v[13:16], off, off offset:392
	scratch_load_b128 v[17:20], off, off offset:408
	;; [unrolled: 1-line block ×5, first 2 shown]
	v_mov_b32_e32 v1, 0
	ds_load_b128 v[151:154], v1 offset:896
	ds_load_b128 v[155:158], v1 offset:912
	scratch_load_b128 v[159:162], off, off offset:472
	s_mov_b32 s0, exec_lo
	s_waitcnt vmcnt(5) lgkmcnt(1)
	v_fma_f64 v[2:3], v[15:16], v[151:152], 0
	s_waitcnt vmcnt(4)
	s_delay_alu instid0(VALU_DEP_1)
	v_fma_f64 v[2:3], v[17:18], v[153:154], v[2:3]
	ds_load_b128 v[15:18], v1 offset:928
	ds_load_b128 v[151:154], v1 offset:944
	s_waitcnt lgkmcnt(2)
	v_fma_f64 v[2:3], v[19:20], v[155:156], v[2:3]
	s_waitcnt vmcnt(3)
	s_delay_alu instid0(VALU_DEP_1) | instskip(SKIP_1) | instid1(VALU_DEP_1)
	v_fma_f64 v[2:3], v[37:38], v[157:158], v[2:3]
	s_waitcnt lgkmcnt(1)
	v_fma_f64 v[2:3], v[39:40], v[15:16], v[2:3]
	s_waitcnt vmcnt(2)
	s_delay_alu instid0(VALU_DEP_1)
	v_fma_f64 v[2:3], v[41:42], v[17:18], v[2:3]
	ds_load_b128 v[15:18], v1 offset:960
	ds_load_b64 v[19:20], v1 offset:976
	s_waitcnt lgkmcnt(2)
	v_fma_f64 v[2:3], v[43:44], v[151:152], v[2:3]
	s_waitcnt vmcnt(1)
	s_delay_alu instid0(VALU_DEP_1) | instskip(SKIP_1) | instid1(VALU_DEP_1)
	v_fma_f64 v[2:3], v[147:148], v[153:154], v[2:3]
	s_waitcnt lgkmcnt(1)
	v_fma_f64 v[2:3], v[149:150], v[15:16], v[2:3]
	s_waitcnt vmcnt(0)
	s_delay_alu instid0(VALU_DEP_1) | instskip(SKIP_1) | instid1(VALU_DEP_1)
	v_fma_f64 v[2:3], v[159:160], v[17:18], v[2:3]
	s_waitcnt lgkmcnt(0)
	v_fma_f64 v[2:3], v[161:162], v[19:20], v[2:3]
	s_delay_alu instid0(VALU_DEP_1)
	v_add_f64 v[2:3], v[13:14], -v[2:3]
	scratch_store_b64 off, v[2:3], off offset:392
	v_cmpx_lt_u32_e32 48, v0
	s_cbranch_execz .LBB124_279
; %bb.278:
	scratch_load_b64 v[3:4], off, off offset:384
	v_mov_b32_e32 v2, v1
	scratch_store_b64 off, v[1:2], off offset:384
	s_waitcnt vmcnt(0)
	ds_store_b64 v5, v[3:4]
.LBB124_279:
	s_or_b32 exec_lo, exec_lo, s0
	s_waitcnt lgkmcnt(0)
	s_waitcnt_vscnt null, 0x0
	s_barrier
	buffer_gl0_inv
	s_clause 0x4
	scratch_load_b128 v[13:16], off, off offset:384
	scratch_load_b128 v[17:20], off, off offset:400
	;; [unrolled: 1-line block ×5, first 2 shown]
	ds_load_2addr_b64 v[151:154], v1 offset0:111 offset1:112
	ds_load_2addr_b64 v[155:158], v1 offset0:113 offset1:114
	scratch_load_b128 v[159:162], off, off offset:464
	s_mov_b32 s0, exec_lo
	s_waitcnt vmcnt(5) lgkmcnt(1)
	v_fma_f64 v[2:3], v[15:16], v[151:152], 0
	s_waitcnt vmcnt(4)
	s_delay_alu instid0(VALU_DEP_1) | instskip(SKIP_1) | instid1(VALU_DEP_1)
	v_fma_f64 v[2:3], v[17:18], v[153:154], v[2:3]
	s_waitcnt lgkmcnt(0)
	v_fma_f64 v[2:3], v[19:20], v[155:156], v[2:3]
	scratch_load_b64 v[19:20], off, off offset:480
	ds_load_2addr_b64 v[15:18], v1 offset0:115 offset1:116
	ds_load_2addr_b64 v[151:154], v1 offset0:117 offset1:118
	s_waitcnt vmcnt(4)
	v_fma_f64 v[2:3], v[37:38], v[157:158], v[2:3]
	s_waitcnt lgkmcnt(1)
	s_delay_alu instid0(VALU_DEP_1) | instskip(SKIP_1) | instid1(VALU_DEP_1)
	v_fma_f64 v[2:3], v[39:40], v[15:16], v[2:3]
	s_waitcnt vmcnt(3)
	v_fma_f64 v[2:3], v[41:42], v[17:18], v[2:3]
	s_waitcnt lgkmcnt(0)
	s_delay_alu instid0(VALU_DEP_1) | instskip(SKIP_1) | instid1(VALU_DEP_1)
	v_fma_f64 v[2:3], v[43:44], v[151:152], v[2:3]
	s_waitcnt vmcnt(2)
	v_fma_f64 v[31:32], v[147:148], v[153:154], v[2:3]
	ds_load_2addr_b64 v[15:18], v1 offset0:119 offset1:120
	ds_load_2addr_b64 v[1:4], v1 offset0:121 offset1:122
	s_waitcnt lgkmcnt(1)
	v_fma_f64 v[15:16], v[149:150], v[15:16], v[31:32]
	s_waitcnt vmcnt(1)
	s_delay_alu instid0(VALU_DEP_1) | instskip(SKIP_1) | instid1(VALU_DEP_1)
	v_fma_f64 v[15:16], v[159:160], v[17:18], v[15:16]
	s_waitcnt lgkmcnt(0)
	v_fma_f64 v[1:2], v[161:162], v[1:2], v[15:16]
	s_waitcnt vmcnt(0)
	s_delay_alu instid0(VALU_DEP_1) | instskip(NEXT) | instid1(VALU_DEP_1)
	v_fma_f64 v[1:2], v[19:20], v[3:4], v[1:2]
	v_add_f64 v[1:2], v[13:14], -v[1:2]
	scratch_store_b64 off, v[1:2], off offset:384
	v_cmpx_lt_u32_e32 47, v0
	s_cbranch_execz .LBB124_281
; %bb.280:
	scratch_load_b64 v[1:2], off, off offset:376
	v_mov_b32_e32 v3, 0
	s_delay_alu instid0(VALU_DEP_1)
	v_mov_b32_e32 v4, v3
	scratch_store_b64 off, v[3:4], off offset:376
	s_waitcnt vmcnt(0)
	ds_store_b64 v5, v[1:2]
.LBB124_281:
	s_or_b32 exec_lo, exec_lo, s0
	s_waitcnt lgkmcnt(0)
	s_waitcnt_vscnt null, 0x0
	s_barrier
	buffer_gl0_inv
	s_clause 0x4
	scratch_load_b128 v[13:16], off, off offset:376
	scratch_load_b128 v[17:20], off, off offset:392
	;; [unrolled: 1-line block ×5, first 2 shown]
	v_mov_b32_e32 v1, 0
	ds_load_b128 v[151:154], v1 offset:880
	ds_load_b128 v[155:158], v1 offset:896
	scratch_load_b128 v[159:162], off, off offset:456
	s_mov_b32 s0, exec_lo
	s_waitcnt vmcnt(5) lgkmcnt(1)
	v_fma_f64 v[2:3], v[15:16], v[151:152], 0
	s_waitcnt vmcnt(4)
	s_delay_alu instid0(VALU_DEP_1) | instskip(SKIP_4) | instid1(VALU_DEP_1)
	v_fma_f64 v[2:3], v[17:18], v[153:154], v[2:3]
	scratch_load_b128 v[15:18], off, off offset:472
	s_waitcnt lgkmcnt(0)
	v_fma_f64 v[2:3], v[19:20], v[155:156], v[2:3]
	s_waitcnt vmcnt(4)
	v_fma_f64 v[2:3], v[37:38], v[157:158], v[2:3]
	ds_load_b128 v[151:154], v1 offset:912
	ds_load_b128 v[155:158], v1 offset:928
	s_waitcnt lgkmcnt(1)
	v_fma_f64 v[2:3], v[39:40], v[151:152], v[2:3]
	s_waitcnt vmcnt(3)
	s_delay_alu instid0(VALU_DEP_1) | instskip(SKIP_1) | instid1(VALU_DEP_1)
	v_fma_f64 v[2:3], v[41:42], v[153:154], v[2:3]
	s_waitcnt lgkmcnt(0)
	v_fma_f64 v[2:3], v[43:44], v[155:156], v[2:3]
	ds_load_b128 v[37:40], v1 offset:944
	ds_load_b128 v[41:44], v1 offset:960
	s_waitcnt vmcnt(2)
	v_fma_f64 v[2:3], v[147:148], v[157:158], v[2:3]
	s_waitcnt lgkmcnt(1)
	s_delay_alu instid0(VALU_DEP_1) | instskip(SKIP_1) | instid1(VALU_DEP_1)
	v_fma_f64 v[2:3], v[149:150], v[37:38], v[2:3]
	s_waitcnt vmcnt(1)
	v_fma_f64 v[2:3], v[159:160], v[39:40], v[2:3]
	s_waitcnt lgkmcnt(0)
	s_delay_alu instid0(VALU_DEP_1) | instskip(SKIP_1) | instid1(VALU_DEP_1)
	v_fma_f64 v[2:3], v[161:162], v[41:42], v[2:3]
	s_waitcnt vmcnt(0)
	v_fma_f64 v[2:3], v[15:16], v[43:44], v[2:3]
	ds_load_b64 v[15:16], v1 offset:976
	s_waitcnt lgkmcnt(0)
	v_fma_f64 v[2:3], v[17:18], v[15:16], v[2:3]
	s_delay_alu instid0(VALU_DEP_1)
	v_add_f64 v[2:3], v[13:14], -v[2:3]
	scratch_store_b64 off, v[2:3], off offset:376
	v_cmpx_lt_u32_e32 46, v0
	s_cbranch_execz .LBB124_283
; %bb.282:
	scratch_load_b64 v[3:4], off, off offset:368
	v_mov_b32_e32 v2, v1
	scratch_store_b64 off, v[1:2], off offset:368
	s_waitcnt vmcnt(0)
	ds_store_b64 v5, v[3:4]
.LBB124_283:
	s_or_b32 exec_lo, exec_lo, s0
	s_waitcnt lgkmcnt(0)
	s_waitcnt_vscnt null, 0x0
	s_barrier
	buffer_gl0_inv
	s_clause 0x4
	scratch_load_b128 v[13:16], off, off offset:368
	scratch_load_b128 v[17:20], off, off offset:384
	;; [unrolled: 1-line block ×5, first 2 shown]
	ds_load_2addr_b64 v[151:154], v1 offset0:109 offset1:110
	ds_load_2addr_b64 v[155:158], v1 offset0:111 offset1:112
	scratch_load_b128 v[159:162], off, off offset:448
	s_mov_b32 s0, exec_lo
	s_waitcnt vmcnt(5) lgkmcnt(1)
	v_fma_f64 v[2:3], v[15:16], v[151:152], 0
	s_waitcnt vmcnt(4)
	s_delay_alu instid0(VALU_DEP_1) | instskip(SKIP_4) | instid1(VALU_DEP_1)
	v_fma_f64 v[2:3], v[17:18], v[153:154], v[2:3]
	scratch_load_b128 v[15:18], off, off offset:464
	s_waitcnt lgkmcnt(0)
	v_fma_f64 v[2:3], v[19:20], v[155:156], v[2:3]
	s_waitcnt vmcnt(4)
	v_fma_f64 v[2:3], v[37:38], v[157:158], v[2:3]
	ds_load_2addr_b64 v[151:154], v1 offset0:113 offset1:114
	ds_load_2addr_b64 v[155:158], v1 offset0:115 offset1:116
	scratch_load_b64 v[19:20], off, off offset:480
	s_waitcnt lgkmcnt(1)
	v_fma_f64 v[2:3], v[39:40], v[151:152], v[2:3]
	s_waitcnt vmcnt(4)
	s_delay_alu instid0(VALU_DEP_1) | instskip(SKIP_1) | instid1(VALU_DEP_1)
	v_fma_f64 v[2:3], v[41:42], v[153:154], v[2:3]
	s_waitcnt lgkmcnt(0)
	v_fma_f64 v[2:3], v[43:44], v[155:156], v[2:3]
	ds_load_2addr_b64 v[37:40], v1 offset0:117 offset1:118
	ds_load_2addr_b64 v[41:44], v1 offset0:119 offset1:120
	s_waitcnt vmcnt(3)
	v_fma_f64 v[2:3], v[147:148], v[157:158], v[2:3]
	s_waitcnt lgkmcnt(1)
	s_delay_alu instid0(VALU_DEP_1) | instskip(SKIP_1) | instid1(VALU_DEP_1)
	v_fma_f64 v[2:3], v[149:150], v[37:38], v[2:3]
	s_waitcnt vmcnt(2)
	v_fma_f64 v[2:3], v[159:160], v[39:40], v[2:3]
	s_waitcnt lgkmcnt(0)
	s_delay_alu instid0(VALU_DEP_1) | instskip(SKIP_1) | instid1(VALU_DEP_1)
	v_fma_f64 v[2:3], v[161:162], v[41:42], v[2:3]
	s_waitcnt vmcnt(1)
	v_fma_f64 v[15:16], v[15:16], v[43:44], v[2:3]
	ds_load_2addr_b64 v[1:4], v1 offset0:121 offset1:122
	s_waitcnt lgkmcnt(0)
	v_fma_f64 v[1:2], v[17:18], v[1:2], v[15:16]
	s_waitcnt vmcnt(0)
	s_delay_alu instid0(VALU_DEP_1) | instskip(NEXT) | instid1(VALU_DEP_1)
	v_fma_f64 v[1:2], v[19:20], v[3:4], v[1:2]
	v_add_f64 v[1:2], v[13:14], -v[1:2]
	scratch_store_b64 off, v[1:2], off offset:368
	v_cmpx_lt_u32_e32 45, v0
	s_cbranch_execz .LBB124_285
; %bb.284:
	scratch_load_b64 v[1:2], off, off offset:360
	v_mov_b32_e32 v3, 0
	s_delay_alu instid0(VALU_DEP_1)
	v_mov_b32_e32 v4, v3
	scratch_store_b64 off, v[3:4], off offset:360
	s_waitcnt vmcnt(0)
	ds_store_b64 v5, v[1:2]
.LBB124_285:
	s_or_b32 exec_lo, exec_lo, s0
	s_waitcnt lgkmcnt(0)
	s_waitcnt_vscnt null, 0x0
	s_barrier
	buffer_gl0_inv
	s_clause 0x4
	scratch_load_b128 v[13:16], off, off offset:360
	scratch_load_b128 v[17:20], off, off offset:376
	;; [unrolled: 1-line block ×5, first 2 shown]
	v_mov_b32_e32 v1, 0
	ds_load_b128 v[151:154], v1 offset:864
	ds_load_b128 v[155:158], v1 offset:880
	scratch_load_b128 v[159:162], off, off offset:440
	s_mov_b32 s0, exec_lo
	s_waitcnt vmcnt(5) lgkmcnt(1)
	v_fma_f64 v[2:3], v[15:16], v[151:152], 0
	s_waitcnt vmcnt(4)
	s_delay_alu instid0(VALU_DEP_1) | instskip(SKIP_4) | instid1(VALU_DEP_1)
	v_fma_f64 v[2:3], v[17:18], v[153:154], v[2:3]
	scratch_load_b128 v[15:18], off, off offset:456
	s_waitcnt lgkmcnt(0)
	v_fma_f64 v[2:3], v[19:20], v[155:156], v[2:3]
	s_waitcnt vmcnt(4)
	v_fma_f64 v[2:3], v[37:38], v[157:158], v[2:3]
	ds_load_b128 v[151:154], v1 offset:896
	ds_load_b128 v[155:158], v1 offset:912
	s_waitcnt lgkmcnt(1)
	v_fma_f64 v[2:3], v[39:40], v[151:152], v[2:3]
	scratch_load_b128 v[37:40], off, off offset:472
	s_waitcnt vmcnt(4)
	v_fma_f64 v[2:3], v[41:42], v[153:154], v[2:3]
	s_waitcnt lgkmcnt(0)
	s_delay_alu instid0(VALU_DEP_1)
	v_fma_f64 v[2:3], v[43:44], v[155:156], v[2:3]
	ds_load_b128 v[41:44], v1 offset:928
	ds_load_b128 v[151:154], v1 offset:944
	s_waitcnt vmcnt(3)
	v_fma_f64 v[2:3], v[147:148], v[157:158], v[2:3]
	s_waitcnt lgkmcnt(1)
	s_delay_alu instid0(VALU_DEP_1) | instskip(SKIP_1) | instid1(VALU_DEP_1)
	v_fma_f64 v[2:3], v[149:150], v[41:42], v[2:3]
	s_waitcnt vmcnt(2)
	v_fma_f64 v[2:3], v[159:160], v[43:44], v[2:3]
	s_waitcnt lgkmcnt(0)
	s_delay_alu instid0(VALU_DEP_1) | instskip(SKIP_1) | instid1(VALU_DEP_1)
	v_fma_f64 v[2:3], v[161:162], v[151:152], v[2:3]
	s_waitcnt vmcnt(1)
	v_fma_f64 v[2:3], v[15:16], v[153:154], v[2:3]
	ds_load_b128 v[41:44], v1 offset:960
	ds_load_b64 v[15:16], v1 offset:976
	s_waitcnt lgkmcnt(1)
	v_fma_f64 v[2:3], v[17:18], v[41:42], v[2:3]
	s_waitcnt vmcnt(0)
	s_delay_alu instid0(VALU_DEP_1) | instskip(SKIP_1) | instid1(VALU_DEP_1)
	v_fma_f64 v[2:3], v[37:38], v[43:44], v[2:3]
	s_waitcnt lgkmcnt(0)
	v_fma_f64 v[2:3], v[39:40], v[15:16], v[2:3]
	s_delay_alu instid0(VALU_DEP_1)
	v_add_f64 v[2:3], v[13:14], -v[2:3]
	scratch_store_b64 off, v[2:3], off offset:360
	v_cmpx_lt_u32_e32 44, v0
	s_cbranch_execz .LBB124_287
; %bb.286:
	scratch_load_b64 v[3:4], off, off offset:352
	v_mov_b32_e32 v2, v1
	scratch_store_b64 off, v[1:2], off offset:352
	s_waitcnt vmcnt(0)
	ds_store_b64 v5, v[3:4]
.LBB124_287:
	s_or_b32 exec_lo, exec_lo, s0
	s_waitcnt lgkmcnt(0)
	s_waitcnt_vscnt null, 0x0
	s_barrier
	buffer_gl0_inv
	s_clause 0x4
	scratch_load_b128 v[13:16], off, off offset:352
	scratch_load_b128 v[17:20], off, off offset:368
	;; [unrolled: 1-line block ×5, first 2 shown]
	ds_load_2addr_b64 v[151:154], v1 offset0:107 offset1:108
	ds_load_2addr_b64 v[155:158], v1 offset0:109 offset1:110
	scratch_load_b128 v[159:162], off, off offset:432
	s_mov_b32 s0, exec_lo
	s_waitcnt vmcnt(5) lgkmcnt(1)
	v_fma_f64 v[2:3], v[15:16], v[151:152], 0
	s_waitcnt vmcnt(4)
	s_delay_alu instid0(VALU_DEP_1) | instskip(SKIP_4) | instid1(VALU_DEP_1)
	v_fma_f64 v[2:3], v[17:18], v[153:154], v[2:3]
	scratch_load_b128 v[15:18], off, off offset:448
	s_waitcnt lgkmcnt(0)
	v_fma_f64 v[2:3], v[19:20], v[155:156], v[2:3]
	s_waitcnt vmcnt(4)
	v_fma_f64 v[2:3], v[37:38], v[157:158], v[2:3]
	ds_load_2addr_b64 v[151:154], v1 offset0:111 offset1:112
	ds_load_2addr_b64 v[155:158], v1 offset0:113 offset1:114
	scratch_load_b64 v[19:20], off, off offset:480
	s_waitcnt lgkmcnt(1)
	v_fma_f64 v[2:3], v[39:40], v[151:152], v[2:3]
	scratch_load_b128 v[37:40], off, off offset:464
	s_waitcnt vmcnt(5)
	v_fma_f64 v[2:3], v[41:42], v[153:154], v[2:3]
	s_waitcnt lgkmcnt(0)
	s_delay_alu instid0(VALU_DEP_1)
	v_fma_f64 v[2:3], v[43:44], v[155:156], v[2:3]
	ds_load_2addr_b64 v[41:44], v1 offset0:115 offset1:116
	ds_load_2addr_b64 v[151:154], v1 offset0:117 offset1:118
	s_waitcnt vmcnt(4)
	v_fma_f64 v[2:3], v[147:148], v[157:158], v[2:3]
	s_waitcnt lgkmcnt(1)
	s_delay_alu instid0(VALU_DEP_1) | instskip(SKIP_1) | instid1(VALU_DEP_1)
	v_fma_f64 v[2:3], v[149:150], v[41:42], v[2:3]
	s_waitcnt vmcnt(3)
	v_fma_f64 v[2:3], v[159:160], v[43:44], v[2:3]
	s_waitcnt lgkmcnt(0)
	s_delay_alu instid0(VALU_DEP_1) | instskip(SKIP_1) | instid1(VALU_DEP_1)
	v_fma_f64 v[2:3], v[161:162], v[151:152], v[2:3]
	s_waitcnt vmcnt(2)
	v_fma_f64 v[15:16], v[15:16], v[153:154], v[2:3]
	ds_load_2addr_b64 v[41:44], v1 offset0:119 offset1:120
	ds_load_2addr_b64 v[1:4], v1 offset0:121 offset1:122
	s_waitcnt lgkmcnt(1)
	v_fma_f64 v[15:16], v[17:18], v[41:42], v[15:16]
	s_waitcnt vmcnt(0)
	s_delay_alu instid0(VALU_DEP_1) | instskip(SKIP_1) | instid1(VALU_DEP_1)
	v_fma_f64 v[15:16], v[37:38], v[43:44], v[15:16]
	s_waitcnt lgkmcnt(0)
	v_fma_f64 v[1:2], v[39:40], v[1:2], v[15:16]
	s_delay_alu instid0(VALU_DEP_1) | instskip(NEXT) | instid1(VALU_DEP_1)
	v_fma_f64 v[1:2], v[19:20], v[3:4], v[1:2]
	v_add_f64 v[1:2], v[13:14], -v[1:2]
	scratch_store_b64 off, v[1:2], off offset:352
	v_cmpx_lt_u32_e32 43, v0
	s_cbranch_execz .LBB124_289
; %bb.288:
	scratch_load_b64 v[1:2], off, off offset:344
	v_mov_b32_e32 v3, 0
	s_delay_alu instid0(VALU_DEP_1)
	v_mov_b32_e32 v4, v3
	scratch_store_b64 off, v[3:4], off offset:344
	s_waitcnt vmcnt(0)
	ds_store_b64 v5, v[1:2]
.LBB124_289:
	s_or_b32 exec_lo, exec_lo, s0
	s_waitcnt lgkmcnt(0)
	s_waitcnt_vscnt null, 0x0
	s_barrier
	buffer_gl0_inv
	s_clause 0x4
	scratch_load_b128 v[13:16], off, off offset:344
	scratch_load_b128 v[17:20], off, off offset:360
	;; [unrolled: 1-line block ×5, first 2 shown]
	v_mov_b32_e32 v1, 0
	ds_load_b128 v[151:154], v1 offset:848
	ds_load_b128 v[155:158], v1 offset:864
	scratch_load_b128 v[159:162], off, off offset:424
	s_mov_b32 s0, exec_lo
	s_waitcnt vmcnt(5) lgkmcnt(1)
	v_fma_f64 v[2:3], v[15:16], v[151:152], 0
	s_waitcnt vmcnt(4)
	s_delay_alu instid0(VALU_DEP_1) | instskip(SKIP_4) | instid1(VALU_DEP_1)
	v_fma_f64 v[2:3], v[17:18], v[153:154], v[2:3]
	scratch_load_b128 v[15:18], off, off offset:440
	s_waitcnt lgkmcnt(0)
	v_fma_f64 v[2:3], v[19:20], v[155:156], v[2:3]
	s_waitcnt vmcnt(4)
	v_fma_f64 v[2:3], v[37:38], v[157:158], v[2:3]
	ds_load_b128 v[151:154], v1 offset:880
	ds_load_b128 v[155:158], v1 offset:896
	s_waitcnt lgkmcnt(1)
	v_fma_f64 v[2:3], v[39:40], v[151:152], v[2:3]
	scratch_load_b128 v[37:40], off, off offset:456
	s_waitcnt vmcnt(4)
	v_fma_f64 v[2:3], v[41:42], v[153:154], v[2:3]
	s_waitcnt lgkmcnt(0)
	s_delay_alu instid0(VALU_DEP_1)
	v_fma_f64 v[2:3], v[43:44], v[155:156], v[2:3]
	scratch_load_b128 v[41:44], off, off offset:472
	s_waitcnt vmcnt(4)
	v_fma_f64 v[2:3], v[147:148], v[157:158], v[2:3]
	ds_load_b128 v[151:154], v1 offset:912
	ds_load_b128 v[155:158], v1 offset:928
	s_waitcnt lgkmcnt(1)
	v_fma_f64 v[2:3], v[149:150], v[151:152], v[2:3]
	s_waitcnt vmcnt(3)
	s_delay_alu instid0(VALU_DEP_1)
	v_fma_f64 v[2:3], v[159:160], v[153:154], v[2:3]
	ds_load_b128 v[147:150], v1 offset:944
	ds_load_b128 v[151:154], v1 offset:960
	s_waitcnt lgkmcnt(2)
	v_fma_f64 v[2:3], v[161:162], v[155:156], v[2:3]
	s_waitcnt vmcnt(2)
	s_delay_alu instid0(VALU_DEP_1) | instskip(SKIP_4) | instid1(VALU_DEP_1)
	v_fma_f64 v[2:3], v[15:16], v[157:158], v[2:3]
	ds_load_b64 v[15:16], v1 offset:976
	s_waitcnt lgkmcnt(2)
	v_fma_f64 v[2:3], v[17:18], v[147:148], v[2:3]
	s_waitcnt vmcnt(1)
	v_fma_f64 v[2:3], v[37:38], v[149:150], v[2:3]
	s_waitcnt lgkmcnt(1)
	s_delay_alu instid0(VALU_DEP_1) | instskip(SKIP_1) | instid1(VALU_DEP_1)
	v_fma_f64 v[2:3], v[39:40], v[151:152], v[2:3]
	s_waitcnt vmcnt(0)
	v_fma_f64 v[2:3], v[41:42], v[153:154], v[2:3]
	s_waitcnt lgkmcnt(0)
	s_delay_alu instid0(VALU_DEP_1) | instskip(NEXT) | instid1(VALU_DEP_1)
	v_fma_f64 v[2:3], v[43:44], v[15:16], v[2:3]
	v_add_f64 v[2:3], v[13:14], -v[2:3]
	scratch_store_b64 off, v[2:3], off offset:344
	v_cmpx_lt_u32_e32 42, v0
	s_cbranch_execz .LBB124_291
; %bb.290:
	scratch_load_b64 v[3:4], off, off offset:336
	v_mov_b32_e32 v2, v1
	scratch_store_b64 off, v[1:2], off offset:336
	s_waitcnt vmcnt(0)
	ds_store_b64 v5, v[3:4]
.LBB124_291:
	s_or_b32 exec_lo, exec_lo, s0
	s_waitcnt lgkmcnt(0)
	s_waitcnt_vscnt null, 0x0
	s_barrier
	buffer_gl0_inv
	s_clause 0x4
	scratch_load_b128 v[13:16], off, off offset:336
	scratch_load_b128 v[17:20], off, off offset:352
	;; [unrolled: 1-line block ×5, first 2 shown]
	ds_load_2addr_b64 v[151:154], v1 offset0:105 offset1:106
	ds_load_2addr_b64 v[155:158], v1 offset0:107 offset1:108
	scratch_load_b128 v[159:162], off, off offset:416
	s_mov_b32 s0, exec_lo
	s_waitcnt vmcnt(5) lgkmcnt(1)
	v_fma_f64 v[2:3], v[15:16], v[151:152], 0
	s_waitcnt vmcnt(4)
	s_delay_alu instid0(VALU_DEP_1) | instskip(SKIP_4) | instid1(VALU_DEP_1)
	v_fma_f64 v[2:3], v[17:18], v[153:154], v[2:3]
	scratch_load_b128 v[15:18], off, off offset:432
	s_waitcnt lgkmcnt(0)
	v_fma_f64 v[2:3], v[19:20], v[155:156], v[2:3]
	s_waitcnt vmcnt(4)
	v_fma_f64 v[2:3], v[37:38], v[157:158], v[2:3]
	ds_load_2addr_b64 v[151:154], v1 offset0:109 offset1:110
	ds_load_2addr_b64 v[155:158], v1 offset0:111 offset1:112
	s_waitcnt lgkmcnt(1)
	v_fma_f64 v[2:3], v[39:40], v[151:152], v[2:3]
	scratch_load_b128 v[37:40], off, off offset:448
	s_waitcnt vmcnt(4)
	v_fma_f64 v[2:3], v[41:42], v[153:154], v[2:3]
	s_waitcnt lgkmcnt(0)
	s_delay_alu instid0(VALU_DEP_1)
	v_fma_f64 v[2:3], v[43:44], v[155:156], v[2:3]
	scratch_load_b128 v[41:44], off, off offset:464
	s_waitcnt vmcnt(4)
	v_fma_f64 v[2:3], v[147:148], v[157:158], v[2:3]
	ds_load_2addr_b64 v[151:154], v1 offset0:113 offset1:114
	ds_load_2addr_b64 v[155:158], v1 offset0:115 offset1:116
	scratch_load_b64 v[19:20], off, off offset:480
	s_waitcnt lgkmcnt(1)
	v_fma_f64 v[2:3], v[149:150], v[151:152], v[2:3]
	s_waitcnt vmcnt(4)
	s_delay_alu instid0(VALU_DEP_1)
	v_fma_f64 v[2:3], v[159:160], v[153:154], v[2:3]
	ds_load_2addr_b64 v[147:150], v1 offset0:117 offset1:118
	ds_load_2addr_b64 v[151:154], v1 offset0:119 offset1:120
	s_waitcnt lgkmcnt(2)
	v_fma_f64 v[2:3], v[161:162], v[155:156], v[2:3]
	s_waitcnt vmcnt(3)
	s_delay_alu instid0(VALU_DEP_1) | instskip(SKIP_1) | instid1(VALU_DEP_1)
	v_fma_f64 v[2:3], v[15:16], v[157:158], v[2:3]
	s_waitcnt lgkmcnt(1)
	v_fma_f64 v[2:3], v[17:18], v[147:148], v[2:3]
	s_waitcnt vmcnt(2)
	s_delay_alu instid0(VALU_DEP_1) | instskip(SKIP_1) | instid1(VALU_DEP_1)
	v_fma_f64 v[2:3], v[37:38], v[149:150], v[2:3]
	s_waitcnt lgkmcnt(0)
	v_fma_f64 v[2:3], v[39:40], v[151:152], v[2:3]
	s_waitcnt vmcnt(1)
	s_delay_alu instid0(VALU_DEP_1) | instskip(SKIP_4) | instid1(VALU_DEP_1)
	v_fma_f64 v[15:16], v[41:42], v[153:154], v[2:3]
	ds_load_2addr_b64 v[1:4], v1 offset0:121 offset1:122
	s_waitcnt lgkmcnt(0)
	v_fma_f64 v[1:2], v[43:44], v[1:2], v[15:16]
	s_waitcnt vmcnt(0)
	v_fma_f64 v[1:2], v[19:20], v[3:4], v[1:2]
	s_delay_alu instid0(VALU_DEP_1)
	v_add_f64 v[1:2], v[13:14], -v[1:2]
	scratch_store_b64 off, v[1:2], off offset:336
	v_cmpx_lt_u32_e32 41, v0
	s_cbranch_execz .LBB124_293
; %bb.292:
	scratch_load_b64 v[1:2], off, off offset:328
	v_mov_b32_e32 v3, 0
	s_delay_alu instid0(VALU_DEP_1)
	v_mov_b32_e32 v4, v3
	scratch_store_b64 off, v[3:4], off offset:328
	s_waitcnt vmcnt(0)
	ds_store_b64 v5, v[1:2]
.LBB124_293:
	s_or_b32 exec_lo, exec_lo, s0
	s_waitcnt lgkmcnt(0)
	s_waitcnt_vscnt null, 0x0
	s_barrier
	buffer_gl0_inv
	s_clause 0x4
	scratch_load_b128 v[13:16], off, off offset:328
	scratch_load_b128 v[17:20], off, off offset:344
	;; [unrolled: 1-line block ×5, first 2 shown]
	v_mov_b32_e32 v1, 0
	ds_load_b128 v[151:154], v1 offset:832
	ds_load_b128 v[155:158], v1 offset:848
	scratch_load_b128 v[159:162], off, off offset:408
	s_mov_b32 s0, exec_lo
	s_waitcnt vmcnt(5) lgkmcnt(1)
	v_fma_f64 v[2:3], v[15:16], v[151:152], 0
	s_waitcnt vmcnt(4)
	s_delay_alu instid0(VALU_DEP_1) | instskip(SKIP_4) | instid1(VALU_DEP_1)
	v_fma_f64 v[2:3], v[17:18], v[153:154], v[2:3]
	scratch_load_b128 v[15:18], off, off offset:424
	s_waitcnt lgkmcnt(0)
	v_fma_f64 v[2:3], v[19:20], v[155:156], v[2:3]
	s_waitcnt vmcnt(4)
	v_fma_f64 v[2:3], v[37:38], v[157:158], v[2:3]
	ds_load_b128 v[151:154], v1 offset:864
	ds_load_b128 v[155:158], v1 offset:880
	s_waitcnt lgkmcnt(1)
	v_fma_f64 v[2:3], v[39:40], v[151:152], v[2:3]
	scratch_load_b128 v[37:40], off, off offset:440
	s_waitcnt vmcnt(4)
	v_fma_f64 v[2:3], v[41:42], v[153:154], v[2:3]
	s_waitcnt lgkmcnt(0)
	s_delay_alu instid0(VALU_DEP_1)
	v_fma_f64 v[2:3], v[43:44], v[155:156], v[2:3]
	scratch_load_b128 v[41:44], off, off offset:456
	s_waitcnt vmcnt(4)
	v_fma_f64 v[2:3], v[147:148], v[157:158], v[2:3]
	ds_load_b128 v[151:154], v1 offset:896
	ds_load_b128 v[155:158], v1 offset:912
	s_waitcnt lgkmcnt(1)
	v_fma_f64 v[2:3], v[149:150], v[151:152], v[2:3]
	scratch_load_b128 v[147:150], off, off offset:472
	s_waitcnt vmcnt(4)
	v_fma_f64 v[2:3], v[159:160], v[153:154], v[2:3]
	s_waitcnt lgkmcnt(0)
	s_delay_alu instid0(VALU_DEP_1) | instskip(SKIP_1) | instid1(VALU_DEP_1)
	v_fma_f64 v[2:3], v[161:162], v[155:156], v[2:3]
	s_waitcnt vmcnt(3)
	v_fma_f64 v[2:3], v[15:16], v[157:158], v[2:3]
	ds_load_b128 v[151:154], v1 offset:928
	ds_load_b128 v[155:158], v1 offset:944
	s_waitcnt lgkmcnt(1)
	v_fma_f64 v[2:3], v[17:18], v[151:152], v[2:3]
	ds_load_b128 v[15:18], v1 offset:960
	ds_load_b64 v[19:20], v1 offset:976
	s_waitcnt vmcnt(2)
	v_fma_f64 v[2:3], v[37:38], v[153:154], v[2:3]
	s_waitcnt lgkmcnt(2)
	s_delay_alu instid0(VALU_DEP_1) | instskip(SKIP_1) | instid1(VALU_DEP_1)
	v_fma_f64 v[2:3], v[39:40], v[155:156], v[2:3]
	s_waitcnt vmcnt(1)
	v_fma_f64 v[2:3], v[41:42], v[157:158], v[2:3]
	s_waitcnt lgkmcnt(1)
	s_delay_alu instid0(VALU_DEP_1) | instskip(SKIP_1) | instid1(VALU_DEP_1)
	v_fma_f64 v[2:3], v[43:44], v[15:16], v[2:3]
	s_waitcnt vmcnt(0)
	v_fma_f64 v[2:3], v[147:148], v[17:18], v[2:3]
	s_waitcnt lgkmcnt(0)
	s_delay_alu instid0(VALU_DEP_1) | instskip(NEXT) | instid1(VALU_DEP_1)
	v_fma_f64 v[2:3], v[149:150], v[19:20], v[2:3]
	v_add_f64 v[2:3], v[13:14], -v[2:3]
	scratch_store_b64 off, v[2:3], off offset:328
	v_cmpx_lt_u32_e32 40, v0
	s_cbranch_execz .LBB124_295
; %bb.294:
	scratch_load_b64 v[3:4], off, off offset:320
	v_mov_b32_e32 v2, v1
	scratch_store_b64 off, v[1:2], off offset:320
	s_waitcnt vmcnt(0)
	ds_store_b64 v5, v[3:4]
.LBB124_295:
	s_or_b32 exec_lo, exec_lo, s0
	s_waitcnt lgkmcnt(0)
	s_waitcnt_vscnt null, 0x0
	s_barrier
	buffer_gl0_inv
	s_clause 0x4
	scratch_load_b128 v[13:16], off, off offset:320
	scratch_load_b128 v[17:20], off, off offset:336
	;; [unrolled: 1-line block ×5, first 2 shown]
	ds_load_2addr_b64 v[151:154], v1 offset0:103 offset1:104
	ds_load_2addr_b64 v[155:158], v1 offset0:105 offset1:106
	scratch_load_b128 v[159:162], off, off offset:400
	s_mov_b32 s0, exec_lo
	s_waitcnt vmcnt(5) lgkmcnt(1)
	v_fma_f64 v[2:3], v[15:16], v[151:152], 0
	s_waitcnt vmcnt(4)
	s_delay_alu instid0(VALU_DEP_1) | instskip(SKIP_4) | instid1(VALU_DEP_1)
	v_fma_f64 v[2:3], v[17:18], v[153:154], v[2:3]
	scratch_load_b128 v[15:18], off, off offset:416
	s_waitcnt lgkmcnt(0)
	v_fma_f64 v[2:3], v[19:20], v[155:156], v[2:3]
	s_waitcnt vmcnt(4)
	v_fma_f64 v[2:3], v[37:38], v[157:158], v[2:3]
	ds_load_2addr_b64 v[151:154], v1 offset0:107 offset1:108
	ds_load_2addr_b64 v[155:158], v1 offset0:109 offset1:110
	s_waitcnt lgkmcnt(1)
	v_fma_f64 v[2:3], v[39:40], v[151:152], v[2:3]
	scratch_load_b128 v[37:40], off, off offset:432
	s_waitcnt vmcnt(4)
	v_fma_f64 v[2:3], v[41:42], v[153:154], v[2:3]
	s_waitcnt lgkmcnt(0)
	s_delay_alu instid0(VALU_DEP_1)
	v_fma_f64 v[2:3], v[43:44], v[155:156], v[2:3]
	scratch_load_b128 v[41:44], off, off offset:448
	s_waitcnt vmcnt(4)
	v_fma_f64 v[2:3], v[147:148], v[157:158], v[2:3]
	ds_load_2addr_b64 v[151:154], v1 offset0:111 offset1:112
	ds_load_2addr_b64 v[155:158], v1 offset0:113 offset1:114
	scratch_load_b64 v[19:20], off, off offset:480
	s_waitcnt lgkmcnt(1)
	v_fma_f64 v[2:3], v[149:150], v[151:152], v[2:3]
	scratch_load_b128 v[147:150], off, off offset:464
	s_waitcnt vmcnt(5)
	v_fma_f64 v[2:3], v[159:160], v[153:154], v[2:3]
	s_waitcnt lgkmcnt(0)
	s_delay_alu instid0(VALU_DEP_1) | instskip(SKIP_1) | instid1(VALU_DEP_1)
	v_fma_f64 v[2:3], v[161:162], v[155:156], v[2:3]
	s_waitcnt vmcnt(4)
	v_fma_f64 v[2:3], v[15:16], v[157:158], v[2:3]
	ds_load_2addr_b64 v[151:154], v1 offset0:115 offset1:116
	ds_load_2addr_b64 v[155:158], v1 offset0:117 offset1:118
	s_waitcnt lgkmcnt(1)
	v_fma_f64 v[2:3], v[17:18], v[151:152], v[2:3]
	s_waitcnt vmcnt(3)
	s_delay_alu instid0(VALU_DEP_1) | instskip(SKIP_1) | instid1(VALU_DEP_1)
	v_fma_f64 v[2:3], v[37:38], v[153:154], v[2:3]
	s_waitcnt lgkmcnt(0)
	v_fma_f64 v[2:3], v[39:40], v[155:156], v[2:3]
	s_waitcnt vmcnt(2)
	s_delay_alu instid0(VALU_DEP_1)
	v_fma_f64 v[31:32], v[41:42], v[157:158], v[2:3]
	ds_load_2addr_b64 v[15:18], v1 offset0:119 offset1:120
	ds_load_2addr_b64 v[1:4], v1 offset0:121 offset1:122
	s_waitcnt lgkmcnt(1)
	v_fma_f64 v[15:16], v[43:44], v[15:16], v[31:32]
	s_waitcnt vmcnt(0)
	s_delay_alu instid0(VALU_DEP_1) | instskip(SKIP_1) | instid1(VALU_DEP_1)
	v_fma_f64 v[15:16], v[147:148], v[17:18], v[15:16]
	s_waitcnt lgkmcnt(0)
	v_fma_f64 v[1:2], v[149:150], v[1:2], v[15:16]
	s_delay_alu instid0(VALU_DEP_1) | instskip(NEXT) | instid1(VALU_DEP_1)
	v_fma_f64 v[1:2], v[19:20], v[3:4], v[1:2]
	v_add_f64 v[1:2], v[13:14], -v[1:2]
	scratch_store_b64 off, v[1:2], off offset:320
	v_cmpx_lt_u32_e32 39, v0
	s_cbranch_execz .LBB124_297
; %bb.296:
	scratch_load_b64 v[1:2], off, off offset:312
	v_mov_b32_e32 v3, 0
	s_delay_alu instid0(VALU_DEP_1)
	v_mov_b32_e32 v4, v3
	scratch_store_b64 off, v[3:4], off offset:312
	s_waitcnt vmcnt(0)
	ds_store_b64 v5, v[1:2]
.LBB124_297:
	s_or_b32 exec_lo, exec_lo, s0
	s_waitcnt lgkmcnt(0)
	s_waitcnt_vscnt null, 0x0
	s_barrier
	buffer_gl0_inv
	s_clause 0x4
	scratch_load_b128 v[13:16], off, off offset:312
	scratch_load_b128 v[17:20], off, off offset:328
	;; [unrolled: 1-line block ×5, first 2 shown]
	v_mov_b32_e32 v1, 0
	ds_load_b128 v[151:154], v1 offset:816
	ds_load_b128 v[155:158], v1 offset:832
	scratch_load_b128 v[159:162], off, off offset:392
	s_mov_b32 s0, exec_lo
	s_waitcnt vmcnt(5) lgkmcnt(1)
	v_fma_f64 v[2:3], v[15:16], v[151:152], 0
	s_waitcnt vmcnt(4)
	s_delay_alu instid0(VALU_DEP_1) | instskip(SKIP_4) | instid1(VALU_DEP_1)
	v_fma_f64 v[2:3], v[17:18], v[153:154], v[2:3]
	scratch_load_b128 v[15:18], off, off offset:408
	s_waitcnt lgkmcnt(0)
	v_fma_f64 v[2:3], v[19:20], v[155:156], v[2:3]
	s_waitcnt vmcnt(4)
	v_fma_f64 v[2:3], v[37:38], v[157:158], v[2:3]
	ds_load_b128 v[151:154], v1 offset:848
	ds_load_b128 v[155:158], v1 offset:864
	s_waitcnt lgkmcnt(1)
	v_fma_f64 v[2:3], v[39:40], v[151:152], v[2:3]
	scratch_load_b128 v[37:40], off, off offset:424
	s_waitcnt vmcnt(4)
	v_fma_f64 v[2:3], v[41:42], v[153:154], v[2:3]
	s_waitcnt lgkmcnt(0)
	s_delay_alu instid0(VALU_DEP_1)
	v_fma_f64 v[2:3], v[43:44], v[155:156], v[2:3]
	scratch_load_b128 v[41:44], off, off offset:440
	s_waitcnt vmcnt(4)
	v_fma_f64 v[2:3], v[147:148], v[157:158], v[2:3]
	ds_load_b128 v[151:154], v1 offset:880
	ds_load_b128 v[155:158], v1 offset:896
	s_waitcnt lgkmcnt(1)
	v_fma_f64 v[2:3], v[149:150], v[151:152], v[2:3]
	scratch_load_b128 v[147:150], off, off offset:456
	s_waitcnt vmcnt(4)
	v_fma_f64 v[2:3], v[159:160], v[153:154], v[2:3]
	scratch_load_b128 v[151:154], off, off offset:472
	s_waitcnt lgkmcnt(0)
	v_fma_f64 v[2:3], v[161:162], v[155:156], v[2:3]
	s_waitcnt vmcnt(4)
	s_delay_alu instid0(VALU_DEP_1)
	v_fma_f64 v[2:3], v[15:16], v[157:158], v[2:3]
	ds_load_b128 v[155:158], v1 offset:912
	ds_load_b128 v[159:162], v1 offset:928
	s_waitcnt lgkmcnt(1)
	v_fma_f64 v[2:3], v[17:18], v[155:156], v[2:3]
	s_waitcnt vmcnt(3)
	s_delay_alu instid0(VALU_DEP_1) | instskip(SKIP_1) | instid1(VALU_DEP_1)
	v_fma_f64 v[2:3], v[37:38], v[157:158], v[2:3]
	s_waitcnt lgkmcnt(0)
	v_fma_f64 v[2:3], v[39:40], v[159:160], v[2:3]
	ds_load_b128 v[15:18], v1 offset:944
	ds_load_b128 v[37:40], v1 offset:960
	s_waitcnt vmcnt(2)
	v_fma_f64 v[2:3], v[41:42], v[161:162], v[2:3]
	s_waitcnt lgkmcnt(1)
	s_delay_alu instid0(VALU_DEP_1) | instskip(SKIP_4) | instid1(VALU_DEP_1)
	v_fma_f64 v[2:3], v[43:44], v[15:16], v[2:3]
	ds_load_b64 v[15:16], v1 offset:976
	s_waitcnt vmcnt(1)
	v_fma_f64 v[2:3], v[147:148], v[17:18], v[2:3]
	s_waitcnt lgkmcnt(1)
	v_fma_f64 v[2:3], v[149:150], v[37:38], v[2:3]
	s_waitcnt vmcnt(0)
	s_delay_alu instid0(VALU_DEP_1) | instskip(SKIP_1) | instid1(VALU_DEP_1)
	v_fma_f64 v[2:3], v[151:152], v[39:40], v[2:3]
	s_waitcnt lgkmcnt(0)
	v_fma_f64 v[2:3], v[153:154], v[15:16], v[2:3]
	s_delay_alu instid0(VALU_DEP_1)
	v_add_f64 v[2:3], v[13:14], -v[2:3]
	scratch_store_b64 off, v[2:3], off offset:312
	v_cmpx_lt_u32_e32 38, v0
	s_cbranch_execz .LBB124_299
; %bb.298:
	scratch_load_b64 v[3:4], off, off offset:304
	v_mov_b32_e32 v2, v1
	scratch_store_b64 off, v[1:2], off offset:304
	s_waitcnt vmcnt(0)
	ds_store_b64 v5, v[3:4]
.LBB124_299:
	s_or_b32 exec_lo, exec_lo, s0
	s_waitcnt lgkmcnt(0)
	s_waitcnt_vscnt null, 0x0
	s_barrier
	buffer_gl0_inv
	s_clause 0x4
	scratch_load_b128 v[13:16], off, off offset:304
	scratch_load_b128 v[17:20], off, off offset:320
	;; [unrolled: 1-line block ×5, first 2 shown]
	ds_load_2addr_b64 v[151:154], v1 offset0:101 offset1:102
	ds_load_2addr_b64 v[155:158], v1 offset0:103 offset1:104
	scratch_load_b128 v[159:162], off, off offset:384
	s_mov_b32 s0, exec_lo
	s_waitcnt vmcnt(5) lgkmcnt(1)
	v_fma_f64 v[2:3], v[15:16], v[151:152], 0
	s_waitcnt vmcnt(4)
	s_delay_alu instid0(VALU_DEP_1) | instskip(SKIP_4) | instid1(VALU_DEP_1)
	v_fma_f64 v[2:3], v[17:18], v[153:154], v[2:3]
	scratch_load_b128 v[15:18], off, off offset:400
	s_waitcnt lgkmcnt(0)
	v_fma_f64 v[2:3], v[19:20], v[155:156], v[2:3]
	s_waitcnt vmcnt(4)
	v_fma_f64 v[2:3], v[37:38], v[157:158], v[2:3]
	ds_load_2addr_b64 v[151:154], v1 offset0:105 offset1:106
	ds_load_2addr_b64 v[155:158], v1 offset0:107 offset1:108
	s_waitcnt lgkmcnt(1)
	v_fma_f64 v[2:3], v[39:40], v[151:152], v[2:3]
	scratch_load_b128 v[37:40], off, off offset:416
	s_waitcnt vmcnt(4)
	v_fma_f64 v[2:3], v[41:42], v[153:154], v[2:3]
	s_waitcnt lgkmcnt(0)
	s_delay_alu instid0(VALU_DEP_1)
	v_fma_f64 v[2:3], v[43:44], v[155:156], v[2:3]
	scratch_load_b128 v[41:44], off, off offset:432
	s_waitcnt vmcnt(4)
	v_fma_f64 v[2:3], v[147:148], v[157:158], v[2:3]
	ds_load_2addr_b64 v[151:154], v1 offset0:109 offset1:110
	ds_load_2addr_b64 v[155:158], v1 offset0:111 offset1:112
	s_waitcnt lgkmcnt(1)
	v_fma_f64 v[2:3], v[149:150], v[151:152], v[2:3]
	scratch_load_b128 v[147:150], off, off offset:448
	s_waitcnt vmcnt(4)
	v_fma_f64 v[2:3], v[159:160], v[153:154], v[2:3]
	scratch_load_b128 v[151:154], off, off offset:464
	s_waitcnt lgkmcnt(0)
	v_fma_f64 v[2:3], v[161:162], v[155:156], v[2:3]
	s_waitcnt vmcnt(4)
	s_delay_alu instid0(VALU_DEP_1)
	v_fma_f64 v[2:3], v[15:16], v[157:158], v[2:3]
	ds_load_2addr_b64 v[155:158], v1 offset0:113 offset1:114
	ds_load_2addr_b64 v[159:162], v1 offset0:115 offset1:116
	scratch_load_b64 v[19:20], off, off offset:480
	s_waitcnt lgkmcnt(1)
	v_fma_f64 v[2:3], v[17:18], v[155:156], v[2:3]
	s_waitcnt vmcnt(4)
	s_delay_alu instid0(VALU_DEP_1) | instskip(SKIP_1) | instid1(VALU_DEP_1)
	v_fma_f64 v[2:3], v[37:38], v[157:158], v[2:3]
	s_waitcnt lgkmcnt(0)
	v_fma_f64 v[2:3], v[39:40], v[159:160], v[2:3]
	ds_load_2addr_b64 v[15:18], v1 offset0:117 offset1:118
	ds_load_2addr_b64 v[37:40], v1 offset0:119 offset1:120
	s_waitcnt vmcnt(3)
	v_fma_f64 v[2:3], v[41:42], v[161:162], v[2:3]
	s_waitcnt lgkmcnt(1)
	s_delay_alu instid0(VALU_DEP_1) | instskip(SKIP_1) | instid1(VALU_DEP_1)
	v_fma_f64 v[2:3], v[43:44], v[15:16], v[2:3]
	s_waitcnt vmcnt(2)
	v_fma_f64 v[2:3], v[147:148], v[17:18], v[2:3]
	s_waitcnt lgkmcnt(0)
	s_delay_alu instid0(VALU_DEP_1) | instskip(SKIP_1) | instid1(VALU_DEP_1)
	v_fma_f64 v[2:3], v[149:150], v[37:38], v[2:3]
	s_waitcnt vmcnt(1)
	v_fma_f64 v[15:16], v[151:152], v[39:40], v[2:3]
	ds_load_2addr_b64 v[1:4], v1 offset0:121 offset1:122
	s_waitcnt lgkmcnt(0)
	v_fma_f64 v[1:2], v[153:154], v[1:2], v[15:16]
	s_waitcnt vmcnt(0)
	s_delay_alu instid0(VALU_DEP_1) | instskip(NEXT) | instid1(VALU_DEP_1)
	v_fma_f64 v[1:2], v[19:20], v[3:4], v[1:2]
	v_add_f64 v[1:2], v[13:14], -v[1:2]
	scratch_store_b64 off, v[1:2], off offset:304
	v_cmpx_lt_u32_e32 37, v0
	s_cbranch_execz .LBB124_301
; %bb.300:
	scratch_load_b64 v[1:2], off, off offset:296
	v_mov_b32_e32 v3, 0
	s_delay_alu instid0(VALU_DEP_1)
	v_mov_b32_e32 v4, v3
	scratch_store_b64 off, v[3:4], off offset:296
	s_waitcnt vmcnt(0)
	ds_store_b64 v5, v[1:2]
.LBB124_301:
	s_or_b32 exec_lo, exec_lo, s0
	s_waitcnt lgkmcnt(0)
	s_waitcnt_vscnt null, 0x0
	s_barrier
	buffer_gl0_inv
	s_clause 0x4
	scratch_load_b128 v[13:16], off, off offset:296
	scratch_load_b128 v[17:20], off, off offset:312
	;; [unrolled: 1-line block ×5, first 2 shown]
	v_mov_b32_e32 v1, 0
	ds_load_b128 v[151:154], v1 offset:800
	ds_load_b128 v[155:158], v1 offset:816
	scratch_load_b128 v[159:162], off, off offset:376
	s_mov_b32 s0, exec_lo
	s_waitcnt vmcnt(5) lgkmcnt(1)
	v_fma_f64 v[2:3], v[15:16], v[151:152], 0
	s_waitcnt vmcnt(4)
	s_delay_alu instid0(VALU_DEP_1) | instskip(SKIP_4) | instid1(VALU_DEP_1)
	v_fma_f64 v[2:3], v[17:18], v[153:154], v[2:3]
	scratch_load_b128 v[15:18], off, off offset:392
	s_waitcnt lgkmcnt(0)
	v_fma_f64 v[2:3], v[19:20], v[155:156], v[2:3]
	s_waitcnt vmcnt(4)
	v_fma_f64 v[2:3], v[37:38], v[157:158], v[2:3]
	ds_load_b128 v[151:154], v1 offset:832
	ds_load_b128 v[155:158], v1 offset:848
	s_waitcnt lgkmcnt(1)
	v_fma_f64 v[2:3], v[39:40], v[151:152], v[2:3]
	scratch_load_b128 v[37:40], off, off offset:408
	s_waitcnt vmcnt(4)
	v_fma_f64 v[2:3], v[41:42], v[153:154], v[2:3]
	s_waitcnt lgkmcnt(0)
	s_delay_alu instid0(VALU_DEP_1)
	v_fma_f64 v[2:3], v[43:44], v[155:156], v[2:3]
	scratch_load_b128 v[41:44], off, off offset:424
	s_waitcnt vmcnt(4)
	v_fma_f64 v[2:3], v[147:148], v[157:158], v[2:3]
	ds_load_b128 v[151:154], v1 offset:864
	ds_load_b128 v[155:158], v1 offset:880
	s_waitcnt lgkmcnt(1)
	v_fma_f64 v[2:3], v[149:150], v[151:152], v[2:3]
	scratch_load_b128 v[147:150], off, off offset:440
	s_waitcnt vmcnt(4)
	v_fma_f64 v[2:3], v[159:160], v[153:154], v[2:3]
	scratch_load_b128 v[151:154], off, off offset:456
	s_waitcnt lgkmcnt(0)
	v_fma_f64 v[2:3], v[161:162], v[155:156], v[2:3]
	s_waitcnt vmcnt(4)
	s_delay_alu instid0(VALU_DEP_1)
	v_fma_f64 v[2:3], v[15:16], v[157:158], v[2:3]
	ds_load_b128 v[155:158], v1 offset:896
	ds_load_b128 v[159:162], v1 offset:912
	s_waitcnt lgkmcnt(1)
	v_fma_f64 v[2:3], v[17:18], v[155:156], v[2:3]
	scratch_load_b128 v[15:18], off, off offset:472
	s_waitcnt vmcnt(4)
	v_fma_f64 v[2:3], v[37:38], v[157:158], v[2:3]
	s_waitcnt lgkmcnt(0)
	s_delay_alu instid0(VALU_DEP_1)
	v_fma_f64 v[2:3], v[39:40], v[159:160], v[2:3]
	ds_load_b128 v[37:40], v1 offset:928
	ds_load_b128 v[155:158], v1 offset:944
	s_waitcnt vmcnt(3)
	v_fma_f64 v[2:3], v[41:42], v[161:162], v[2:3]
	s_waitcnt lgkmcnt(1)
	s_delay_alu instid0(VALU_DEP_1) | instskip(SKIP_1) | instid1(VALU_DEP_1)
	v_fma_f64 v[2:3], v[43:44], v[37:38], v[2:3]
	s_waitcnt vmcnt(2)
	v_fma_f64 v[2:3], v[147:148], v[39:40], v[2:3]
	ds_load_b128 v[37:40], v1 offset:960
	ds_load_b64 v[19:20], v1 offset:976
	s_waitcnt lgkmcnt(2)
	v_fma_f64 v[2:3], v[149:150], v[155:156], v[2:3]
	s_waitcnt vmcnt(1)
	s_delay_alu instid0(VALU_DEP_1) | instskip(SKIP_1) | instid1(VALU_DEP_1)
	v_fma_f64 v[2:3], v[151:152], v[157:158], v[2:3]
	s_waitcnt lgkmcnt(1)
	v_fma_f64 v[2:3], v[153:154], v[37:38], v[2:3]
	s_waitcnt vmcnt(0)
	s_delay_alu instid0(VALU_DEP_1) | instskip(SKIP_1) | instid1(VALU_DEP_1)
	v_fma_f64 v[2:3], v[15:16], v[39:40], v[2:3]
	s_waitcnt lgkmcnt(0)
	v_fma_f64 v[2:3], v[17:18], v[19:20], v[2:3]
	s_delay_alu instid0(VALU_DEP_1)
	v_add_f64 v[2:3], v[13:14], -v[2:3]
	scratch_store_b64 off, v[2:3], off offset:296
	v_cmpx_lt_u32_e32 36, v0
	s_cbranch_execz .LBB124_303
; %bb.302:
	scratch_load_b64 v[3:4], off, off offset:288
	v_mov_b32_e32 v2, v1
	scratch_store_b64 off, v[1:2], off offset:288
	s_waitcnt vmcnt(0)
	ds_store_b64 v5, v[3:4]
.LBB124_303:
	s_or_b32 exec_lo, exec_lo, s0
	s_waitcnt lgkmcnt(0)
	s_waitcnt_vscnt null, 0x0
	s_barrier
	buffer_gl0_inv
	s_clause 0x4
	scratch_load_b128 v[13:16], off, off offset:288
	scratch_load_b128 v[17:20], off, off offset:304
	;; [unrolled: 1-line block ×5, first 2 shown]
	ds_load_2addr_b64 v[151:154], v1 offset0:99 offset1:100
	ds_load_2addr_b64 v[155:158], v1 offset0:101 offset1:102
	scratch_load_b128 v[159:162], off, off offset:368
	s_mov_b32 s0, exec_lo
	s_waitcnt vmcnt(5) lgkmcnt(1)
	v_fma_f64 v[2:3], v[15:16], v[151:152], 0
	s_waitcnt vmcnt(4)
	s_delay_alu instid0(VALU_DEP_1) | instskip(SKIP_4) | instid1(VALU_DEP_1)
	v_fma_f64 v[2:3], v[17:18], v[153:154], v[2:3]
	scratch_load_b128 v[15:18], off, off offset:384
	s_waitcnt lgkmcnt(0)
	v_fma_f64 v[2:3], v[19:20], v[155:156], v[2:3]
	s_waitcnt vmcnt(4)
	v_fma_f64 v[2:3], v[37:38], v[157:158], v[2:3]
	ds_load_2addr_b64 v[151:154], v1 offset0:103 offset1:104
	ds_load_2addr_b64 v[155:158], v1 offset0:105 offset1:106
	s_waitcnt lgkmcnt(1)
	v_fma_f64 v[2:3], v[39:40], v[151:152], v[2:3]
	scratch_load_b128 v[37:40], off, off offset:400
	s_waitcnt vmcnt(4)
	v_fma_f64 v[2:3], v[41:42], v[153:154], v[2:3]
	s_waitcnt lgkmcnt(0)
	s_delay_alu instid0(VALU_DEP_1)
	v_fma_f64 v[2:3], v[43:44], v[155:156], v[2:3]
	scratch_load_b128 v[41:44], off, off offset:416
	s_waitcnt vmcnt(4)
	v_fma_f64 v[2:3], v[147:148], v[157:158], v[2:3]
	ds_load_2addr_b64 v[151:154], v1 offset0:107 offset1:108
	ds_load_2addr_b64 v[155:158], v1 offset0:109 offset1:110
	s_waitcnt lgkmcnt(1)
	v_fma_f64 v[2:3], v[149:150], v[151:152], v[2:3]
	scratch_load_b128 v[147:150], off, off offset:432
	s_waitcnt vmcnt(4)
	v_fma_f64 v[2:3], v[159:160], v[153:154], v[2:3]
	scratch_load_b128 v[151:154], off, off offset:448
	s_waitcnt lgkmcnt(0)
	v_fma_f64 v[2:3], v[161:162], v[155:156], v[2:3]
	s_waitcnt vmcnt(4)
	s_delay_alu instid0(VALU_DEP_1)
	v_fma_f64 v[2:3], v[15:16], v[157:158], v[2:3]
	ds_load_2addr_b64 v[155:158], v1 offset0:111 offset1:112
	ds_load_2addr_b64 v[159:162], v1 offset0:113 offset1:114
	scratch_load_b64 v[19:20], off, off offset:480
	s_waitcnt lgkmcnt(1)
	v_fma_f64 v[2:3], v[17:18], v[155:156], v[2:3]
	scratch_load_b128 v[15:18], off, off offset:464
	s_waitcnt vmcnt(5)
	v_fma_f64 v[2:3], v[37:38], v[157:158], v[2:3]
	s_waitcnt lgkmcnt(0)
	s_delay_alu instid0(VALU_DEP_1)
	v_fma_f64 v[2:3], v[39:40], v[159:160], v[2:3]
	ds_load_2addr_b64 v[37:40], v1 offset0:115 offset1:116
	ds_load_2addr_b64 v[155:158], v1 offset0:117 offset1:118
	s_waitcnt vmcnt(4)
	v_fma_f64 v[2:3], v[41:42], v[161:162], v[2:3]
	s_waitcnt lgkmcnt(1)
	s_delay_alu instid0(VALU_DEP_1) | instskip(SKIP_1) | instid1(VALU_DEP_1)
	v_fma_f64 v[2:3], v[43:44], v[37:38], v[2:3]
	s_waitcnt vmcnt(3)
	v_fma_f64 v[2:3], v[147:148], v[39:40], v[2:3]
	s_waitcnt lgkmcnt(0)
	s_delay_alu instid0(VALU_DEP_1) | instskip(SKIP_1) | instid1(VALU_DEP_1)
	v_fma_f64 v[2:3], v[149:150], v[155:156], v[2:3]
	s_waitcnt vmcnt(2)
	v_fma_f64 v[31:32], v[151:152], v[157:158], v[2:3]
	ds_load_2addr_b64 v[37:40], v1 offset0:119 offset1:120
	ds_load_2addr_b64 v[1:4], v1 offset0:121 offset1:122
	s_waitcnt lgkmcnt(1)
	v_fma_f64 v[31:32], v[153:154], v[37:38], v[31:32]
	s_waitcnt vmcnt(0)
	s_delay_alu instid0(VALU_DEP_1) | instskip(SKIP_1) | instid1(VALU_DEP_1)
	v_fma_f64 v[15:16], v[15:16], v[39:40], v[31:32]
	s_waitcnt lgkmcnt(0)
	v_fma_f64 v[1:2], v[17:18], v[1:2], v[15:16]
	s_delay_alu instid0(VALU_DEP_1) | instskip(NEXT) | instid1(VALU_DEP_1)
	v_fma_f64 v[1:2], v[19:20], v[3:4], v[1:2]
	v_add_f64 v[1:2], v[13:14], -v[1:2]
	scratch_store_b64 off, v[1:2], off offset:288
	v_cmpx_lt_u32_e32 35, v0
	s_cbranch_execz .LBB124_305
; %bb.304:
	scratch_load_b64 v[1:2], off, off offset:280
	v_mov_b32_e32 v3, 0
	s_delay_alu instid0(VALU_DEP_1)
	v_mov_b32_e32 v4, v3
	scratch_store_b64 off, v[3:4], off offset:280
	s_waitcnt vmcnt(0)
	ds_store_b64 v5, v[1:2]
.LBB124_305:
	s_or_b32 exec_lo, exec_lo, s0
	s_waitcnt lgkmcnt(0)
	s_waitcnt_vscnt null, 0x0
	s_barrier
	buffer_gl0_inv
	s_clause 0x4
	scratch_load_b128 v[13:16], off, off offset:280
	scratch_load_b128 v[17:20], off, off offset:296
	;; [unrolled: 1-line block ×5, first 2 shown]
	v_mov_b32_e32 v1, 0
	ds_load_b128 v[151:154], v1 offset:784
	ds_load_b128 v[155:158], v1 offset:800
	scratch_load_b128 v[159:162], off, off offset:360
	s_mov_b32 s0, exec_lo
	s_waitcnt vmcnt(5) lgkmcnt(1)
	v_fma_f64 v[2:3], v[15:16], v[151:152], 0
	s_waitcnt vmcnt(4)
	s_delay_alu instid0(VALU_DEP_1) | instskip(SKIP_4) | instid1(VALU_DEP_1)
	v_fma_f64 v[2:3], v[17:18], v[153:154], v[2:3]
	scratch_load_b128 v[15:18], off, off offset:376
	s_waitcnt lgkmcnt(0)
	v_fma_f64 v[2:3], v[19:20], v[155:156], v[2:3]
	s_waitcnt vmcnt(4)
	v_fma_f64 v[2:3], v[37:38], v[157:158], v[2:3]
	ds_load_b128 v[151:154], v1 offset:816
	ds_load_b128 v[155:158], v1 offset:832
	s_waitcnt lgkmcnt(1)
	v_fma_f64 v[2:3], v[39:40], v[151:152], v[2:3]
	scratch_load_b128 v[37:40], off, off offset:392
	s_waitcnt vmcnt(4)
	v_fma_f64 v[2:3], v[41:42], v[153:154], v[2:3]
	s_waitcnt lgkmcnt(0)
	s_delay_alu instid0(VALU_DEP_1)
	v_fma_f64 v[2:3], v[43:44], v[155:156], v[2:3]
	scratch_load_b128 v[41:44], off, off offset:408
	s_waitcnt vmcnt(4)
	v_fma_f64 v[2:3], v[147:148], v[157:158], v[2:3]
	ds_load_b128 v[151:154], v1 offset:848
	ds_load_b128 v[155:158], v1 offset:864
	s_waitcnt lgkmcnt(1)
	v_fma_f64 v[2:3], v[149:150], v[151:152], v[2:3]
	scratch_load_b128 v[147:150], off, off offset:424
	s_waitcnt vmcnt(4)
	v_fma_f64 v[2:3], v[159:160], v[153:154], v[2:3]
	scratch_load_b128 v[151:154], off, off offset:440
	s_waitcnt lgkmcnt(0)
	v_fma_f64 v[2:3], v[161:162], v[155:156], v[2:3]
	s_waitcnt vmcnt(4)
	s_delay_alu instid0(VALU_DEP_1)
	v_fma_f64 v[2:3], v[15:16], v[157:158], v[2:3]
	ds_load_b128 v[155:158], v1 offset:880
	ds_load_b128 v[159:162], v1 offset:896
	s_waitcnt lgkmcnt(1)
	v_fma_f64 v[2:3], v[17:18], v[155:156], v[2:3]
	scratch_load_b128 v[15:18], off, off offset:456
	s_waitcnt vmcnt(4)
	v_fma_f64 v[2:3], v[37:38], v[157:158], v[2:3]
	s_waitcnt lgkmcnt(0)
	s_delay_alu instid0(VALU_DEP_1)
	v_fma_f64 v[2:3], v[39:40], v[159:160], v[2:3]
	scratch_load_b128 v[37:40], off, off offset:472
	s_waitcnt vmcnt(4)
	v_fma_f64 v[2:3], v[41:42], v[161:162], v[2:3]
	ds_load_b128 v[155:158], v1 offset:912
	ds_load_b128 v[159:162], v1 offset:928
	s_waitcnt lgkmcnt(1)
	v_fma_f64 v[2:3], v[43:44], v[155:156], v[2:3]
	s_waitcnt vmcnt(3)
	s_delay_alu instid0(VALU_DEP_1) | instskip(SKIP_1) | instid1(VALU_DEP_1)
	v_fma_f64 v[2:3], v[147:148], v[157:158], v[2:3]
	s_waitcnt lgkmcnt(0)
	v_fma_f64 v[2:3], v[149:150], v[159:160], v[2:3]
	ds_load_b128 v[41:44], v1 offset:944
	ds_load_b128 v[147:150], v1 offset:960
	s_waitcnt vmcnt(2)
	v_fma_f64 v[2:3], v[151:152], v[161:162], v[2:3]
	s_waitcnt lgkmcnt(1)
	s_delay_alu instid0(VALU_DEP_1) | instskip(SKIP_1) | instid1(VALU_DEP_1)
	v_fma_f64 v[2:3], v[153:154], v[41:42], v[2:3]
	s_waitcnt vmcnt(1)
	v_fma_f64 v[2:3], v[15:16], v[43:44], v[2:3]
	ds_load_b64 v[15:16], v1 offset:976
	s_waitcnt lgkmcnt(1)
	v_fma_f64 v[2:3], v[17:18], v[147:148], v[2:3]
	s_waitcnt vmcnt(0)
	s_delay_alu instid0(VALU_DEP_1) | instskip(SKIP_1) | instid1(VALU_DEP_1)
	v_fma_f64 v[2:3], v[37:38], v[149:150], v[2:3]
	s_waitcnt lgkmcnt(0)
	v_fma_f64 v[2:3], v[39:40], v[15:16], v[2:3]
	s_delay_alu instid0(VALU_DEP_1)
	v_add_f64 v[2:3], v[13:14], -v[2:3]
	scratch_store_b64 off, v[2:3], off offset:280
	v_cmpx_lt_u32_e32 34, v0
	s_cbranch_execz .LBB124_307
; %bb.306:
	scratch_load_b64 v[3:4], off, off offset:272
	v_mov_b32_e32 v2, v1
	scratch_store_b64 off, v[1:2], off offset:272
	s_waitcnt vmcnt(0)
	ds_store_b64 v5, v[3:4]
.LBB124_307:
	s_or_b32 exec_lo, exec_lo, s0
	s_waitcnt lgkmcnt(0)
	s_waitcnt_vscnt null, 0x0
	s_barrier
	buffer_gl0_inv
	s_clause 0x4
	scratch_load_b128 v[13:16], off, off offset:272
	scratch_load_b128 v[17:20], off, off offset:288
	scratch_load_b128 v[37:40], off, off offset:304
	scratch_load_b128 v[41:44], off, off offset:320
	scratch_load_b128 v[147:150], off, off offset:336
	ds_load_2addr_b64 v[151:154], v1 offset0:97 offset1:98
	ds_load_2addr_b64 v[155:158], v1 offset0:99 offset1:100
	scratch_load_b128 v[159:162], off, off offset:352
	s_mov_b32 s0, exec_lo
	s_waitcnt vmcnt(5) lgkmcnt(1)
	v_fma_f64 v[2:3], v[15:16], v[151:152], 0
	s_waitcnt vmcnt(4)
	s_delay_alu instid0(VALU_DEP_1) | instskip(SKIP_4) | instid1(VALU_DEP_1)
	v_fma_f64 v[2:3], v[17:18], v[153:154], v[2:3]
	scratch_load_b128 v[15:18], off, off offset:368
	s_waitcnt lgkmcnt(0)
	v_fma_f64 v[2:3], v[19:20], v[155:156], v[2:3]
	s_waitcnt vmcnt(4)
	v_fma_f64 v[2:3], v[37:38], v[157:158], v[2:3]
	ds_load_2addr_b64 v[151:154], v1 offset0:101 offset1:102
	ds_load_2addr_b64 v[155:158], v1 offset0:103 offset1:104
	s_waitcnt lgkmcnt(1)
	v_fma_f64 v[2:3], v[39:40], v[151:152], v[2:3]
	scratch_load_b128 v[37:40], off, off offset:384
	s_waitcnt vmcnt(4)
	v_fma_f64 v[2:3], v[41:42], v[153:154], v[2:3]
	s_waitcnt lgkmcnt(0)
	s_delay_alu instid0(VALU_DEP_1)
	v_fma_f64 v[2:3], v[43:44], v[155:156], v[2:3]
	scratch_load_b128 v[41:44], off, off offset:400
	s_waitcnt vmcnt(4)
	v_fma_f64 v[2:3], v[147:148], v[157:158], v[2:3]
	ds_load_2addr_b64 v[151:154], v1 offset0:105 offset1:106
	ds_load_2addr_b64 v[155:158], v1 offset0:107 offset1:108
	s_waitcnt lgkmcnt(1)
	v_fma_f64 v[2:3], v[149:150], v[151:152], v[2:3]
	scratch_load_b128 v[147:150], off, off offset:416
	s_waitcnt vmcnt(4)
	v_fma_f64 v[2:3], v[159:160], v[153:154], v[2:3]
	scratch_load_b128 v[151:154], off, off offset:432
	s_waitcnt lgkmcnt(0)
	v_fma_f64 v[2:3], v[161:162], v[155:156], v[2:3]
	s_waitcnt vmcnt(4)
	s_delay_alu instid0(VALU_DEP_1)
	v_fma_f64 v[2:3], v[15:16], v[157:158], v[2:3]
	ds_load_2addr_b64 v[155:158], v1 offset0:109 offset1:110
	ds_load_2addr_b64 v[159:162], v1 offset0:111 offset1:112
	s_waitcnt lgkmcnt(1)
	v_fma_f64 v[2:3], v[17:18], v[155:156], v[2:3]
	scratch_load_b128 v[15:18], off, off offset:448
	s_waitcnt vmcnt(4)
	v_fma_f64 v[2:3], v[37:38], v[157:158], v[2:3]
	s_waitcnt lgkmcnt(0)
	s_delay_alu instid0(VALU_DEP_1)
	v_fma_f64 v[2:3], v[39:40], v[159:160], v[2:3]
	scratch_load_b128 v[37:40], off, off offset:464
	s_waitcnt vmcnt(4)
	v_fma_f64 v[2:3], v[41:42], v[161:162], v[2:3]
	ds_load_2addr_b64 v[155:158], v1 offset0:113 offset1:114
	ds_load_2addr_b64 v[159:162], v1 offset0:115 offset1:116
	scratch_load_b64 v[19:20], off, off offset:480
	s_waitcnt lgkmcnt(1)
	v_fma_f64 v[2:3], v[43:44], v[155:156], v[2:3]
	s_waitcnt vmcnt(4)
	s_delay_alu instid0(VALU_DEP_1) | instskip(SKIP_1) | instid1(VALU_DEP_1)
	v_fma_f64 v[2:3], v[147:148], v[157:158], v[2:3]
	s_waitcnt lgkmcnt(0)
	v_fma_f64 v[2:3], v[149:150], v[159:160], v[2:3]
	ds_load_2addr_b64 v[41:44], v1 offset0:117 offset1:118
	ds_load_2addr_b64 v[147:150], v1 offset0:119 offset1:120
	s_waitcnt vmcnt(3)
	v_fma_f64 v[2:3], v[151:152], v[161:162], v[2:3]
	s_waitcnt lgkmcnt(1)
	s_delay_alu instid0(VALU_DEP_1) | instskip(SKIP_1) | instid1(VALU_DEP_1)
	v_fma_f64 v[2:3], v[153:154], v[41:42], v[2:3]
	s_waitcnt vmcnt(2)
	v_fma_f64 v[2:3], v[15:16], v[43:44], v[2:3]
	s_waitcnt lgkmcnt(0)
	s_delay_alu instid0(VALU_DEP_1) | instskip(SKIP_1) | instid1(VALU_DEP_1)
	v_fma_f64 v[2:3], v[17:18], v[147:148], v[2:3]
	s_waitcnt vmcnt(1)
	v_fma_f64 v[15:16], v[37:38], v[149:150], v[2:3]
	ds_load_2addr_b64 v[1:4], v1 offset0:121 offset1:122
	s_waitcnt lgkmcnt(0)
	v_fma_f64 v[1:2], v[39:40], v[1:2], v[15:16]
	s_waitcnt vmcnt(0)
	s_delay_alu instid0(VALU_DEP_1) | instskip(NEXT) | instid1(VALU_DEP_1)
	v_fma_f64 v[1:2], v[19:20], v[3:4], v[1:2]
	v_add_f64 v[1:2], v[13:14], -v[1:2]
	scratch_store_b64 off, v[1:2], off offset:272
	v_cmpx_lt_u32_e32 33, v0
	s_cbranch_execz .LBB124_309
; %bb.308:
	scratch_load_b64 v[1:2], off, off offset:264
	v_mov_b32_e32 v3, 0
	s_delay_alu instid0(VALU_DEP_1)
	v_mov_b32_e32 v4, v3
	scratch_store_b64 off, v[3:4], off offset:264
	s_waitcnt vmcnt(0)
	ds_store_b64 v5, v[1:2]
.LBB124_309:
	s_or_b32 exec_lo, exec_lo, s0
	s_waitcnt lgkmcnt(0)
	s_waitcnt_vscnt null, 0x0
	s_barrier
	buffer_gl0_inv
	s_clause 0x4
	scratch_load_b128 v[13:16], off, off offset:264
	scratch_load_b128 v[17:20], off, off offset:280
	;; [unrolled: 1-line block ×5, first 2 shown]
	v_mov_b32_e32 v1, 0
	ds_load_b128 v[151:154], v1 offset:768
	ds_load_b128 v[155:158], v1 offset:784
	scratch_load_b128 v[159:162], off, off offset:344
	s_mov_b32 s0, exec_lo
	s_waitcnt vmcnt(5) lgkmcnt(1)
	v_fma_f64 v[2:3], v[15:16], v[151:152], 0
	s_waitcnt vmcnt(4)
	s_delay_alu instid0(VALU_DEP_1) | instskip(SKIP_4) | instid1(VALU_DEP_1)
	v_fma_f64 v[2:3], v[17:18], v[153:154], v[2:3]
	scratch_load_b128 v[15:18], off, off offset:360
	s_waitcnt lgkmcnt(0)
	v_fma_f64 v[2:3], v[19:20], v[155:156], v[2:3]
	s_waitcnt vmcnt(4)
	v_fma_f64 v[2:3], v[37:38], v[157:158], v[2:3]
	ds_load_b128 v[151:154], v1 offset:800
	ds_load_b128 v[155:158], v1 offset:816
	s_waitcnt lgkmcnt(1)
	v_fma_f64 v[2:3], v[39:40], v[151:152], v[2:3]
	scratch_load_b128 v[37:40], off, off offset:376
	s_waitcnt vmcnt(4)
	v_fma_f64 v[2:3], v[41:42], v[153:154], v[2:3]
	s_waitcnt lgkmcnt(0)
	s_delay_alu instid0(VALU_DEP_1)
	v_fma_f64 v[2:3], v[43:44], v[155:156], v[2:3]
	scratch_load_b128 v[41:44], off, off offset:392
	s_waitcnt vmcnt(4)
	v_fma_f64 v[2:3], v[147:148], v[157:158], v[2:3]
	ds_load_b128 v[151:154], v1 offset:832
	ds_load_b128 v[155:158], v1 offset:848
	s_waitcnt lgkmcnt(1)
	v_fma_f64 v[2:3], v[149:150], v[151:152], v[2:3]
	scratch_load_b128 v[147:150], off, off offset:408
	s_waitcnt vmcnt(4)
	v_fma_f64 v[2:3], v[159:160], v[153:154], v[2:3]
	scratch_load_b128 v[151:154], off, off offset:424
	s_waitcnt lgkmcnt(0)
	v_fma_f64 v[2:3], v[161:162], v[155:156], v[2:3]
	s_waitcnt vmcnt(4)
	s_delay_alu instid0(VALU_DEP_1)
	v_fma_f64 v[2:3], v[15:16], v[157:158], v[2:3]
	ds_load_b128 v[155:158], v1 offset:864
	ds_load_b128 v[159:162], v1 offset:880
	s_waitcnt lgkmcnt(1)
	v_fma_f64 v[2:3], v[17:18], v[155:156], v[2:3]
	scratch_load_b128 v[15:18], off, off offset:440
	s_waitcnt vmcnt(4)
	v_fma_f64 v[2:3], v[37:38], v[157:158], v[2:3]
	s_waitcnt lgkmcnt(0)
	s_delay_alu instid0(VALU_DEP_1)
	v_fma_f64 v[2:3], v[39:40], v[159:160], v[2:3]
	scratch_load_b128 v[37:40], off, off offset:456
	s_waitcnt vmcnt(4)
	v_fma_f64 v[2:3], v[41:42], v[161:162], v[2:3]
	ds_load_b128 v[155:158], v1 offset:896
	ds_load_b128 v[159:162], v1 offset:912
	s_waitcnt lgkmcnt(1)
	v_fma_f64 v[2:3], v[43:44], v[155:156], v[2:3]
	scratch_load_b128 v[41:44], off, off offset:472
	s_waitcnt vmcnt(4)
	v_fma_f64 v[2:3], v[147:148], v[157:158], v[2:3]
	s_waitcnt lgkmcnt(0)
	s_delay_alu instid0(VALU_DEP_1)
	v_fma_f64 v[2:3], v[149:150], v[159:160], v[2:3]
	ds_load_b128 v[147:150], v1 offset:928
	ds_load_b128 v[155:158], v1 offset:944
	s_waitcnt vmcnt(3)
	v_fma_f64 v[2:3], v[151:152], v[161:162], v[2:3]
	s_waitcnt lgkmcnt(1)
	s_delay_alu instid0(VALU_DEP_1) | instskip(SKIP_1) | instid1(VALU_DEP_1)
	v_fma_f64 v[2:3], v[153:154], v[147:148], v[2:3]
	s_waitcnt vmcnt(2)
	v_fma_f64 v[2:3], v[15:16], v[149:150], v[2:3]
	s_waitcnt lgkmcnt(0)
	s_delay_alu instid0(VALU_DEP_1)
	v_fma_f64 v[2:3], v[17:18], v[155:156], v[2:3]
	ds_load_b128 v[15:18], v1 offset:960
	ds_load_b64 v[19:20], v1 offset:976
	s_waitcnt vmcnt(1)
	v_fma_f64 v[2:3], v[37:38], v[157:158], v[2:3]
	s_waitcnt lgkmcnt(1)
	s_delay_alu instid0(VALU_DEP_1) | instskip(SKIP_1) | instid1(VALU_DEP_1)
	v_fma_f64 v[2:3], v[39:40], v[15:16], v[2:3]
	s_waitcnt vmcnt(0)
	v_fma_f64 v[2:3], v[41:42], v[17:18], v[2:3]
	s_waitcnt lgkmcnt(0)
	s_delay_alu instid0(VALU_DEP_1) | instskip(NEXT) | instid1(VALU_DEP_1)
	v_fma_f64 v[2:3], v[43:44], v[19:20], v[2:3]
	v_add_f64 v[2:3], v[13:14], -v[2:3]
	scratch_store_b64 off, v[2:3], off offset:264
	v_cmpx_lt_u32_e32 32, v0
	s_cbranch_execz .LBB124_311
; %bb.310:
	scratch_load_b64 v[3:4], off, off offset:256
	v_mov_b32_e32 v2, v1
	scratch_store_b64 off, v[1:2], off offset:256
	s_waitcnt vmcnt(0)
	ds_store_b64 v5, v[3:4]
.LBB124_311:
	s_or_b32 exec_lo, exec_lo, s0
	s_waitcnt lgkmcnt(0)
	s_waitcnt_vscnt null, 0x0
	s_barrier
	buffer_gl0_inv
	s_clause 0x4
	scratch_load_b128 v[13:16], off, off offset:256
	scratch_load_b128 v[17:20], off, off offset:272
	;; [unrolled: 1-line block ×5, first 2 shown]
	ds_load_2addr_b64 v[151:154], v1 offset0:95 offset1:96
	ds_load_2addr_b64 v[155:158], v1 offset0:97 offset1:98
	scratch_load_b128 v[159:162], off, off offset:336
	s_mov_b32 s0, exec_lo
	s_waitcnt vmcnt(5) lgkmcnt(1)
	v_fma_f64 v[2:3], v[15:16], v[151:152], 0
	s_waitcnt vmcnt(4)
	s_delay_alu instid0(VALU_DEP_1) | instskip(SKIP_4) | instid1(VALU_DEP_1)
	v_fma_f64 v[2:3], v[17:18], v[153:154], v[2:3]
	scratch_load_b128 v[15:18], off, off offset:352
	s_waitcnt lgkmcnt(0)
	v_fma_f64 v[2:3], v[19:20], v[155:156], v[2:3]
	s_waitcnt vmcnt(4)
	v_fma_f64 v[2:3], v[37:38], v[157:158], v[2:3]
	ds_load_2addr_b64 v[151:154], v1 offset0:99 offset1:100
	ds_load_2addr_b64 v[155:158], v1 offset0:101 offset1:102
	s_waitcnt lgkmcnt(1)
	v_fma_f64 v[2:3], v[39:40], v[151:152], v[2:3]
	scratch_load_b128 v[37:40], off, off offset:368
	s_waitcnt vmcnt(4)
	v_fma_f64 v[2:3], v[41:42], v[153:154], v[2:3]
	s_waitcnt lgkmcnt(0)
	s_delay_alu instid0(VALU_DEP_1)
	v_fma_f64 v[2:3], v[43:44], v[155:156], v[2:3]
	scratch_load_b128 v[41:44], off, off offset:384
	s_waitcnt vmcnt(4)
	v_fma_f64 v[2:3], v[147:148], v[157:158], v[2:3]
	ds_load_2addr_b64 v[151:154], v1 offset0:103 offset1:104
	ds_load_2addr_b64 v[155:158], v1 offset0:105 offset1:106
	s_waitcnt lgkmcnt(1)
	v_fma_f64 v[2:3], v[149:150], v[151:152], v[2:3]
	scratch_load_b128 v[147:150], off, off offset:400
	s_waitcnt vmcnt(4)
	v_fma_f64 v[2:3], v[159:160], v[153:154], v[2:3]
	scratch_load_b128 v[151:154], off, off offset:416
	s_waitcnt lgkmcnt(0)
	v_fma_f64 v[2:3], v[161:162], v[155:156], v[2:3]
	s_waitcnt vmcnt(4)
	s_delay_alu instid0(VALU_DEP_1)
	v_fma_f64 v[2:3], v[15:16], v[157:158], v[2:3]
	ds_load_2addr_b64 v[155:158], v1 offset0:107 offset1:108
	ds_load_2addr_b64 v[159:162], v1 offset0:109 offset1:110
	s_waitcnt lgkmcnt(1)
	v_fma_f64 v[2:3], v[17:18], v[155:156], v[2:3]
	scratch_load_b128 v[15:18], off, off offset:432
	s_waitcnt vmcnt(4)
	v_fma_f64 v[2:3], v[37:38], v[157:158], v[2:3]
	s_waitcnt lgkmcnt(0)
	s_delay_alu instid0(VALU_DEP_1)
	v_fma_f64 v[2:3], v[39:40], v[159:160], v[2:3]
	scratch_load_b128 v[37:40], off, off offset:448
	s_waitcnt vmcnt(4)
	v_fma_f64 v[2:3], v[41:42], v[161:162], v[2:3]
	ds_load_2addr_b64 v[155:158], v1 offset0:111 offset1:112
	ds_load_2addr_b64 v[159:162], v1 offset0:113 offset1:114
	scratch_load_b64 v[19:20], off, off offset:480
	s_waitcnt lgkmcnt(1)
	v_fma_f64 v[2:3], v[43:44], v[155:156], v[2:3]
	scratch_load_b128 v[41:44], off, off offset:464
	s_waitcnt vmcnt(5)
	v_fma_f64 v[2:3], v[147:148], v[157:158], v[2:3]
	s_waitcnt lgkmcnt(0)
	s_delay_alu instid0(VALU_DEP_1)
	v_fma_f64 v[2:3], v[149:150], v[159:160], v[2:3]
	ds_load_2addr_b64 v[147:150], v1 offset0:115 offset1:116
	ds_load_2addr_b64 v[155:158], v1 offset0:117 offset1:118
	s_waitcnt vmcnt(4)
	v_fma_f64 v[2:3], v[151:152], v[161:162], v[2:3]
	s_waitcnt lgkmcnt(1)
	s_delay_alu instid0(VALU_DEP_1) | instskip(SKIP_1) | instid1(VALU_DEP_1)
	v_fma_f64 v[2:3], v[153:154], v[147:148], v[2:3]
	s_waitcnt vmcnt(3)
	v_fma_f64 v[2:3], v[15:16], v[149:150], v[2:3]
	s_waitcnt lgkmcnt(0)
	s_delay_alu instid0(VALU_DEP_1) | instskip(SKIP_1) | instid1(VALU_DEP_1)
	v_fma_f64 v[2:3], v[17:18], v[155:156], v[2:3]
	s_waitcnt vmcnt(2)
	v_fma_f64 v[31:32], v[37:38], v[157:158], v[2:3]
	ds_load_2addr_b64 v[15:18], v1 offset0:119 offset1:120
	ds_load_2addr_b64 v[1:4], v1 offset0:121 offset1:122
	s_waitcnt lgkmcnt(1)
	v_fma_f64 v[15:16], v[39:40], v[15:16], v[31:32]
	s_waitcnt vmcnt(0)
	s_delay_alu instid0(VALU_DEP_1) | instskip(SKIP_1) | instid1(VALU_DEP_1)
	v_fma_f64 v[15:16], v[41:42], v[17:18], v[15:16]
	s_waitcnt lgkmcnt(0)
	v_fma_f64 v[1:2], v[43:44], v[1:2], v[15:16]
	s_delay_alu instid0(VALU_DEP_1) | instskip(NEXT) | instid1(VALU_DEP_1)
	v_fma_f64 v[1:2], v[19:20], v[3:4], v[1:2]
	v_add_f64 v[1:2], v[13:14], -v[1:2]
	scratch_store_b64 off, v[1:2], off offset:256
	v_cmpx_lt_u32_e32 31, v0
	s_cbranch_execz .LBB124_313
; %bb.312:
	scratch_load_b64 v[1:2], off, off offset:248
	v_mov_b32_e32 v3, 0
	s_delay_alu instid0(VALU_DEP_1)
	v_mov_b32_e32 v4, v3
	scratch_store_b64 off, v[3:4], off offset:248
	s_waitcnt vmcnt(0)
	ds_store_b64 v5, v[1:2]
.LBB124_313:
	s_or_b32 exec_lo, exec_lo, s0
	s_waitcnt lgkmcnt(0)
	s_waitcnt_vscnt null, 0x0
	s_barrier
	buffer_gl0_inv
	s_clause 0x4
	scratch_load_b128 v[13:16], off, off offset:248
	scratch_load_b128 v[17:20], off, off offset:264
	scratch_load_b128 v[37:40], off, off offset:280
	scratch_load_b128 v[41:44], off, off offset:296
	scratch_load_b128 v[147:150], off, off offset:312
	v_mov_b32_e32 v1, 0
	ds_load_b128 v[151:154], v1 offset:752
	ds_load_b128 v[155:158], v1 offset:768
	scratch_load_b128 v[159:162], off, off offset:328
	s_mov_b32 s0, exec_lo
	s_waitcnt vmcnt(5) lgkmcnt(1)
	v_fma_f64 v[2:3], v[15:16], v[151:152], 0
	s_waitcnt vmcnt(4)
	s_delay_alu instid0(VALU_DEP_1) | instskip(SKIP_4) | instid1(VALU_DEP_1)
	v_fma_f64 v[2:3], v[17:18], v[153:154], v[2:3]
	scratch_load_b128 v[15:18], off, off offset:344
	s_waitcnt lgkmcnt(0)
	v_fma_f64 v[2:3], v[19:20], v[155:156], v[2:3]
	s_waitcnt vmcnt(4)
	v_fma_f64 v[2:3], v[37:38], v[157:158], v[2:3]
	ds_load_b128 v[151:154], v1 offset:784
	ds_load_b128 v[155:158], v1 offset:800
	s_waitcnt lgkmcnt(1)
	v_fma_f64 v[2:3], v[39:40], v[151:152], v[2:3]
	scratch_load_b128 v[37:40], off, off offset:360
	s_waitcnt vmcnt(4)
	v_fma_f64 v[2:3], v[41:42], v[153:154], v[2:3]
	s_waitcnt lgkmcnt(0)
	s_delay_alu instid0(VALU_DEP_1)
	v_fma_f64 v[2:3], v[43:44], v[155:156], v[2:3]
	scratch_load_b128 v[41:44], off, off offset:376
	s_waitcnt vmcnt(4)
	v_fma_f64 v[2:3], v[147:148], v[157:158], v[2:3]
	ds_load_b128 v[151:154], v1 offset:816
	ds_load_b128 v[155:158], v1 offset:832
	s_waitcnt lgkmcnt(1)
	v_fma_f64 v[2:3], v[149:150], v[151:152], v[2:3]
	scratch_load_b128 v[147:150], off, off offset:392
	s_waitcnt vmcnt(4)
	v_fma_f64 v[2:3], v[159:160], v[153:154], v[2:3]
	scratch_load_b128 v[151:154], off, off offset:408
	s_waitcnt lgkmcnt(0)
	v_fma_f64 v[2:3], v[161:162], v[155:156], v[2:3]
	s_waitcnt vmcnt(4)
	s_delay_alu instid0(VALU_DEP_1)
	v_fma_f64 v[2:3], v[15:16], v[157:158], v[2:3]
	ds_load_b128 v[155:158], v1 offset:848
	ds_load_b128 v[159:162], v1 offset:864
	s_waitcnt lgkmcnt(1)
	v_fma_f64 v[2:3], v[17:18], v[155:156], v[2:3]
	scratch_load_b128 v[15:18], off, off offset:424
	s_waitcnt vmcnt(4)
	v_fma_f64 v[2:3], v[37:38], v[157:158], v[2:3]
	s_waitcnt lgkmcnt(0)
	s_delay_alu instid0(VALU_DEP_1)
	v_fma_f64 v[2:3], v[39:40], v[159:160], v[2:3]
	scratch_load_b128 v[37:40], off, off offset:440
	s_waitcnt vmcnt(4)
	v_fma_f64 v[2:3], v[41:42], v[161:162], v[2:3]
	ds_load_b128 v[155:158], v1 offset:880
	ds_load_b128 v[159:162], v1 offset:896
	s_waitcnt lgkmcnt(1)
	v_fma_f64 v[2:3], v[43:44], v[155:156], v[2:3]
	scratch_load_b128 v[41:44], off, off offset:456
	s_waitcnt vmcnt(4)
	v_fma_f64 v[2:3], v[147:148], v[157:158], v[2:3]
	s_waitcnt lgkmcnt(0)
	s_delay_alu instid0(VALU_DEP_1)
	v_fma_f64 v[2:3], v[149:150], v[159:160], v[2:3]
	scratch_load_b128 v[147:150], off, off offset:472
	s_waitcnt vmcnt(4)
	v_fma_f64 v[2:3], v[151:152], v[161:162], v[2:3]
	ds_load_b128 v[155:158], v1 offset:912
	ds_load_b128 v[159:162], v1 offset:928
	s_waitcnt lgkmcnt(1)
	v_fma_f64 v[2:3], v[153:154], v[155:156], v[2:3]
	s_waitcnt vmcnt(3)
	s_delay_alu instid0(VALU_DEP_1) | instskip(SKIP_1) | instid1(VALU_DEP_1)
	v_fma_f64 v[2:3], v[15:16], v[157:158], v[2:3]
	s_waitcnt lgkmcnt(0)
	v_fma_f64 v[2:3], v[17:18], v[159:160], v[2:3]
	ds_load_b128 v[15:18], v1 offset:944
	ds_load_b128 v[151:154], v1 offset:960
	s_waitcnt vmcnt(2)
	v_fma_f64 v[2:3], v[37:38], v[161:162], v[2:3]
	s_waitcnt lgkmcnt(1)
	s_delay_alu instid0(VALU_DEP_1) | instskip(SKIP_4) | instid1(VALU_DEP_1)
	v_fma_f64 v[2:3], v[39:40], v[15:16], v[2:3]
	ds_load_b64 v[15:16], v1 offset:976
	s_waitcnt vmcnt(1)
	v_fma_f64 v[2:3], v[41:42], v[17:18], v[2:3]
	s_waitcnt lgkmcnt(1)
	v_fma_f64 v[2:3], v[43:44], v[151:152], v[2:3]
	s_waitcnt vmcnt(0)
	s_delay_alu instid0(VALU_DEP_1) | instskip(SKIP_1) | instid1(VALU_DEP_1)
	v_fma_f64 v[2:3], v[147:148], v[153:154], v[2:3]
	s_waitcnt lgkmcnt(0)
	v_fma_f64 v[2:3], v[149:150], v[15:16], v[2:3]
	s_delay_alu instid0(VALU_DEP_1)
	v_add_f64 v[2:3], v[13:14], -v[2:3]
	scratch_store_b64 off, v[2:3], off offset:248
	v_cmpx_lt_u32_e32 30, v0
	s_cbranch_execz .LBB124_315
; %bb.314:
	scratch_load_b64 v[3:4], off, off offset:240
	v_mov_b32_e32 v2, v1
	scratch_store_b64 off, v[1:2], off offset:240
	s_waitcnt vmcnt(0)
	ds_store_b64 v5, v[3:4]
.LBB124_315:
	s_or_b32 exec_lo, exec_lo, s0
	s_waitcnt lgkmcnt(0)
	s_waitcnt_vscnt null, 0x0
	s_barrier
	buffer_gl0_inv
	s_clause 0x4
	scratch_load_b128 v[13:16], off, off offset:240
	scratch_load_b128 v[17:20], off, off offset:256
	;; [unrolled: 1-line block ×5, first 2 shown]
	ds_load_2addr_b64 v[151:154], v1 offset0:93 offset1:94
	ds_load_2addr_b64 v[155:158], v1 offset0:95 offset1:96
	scratch_load_b128 v[159:162], off, off offset:320
	s_mov_b32 s0, exec_lo
	s_waitcnt vmcnt(5) lgkmcnt(1)
	v_fma_f64 v[2:3], v[15:16], v[151:152], 0
	s_waitcnt vmcnt(4)
	s_delay_alu instid0(VALU_DEP_1) | instskip(SKIP_4) | instid1(VALU_DEP_1)
	v_fma_f64 v[2:3], v[17:18], v[153:154], v[2:3]
	scratch_load_b128 v[15:18], off, off offset:336
	s_waitcnt lgkmcnt(0)
	v_fma_f64 v[2:3], v[19:20], v[155:156], v[2:3]
	s_waitcnt vmcnt(4)
	v_fma_f64 v[2:3], v[37:38], v[157:158], v[2:3]
	ds_load_2addr_b64 v[151:154], v1 offset0:97 offset1:98
	ds_load_2addr_b64 v[155:158], v1 offset0:99 offset1:100
	s_waitcnt lgkmcnt(1)
	v_fma_f64 v[2:3], v[39:40], v[151:152], v[2:3]
	scratch_load_b128 v[37:40], off, off offset:352
	s_waitcnt vmcnt(4)
	v_fma_f64 v[2:3], v[41:42], v[153:154], v[2:3]
	s_waitcnt lgkmcnt(0)
	s_delay_alu instid0(VALU_DEP_1)
	v_fma_f64 v[2:3], v[43:44], v[155:156], v[2:3]
	scratch_load_b128 v[41:44], off, off offset:368
	s_waitcnt vmcnt(4)
	v_fma_f64 v[2:3], v[147:148], v[157:158], v[2:3]
	ds_load_2addr_b64 v[151:154], v1 offset0:101 offset1:102
	ds_load_2addr_b64 v[155:158], v1 offset0:103 offset1:104
	s_waitcnt lgkmcnt(1)
	v_fma_f64 v[2:3], v[149:150], v[151:152], v[2:3]
	scratch_load_b128 v[147:150], off, off offset:384
	s_waitcnt vmcnt(4)
	v_fma_f64 v[2:3], v[159:160], v[153:154], v[2:3]
	scratch_load_b128 v[151:154], off, off offset:400
	s_waitcnt lgkmcnt(0)
	v_fma_f64 v[2:3], v[161:162], v[155:156], v[2:3]
	s_waitcnt vmcnt(4)
	s_delay_alu instid0(VALU_DEP_1)
	v_fma_f64 v[2:3], v[15:16], v[157:158], v[2:3]
	ds_load_2addr_b64 v[155:158], v1 offset0:105 offset1:106
	ds_load_2addr_b64 v[159:162], v1 offset0:107 offset1:108
	s_waitcnt lgkmcnt(1)
	v_fma_f64 v[2:3], v[17:18], v[155:156], v[2:3]
	scratch_load_b128 v[15:18], off, off offset:416
	s_waitcnt vmcnt(4)
	v_fma_f64 v[2:3], v[37:38], v[157:158], v[2:3]
	s_waitcnt lgkmcnt(0)
	s_delay_alu instid0(VALU_DEP_1)
	v_fma_f64 v[2:3], v[39:40], v[159:160], v[2:3]
	scratch_load_b128 v[37:40], off, off offset:432
	s_waitcnt vmcnt(4)
	v_fma_f64 v[2:3], v[41:42], v[161:162], v[2:3]
	ds_load_2addr_b64 v[155:158], v1 offset0:109 offset1:110
	ds_load_2addr_b64 v[159:162], v1 offset0:111 offset1:112
	s_waitcnt lgkmcnt(1)
	v_fma_f64 v[2:3], v[43:44], v[155:156], v[2:3]
	scratch_load_b128 v[41:44], off, off offset:448
	s_waitcnt vmcnt(4)
	v_fma_f64 v[2:3], v[147:148], v[157:158], v[2:3]
	s_waitcnt lgkmcnt(0)
	s_delay_alu instid0(VALU_DEP_1)
	v_fma_f64 v[2:3], v[149:150], v[159:160], v[2:3]
	scratch_load_b128 v[147:150], off, off offset:464
	s_waitcnt vmcnt(4)
	v_fma_f64 v[2:3], v[151:152], v[161:162], v[2:3]
	ds_load_2addr_b64 v[155:158], v1 offset0:113 offset1:114
	ds_load_2addr_b64 v[159:162], v1 offset0:115 offset1:116
	scratch_load_b64 v[19:20], off, off offset:480
	s_waitcnt lgkmcnt(1)
	v_fma_f64 v[2:3], v[153:154], v[155:156], v[2:3]
	s_waitcnt vmcnt(4)
	s_delay_alu instid0(VALU_DEP_1) | instskip(SKIP_1) | instid1(VALU_DEP_1)
	v_fma_f64 v[2:3], v[15:16], v[157:158], v[2:3]
	s_waitcnt lgkmcnt(0)
	v_fma_f64 v[2:3], v[17:18], v[159:160], v[2:3]
	ds_load_2addr_b64 v[15:18], v1 offset0:117 offset1:118
	ds_load_2addr_b64 v[151:154], v1 offset0:119 offset1:120
	s_waitcnt vmcnt(3)
	v_fma_f64 v[2:3], v[37:38], v[161:162], v[2:3]
	s_waitcnt lgkmcnt(1)
	s_delay_alu instid0(VALU_DEP_1) | instskip(SKIP_1) | instid1(VALU_DEP_1)
	v_fma_f64 v[2:3], v[39:40], v[15:16], v[2:3]
	s_waitcnt vmcnt(2)
	v_fma_f64 v[2:3], v[41:42], v[17:18], v[2:3]
	s_waitcnt lgkmcnt(0)
	s_delay_alu instid0(VALU_DEP_1) | instskip(SKIP_1) | instid1(VALU_DEP_1)
	v_fma_f64 v[2:3], v[43:44], v[151:152], v[2:3]
	s_waitcnt vmcnt(1)
	v_fma_f64 v[15:16], v[147:148], v[153:154], v[2:3]
	ds_load_2addr_b64 v[1:4], v1 offset0:121 offset1:122
	s_waitcnt lgkmcnt(0)
	v_fma_f64 v[1:2], v[149:150], v[1:2], v[15:16]
	s_waitcnt vmcnt(0)
	s_delay_alu instid0(VALU_DEP_1) | instskip(NEXT) | instid1(VALU_DEP_1)
	v_fma_f64 v[1:2], v[19:20], v[3:4], v[1:2]
	v_add_f64 v[1:2], v[13:14], -v[1:2]
	scratch_store_b64 off, v[1:2], off offset:240
	v_cmpx_lt_u32_e32 29, v0
	s_cbranch_execz .LBB124_317
; %bb.316:
	scratch_load_b64 v[1:2], off, off offset:232
	v_mov_b32_e32 v3, 0
	s_delay_alu instid0(VALU_DEP_1)
	v_mov_b32_e32 v4, v3
	scratch_store_b64 off, v[3:4], off offset:232
	s_waitcnt vmcnt(0)
	ds_store_b64 v5, v[1:2]
.LBB124_317:
	s_or_b32 exec_lo, exec_lo, s0
	s_waitcnt lgkmcnt(0)
	s_waitcnt_vscnt null, 0x0
	s_barrier
	buffer_gl0_inv
	s_clause 0x4
	scratch_load_b128 v[13:16], off, off offset:232
	scratch_load_b128 v[17:20], off, off offset:248
	;; [unrolled: 1-line block ×5, first 2 shown]
	v_mov_b32_e32 v1, 0
	ds_load_b128 v[151:154], v1 offset:736
	ds_load_b128 v[155:158], v1 offset:752
	scratch_load_b128 v[159:162], off, off offset:312
	s_mov_b32 s0, exec_lo
	s_waitcnt vmcnt(5) lgkmcnt(1)
	v_fma_f64 v[2:3], v[15:16], v[151:152], 0
	s_waitcnt vmcnt(4)
	s_delay_alu instid0(VALU_DEP_1) | instskip(SKIP_4) | instid1(VALU_DEP_1)
	v_fma_f64 v[2:3], v[17:18], v[153:154], v[2:3]
	scratch_load_b128 v[15:18], off, off offset:328
	s_waitcnt lgkmcnt(0)
	v_fma_f64 v[2:3], v[19:20], v[155:156], v[2:3]
	s_waitcnt vmcnt(4)
	v_fma_f64 v[2:3], v[37:38], v[157:158], v[2:3]
	ds_load_b128 v[151:154], v1 offset:768
	ds_load_b128 v[155:158], v1 offset:784
	s_waitcnt lgkmcnt(1)
	v_fma_f64 v[2:3], v[39:40], v[151:152], v[2:3]
	scratch_load_b128 v[37:40], off, off offset:344
	s_waitcnt vmcnt(4)
	v_fma_f64 v[2:3], v[41:42], v[153:154], v[2:3]
	s_waitcnt lgkmcnt(0)
	s_delay_alu instid0(VALU_DEP_1)
	v_fma_f64 v[2:3], v[43:44], v[155:156], v[2:3]
	scratch_load_b128 v[41:44], off, off offset:360
	s_waitcnt vmcnt(4)
	v_fma_f64 v[2:3], v[147:148], v[157:158], v[2:3]
	ds_load_b128 v[151:154], v1 offset:800
	ds_load_b128 v[155:158], v1 offset:816
	s_waitcnt lgkmcnt(1)
	v_fma_f64 v[2:3], v[149:150], v[151:152], v[2:3]
	scratch_load_b128 v[147:150], off, off offset:376
	s_waitcnt vmcnt(4)
	v_fma_f64 v[2:3], v[159:160], v[153:154], v[2:3]
	scratch_load_b128 v[151:154], off, off offset:392
	s_waitcnt lgkmcnt(0)
	v_fma_f64 v[2:3], v[161:162], v[155:156], v[2:3]
	s_waitcnt vmcnt(4)
	s_delay_alu instid0(VALU_DEP_1)
	v_fma_f64 v[2:3], v[15:16], v[157:158], v[2:3]
	ds_load_b128 v[155:158], v1 offset:832
	ds_load_b128 v[159:162], v1 offset:848
	s_waitcnt lgkmcnt(1)
	v_fma_f64 v[2:3], v[17:18], v[155:156], v[2:3]
	scratch_load_b128 v[15:18], off, off offset:408
	s_waitcnt vmcnt(4)
	v_fma_f64 v[2:3], v[37:38], v[157:158], v[2:3]
	s_waitcnt lgkmcnt(0)
	s_delay_alu instid0(VALU_DEP_1)
	v_fma_f64 v[2:3], v[39:40], v[159:160], v[2:3]
	scratch_load_b128 v[37:40], off, off offset:424
	s_waitcnt vmcnt(4)
	v_fma_f64 v[2:3], v[41:42], v[161:162], v[2:3]
	ds_load_b128 v[155:158], v1 offset:864
	ds_load_b128 v[159:162], v1 offset:880
	s_waitcnt lgkmcnt(1)
	v_fma_f64 v[2:3], v[43:44], v[155:156], v[2:3]
	scratch_load_b128 v[41:44], off, off offset:440
	s_waitcnt vmcnt(4)
	v_fma_f64 v[2:3], v[147:148], v[157:158], v[2:3]
	s_waitcnt lgkmcnt(0)
	s_delay_alu instid0(VALU_DEP_1)
	v_fma_f64 v[2:3], v[149:150], v[159:160], v[2:3]
	scratch_load_b128 v[147:150], off, off offset:456
	s_waitcnt vmcnt(4)
	v_fma_f64 v[2:3], v[151:152], v[161:162], v[2:3]
	ds_load_b128 v[155:158], v1 offset:896
	ds_load_b128 v[159:162], v1 offset:912
	s_waitcnt lgkmcnt(1)
	v_fma_f64 v[2:3], v[153:154], v[155:156], v[2:3]
	scratch_load_b128 v[151:154], off, off offset:472
	s_waitcnt vmcnt(4)
	v_fma_f64 v[2:3], v[15:16], v[157:158], v[2:3]
	s_waitcnt lgkmcnt(0)
	s_delay_alu instid0(VALU_DEP_1)
	v_fma_f64 v[2:3], v[17:18], v[159:160], v[2:3]
	ds_load_b128 v[15:18], v1 offset:928
	ds_load_b128 v[155:158], v1 offset:944
	s_waitcnt vmcnt(3)
	v_fma_f64 v[2:3], v[37:38], v[161:162], v[2:3]
	s_waitcnt lgkmcnt(1)
	s_delay_alu instid0(VALU_DEP_1) | instskip(SKIP_1) | instid1(VALU_DEP_1)
	v_fma_f64 v[2:3], v[39:40], v[15:16], v[2:3]
	s_waitcnt vmcnt(2)
	v_fma_f64 v[2:3], v[41:42], v[17:18], v[2:3]
	ds_load_b128 v[15:18], v1 offset:960
	ds_load_b64 v[19:20], v1 offset:976
	s_waitcnt lgkmcnt(2)
	v_fma_f64 v[2:3], v[43:44], v[155:156], v[2:3]
	s_waitcnt vmcnt(1)
	s_delay_alu instid0(VALU_DEP_1) | instskip(SKIP_1) | instid1(VALU_DEP_1)
	v_fma_f64 v[2:3], v[147:148], v[157:158], v[2:3]
	s_waitcnt lgkmcnt(1)
	v_fma_f64 v[2:3], v[149:150], v[15:16], v[2:3]
	s_waitcnt vmcnt(0)
	s_delay_alu instid0(VALU_DEP_1) | instskip(SKIP_1) | instid1(VALU_DEP_1)
	v_fma_f64 v[2:3], v[151:152], v[17:18], v[2:3]
	s_waitcnt lgkmcnt(0)
	v_fma_f64 v[2:3], v[153:154], v[19:20], v[2:3]
	s_delay_alu instid0(VALU_DEP_1)
	v_add_f64 v[2:3], v[13:14], -v[2:3]
	scratch_store_b64 off, v[2:3], off offset:232
	v_cmpx_lt_u32_e32 28, v0
	s_cbranch_execz .LBB124_319
; %bb.318:
	scratch_load_b64 v[3:4], off, off offset:224
	v_mov_b32_e32 v2, v1
	scratch_store_b64 off, v[1:2], off offset:224
	s_waitcnt vmcnt(0)
	ds_store_b64 v5, v[3:4]
.LBB124_319:
	s_or_b32 exec_lo, exec_lo, s0
	s_waitcnt lgkmcnt(0)
	s_waitcnt_vscnt null, 0x0
	s_barrier
	buffer_gl0_inv
	s_clause 0x4
	scratch_load_b128 v[13:16], off, off offset:224
	scratch_load_b128 v[17:20], off, off offset:240
	scratch_load_b128 v[37:40], off, off offset:256
	scratch_load_b128 v[41:44], off, off offset:272
	scratch_load_b128 v[147:150], off, off offset:288
	ds_load_2addr_b64 v[151:154], v1 offset0:91 offset1:92
	ds_load_2addr_b64 v[155:158], v1 offset0:93 offset1:94
	scratch_load_b128 v[159:162], off, off offset:304
	s_mov_b32 s0, exec_lo
	s_waitcnt vmcnt(5) lgkmcnt(1)
	v_fma_f64 v[2:3], v[15:16], v[151:152], 0
	s_waitcnt vmcnt(4)
	s_delay_alu instid0(VALU_DEP_1) | instskip(SKIP_4) | instid1(VALU_DEP_1)
	v_fma_f64 v[2:3], v[17:18], v[153:154], v[2:3]
	scratch_load_b128 v[15:18], off, off offset:320
	s_waitcnt lgkmcnt(0)
	v_fma_f64 v[2:3], v[19:20], v[155:156], v[2:3]
	s_waitcnt vmcnt(4)
	v_fma_f64 v[2:3], v[37:38], v[157:158], v[2:3]
	ds_load_2addr_b64 v[151:154], v1 offset0:95 offset1:96
	ds_load_2addr_b64 v[155:158], v1 offset0:97 offset1:98
	s_waitcnt lgkmcnt(1)
	v_fma_f64 v[2:3], v[39:40], v[151:152], v[2:3]
	scratch_load_b128 v[37:40], off, off offset:336
	s_waitcnt vmcnt(4)
	v_fma_f64 v[2:3], v[41:42], v[153:154], v[2:3]
	s_waitcnt lgkmcnt(0)
	s_delay_alu instid0(VALU_DEP_1)
	v_fma_f64 v[2:3], v[43:44], v[155:156], v[2:3]
	scratch_load_b128 v[41:44], off, off offset:352
	s_waitcnt vmcnt(4)
	v_fma_f64 v[2:3], v[147:148], v[157:158], v[2:3]
	ds_load_2addr_b64 v[151:154], v1 offset0:99 offset1:100
	ds_load_2addr_b64 v[155:158], v1 offset0:101 offset1:102
	s_waitcnt lgkmcnt(1)
	v_fma_f64 v[2:3], v[149:150], v[151:152], v[2:3]
	scratch_load_b128 v[147:150], off, off offset:368
	s_waitcnt vmcnt(4)
	v_fma_f64 v[2:3], v[159:160], v[153:154], v[2:3]
	scratch_load_b128 v[151:154], off, off offset:384
	s_waitcnt lgkmcnt(0)
	v_fma_f64 v[2:3], v[161:162], v[155:156], v[2:3]
	s_waitcnt vmcnt(4)
	s_delay_alu instid0(VALU_DEP_1)
	v_fma_f64 v[2:3], v[15:16], v[157:158], v[2:3]
	ds_load_2addr_b64 v[155:158], v1 offset0:103 offset1:104
	ds_load_2addr_b64 v[159:162], v1 offset0:105 offset1:106
	s_waitcnt lgkmcnt(1)
	v_fma_f64 v[2:3], v[17:18], v[155:156], v[2:3]
	scratch_load_b128 v[15:18], off, off offset:400
	s_waitcnt vmcnt(4)
	v_fma_f64 v[2:3], v[37:38], v[157:158], v[2:3]
	s_waitcnt lgkmcnt(0)
	s_delay_alu instid0(VALU_DEP_1)
	v_fma_f64 v[2:3], v[39:40], v[159:160], v[2:3]
	scratch_load_b128 v[37:40], off, off offset:416
	s_waitcnt vmcnt(4)
	v_fma_f64 v[2:3], v[41:42], v[161:162], v[2:3]
	ds_load_2addr_b64 v[155:158], v1 offset0:107 offset1:108
	ds_load_2addr_b64 v[159:162], v1 offset0:109 offset1:110
	s_waitcnt lgkmcnt(1)
	v_fma_f64 v[2:3], v[43:44], v[155:156], v[2:3]
	scratch_load_b128 v[41:44], off, off offset:432
	s_waitcnt vmcnt(4)
	v_fma_f64 v[2:3], v[147:148], v[157:158], v[2:3]
	s_waitcnt lgkmcnt(0)
	s_delay_alu instid0(VALU_DEP_1)
	v_fma_f64 v[2:3], v[149:150], v[159:160], v[2:3]
	scratch_load_b128 v[147:150], off, off offset:448
	s_waitcnt vmcnt(4)
	v_fma_f64 v[2:3], v[151:152], v[161:162], v[2:3]
	ds_load_2addr_b64 v[155:158], v1 offset0:111 offset1:112
	ds_load_2addr_b64 v[159:162], v1 offset0:113 offset1:114
	scratch_load_b64 v[19:20], off, off offset:480
	s_waitcnt lgkmcnt(1)
	v_fma_f64 v[2:3], v[153:154], v[155:156], v[2:3]
	scratch_load_b128 v[151:154], off, off offset:464
	s_waitcnt vmcnt(5)
	v_fma_f64 v[2:3], v[15:16], v[157:158], v[2:3]
	s_waitcnt lgkmcnt(0)
	s_delay_alu instid0(VALU_DEP_1)
	v_fma_f64 v[2:3], v[17:18], v[159:160], v[2:3]
	ds_load_2addr_b64 v[15:18], v1 offset0:115 offset1:116
	ds_load_2addr_b64 v[155:158], v1 offset0:117 offset1:118
	s_waitcnt vmcnt(4)
	v_fma_f64 v[2:3], v[37:38], v[161:162], v[2:3]
	s_waitcnt lgkmcnt(1)
	s_delay_alu instid0(VALU_DEP_1) | instskip(SKIP_1) | instid1(VALU_DEP_1)
	v_fma_f64 v[2:3], v[39:40], v[15:16], v[2:3]
	s_waitcnt vmcnt(3)
	v_fma_f64 v[2:3], v[41:42], v[17:18], v[2:3]
	s_waitcnt lgkmcnt(0)
	s_delay_alu instid0(VALU_DEP_1) | instskip(SKIP_1) | instid1(VALU_DEP_1)
	v_fma_f64 v[2:3], v[43:44], v[155:156], v[2:3]
	s_waitcnt vmcnt(2)
	v_fma_f64 v[31:32], v[147:148], v[157:158], v[2:3]
	ds_load_2addr_b64 v[15:18], v1 offset0:119 offset1:120
	ds_load_2addr_b64 v[1:4], v1 offset0:121 offset1:122
	s_waitcnt lgkmcnt(1)
	v_fma_f64 v[15:16], v[149:150], v[15:16], v[31:32]
	s_waitcnt vmcnt(0)
	s_delay_alu instid0(VALU_DEP_1) | instskip(SKIP_1) | instid1(VALU_DEP_1)
	v_fma_f64 v[15:16], v[151:152], v[17:18], v[15:16]
	s_waitcnt lgkmcnt(0)
	v_fma_f64 v[1:2], v[153:154], v[1:2], v[15:16]
	s_delay_alu instid0(VALU_DEP_1) | instskip(NEXT) | instid1(VALU_DEP_1)
	v_fma_f64 v[1:2], v[19:20], v[3:4], v[1:2]
	v_add_f64 v[1:2], v[13:14], -v[1:2]
	scratch_store_b64 off, v[1:2], off offset:224
	v_cmpx_lt_u32_e32 27, v0
	s_cbranch_execz .LBB124_321
; %bb.320:
	scratch_load_b64 v[1:2], off, off offset:216
	v_mov_b32_e32 v3, 0
	s_delay_alu instid0(VALU_DEP_1)
	v_mov_b32_e32 v4, v3
	scratch_store_b64 off, v[3:4], off offset:216
	s_waitcnt vmcnt(0)
	ds_store_b64 v5, v[1:2]
.LBB124_321:
	s_or_b32 exec_lo, exec_lo, s0
	s_waitcnt lgkmcnt(0)
	s_waitcnt_vscnt null, 0x0
	s_barrier
	buffer_gl0_inv
	s_clause 0x4
	scratch_load_b128 v[13:16], off, off offset:216
	scratch_load_b128 v[17:20], off, off offset:232
	;; [unrolled: 1-line block ×5, first 2 shown]
	v_mov_b32_e32 v1, 0
	ds_load_b128 v[151:154], v1 offset:720
	ds_load_b128 v[155:158], v1 offset:736
	scratch_load_b128 v[159:162], off, off offset:296
	s_mov_b32 s0, exec_lo
	s_waitcnt vmcnt(5) lgkmcnt(1)
	v_fma_f64 v[2:3], v[15:16], v[151:152], 0
	s_waitcnt vmcnt(4)
	s_delay_alu instid0(VALU_DEP_1) | instskip(SKIP_4) | instid1(VALU_DEP_1)
	v_fma_f64 v[2:3], v[17:18], v[153:154], v[2:3]
	scratch_load_b128 v[15:18], off, off offset:312
	s_waitcnt lgkmcnt(0)
	v_fma_f64 v[2:3], v[19:20], v[155:156], v[2:3]
	s_waitcnt vmcnt(4)
	v_fma_f64 v[2:3], v[37:38], v[157:158], v[2:3]
	ds_load_b128 v[151:154], v1 offset:752
	ds_load_b128 v[155:158], v1 offset:768
	s_waitcnt lgkmcnt(1)
	v_fma_f64 v[2:3], v[39:40], v[151:152], v[2:3]
	scratch_load_b128 v[37:40], off, off offset:328
	s_waitcnt vmcnt(4)
	v_fma_f64 v[2:3], v[41:42], v[153:154], v[2:3]
	s_waitcnt lgkmcnt(0)
	s_delay_alu instid0(VALU_DEP_1)
	v_fma_f64 v[2:3], v[43:44], v[155:156], v[2:3]
	scratch_load_b128 v[41:44], off, off offset:344
	s_waitcnt vmcnt(4)
	v_fma_f64 v[2:3], v[147:148], v[157:158], v[2:3]
	ds_load_b128 v[151:154], v1 offset:784
	ds_load_b128 v[155:158], v1 offset:800
	s_waitcnt lgkmcnt(1)
	v_fma_f64 v[2:3], v[149:150], v[151:152], v[2:3]
	scratch_load_b128 v[147:150], off, off offset:360
	s_waitcnt vmcnt(4)
	v_fma_f64 v[2:3], v[159:160], v[153:154], v[2:3]
	scratch_load_b128 v[151:154], off, off offset:376
	s_waitcnt lgkmcnt(0)
	v_fma_f64 v[2:3], v[161:162], v[155:156], v[2:3]
	s_waitcnt vmcnt(4)
	s_delay_alu instid0(VALU_DEP_1)
	v_fma_f64 v[2:3], v[15:16], v[157:158], v[2:3]
	ds_load_b128 v[155:158], v1 offset:816
	ds_load_b128 v[159:162], v1 offset:832
	s_waitcnt lgkmcnt(1)
	v_fma_f64 v[2:3], v[17:18], v[155:156], v[2:3]
	scratch_load_b128 v[15:18], off, off offset:392
	s_waitcnt vmcnt(4)
	v_fma_f64 v[2:3], v[37:38], v[157:158], v[2:3]
	s_waitcnt lgkmcnt(0)
	s_delay_alu instid0(VALU_DEP_1)
	v_fma_f64 v[2:3], v[39:40], v[159:160], v[2:3]
	scratch_load_b128 v[37:40], off, off offset:408
	s_waitcnt vmcnt(4)
	v_fma_f64 v[2:3], v[41:42], v[161:162], v[2:3]
	ds_load_b128 v[155:158], v1 offset:848
	ds_load_b128 v[159:162], v1 offset:864
	s_waitcnt lgkmcnt(1)
	v_fma_f64 v[2:3], v[43:44], v[155:156], v[2:3]
	scratch_load_b128 v[41:44], off, off offset:424
	s_waitcnt vmcnt(4)
	v_fma_f64 v[2:3], v[147:148], v[157:158], v[2:3]
	s_waitcnt lgkmcnt(0)
	s_delay_alu instid0(VALU_DEP_1)
	v_fma_f64 v[2:3], v[149:150], v[159:160], v[2:3]
	scratch_load_b128 v[147:150], off, off offset:440
	s_waitcnt vmcnt(4)
	;; [unrolled: 13-line block ×3, first 2 shown]
	v_fma_f64 v[2:3], v[37:38], v[161:162], v[2:3]
	ds_load_b128 v[155:158], v1 offset:912
	ds_load_b128 v[159:162], v1 offset:928
	s_waitcnt lgkmcnt(1)
	v_fma_f64 v[2:3], v[39:40], v[155:156], v[2:3]
	s_waitcnt vmcnt(3)
	s_delay_alu instid0(VALU_DEP_1) | instskip(SKIP_1) | instid1(VALU_DEP_1)
	v_fma_f64 v[2:3], v[41:42], v[157:158], v[2:3]
	s_waitcnt lgkmcnt(0)
	v_fma_f64 v[2:3], v[43:44], v[159:160], v[2:3]
	ds_load_b128 v[37:40], v1 offset:944
	ds_load_b128 v[41:44], v1 offset:960
	s_waitcnt vmcnt(2)
	v_fma_f64 v[2:3], v[147:148], v[161:162], v[2:3]
	s_waitcnt lgkmcnt(1)
	s_delay_alu instid0(VALU_DEP_1) | instskip(SKIP_1) | instid1(VALU_DEP_1)
	v_fma_f64 v[2:3], v[149:150], v[37:38], v[2:3]
	s_waitcnt vmcnt(1)
	v_fma_f64 v[2:3], v[151:152], v[39:40], v[2:3]
	s_waitcnt lgkmcnt(0)
	s_delay_alu instid0(VALU_DEP_1) | instskip(SKIP_1) | instid1(VALU_DEP_1)
	v_fma_f64 v[2:3], v[153:154], v[41:42], v[2:3]
	s_waitcnt vmcnt(0)
	v_fma_f64 v[2:3], v[15:16], v[43:44], v[2:3]
	ds_load_b64 v[15:16], v1 offset:976
	s_waitcnt lgkmcnt(0)
	v_fma_f64 v[2:3], v[17:18], v[15:16], v[2:3]
	s_delay_alu instid0(VALU_DEP_1)
	v_add_f64 v[2:3], v[13:14], -v[2:3]
	scratch_store_b64 off, v[2:3], off offset:216
	v_cmpx_lt_u32_e32 26, v0
	s_cbranch_execz .LBB124_323
; %bb.322:
	scratch_load_b64 v[3:4], off, off offset:208
	v_mov_b32_e32 v2, v1
	scratch_store_b64 off, v[1:2], off offset:208
	s_waitcnt vmcnt(0)
	ds_store_b64 v5, v[3:4]
.LBB124_323:
	s_or_b32 exec_lo, exec_lo, s0
	s_waitcnt lgkmcnt(0)
	s_waitcnt_vscnt null, 0x0
	s_barrier
	buffer_gl0_inv
	s_clause 0x4
	scratch_load_b128 v[13:16], off, off offset:208
	scratch_load_b128 v[17:20], off, off offset:224
	;; [unrolled: 1-line block ×5, first 2 shown]
	ds_load_2addr_b64 v[151:154], v1 offset0:89 offset1:90
	ds_load_2addr_b64 v[155:158], v1 offset0:91 offset1:92
	scratch_load_b128 v[159:162], off, off offset:288
	s_mov_b32 s0, exec_lo
	s_waitcnt vmcnt(5) lgkmcnt(1)
	v_fma_f64 v[2:3], v[15:16], v[151:152], 0
	s_waitcnt vmcnt(4)
	s_delay_alu instid0(VALU_DEP_1) | instskip(SKIP_4) | instid1(VALU_DEP_1)
	v_fma_f64 v[2:3], v[17:18], v[153:154], v[2:3]
	scratch_load_b128 v[15:18], off, off offset:304
	s_waitcnt lgkmcnt(0)
	v_fma_f64 v[2:3], v[19:20], v[155:156], v[2:3]
	s_waitcnt vmcnt(4)
	v_fma_f64 v[2:3], v[37:38], v[157:158], v[2:3]
	ds_load_2addr_b64 v[151:154], v1 offset0:93 offset1:94
	ds_load_2addr_b64 v[155:158], v1 offset0:95 offset1:96
	s_waitcnt lgkmcnt(1)
	v_fma_f64 v[2:3], v[39:40], v[151:152], v[2:3]
	scratch_load_b128 v[37:40], off, off offset:320
	s_waitcnt vmcnt(4)
	v_fma_f64 v[2:3], v[41:42], v[153:154], v[2:3]
	s_waitcnt lgkmcnt(0)
	s_delay_alu instid0(VALU_DEP_1)
	v_fma_f64 v[2:3], v[43:44], v[155:156], v[2:3]
	scratch_load_b128 v[41:44], off, off offset:336
	s_waitcnt vmcnt(4)
	v_fma_f64 v[2:3], v[147:148], v[157:158], v[2:3]
	ds_load_2addr_b64 v[151:154], v1 offset0:97 offset1:98
	ds_load_2addr_b64 v[155:158], v1 offset0:99 offset1:100
	s_waitcnt lgkmcnt(1)
	v_fma_f64 v[2:3], v[149:150], v[151:152], v[2:3]
	scratch_load_b128 v[147:150], off, off offset:352
	s_waitcnt vmcnt(4)
	v_fma_f64 v[2:3], v[159:160], v[153:154], v[2:3]
	scratch_load_b128 v[151:154], off, off offset:368
	s_waitcnt lgkmcnt(0)
	v_fma_f64 v[2:3], v[161:162], v[155:156], v[2:3]
	s_waitcnt vmcnt(4)
	s_delay_alu instid0(VALU_DEP_1)
	v_fma_f64 v[2:3], v[15:16], v[157:158], v[2:3]
	ds_load_2addr_b64 v[155:158], v1 offset0:101 offset1:102
	ds_load_2addr_b64 v[159:162], v1 offset0:103 offset1:104
	s_waitcnt lgkmcnt(1)
	v_fma_f64 v[2:3], v[17:18], v[155:156], v[2:3]
	scratch_load_b128 v[15:18], off, off offset:384
	s_waitcnt vmcnt(4)
	v_fma_f64 v[2:3], v[37:38], v[157:158], v[2:3]
	s_waitcnt lgkmcnt(0)
	s_delay_alu instid0(VALU_DEP_1)
	v_fma_f64 v[2:3], v[39:40], v[159:160], v[2:3]
	scratch_load_b128 v[37:40], off, off offset:400
	s_waitcnt vmcnt(4)
	v_fma_f64 v[2:3], v[41:42], v[161:162], v[2:3]
	ds_load_2addr_b64 v[155:158], v1 offset0:105 offset1:106
	ds_load_2addr_b64 v[159:162], v1 offset0:107 offset1:108
	s_waitcnt lgkmcnt(1)
	v_fma_f64 v[2:3], v[43:44], v[155:156], v[2:3]
	scratch_load_b128 v[41:44], off, off offset:416
	s_waitcnt vmcnt(4)
	v_fma_f64 v[2:3], v[147:148], v[157:158], v[2:3]
	s_waitcnt lgkmcnt(0)
	s_delay_alu instid0(VALU_DEP_1)
	v_fma_f64 v[2:3], v[149:150], v[159:160], v[2:3]
	scratch_load_b128 v[147:150], off, off offset:432
	s_waitcnt vmcnt(4)
	;; [unrolled: 13-line block ×3, first 2 shown]
	v_fma_f64 v[2:3], v[37:38], v[161:162], v[2:3]
	ds_load_2addr_b64 v[155:158], v1 offset0:113 offset1:114
	ds_load_2addr_b64 v[159:162], v1 offset0:115 offset1:116
	scratch_load_b64 v[19:20], off, off offset:480
	s_waitcnt lgkmcnt(1)
	v_fma_f64 v[2:3], v[39:40], v[155:156], v[2:3]
	s_waitcnt vmcnt(4)
	s_delay_alu instid0(VALU_DEP_1) | instskip(SKIP_1) | instid1(VALU_DEP_1)
	v_fma_f64 v[2:3], v[41:42], v[157:158], v[2:3]
	s_waitcnt lgkmcnt(0)
	v_fma_f64 v[2:3], v[43:44], v[159:160], v[2:3]
	ds_load_2addr_b64 v[37:40], v1 offset0:117 offset1:118
	ds_load_2addr_b64 v[41:44], v1 offset0:119 offset1:120
	s_waitcnt vmcnt(3)
	v_fma_f64 v[2:3], v[147:148], v[161:162], v[2:3]
	s_waitcnt lgkmcnt(1)
	s_delay_alu instid0(VALU_DEP_1) | instskip(SKIP_1) | instid1(VALU_DEP_1)
	v_fma_f64 v[2:3], v[149:150], v[37:38], v[2:3]
	s_waitcnt vmcnt(2)
	v_fma_f64 v[2:3], v[151:152], v[39:40], v[2:3]
	s_waitcnt lgkmcnt(0)
	s_delay_alu instid0(VALU_DEP_1) | instskip(SKIP_1) | instid1(VALU_DEP_1)
	v_fma_f64 v[2:3], v[153:154], v[41:42], v[2:3]
	s_waitcnt vmcnt(1)
	v_fma_f64 v[15:16], v[15:16], v[43:44], v[2:3]
	ds_load_2addr_b64 v[1:4], v1 offset0:121 offset1:122
	s_waitcnt lgkmcnt(0)
	v_fma_f64 v[1:2], v[17:18], v[1:2], v[15:16]
	s_waitcnt vmcnt(0)
	s_delay_alu instid0(VALU_DEP_1) | instskip(NEXT) | instid1(VALU_DEP_1)
	v_fma_f64 v[1:2], v[19:20], v[3:4], v[1:2]
	v_add_f64 v[1:2], v[13:14], -v[1:2]
	scratch_store_b64 off, v[1:2], off offset:208
	v_cmpx_lt_u32_e32 25, v0
	s_cbranch_execz .LBB124_325
; %bb.324:
	scratch_load_b64 v[1:2], off, off offset:200
	v_mov_b32_e32 v3, 0
	s_delay_alu instid0(VALU_DEP_1)
	v_mov_b32_e32 v4, v3
	scratch_store_b64 off, v[3:4], off offset:200
	s_waitcnt vmcnt(0)
	ds_store_b64 v5, v[1:2]
.LBB124_325:
	s_or_b32 exec_lo, exec_lo, s0
	s_waitcnt lgkmcnt(0)
	s_waitcnt_vscnt null, 0x0
	s_barrier
	buffer_gl0_inv
	s_clause 0x4
	scratch_load_b128 v[13:16], off, off offset:200
	scratch_load_b128 v[17:20], off, off offset:216
	;; [unrolled: 1-line block ×5, first 2 shown]
	v_mov_b32_e32 v1, 0
	ds_load_b128 v[151:154], v1 offset:704
	ds_load_b128 v[155:158], v1 offset:720
	scratch_load_b128 v[159:162], off, off offset:280
	s_mov_b32 s0, exec_lo
	s_waitcnt vmcnt(5) lgkmcnt(1)
	v_fma_f64 v[2:3], v[15:16], v[151:152], 0
	s_waitcnt vmcnt(4)
	s_delay_alu instid0(VALU_DEP_1) | instskip(SKIP_4) | instid1(VALU_DEP_1)
	v_fma_f64 v[2:3], v[17:18], v[153:154], v[2:3]
	scratch_load_b128 v[15:18], off, off offset:296
	s_waitcnt lgkmcnt(0)
	v_fma_f64 v[2:3], v[19:20], v[155:156], v[2:3]
	s_waitcnt vmcnt(4)
	v_fma_f64 v[2:3], v[37:38], v[157:158], v[2:3]
	ds_load_b128 v[151:154], v1 offset:736
	ds_load_b128 v[155:158], v1 offset:752
	s_waitcnt lgkmcnt(1)
	v_fma_f64 v[2:3], v[39:40], v[151:152], v[2:3]
	scratch_load_b128 v[37:40], off, off offset:312
	s_waitcnt vmcnt(4)
	v_fma_f64 v[2:3], v[41:42], v[153:154], v[2:3]
	s_waitcnt lgkmcnt(0)
	s_delay_alu instid0(VALU_DEP_1)
	v_fma_f64 v[2:3], v[43:44], v[155:156], v[2:3]
	scratch_load_b128 v[41:44], off, off offset:328
	s_waitcnt vmcnt(4)
	v_fma_f64 v[2:3], v[147:148], v[157:158], v[2:3]
	ds_load_b128 v[151:154], v1 offset:768
	ds_load_b128 v[155:158], v1 offset:784
	s_waitcnt lgkmcnt(1)
	v_fma_f64 v[2:3], v[149:150], v[151:152], v[2:3]
	scratch_load_b128 v[147:150], off, off offset:344
	s_waitcnt vmcnt(4)
	v_fma_f64 v[2:3], v[159:160], v[153:154], v[2:3]
	scratch_load_b128 v[151:154], off, off offset:360
	s_waitcnt lgkmcnt(0)
	v_fma_f64 v[2:3], v[161:162], v[155:156], v[2:3]
	s_waitcnt vmcnt(4)
	s_delay_alu instid0(VALU_DEP_1)
	v_fma_f64 v[2:3], v[15:16], v[157:158], v[2:3]
	ds_load_b128 v[155:158], v1 offset:800
	ds_load_b128 v[159:162], v1 offset:816
	s_waitcnt lgkmcnt(1)
	v_fma_f64 v[2:3], v[17:18], v[155:156], v[2:3]
	scratch_load_b128 v[15:18], off, off offset:376
	s_waitcnt vmcnt(4)
	v_fma_f64 v[2:3], v[37:38], v[157:158], v[2:3]
	s_waitcnt lgkmcnt(0)
	s_delay_alu instid0(VALU_DEP_1)
	v_fma_f64 v[2:3], v[39:40], v[159:160], v[2:3]
	scratch_load_b128 v[37:40], off, off offset:392
	s_waitcnt vmcnt(4)
	v_fma_f64 v[2:3], v[41:42], v[161:162], v[2:3]
	ds_load_b128 v[155:158], v1 offset:832
	ds_load_b128 v[159:162], v1 offset:848
	s_waitcnt lgkmcnt(1)
	v_fma_f64 v[2:3], v[43:44], v[155:156], v[2:3]
	scratch_load_b128 v[41:44], off, off offset:408
	s_waitcnt vmcnt(4)
	v_fma_f64 v[2:3], v[147:148], v[157:158], v[2:3]
	s_waitcnt lgkmcnt(0)
	s_delay_alu instid0(VALU_DEP_1)
	v_fma_f64 v[2:3], v[149:150], v[159:160], v[2:3]
	scratch_load_b128 v[147:150], off, off offset:424
	s_waitcnt vmcnt(4)
	;; [unrolled: 13-line block ×3, first 2 shown]
	v_fma_f64 v[2:3], v[37:38], v[161:162], v[2:3]
	ds_load_b128 v[155:158], v1 offset:896
	ds_load_b128 v[159:162], v1 offset:912
	s_waitcnt lgkmcnt(1)
	v_fma_f64 v[2:3], v[39:40], v[155:156], v[2:3]
	scratch_load_b128 v[37:40], off, off offset:472
	s_waitcnt vmcnt(4)
	v_fma_f64 v[2:3], v[41:42], v[157:158], v[2:3]
	s_waitcnt lgkmcnt(0)
	s_delay_alu instid0(VALU_DEP_1)
	v_fma_f64 v[2:3], v[43:44], v[159:160], v[2:3]
	ds_load_b128 v[41:44], v1 offset:928
	ds_load_b128 v[155:158], v1 offset:944
	s_waitcnt vmcnt(3)
	v_fma_f64 v[2:3], v[147:148], v[161:162], v[2:3]
	s_waitcnt lgkmcnt(1)
	s_delay_alu instid0(VALU_DEP_1) | instskip(SKIP_1) | instid1(VALU_DEP_1)
	v_fma_f64 v[2:3], v[149:150], v[41:42], v[2:3]
	s_waitcnt vmcnt(2)
	v_fma_f64 v[2:3], v[151:152], v[43:44], v[2:3]
	s_waitcnt lgkmcnt(0)
	s_delay_alu instid0(VALU_DEP_1) | instskip(SKIP_1) | instid1(VALU_DEP_1)
	v_fma_f64 v[2:3], v[153:154], v[155:156], v[2:3]
	s_waitcnt vmcnt(1)
	v_fma_f64 v[2:3], v[15:16], v[157:158], v[2:3]
	ds_load_b128 v[41:44], v1 offset:960
	ds_load_b64 v[15:16], v1 offset:976
	s_waitcnt lgkmcnt(1)
	v_fma_f64 v[2:3], v[17:18], v[41:42], v[2:3]
	s_waitcnt vmcnt(0)
	s_delay_alu instid0(VALU_DEP_1) | instskip(SKIP_1) | instid1(VALU_DEP_1)
	v_fma_f64 v[2:3], v[37:38], v[43:44], v[2:3]
	s_waitcnt lgkmcnt(0)
	v_fma_f64 v[2:3], v[39:40], v[15:16], v[2:3]
	s_delay_alu instid0(VALU_DEP_1)
	v_add_f64 v[2:3], v[13:14], -v[2:3]
	scratch_store_b64 off, v[2:3], off offset:200
	v_cmpx_lt_u32_e32 24, v0
	s_cbranch_execz .LBB124_327
; %bb.326:
	scratch_load_b64 v[3:4], off, off offset:192
	v_mov_b32_e32 v2, v1
	scratch_store_b64 off, v[1:2], off offset:192
	s_waitcnt vmcnt(0)
	ds_store_b64 v5, v[3:4]
.LBB124_327:
	s_or_b32 exec_lo, exec_lo, s0
	s_waitcnt lgkmcnt(0)
	s_waitcnt_vscnt null, 0x0
	s_barrier
	buffer_gl0_inv
	s_clause 0x4
	scratch_load_b128 v[13:16], off, off offset:192
	scratch_load_b128 v[17:20], off, off offset:208
	;; [unrolled: 1-line block ×5, first 2 shown]
	ds_load_2addr_b64 v[151:154], v1 offset0:87 offset1:88
	ds_load_2addr_b64 v[155:158], v1 offset0:89 offset1:90
	scratch_load_b128 v[159:162], off, off offset:272
	s_mov_b32 s0, exec_lo
	s_waitcnt vmcnt(5) lgkmcnt(1)
	v_fma_f64 v[2:3], v[15:16], v[151:152], 0
	s_waitcnt vmcnt(4)
	s_delay_alu instid0(VALU_DEP_1) | instskip(SKIP_4) | instid1(VALU_DEP_1)
	v_fma_f64 v[2:3], v[17:18], v[153:154], v[2:3]
	scratch_load_b128 v[15:18], off, off offset:288
	s_waitcnt lgkmcnt(0)
	v_fma_f64 v[2:3], v[19:20], v[155:156], v[2:3]
	s_waitcnt vmcnt(4)
	v_fma_f64 v[2:3], v[37:38], v[157:158], v[2:3]
	ds_load_2addr_b64 v[151:154], v1 offset0:91 offset1:92
	ds_load_2addr_b64 v[155:158], v1 offset0:93 offset1:94
	s_waitcnt lgkmcnt(1)
	v_fma_f64 v[2:3], v[39:40], v[151:152], v[2:3]
	scratch_load_b128 v[37:40], off, off offset:304
	s_waitcnt vmcnt(4)
	v_fma_f64 v[2:3], v[41:42], v[153:154], v[2:3]
	s_waitcnt lgkmcnt(0)
	s_delay_alu instid0(VALU_DEP_1)
	v_fma_f64 v[2:3], v[43:44], v[155:156], v[2:3]
	scratch_load_b128 v[41:44], off, off offset:320
	s_waitcnt vmcnt(4)
	v_fma_f64 v[2:3], v[147:148], v[157:158], v[2:3]
	ds_load_2addr_b64 v[151:154], v1 offset0:95 offset1:96
	ds_load_2addr_b64 v[155:158], v1 offset0:97 offset1:98
	s_waitcnt lgkmcnt(1)
	v_fma_f64 v[2:3], v[149:150], v[151:152], v[2:3]
	scratch_load_b128 v[147:150], off, off offset:336
	s_waitcnt vmcnt(4)
	v_fma_f64 v[2:3], v[159:160], v[153:154], v[2:3]
	scratch_load_b128 v[151:154], off, off offset:352
	s_waitcnt lgkmcnt(0)
	v_fma_f64 v[2:3], v[161:162], v[155:156], v[2:3]
	s_waitcnt vmcnt(4)
	s_delay_alu instid0(VALU_DEP_1)
	v_fma_f64 v[2:3], v[15:16], v[157:158], v[2:3]
	ds_load_2addr_b64 v[155:158], v1 offset0:99 offset1:100
	ds_load_2addr_b64 v[159:162], v1 offset0:101 offset1:102
	s_waitcnt lgkmcnt(1)
	v_fma_f64 v[2:3], v[17:18], v[155:156], v[2:3]
	scratch_load_b128 v[15:18], off, off offset:368
	s_waitcnt vmcnt(4)
	v_fma_f64 v[2:3], v[37:38], v[157:158], v[2:3]
	s_waitcnt lgkmcnt(0)
	s_delay_alu instid0(VALU_DEP_1)
	v_fma_f64 v[2:3], v[39:40], v[159:160], v[2:3]
	scratch_load_b128 v[37:40], off, off offset:384
	s_waitcnt vmcnt(4)
	v_fma_f64 v[2:3], v[41:42], v[161:162], v[2:3]
	ds_load_2addr_b64 v[155:158], v1 offset0:103 offset1:104
	ds_load_2addr_b64 v[159:162], v1 offset0:105 offset1:106
	s_waitcnt lgkmcnt(1)
	v_fma_f64 v[2:3], v[43:44], v[155:156], v[2:3]
	scratch_load_b128 v[41:44], off, off offset:400
	s_waitcnt vmcnt(4)
	v_fma_f64 v[2:3], v[147:148], v[157:158], v[2:3]
	s_waitcnt lgkmcnt(0)
	s_delay_alu instid0(VALU_DEP_1)
	v_fma_f64 v[2:3], v[149:150], v[159:160], v[2:3]
	scratch_load_b128 v[147:150], off, off offset:416
	s_waitcnt vmcnt(4)
	;; [unrolled: 13-line block ×3, first 2 shown]
	v_fma_f64 v[2:3], v[37:38], v[161:162], v[2:3]
	ds_load_2addr_b64 v[155:158], v1 offset0:111 offset1:112
	ds_load_2addr_b64 v[159:162], v1 offset0:113 offset1:114
	scratch_load_b64 v[19:20], off, off offset:480
	s_waitcnt lgkmcnt(1)
	v_fma_f64 v[2:3], v[39:40], v[155:156], v[2:3]
	scratch_load_b128 v[37:40], off, off offset:464
	s_waitcnt vmcnt(5)
	v_fma_f64 v[2:3], v[41:42], v[157:158], v[2:3]
	s_waitcnt lgkmcnt(0)
	s_delay_alu instid0(VALU_DEP_1)
	v_fma_f64 v[2:3], v[43:44], v[159:160], v[2:3]
	ds_load_2addr_b64 v[41:44], v1 offset0:115 offset1:116
	ds_load_2addr_b64 v[155:158], v1 offset0:117 offset1:118
	s_waitcnt vmcnt(4)
	v_fma_f64 v[2:3], v[147:148], v[161:162], v[2:3]
	s_waitcnt lgkmcnt(1)
	s_delay_alu instid0(VALU_DEP_1) | instskip(SKIP_1) | instid1(VALU_DEP_1)
	v_fma_f64 v[2:3], v[149:150], v[41:42], v[2:3]
	s_waitcnt vmcnt(3)
	v_fma_f64 v[2:3], v[151:152], v[43:44], v[2:3]
	s_waitcnt lgkmcnt(0)
	s_delay_alu instid0(VALU_DEP_1) | instskip(SKIP_1) | instid1(VALU_DEP_1)
	v_fma_f64 v[2:3], v[153:154], v[155:156], v[2:3]
	s_waitcnt vmcnt(2)
	v_fma_f64 v[15:16], v[15:16], v[157:158], v[2:3]
	ds_load_2addr_b64 v[41:44], v1 offset0:119 offset1:120
	ds_load_2addr_b64 v[1:4], v1 offset0:121 offset1:122
	s_waitcnt lgkmcnt(1)
	v_fma_f64 v[15:16], v[17:18], v[41:42], v[15:16]
	s_waitcnt vmcnt(0)
	s_delay_alu instid0(VALU_DEP_1) | instskip(SKIP_1) | instid1(VALU_DEP_1)
	v_fma_f64 v[15:16], v[37:38], v[43:44], v[15:16]
	s_waitcnt lgkmcnt(0)
	v_fma_f64 v[1:2], v[39:40], v[1:2], v[15:16]
	s_delay_alu instid0(VALU_DEP_1) | instskip(NEXT) | instid1(VALU_DEP_1)
	v_fma_f64 v[1:2], v[19:20], v[3:4], v[1:2]
	v_add_f64 v[1:2], v[13:14], -v[1:2]
	scratch_store_b64 off, v[1:2], off offset:192
	v_cmpx_lt_u32_e32 23, v0
	s_cbranch_execz .LBB124_329
; %bb.328:
	scratch_load_b64 v[1:2], off, off offset:184
	v_mov_b32_e32 v3, 0
	s_delay_alu instid0(VALU_DEP_1)
	v_mov_b32_e32 v4, v3
	scratch_store_b64 off, v[3:4], off offset:184
	s_waitcnt vmcnt(0)
	ds_store_b64 v5, v[1:2]
.LBB124_329:
	s_or_b32 exec_lo, exec_lo, s0
	s_waitcnt lgkmcnt(0)
	s_waitcnt_vscnt null, 0x0
	s_barrier
	buffer_gl0_inv
	s_clause 0x4
	scratch_load_b128 v[13:16], off, off offset:184
	scratch_load_b128 v[17:20], off, off offset:200
	;; [unrolled: 1-line block ×5, first 2 shown]
	v_mov_b32_e32 v1, 0
	ds_load_b128 v[151:154], v1 offset:688
	ds_load_b128 v[155:158], v1 offset:704
	scratch_load_b128 v[159:162], off, off offset:264
	s_mov_b32 s0, exec_lo
	s_waitcnt vmcnt(5) lgkmcnt(1)
	v_fma_f64 v[2:3], v[15:16], v[151:152], 0
	s_waitcnt vmcnt(4)
	s_delay_alu instid0(VALU_DEP_1) | instskip(SKIP_4) | instid1(VALU_DEP_1)
	v_fma_f64 v[2:3], v[17:18], v[153:154], v[2:3]
	scratch_load_b128 v[15:18], off, off offset:280
	s_waitcnt lgkmcnt(0)
	v_fma_f64 v[2:3], v[19:20], v[155:156], v[2:3]
	s_waitcnt vmcnt(4)
	v_fma_f64 v[2:3], v[37:38], v[157:158], v[2:3]
	ds_load_b128 v[151:154], v1 offset:720
	ds_load_b128 v[155:158], v1 offset:736
	s_waitcnt lgkmcnt(1)
	v_fma_f64 v[2:3], v[39:40], v[151:152], v[2:3]
	scratch_load_b128 v[37:40], off, off offset:296
	s_waitcnt vmcnt(4)
	v_fma_f64 v[2:3], v[41:42], v[153:154], v[2:3]
	s_waitcnt lgkmcnt(0)
	s_delay_alu instid0(VALU_DEP_1)
	v_fma_f64 v[2:3], v[43:44], v[155:156], v[2:3]
	scratch_load_b128 v[41:44], off, off offset:312
	s_waitcnt vmcnt(4)
	v_fma_f64 v[2:3], v[147:148], v[157:158], v[2:3]
	ds_load_b128 v[151:154], v1 offset:752
	ds_load_b128 v[155:158], v1 offset:768
	s_waitcnt lgkmcnt(1)
	v_fma_f64 v[2:3], v[149:150], v[151:152], v[2:3]
	scratch_load_b128 v[147:150], off, off offset:328
	s_waitcnt vmcnt(4)
	v_fma_f64 v[2:3], v[159:160], v[153:154], v[2:3]
	scratch_load_b128 v[151:154], off, off offset:344
	s_waitcnt lgkmcnt(0)
	v_fma_f64 v[2:3], v[161:162], v[155:156], v[2:3]
	s_waitcnt vmcnt(4)
	s_delay_alu instid0(VALU_DEP_1)
	v_fma_f64 v[2:3], v[15:16], v[157:158], v[2:3]
	ds_load_b128 v[155:158], v1 offset:784
	ds_load_b128 v[159:162], v1 offset:800
	s_waitcnt lgkmcnt(1)
	v_fma_f64 v[2:3], v[17:18], v[155:156], v[2:3]
	scratch_load_b128 v[15:18], off, off offset:360
	s_waitcnt vmcnt(4)
	v_fma_f64 v[2:3], v[37:38], v[157:158], v[2:3]
	s_waitcnt lgkmcnt(0)
	s_delay_alu instid0(VALU_DEP_1)
	v_fma_f64 v[2:3], v[39:40], v[159:160], v[2:3]
	scratch_load_b128 v[37:40], off, off offset:376
	s_waitcnt vmcnt(4)
	v_fma_f64 v[2:3], v[41:42], v[161:162], v[2:3]
	ds_load_b128 v[155:158], v1 offset:816
	ds_load_b128 v[159:162], v1 offset:832
	s_waitcnt lgkmcnt(1)
	v_fma_f64 v[2:3], v[43:44], v[155:156], v[2:3]
	scratch_load_b128 v[41:44], off, off offset:392
	s_waitcnt vmcnt(4)
	v_fma_f64 v[2:3], v[147:148], v[157:158], v[2:3]
	s_waitcnt lgkmcnt(0)
	s_delay_alu instid0(VALU_DEP_1)
	v_fma_f64 v[2:3], v[149:150], v[159:160], v[2:3]
	scratch_load_b128 v[147:150], off, off offset:408
	s_waitcnt vmcnt(4)
	v_fma_f64 v[2:3], v[151:152], v[161:162], v[2:3]
	ds_load_b128 v[155:158], v1 offset:848
	ds_load_b128 v[159:162], v1 offset:864
	s_waitcnt lgkmcnt(1)
	v_fma_f64 v[2:3], v[153:154], v[155:156], v[2:3]
	scratch_load_b128 v[151:154], off, off offset:424
	s_waitcnt vmcnt(4)
	v_fma_f64 v[2:3], v[15:16], v[157:158], v[2:3]
	s_waitcnt lgkmcnt(0)
	s_delay_alu instid0(VALU_DEP_1)
	v_fma_f64 v[2:3], v[17:18], v[159:160], v[2:3]
	scratch_load_b128 v[15:18], off, off offset:440
	s_waitcnt vmcnt(4)
	v_fma_f64 v[2:3], v[37:38], v[161:162], v[2:3]
	ds_load_b128 v[155:158], v1 offset:880
	ds_load_b128 v[159:162], v1 offset:896
	s_waitcnt lgkmcnt(1)
	v_fma_f64 v[2:3], v[39:40], v[155:156], v[2:3]
	scratch_load_b128 v[37:40], off, off offset:456
	s_waitcnt vmcnt(4)
	v_fma_f64 v[2:3], v[41:42], v[157:158], v[2:3]
	s_waitcnt lgkmcnt(0)
	s_delay_alu instid0(VALU_DEP_1)
	v_fma_f64 v[2:3], v[43:44], v[159:160], v[2:3]
	scratch_load_b128 v[41:44], off, off offset:472
	s_waitcnt vmcnt(4)
	v_fma_f64 v[2:3], v[147:148], v[161:162], v[2:3]
	ds_load_b128 v[155:158], v1 offset:912
	ds_load_b128 v[159:162], v1 offset:928
	s_waitcnt lgkmcnt(1)
	v_fma_f64 v[2:3], v[149:150], v[155:156], v[2:3]
	s_waitcnt vmcnt(3)
	s_delay_alu instid0(VALU_DEP_1) | instskip(SKIP_1) | instid1(VALU_DEP_1)
	v_fma_f64 v[2:3], v[151:152], v[157:158], v[2:3]
	s_waitcnt lgkmcnt(0)
	v_fma_f64 v[2:3], v[153:154], v[159:160], v[2:3]
	ds_load_b128 v[147:150], v1 offset:944
	ds_load_b128 v[151:154], v1 offset:960
	s_waitcnt vmcnt(2)
	v_fma_f64 v[2:3], v[15:16], v[161:162], v[2:3]
	ds_load_b64 v[15:16], v1 offset:976
	s_waitcnt lgkmcnt(2)
	v_fma_f64 v[2:3], v[17:18], v[147:148], v[2:3]
	s_waitcnt vmcnt(1)
	s_delay_alu instid0(VALU_DEP_1) | instskip(SKIP_1) | instid1(VALU_DEP_1)
	v_fma_f64 v[2:3], v[37:38], v[149:150], v[2:3]
	s_waitcnt lgkmcnt(1)
	v_fma_f64 v[2:3], v[39:40], v[151:152], v[2:3]
	s_waitcnt vmcnt(0)
	s_delay_alu instid0(VALU_DEP_1) | instskip(SKIP_1) | instid1(VALU_DEP_1)
	v_fma_f64 v[2:3], v[41:42], v[153:154], v[2:3]
	s_waitcnt lgkmcnt(0)
	v_fma_f64 v[2:3], v[43:44], v[15:16], v[2:3]
	s_delay_alu instid0(VALU_DEP_1)
	v_add_f64 v[2:3], v[13:14], -v[2:3]
	scratch_store_b64 off, v[2:3], off offset:184
	v_cmpx_lt_u32_e32 22, v0
	s_cbranch_execz .LBB124_331
; %bb.330:
	scratch_load_b64 v[3:4], off, off offset:176
	v_mov_b32_e32 v2, v1
	scratch_store_b64 off, v[1:2], off offset:176
	s_waitcnt vmcnt(0)
	ds_store_b64 v5, v[3:4]
.LBB124_331:
	s_or_b32 exec_lo, exec_lo, s0
	s_waitcnt lgkmcnt(0)
	s_waitcnt_vscnt null, 0x0
	s_barrier
	buffer_gl0_inv
	s_clause 0x4
	scratch_load_b128 v[13:16], off, off offset:176
	scratch_load_b128 v[17:20], off, off offset:192
	;; [unrolled: 1-line block ×5, first 2 shown]
	ds_load_2addr_b64 v[151:154], v1 offset0:85 offset1:86
	ds_load_2addr_b64 v[155:158], v1 offset0:87 offset1:88
	scratch_load_b128 v[159:162], off, off offset:256
	s_mov_b32 s0, exec_lo
	s_waitcnt vmcnt(5) lgkmcnt(1)
	v_fma_f64 v[2:3], v[15:16], v[151:152], 0
	s_waitcnt vmcnt(4)
	s_delay_alu instid0(VALU_DEP_1) | instskip(SKIP_4) | instid1(VALU_DEP_1)
	v_fma_f64 v[2:3], v[17:18], v[153:154], v[2:3]
	scratch_load_b128 v[15:18], off, off offset:272
	s_waitcnt lgkmcnt(0)
	v_fma_f64 v[2:3], v[19:20], v[155:156], v[2:3]
	s_waitcnt vmcnt(4)
	v_fma_f64 v[2:3], v[37:38], v[157:158], v[2:3]
	ds_load_2addr_b64 v[151:154], v1 offset0:89 offset1:90
	ds_load_2addr_b64 v[155:158], v1 offset0:91 offset1:92
	s_waitcnt lgkmcnt(1)
	v_fma_f64 v[2:3], v[39:40], v[151:152], v[2:3]
	scratch_load_b128 v[37:40], off, off offset:288
	s_waitcnt vmcnt(4)
	v_fma_f64 v[2:3], v[41:42], v[153:154], v[2:3]
	s_waitcnt lgkmcnt(0)
	s_delay_alu instid0(VALU_DEP_1)
	v_fma_f64 v[2:3], v[43:44], v[155:156], v[2:3]
	scratch_load_b128 v[41:44], off, off offset:304
	s_waitcnt vmcnt(4)
	v_fma_f64 v[2:3], v[147:148], v[157:158], v[2:3]
	ds_load_2addr_b64 v[151:154], v1 offset0:93 offset1:94
	ds_load_2addr_b64 v[155:158], v1 offset0:95 offset1:96
	s_waitcnt lgkmcnt(1)
	v_fma_f64 v[2:3], v[149:150], v[151:152], v[2:3]
	scratch_load_b128 v[147:150], off, off offset:320
	s_waitcnt vmcnt(4)
	v_fma_f64 v[2:3], v[159:160], v[153:154], v[2:3]
	scratch_load_b128 v[151:154], off, off offset:336
	s_waitcnt lgkmcnt(0)
	v_fma_f64 v[2:3], v[161:162], v[155:156], v[2:3]
	s_waitcnt vmcnt(4)
	s_delay_alu instid0(VALU_DEP_1)
	v_fma_f64 v[2:3], v[15:16], v[157:158], v[2:3]
	ds_load_2addr_b64 v[155:158], v1 offset0:97 offset1:98
	ds_load_2addr_b64 v[159:162], v1 offset0:99 offset1:100
	s_waitcnt lgkmcnt(1)
	v_fma_f64 v[2:3], v[17:18], v[155:156], v[2:3]
	scratch_load_b128 v[15:18], off, off offset:352
	s_waitcnt vmcnt(4)
	v_fma_f64 v[2:3], v[37:38], v[157:158], v[2:3]
	s_waitcnt lgkmcnt(0)
	s_delay_alu instid0(VALU_DEP_1)
	v_fma_f64 v[2:3], v[39:40], v[159:160], v[2:3]
	scratch_load_b128 v[37:40], off, off offset:368
	s_waitcnt vmcnt(4)
	v_fma_f64 v[2:3], v[41:42], v[161:162], v[2:3]
	ds_load_2addr_b64 v[155:158], v1 offset0:101 offset1:102
	ds_load_2addr_b64 v[159:162], v1 offset0:103 offset1:104
	s_waitcnt lgkmcnt(1)
	v_fma_f64 v[2:3], v[43:44], v[155:156], v[2:3]
	scratch_load_b128 v[41:44], off, off offset:384
	s_waitcnt vmcnt(4)
	v_fma_f64 v[2:3], v[147:148], v[157:158], v[2:3]
	s_waitcnt lgkmcnt(0)
	s_delay_alu instid0(VALU_DEP_1)
	v_fma_f64 v[2:3], v[149:150], v[159:160], v[2:3]
	scratch_load_b128 v[147:150], off, off offset:400
	s_waitcnt vmcnt(4)
	;; [unrolled: 13-line block ×4, first 2 shown]
	v_fma_f64 v[2:3], v[147:148], v[161:162], v[2:3]
	ds_load_2addr_b64 v[155:158], v1 offset0:113 offset1:114
	ds_load_2addr_b64 v[159:162], v1 offset0:115 offset1:116
	scratch_load_b64 v[19:20], off, off offset:480
	s_waitcnt lgkmcnt(1)
	v_fma_f64 v[2:3], v[149:150], v[155:156], v[2:3]
	s_waitcnt vmcnt(4)
	s_delay_alu instid0(VALU_DEP_1) | instskip(SKIP_1) | instid1(VALU_DEP_1)
	v_fma_f64 v[2:3], v[151:152], v[157:158], v[2:3]
	s_waitcnt lgkmcnt(0)
	v_fma_f64 v[2:3], v[153:154], v[159:160], v[2:3]
	ds_load_2addr_b64 v[147:150], v1 offset0:117 offset1:118
	ds_load_2addr_b64 v[151:154], v1 offset0:119 offset1:120
	s_waitcnt vmcnt(3)
	v_fma_f64 v[2:3], v[15:16], v[161:162], v[2:3]
	s_waitcnt lgkmcnt(1)
	s_delay_alu instid0(VALU_DEP_1) | instskip(SKIP_1) | instid1(VALU_DEP_1)
	v_fma_f64 v[2:3], v[17:18], v[147:148], v[2:3]
	s_waitcnt vmcnt(2)
	v_fma_f64 v[2:3], v[37:38], v[149:150], v[2:3]
	s_waitcnt lgkmcnt(0)
	s_delay_alu instid0(VALU_DEP_1) | instskip(SKIP_1) | instid1(VALU_DEP_1)
	v_fma_f64 v[2:3], v[39:40], v[151:152], v[2:3]
	s_waitcnt vmcnt(1)
	v_fma_f64 v[15:16], v[41:42], v[153:154], v[2:3]
	ds_load_2addr_b64 v[1:4], v1 offset0:121 offset1:122
	s_waitcnt lgkmcnt(0)
	v_fma_f64 v[1:2], v[43:44], v[1:2], v[15:16]
	s_waitcnt vmcnt(0)
	s_delay_alu instid0(VALU_DEP_1) | instskip(NEXT) | instid1(VALU_DEP_1)
	v_fma_f64 v[1:2], v[19:20], v[3:4], v[1:2]
	v_add_f64 v[1:2], v[13:14], -v[1:2]
	scratch_store_b64 off, v[1:2], off offset:176
	v_cmpx_lt_u32_e32 21, v0
	s_cbranch_execz .LBB124_333
; %bb.332:
	scratch_load_b64 v[1:2], off, off offset:168
	v_mov_b32_e32 v3, 0
	s_delay_alu instid0(VALU_DEP_1)
	v_mov_b32_e32 v4, v3
	scratch_store_b64 off, v[3:4], off offset:168
	s_waitcnt vmcnt(0)
	ds_store_b64 v5, v[1:2]
.LBB124_333:
	s_or_b32 exec_lo, exec_lo, s0
	s_waitcnt lgkmcnt(0)
	s_waitcnt_vscnt null, 0x0
	s_barrier
	buffer_gl0_inv
	s_clause 0x4
	scratch_load_b128 v[13:16], off, off offset:168
	scratch_load_b128 v[17:20], off, off offset:184
	;; [unrolled: 1-line block ×5, first 2 shown]
	v_mov_b32_e32 v1, 0
	ds_load_b128 v[151:154], v1 offset:672
	ds_load_b128 v[155:158], v1 offset:688
	scratch_load_b128 v[159:162], off, off offset:248
	s_mov_b32 s0, exec_lo
	s_waitcnt vmcnt(5) lgkmcnt(1)
	v_fma_f64 v[2:3], v[15:16], v[151:152], 0
	s_waitcnt vmcnt(4)
	s_delay_alu instid0(VALU_DEP_1) | instskip(SKIP_4) | instid1(VALU_DEP_1)
	v_fma_f64 v[2:3], v[17:18], v[153:154], v[2:3]
	scratch_load_b128 v[15:18], off, off offset:264
	s_waitcnt lgkmcnt(0)
	v_fma_f64 v[2:3], v[19:20], v[155:156], v[2:3]
	s_waitcnt vmcnt(4)
	v_fma_f64 v[2:3], v[37:38], v[157:158], v[2:3]
	ds_load_b128 v[151:154], v1 offset:704
	ds_load_b128 v[155:158], v1 offset:720
	s_waitcnt lgkmcnt(1)
	v_fma_f64 v[2:3], v[39:40], v[151:152], v[2:3]
	scratch_load_b128 v[37:40], off, off offset:280
	s_waitcnt vmcnt(4)
	v_fma_f64 v[2:3], v[41:42], v[153:154], v[2:3]
	s_waitcnt lgkmcnt(0)
	s_delay_alu instid0(VALU_DEP_1)
	v_fma_f64 v[2:3], v[43:44], v[155:156], v[2:3]
	scratch_load_b128 v[41:44], off, off offset:296
	s_waitcnt vmcnt(4)
	v_fma_f64 v[2:3], v[147:148], v[157:158], v[2:3]
	ds_load_b128 v[151:154], v1 offset:736
	ds_load_b128 v[155:158], v1 offset:752
	s_waitcnt lgkmcnt(1)
	v_fma_f64 v[2:3], v[149:150], v[151:152], v[2:3]
	scratch_load_b128 v[147:150], off, off offset:312
	s_waitcnt vmcnt(4)
	v_fma_f64 v[2:3], v[159:160], v[153:154], v[2:3]
	scratch_load_b128 v[151:154], off, off offset:328
	s_waitcnt lgkmcnt(0)
	v_fma_f64 v[2:3], v[161:162], v[155:156], v[2:3]
	s_waitcnt vmcnt(4)
	s_delay_alu instid0(VALU_DEP_1)
	v_fma_f64 v[2:3], v[15:16], v[157:158], v[2:3]
	ds_load_b128 v[155:158], v1 offset:768
	ds_load_b128 v[159:162], v1 offset:784
	s_waitcnt lgkmcnt(1)
	v_fma_f64 v[2:3], v[17:18], v[155:156], v[2:3]
	scratch_load_b128 v[15:18], off, off offset:344
	s_waitcnt vmcnt(4)
	v_fma_f64 v[2:3], v[37:38], v[157:158], v[2:3]
	s_waitcnt lgkmcnt(0)
	s_delay_alu instid0(VALU_DEP_1)
	v_fma_f64 v[2:3], v[39:40], v[159:160], v[2:3]
	scratch_load_b128 v[37:40], off, off offset:360
	s_waitcnt vmcnt(4)
	v_fma_f64 v[2:3], v[41:42], v[161:162], v[2:3]
	ds_load_b128 v[155:158], v1 offset:800
	ds_load_b128 v[159:162], v1 offset:816
	s_waitcnt lgkmcnt(1)
	v_fma_f64 v[2:3], v[43:44], v[155:156], v[2:3]
	scratch_load_b128 v[41:44], off, off offset:376
	s_waitcnt vmcnt(4)
	v_fma_f64 v[2:3], v[147:148], v[157:158], v[2:3]
	s_waitcnt lgkmcnt(0)
	s_delay_alu instid0(VALU_DEP_1)
	v_fma_f64 v[2:3], v[149:150], v[159:160], v[2:3]
	scratch_load_b128 v[147:150], off, off offset:392
	s_waitcnt vmcnt(4)
	;; [unrolled: 13-line block ×4, first 2 shown]
	v_fma_f64 v[2:3], v[147:148], v[161:162], v[2:3]
	ds_load_b128 v[155:158], v1 offset:896
	ds_load_b128 v[159:162], v1 offset:912
	s_waitcnt lgkmcnt(1)
	v_fma_f64 v[2:3], v[149:150], v[155:156], v[2:3]
	scratch_load_b128 v[147:150], off, off offset:472
	s_waitcnt vmcnt(4)
	v_fma_f64 v[2:3], v[151:152], v[157:158], v[2:3]
	s_waitcnt lgkmcnt(0)
	s_delay_alu instid0(VALU_DEP_1)
	v_fma_f64 v[2:3], v[153:154], v[159:160], v[2:3]
	ds_load_b128 v[151:154], v1 offset:928
	ds_load_b128 v[155:158], v1 offset:944
	s_waitcnt vmcnt(3)
	v_fma_f64 v[2:3], v[15:16], v[161:162], v[2:3]
	s_waitcnt lgkmcnt(1)
	s_delay_alu instid0(VALU_DEP_1)
	v_fma_f64 v[2:3], v[17:18], v[151:152], v[2:3]
	ds_load_b128 v[15:18], v1 offset:960
	ds_load_b64 v[19:20], v1 offset:976
	s_waitcnt vmcnt(2)
	v_fma_f64 v[2:3], v[37:38], v[153:154], v[2:3]
	s_waitcnt lgkmcnt(2)
	s_delay_alu instid0(VALU_DEP_1) | instskip(SKIP_1) | instid1(VALU_DEP_1)
	v_fma_f64 v[2:3], v[39:40], v[155:156], v[2:3]
	s_waitcnt vmcnt(1)
	v_fma_f64 v[2:3], v[41:42], v[157:158], v[2:3]
	s_waitcnt lgkmcnt(1)
	s_delay_alu instid0(VALU_DEP_1) | instskip(SKIP_1) | instid1(VALU_DEP_1)
	v_fma_f64 v[2:3], v[43:44], v[15:16], v[2:3]
	s_waitcnt vmcnt(0)
	v_fma_f64 v[2:3], v[147:148], v[17:18], v[2:3]
	s_waitcnt lgkmcnt(0)
	s_delay_alu instid0(VALU_DEP_1) | instskip(NEXT) | instid1(VALU_DEP_1)
	v_fma_f64 v[2:3], v[149:150], v[19:20], v[2:3]
	v_add_f64 v[2:3], v[13:14], -v[2:3]
	scratch_store_b64 off, v[2:3], off offset:168
	v_cmpx_lt_u32_e32 20, v0
	s_cbranch_execz .LBB124_335
; %bb.334:
	scratch_load_b64 v[3:4], off, off offset:160
	v_mov_b32_e32 v2, v1
	scratch_store_b64 off, v[1:2], off offset:160
	s_waitcnt vmcnt(0)
	ds_store_b64 v5, v[3:4]
.LBB124_335:
	s_or_b32 exec_lo, exec_lo, s0
	s_waitcnt lgkmcnt(0)
	s_waitcnt_vscnt null, 0x0
	s_barrier
	buffer_gl0_inv
	s_clause 0x4
	scratch_load_b128 v[13:16], off, off offset:160
	scratch_load_b128 v[17:20], off, off offset:176
	scratch_load_b128 v[37:40], off, off offset:192
	scratch_load_b128 v[41:44], off, off offset:208
	scratch_load_b128 v[147:150], off, off offset:224
	ds_load_2addr_b64 v[151:154], v1 offset0:83 offset1:84
	ds_load_2addr_b64 v[155:158], v1 offset0:85 offset1:86
	scratch_load_b128 v[159:162], off, off offset:240
	s_mov_b32 s0, exec_lo
	s_waitcnt vmcnt(5) lgkmcnt(1)
	v_fma_f64 v[2:3], v[15:16], v[151:152], 0
	s_waitcnt vmcnt(4)
	s_delay_alu instid0(VALU_DEP_1) | instskip(SKIP_4) | instid1(VALU_DEP_1)
	v_fma_f64 v[2:3], v[17:18], v[153:154], v[2:3]
	scratch_load_b128 v[15:18], off, off offset:256
	s_waitcnt lgkmcnt(0)
	v_fma_f64 v[2:3], v[19:20], v[155:156], v[2:3]
	s_waitcnt vmcnt(4)
	v_fma_f64 v[2:3], v[37:38], v[157:158], v[2:3]
	ds_load_2addr_b64 v[151:154], v1 offset0:87 offset1:88
	ds_load_2addr_b64 v[155:158], v1 offset0:89 offset1:90
	s_waitcnt lgkmcnt(1)
	v_fma_f64 v[2:3], v[39:40], v[151:152], v[2:3]
	scratch_load_b128 v[37:40], off, off offset:272
	s_waitcnt vmcnt(4)
	v_fma_f64 v[2:3], v[41:42], v[153:154], v[2:3]
	s_waitcnt lgkmcnt(0)
	s_delay_alu instid0(VALU_DEP_1)
	v_fma_f64 v[2:3], v[43:44], v[155:156], v[2:3]
	scratch_load_b128 v[41:44], off, off offset:288
	s_waitcnt vmcnt(4)
	v_fma_f64 v[2:3], v[147:148], v[157:158], v[2:3]
	ds_load_2addr_b64 v[151:154], v1 offset0:91 offset1:92
	ds_load_2addr_b64 v[155:158], v1 offset0:93 offset1:94
	s_waitcnt lgkmcnt(1)
	v_fma_f64 v[2:3], v[149:150], v[151:152], v[2:3]
	scratch_load_b128 v[147:150], off, off offset:304
	s_waitcnt vmcnt(4)
	v_fma_f64 v[2:3], v[159:160], v[153:154], v[2:3]
	scratch_load_b128 v[151:154], off, off offset:320
	s_waitcnt lgkmcnt(0)
	v_fma_f64 v[2:3], v[161:162], v[155:156], v[2:3]
	s_waitcnt vmcnt(4)
	s_delay_alu instid0(VALU_DEP_1)
	v_fma_f64 v[2:3], v[15:16], v[157:158], v[2:3]
	ds_load_2addr_b64 v[155:158], v1 offset0:95 offset1:96
	ds_load_2addr_b64 v[159:162], v1 offset0:97 offset1:98
	s_waitcnt lgkmcnt(1)
	v_fma_f64 v[2:3], v[17:18], v[155:156], v[2:3]
	scratch_load_b128 v[15:18], off, off offset:336
	s_waitcnt vmcnt(4)
	v_fma_f64 v[2:3], v[37:38], v[157:158], v[2:3]
	s_waitcnt lgkmcnt(0)
	s_delay_alu instid0(VALU_DEP_1)
	v_fma_f64 v[2:3], v[39:40], v[159:160], v[2:3]
	scratch_load_b128 v[37:40], off, off offset:352
	s_waitcnt vmcnt(4)
	v_fma_f64 v[2:3], v[41:42], v[161:162], v[2:3]
	ds_load_2addr_b64 v[155:158], v1 offset0:99 offset1:100
	ds_load_2addr_b64 v[159:162], v1 offset0:101 offset1:102
	s_waitcnt lgkmcnt(1)
	v_fma_f64 v[2:3], v[43:44], v[155:156], v[2:3]
	scratch_load_b128 v[41:44], off, off offset:368
	s_waitcnt vmcnt(4)
	v_fma_f64 v[2:3], v[147:148], v[157:158], v[2:3]
	s_waitcnt lgkmcnt(0)
	s_delay_alu instid0(VALU_DEP_1)
	v_fma_f64 v[2:3], v[149:150], v[159:160], v[2:3]
	scratch_load_b128 v[147:150], off, off offset:384
	s_waitcnt vmcnt(4)
	;; [unrolled: 13-line block ×4, first 2 shown]
	v_fma_f64 v[2:3], v[147:148], v[161:162], v[2:3]
	ds_load_2addr_b64 v[155:158], v1 offset0:111 offset1:112
	ds_load_2addr_b64 v[159:162], v1 offset0:113 offset1:114
	scratch_load_b64 v[19:20], off, off offset:480
	s_waitcnt lgkmcnt(1)
	v_fma_f64 v[2:3], v[149:150], v[155:156], v[2:3]
	scratch_load_b128 v[147:150], off, off offset:464
	s_waitcnt vmcnt(5)
	v_fma_f64 v[2:3], v[151:152], v[157:158], v[2:3]
	s_waitcnt lgkmcnt(0)
	s_delay_alu instid0(VALU_DEP_1)
	v_fma_f64 v[2:3], v[153:154], v[159:160], v[2:3]
	ds_load_2addr_b64 v[151:154], v1 offset0:115 offset1:116
	ds_load_2addr_b64 v[155:158], v1 offset0:117 offset1:118
	s_waitcnt vmcnt(4)
	v_fma_f64 v[2:3], v[15:16], v[161:162], v[2:3]
	s_waitcnt lgkmcnt(1)
	s_delay_alu instid0(VALU_DEP_1) | instskip(SKIP_1) | instid1(VALU_DEP_1)
	v_fma_f64 v[2:3], v[17:18], v[151:152], v[2:3]
	s_waitcnt vmcnt(3)
	v_fma_f64 v[2:3], v[37:38], v[153:154], v[2:3]
	s_waitcnt lgkmcnt(0)
	s_delay_alu instid0(VALU_DEP_1) | instskip(SKIP_1) | instid1(VALU_DEP_1)
	v_fma_f64 v[2:3], v[39:40], v[155:156], v[2:3]
	s_waitcnt vmcnt(2)
	v_fma_f64 v[31:32], v[41:42], v[157:158], v[2:3]
	ds_load_2addr_b64 v[15:18], v1 offset0:119 offset1:120
	ds_load_2addr_b64 v[1:4], v1 offset0:121 offset1:122
	s_waitcnt lgkmcnt(1)
	v_fma_f64 v[15:16], v[43:44], v[15:16], v[31:32]
	s_waitcnt vmcnt(0)
	s_delay_alu instid0(VALU_DEP_1) | instskip(SKIP_1) | instid1(VALU_DEP_1)
	v_fma_f64 v[15:16], v[147:148], v[17:18], v[15:16]
	s_waitcnt lgkmcnt(0)
	v_fma_f64 v[1:2], v[149:150], v[1:2], v[15:16]
	s_delay_alu instid0(VALU_DEP_1) | instskip(NEXT) | instid1(VALU_DEP_1)
	v_fma_f64 v[1:2], v[19:20], v[3:4], v[1:2]
	v_add_f64 v[1:2], v[13:14], -v[1:2]
	scratch_store_b64 off, v[1:2], off offset:160
	v_cmpx_lt_u32_e32 19, v0
	s_cbranch_execz .LBB124_337
; %bb.336:
	scratch_load_b64 v[1:2], off, off offset:152
	v_mov_b32_e32 v3, 0
	s_delay_alu instid0(VALU_DEP_1)
	v_mov_b32_e32 v4, v3
	scratch_store_b64 off, v[3:4], off offset:152
	s_waitcnt vmcnt(0)
	ds_store_b64 v5, v[1:2]
.LBB124_337:
	s_or_b32 exec_lo, exec_lo, s0
	s_waitcnt lgkmcnt(0)
	s_waitcnt_vscnt null, 0x0
	s_barrier
	buffer_gl0_inv
	s_clause 0x4
	scratch_load_b128 v[13:16], off, off offset:152
	scratch_load_b128 v[17:20], off, off offset:168
	;; [unrolled: 1-line block ×5, first 2 shown]
	v_mov_b32_e32 v1, 0
	ds_load_b128 v[151:154], v1 offset:656
	ds_load_b128 v[155:158], v1 offset:672
	scratch_load_b128 v[159:162], off, off offset:232
	s_mov_b32 s0, exec_lo
	s_waitcnt vmcnt(5) lgkmcnt(1)
	v_fma_f64 v[2:3], v[15:16], v[151:152], 0
	s_waitcnt vmcnt(4)
	s_delay_alu instid0(VALU_DEP_1) | instskip(SKIP_4) | instid1(VALU_DEP_1)
	v_fma_f64 v[2:3], v[17:18], v[153:154], v[2:3]
	scratch_load_b128 v[15:18], off, off offset:248
	s_waitcnt lgkmcnt(0)
	v_fma_f64 v[2:3], v[19:20], v[155:156], v[2:3]
	s_waitcnt vmcnt(4)
	v_fma_f64 v[2:3], v[37:38], v[157:158], v[2:3]
	ds_load_b128 v[151:154], v1 offset:688
	ds_load_b128 v[155:158], v1 offset:704
	s_waitcnt lgkmcnt(1)
	v_fma_f64 v[2:3], v[39:40], v[151:152], v[2:3]
	scratch_load_b128 v[37:40], off, off offset:264
	s_waitcnt vmcnt(4)
	v_fma_f64 v[2:3], v[41:42], v[153:154], v[2:3]
	s_waitcnt lgkmcnt(0)
	s_delay_alu instid0(VALU_DEP_1)
	v_fma_f64 v[2:3], v[43:44], v[155:156], v[2:3]
	scratch_load_b128 v[41:44], off, off offset:280
	s_waitcnt vmcnt(4)
	v_fma_f64 v[2:3], v[147:148], v[157:158], v[2:3]
	ds_load_b128 v[151:154], v1 offset:720
	ds_load_b128 v[155:158], v1 offset:736
	s_waitcnt lgkmcnt(1)
	v_fma_f64 v[2:3], v[149:150], v[151:152], v[2:3]
	scratch_load_b128 v[147:150], off, off offset:296
	s_waitcnt vmcnt(4)
	v_fma_f64 v[2:3], v[159:160], v[153:154], v[2:3]
	scratch_load_b128 v[151:154], off, off offset:312
	s_waitcnt lgkmcnt(0)
	v_fma_f64 v[2:3], v[161:162], v[155:156], v[2:3]
	s_waitcnt vmcnt(4)
	s_delay_alu instid0(VALU_DEP_1)
	v_fma_f64 v[2:3], v[15:16], v[157:158], v[2:3]
	ds_load_b128 v[155:158], v1 offset:752
	ds_load_b128 v[159:162], v1 offset:768
	s_waitcnt lgkmcnt(1)
	v_fma_f64 v[2:3], v[17:18], v[155:156], v[2:3]
	scratch_load_b128 v[15:18], off, off offset:328
	s_waitcnt vmcnt(4)
	v_fma_f64 v[2:3], v[37:38], v[157:158], v[2:3]
	s_waitcnt lgkmcnt(0)
	s_delay_alu instid0(VALU_DEP_1)
	v_fma_f64 v[2:3], v[39:40], v[159:160], v[2:3]
	scratch_load_b128 v[37:40], off, off offset:344
	s_waitcnt vmcnt(4)
	v_fma_f64 v[2:3], v[41:42], v[161:162], v[2:3]
	ds_load_b128 v[155:158], v1 offset:784
	ds_load_b128 v[159:162], v1 offset:800
	s_waitcnt lgkmcnt(1)
	v_fma_f64 v[2:3], v[43:44], v[155:156], v[2:3]
	scratch_load_b128 v[41:44], off, off offset:360
	s_waitcnt vmcnt(4)
	v_fma_f64 v[2:3], v[147:148], v[157:158], v[2:3]
	s_waitcnt lgkmcnt(0)
	s_delay_alu instid0(VALU_DEP_1)
	v_fma_f64 v[2:3], v[149:150], v[159:160], v[2:3]
	scratch_load_b128 v[147:150], off, off offset:376
	s_waitcnt vmcnt(4)
	;; [unrolled: 13-line block ×5, first 2 shown]
	v_fma_f64 v[2:3], v[15:16], v[161:162], v[2:3]
	ds_load_b128 v[155:158], v1 offset:912
	ds_load_b128 v[159:162], v1 offset:928
	s_waitcnt lgkmcnt(1)
	v_fma_f64 v[2:3], v[17:18], v[155:156], v[2:3]
	s_waitcnt vmcnt(3)
	s_delay_alu instid0(VALU_DEP_1) | instskip(SKIP_1) | instid1(VALU_DEP_1)
	v_fma_f64 v[2:3], v[37:38], v[157:158], v[2:3]
	s_waitcnt lgkmcnt(0)
	v_fma_f64 v[2:3], v[39:40], v[159:160], v[2:3]
	ds_load_b128 v[15:18], v1 offset:944
	ds_load_b128 v[37:40], v1 offset:960
	s_waitcnt vmcnt(2)
	v_fma_f64 v[2:3], v[41:42], v[161:162], v[2:3]
	s_waitcnt lgkmcnt(1)
	s_delay_alu instid0(VALU_DEP_1) | instskip(SKIP_4) | instid1(VALU_DEP_1)
	v_fma_f64 v[2:3], v[43:44], v[15:16], v[2:3]
	ds_load_b64 v[15:16], v1 offset:976
	s_waitcnt vmcnt(1)
	v_fma_f64 v[2:3], v[147:148], v[17:18], v[2:3]
	s_waitcnt lgkmcnt(1)
	v_fma_f64 v[2:3], v[149:150], v[37:38], v[2:3]
	s_waitcnt vmcnt(0)
	s_delay_alu instid0(VALU_DEP_1) | instskip(SKIP_1) | instid1(VALU_DEP_1)
	v_fma_f64 v[2:3], v[151:152], v[39:40], v[2:3]
	s_waitcnt lgkmcnt(0)
	v_fma_f64 v[2:3], v[153:154], v[15:16], v[2:3]
	s_delay_alu instid0(VALU_DEP_1)
	v_add_f64 v[2:3], v[13:14], -v[2:3]
	scratch_store_b64 off, v[2:3], off offset:152
	v_cmpx_lt_u32_e32 18, v0
	s_cbranch_execz .LBB124_339
; %bb.338:
	scratch_load_b64 v[3:4], off, off offset:144
	v_mov_b32_e32 v2, v1
	scratch_store_b64 off, v[1:2], off offset:144
	s_waitcnt vmcnt(0)
	ds_store_b64 v5, v[3:4]
.LBB124_339:
	s_or_b32 exec_lo, exec_lo, s0
	s_waitcnt lgkmcnt(0)
	s_waitcnt_vscnt null, 0x0
	s_barrier
	buffer_gl0_inv
	s_clause 0x4
	scratch_load_b128 v[13:16], off, off offset:144
	scratch_load_b128 v[17:20], off, off offset:160
	;; [unrolled: 1-line block ×5, first 2 shown]
	ds_load_2addr_b64 v[151:154], v1 offset0:81 offset1:82
	ds_load_2addr_b64 v[155:158], v1 offset0:83 offset1:84
	scratch_load_b128 v[159:162], off, off offset:224
	s_mov_b32 s0, exec_lo
	s_waitcnt vmcnt(5) lgkmcnt(1)
	v_fma_f64 v[2:3], v[15:16], v[151:152], 0
	s_waitcnt vmcnt(4)
	s_delay_alu instid0(VALU_DEP_1) | instskip(SKIP_4) | instid1(VALU_DEP_1)
	v_fma_f64 v[2:3], v[17:18], v[153:154], v[2:3]
	scratch_load_b128 v[15:18], off, off offset:240
	s_waitcnt lgkmcnt(0)
	v_fma_f64 v[2:3], v[19:20], v[155:156], v[2:3]
	s_waitcnt vmcnt(4)
	v_fma_f64 v[2:3], v[37:38], v[157:158], v[2:3]
	ds_load_2addr_b64 v[151:154], v1 offset0:85 offset1:86
	ds_load_2addr_b64 v[155:158], v1 offset0:87 offset1:88
	s_waitcnt lgkmcnt(1)
	v_fma_f64 v[2:3], v[39:40], v[151:152], v[2:3]
	scratch_load_b128 v[37:40], off, off offset:256
	s_waitcnt vmcnt(4)
	v_fma_f64 v[2:3], v[41:42], v[153:154], v[2:3]
	s_waitcnt lgkmcnt(0)
	s_delay_alu instid0(VALU_DEP_1)
	v_fma_f64 v[2:3], v[43:44], v[155:156], v[2:3]
	scratch_load_b128 v[41:44], off, off offset:272
	s_waitcnt vmcnt(4)
	v_fma_f64 v[2:3], v[147:148], v[157:158], v[2:3]
	ds_load_2addr_b64 v[151:154], v1 offset0:89 offset1:90
	ds_load_2addr_b64 v[155:158], v1 offset0:91 offset1:92
	s_waitcnt lgkmcnt(1)
	v_fma_f64 v[2:3], v[149:150], v[151:152], v[2:3]
	scratch_load_b128 v[147:150], off, off offset:288
	s_waitcnt vmcnt(4)
	v_fma_f64 v[2:3], v[159:160], v[153:154], v[2:3]
	scratch_load_b128 v[151:154], off, off offset:304
	s_waitcnt lgkmcnt(0)
	v_fma_f64 v[2:3], v[161:162], v[155:156], v[2:3]
	s_waitcnt vmcnt(4)
	s_delay_alu instid0(VALU_DEP_1)
	v_fma_f64 v[2:3], v[15:16], v[157:158], v[2:3]
	ds_load_2addr_b64 v[155:158], v1 offset0:93 offset1:94
	ds_load_2addr_b64 v[159:162], v1 offset0:95 offset1:96
	s_waitcnt lgkmcnt(1)
	v_fma_f64 v[2:3], v[17:18], v[155:156], v[2:3]
	scratch_load_b128 v[15:18], off, off offset:320
	s_waitcnt vmcnt(4)
	v_fma_f64 v[2:3], v[37:38], v[157:158], v[2:3]
	s_waitcnt lgkmcnt(0)
	s_delay_alu instid0(VALU_DEP_1)
	v_fma_f64 v[2:3], v[39:40], v[159:160], v[2:3]
	scratch_load_b128 v[37:40], off, off offset:336
	s_waitcnt vmcnt(4)
	v_fma_f64 v[2:3], v[41:42], v[161:162], v[2:3]
	ds_load_2addr_b64 v[155:158], v1 offset0:97 offset1:98
	ds_load_2addr_b64 v[159:162], v1 offset0:99 offset1:100
	s_waitcnt lgkmcnt(1)
	v_fma_f64 v[2:3], v[43:44], v[155:156], v[2:3]
	scratch_load_b128 v[41:44], off, off offset:352
	s_waitcnt vmcnt(4)
	v_fma_f64 v[2:3], v[147:148], v[157:158], v[2:3]
	s_waitcnt lgkmcnt(0)
	s_delay_alu instid0(VALU_DEP_1)
	v_fma_f64 v[2:3], v[149:150], v[159:160], v[2:3]
	scratch_load_b128 v[147:150], off, off offset:368
	s_waitcnt vmcnt(4)
	;; [unrolled: 13-line block ×5, first 2 shown]
	v_fma_f64 v[2:3], v[15:16], v[161:162], v[2:3]
	ds_load_2addr_b64 v[155:158], v1 offset0:113 offset1:114
	ds_load_2addr_b64 v[159:162], v1 offset0:115 offset1:116
	scratch_load_b64 v[19:20], off, off offset:480
	s_waitcnt lgkmcnt(1)
	v_fma_f64 v[2:3], v[17:18], v[155:156], v[2:3]
	s_waitcnt vmcnt(4)
	s_delay_alu instid0(VALU_DEP_1) | instskip(SKIP_1) | instid1(VALU_DEP_1)
	v_fma_f64 v[2:3], v[37:38], v[157:158], v[2:3]
	s_waitcnt lgkmcnt(0)
	v_fma_f64 v[2:3], v[39:40], v[159:160], v[2:3]
	ds_load_2addr_b64 v[15:18], v1 offset0:117 offset1:118
	ds_load_2addr_b64 v[37:40], v1 offset0:119 offset1:120
	s_waitcnt vmcnt(3)
	v_fma_f64 v[2:3], v[41:42], v[161:162], v[2:3]
	s_waitcnt lgkmcnt(1)
	s_delay_alu instid0(VALU_DEP_1) | instskip(SKIP_1) | instid1(VALU_DEP_1)
	v_fma_f64 v[2:3], v[43:44], v[15:16], v[2:3]
	s_waitcnt vmcnt(2)
	v_fma_f64 v[2:3], v[147:148], v[17:18], v[2:3]
	s_waitcnt lgkmcnt(0)
	s_delay_alu instid0(VALU_DEP_1) | instskip(SKIP_1) | instid1(VALU_DEP_1)
	v_fma_f64 v[2:3], v[149:150], v[37:38], v[2:3]
	s_waitcnt vmcnt(1)
	v_fma_f64 v[15:16], v[151:152], v[39:40], v[2:3]
	ds_load_2addr_b64 v[1:4], v1 offset0:121 offset1:122
	s_waitcnt lgkmcnt(0)
	v_fma_f64 v[1:2], v[153:154], v[1:2], v[15:16]
	s_waitcnt vmcnt(0)
	s_delay_alu instid0(VALU_DEP_1) | instskip(NEXT) | instid1(VALU_DEP_1)
	v_fma_f64 v[1:2], v[19:20], v[3:4], v[1:2]
	v_add_f64 v[1:2], v[13:14], -v[1:2]
	scratch_store_b64 off, v[1:2], off offset:144
	v_cmpx_lt_u32_e32 17, v0
	s_cbranch_execz .LBB124_341
; %bb.340:
	scratch_load_b64 v[1:2], off, off offset:136
	v_mov_b32_e32 v3, 0
	s_delay_alu instid0(VALU_DEP_1)
	v_mov_b32_e32 v4, v3
	scratch_store_b64 off, v[3:4], off offset:136
	s_waitcnt vmcnt(0)
	ds_store_b64 v5, v[1:2]
.LBB124_341:
	s_or_b32 exec_lo, exec_lo, s0
	s_waitcnt lgkmcnt(0)
	s_waitcnt_vscnt null, 0x0
	s_barrier
	buffer_gl0_inv
	s_clause 0x4
	scratch_load_b128 v[13:16], off, off offset:136
	scratch_load_b128 v[17:20], off, off offset:152
	scratch_load_b128 v[37:40], off, off offset:168
	scratch_load_b128 v[41:44], off, off offset:184
	scratch_load_b128 v[147:150], off, off offset:200
	v_mov_b32_e32 v1, 0
	ds_load_b128 v[151:154], v1 offset:640
	ds_load_b128 v[155:158], v1 offset:656
	scratch_load_b128 v[159:162], off, off offset:216
	s_mov_b32 s0, exec_lo
	s_waitcnt vmcnt(5) lgkmcnt(1)
	v_fma_f64 v[2:3], v[15:16], v[151:152], 0
	s_waitcnt vmcnt(4)
	s_delay_alu instid0(VALU_DEP_1) | instskip(SKIP_4) | instid1(VALU_DEP_1)
	v_fma_f64 v[2:3], v[17:18], v[153:154], v[2:3]
	scratch_load_b128 v[15:18], off, off offset:232
	s_waitcnt lgkmcnt(0)
	v_fma_f64 v[2:3], v[19:20], v[155:156], v[2:3]
	s_waitcnt vmcnt(4)
	v_fma_f64 v[2:3], v[37:38], v[157:158], v[2:3]
	ds_load_b128 v[151:154], v1 offset:672
	ds_load_b128 v[155:158], v1 offset:688
	s_waitcnt lgkmcnt(1)
	v_fma_f64 v[2:3], v[39:40], v[151:152], v[2:3]
	scratch_load_b128 v[37:40], off, off offset:248
	s_waitcnt vmcnt(4)
	v_fma_f64 v[2:3], v[41:42], v[153:154], v[2:3]
	s_waitcnt lgkmcnt(0)
	s_delay_alu instid0(VALU_DEP_1)
	v_fma_f64 v[2:3], v[43:44], v[155:156], v[2:3]
	scratch_load_b128 v[41:44], off, off offset:264
	s_waitcnt vmcnt(4)
	v_fma_f64 v[2:3], v[147:148], v[157:158], v[2:3]
	ds_load_b128 v[151:154], v1 offset:704
	ds_load_b128 v[155:158], v1 offset:720
	s_waitcnt lgkmcnt(1)
	v_fma_f64 v[2:3], v[149:150], v[151:152], v[2:3]
	scratch_load_b128 v[147:150], off, off offset:280
	s_waitcnt vmcnt(4)
	v_fma_f64 v[2:3], v[159:160], v[153:154], v[2:3]
	scratch_load_b128 v[151:154], off, off offset:296
	s_waitcnt lgkmcnt(0)
	v_fma_f64 v[2:3], v[161:162], v[155:156], v[2:3]
	s_waitcnt vmcnt(4)
	s_delay_alu instid0(VALU_DEP_1)
	v_fma_f64 v[2:3], v[15:16], v[157:158], v[2:3]
	ds_load_b128 v[155:158], v1 offset:736
	ds_load_b128 v[159:162], v1 offset:752
	s_waitcnt lgkmcnt(1)
	v_fma_f64 v[2:3], v[17:18], v[155:156], v[2:3]
	scratch_load_b128 v[15:18], off, off offset:312
	s_waitcnt vmcnt(4)
	v_fma_f64 v[2:3], v[37:38], v[157:158], v[2:3]
	s_waitcnt lgkmcnt(0)
	s_delay_alu instid0(VALU_DEP_1)
	v_fma_f64 v[2:3], v[39:40], v[159:160], v[2:3]
	scratch_load_b128 v[37:40], off, off offset:328
	s_waitcnt vmcnt(4)
	v_fma_f64 v[2:3], v[41:42], v[161:162], v[2:3]
	ds_load_b128 v[155:158], v1 offset:768
	ds_load_b128 v[159:162], v1 offset:784
	s_waitcnt lgkmcnt(1)
	v_fma_f64 v[2:3], v[43:44], v[155:156], v[2:3]
	scratch_load_b128 v[41:44], off, off offset:344
	s_waitcnt vmcnt(4)
	v_fma_f64 v[2:3], v[147:148], v[157:158], v[2:3]
	s_waitcnt lgkmcnt(0)
	s_delay_alu instid0(VALU_DEP_1)
	v_fma_f64 v[2:3], v[149:150], v[159:160], v[2:3]
	scratch_load_b128 v[147:150], off, off offset:360
	s_waitcnt vmcnt(4)
	;; [unrolled: 13-line block ×5, first 2 shown]
	v_fma_f64 v[2:3], v[15:16], v[161:162], v[2:3]
	ds_load_b128 v[155:158], v1 offset:896
	ds_load_b128 v[159:162], v1 offset:912
	s_waitcnt lgkmcnt(1)
	v_fma_f64 v[2:3], v[17:18], v[155:156], v[2:3]
	scratch_load_b128 v[15:18], off, off offset:472
	s_waitcnt vmcnt(4)
	v_fma_f64 v[2:3], v[37:38], v[157:158], v[2:3]
	s_waitcnt lgkmcnt(0)
	s_delay_alu instid0(VALU_DEP_1)
	v_fma_f64 v[2:3], v[39:40], v[159:160], v[2:3]
	ds_load_b128 v[37:40], v1 offset:928
	ds_load_b128 v[155:158], v1 offset:944
	s_waitcnt vmcnt(3)
	v_fma_f64 v[2:3], v[41:42], v[161:162], v[2:3]
	s_waitcnt lgkmcnt(1)
	s_delay_alu instid0(VALU_DEP_1) | instskip(SKIP_1) | instid1(VALU_DEP_1)
	v_fma_f64 v[2:3], v[43:44], v[37:38], v[2:3]
	s_waitcnt vmcnt(2)
	v_fma_f64 v[2:3], v[147:148], v[39:40], v[2:3]
	ds_load_b128 v[37:40], v1 offset:960
	ds_load_b64 v[19:20], v1 offset:976
	s_waitcnt lgkmcnt(2)
	v_fma_f64 v[2:3], v[149:150], v[155:156], v[2:3]
	s_waitcnt vmcnt(1)
	s_delay_alu instid0(VALU_DEP_1) | instskip(SKIP_1) | instid1(VALU_DEP_1)
	v_fma_f64 v[2:3], v[151:152], v[157:158], v[2:3]
	s_waitcnt lgkmcnt(1)
	v_fma_f64 v[2:3], v[153:154], v[37:38], v[2:3]
	s_waitcnt vmcnt(0)
	s_delay_alu instid0(VALU_DEP_1) | instskip(SKIP_1) | instid1(VALU_DEP_1)
	v_fma_f64 v[2:3], v[15:16], v[39:40], v[2:3]
	s_waitcnt lgkmcnt(0)
	v_fma_f64 v[2:3], v[17:18], v[19:20], v[2:3]
	s_delay_alu instid0(VALU_DEP_1)
	v_add_f64 v[2:3], v[13:14], -v[2:3]
	scratch_store_b64 off, v[2:3], off offset:136
	v_cmpx_lt_u32_e32 16, v0
	s_cbranch_execz .LBB124_343
; %bb.342:
	scratch_load_b64 v[3:4], off, off offset:128
	v_mov_b32_e32 v2, v1
	scratch_store_b64 off, v[1:2], off offset:128
	s_waitcnt vmcnt(0)
	ds_store_b64 v5, v[3:4]
.LBB124_343:
	s_or_b32 exec_lo, exec_lo, s0
	s_waitcnt lgkmcnt(0)
	s_waitcnt_vscnt null, 0x0
	s_barrier
	buffer_gl0_inv
	s_clause 0x4
	scratch_load_b128 v[13:16], off, off offset:128
	scratch_load_b128 v[17:20], off, off offset:144
	scratch_load_b128 v[37:40], off, off offset:160
	scratch_load_b128 v[41:44], off, off offset:176
	scratch_load_b128 v[147:150], off, off offset:192
	ds_load_2addr_b64 v[151:154], v1 offset0:79 offset1:80
	ds_load_2addr_b64 v[155:158], v1 offset0:81 offset1:82
	scratch_load_b128 v[159:162], off, off offset:208
	s_mov_b32 s0, exec_lo
	s_waitcnt vmcnt(5) lgkmcnt(1)
	v_fma_f64 v[2:3], v[15:16], v[151:152], 0
	s_waitcnt vmcnt(4)
	s_delay_alu instid0(VALU_DEP_1) | instskip(SKIP_4) | instid1(VALU_DEP_1)
	v_fma_f64 v[2:3], v[17:18], v[153:154], v[2:3]
	scratch_load_b128 v[15:18], off, off offset:224
	s_waitcnt lgkmcnt(0)
	v_fma_f64 v[2:3], v[19:20], v[155:156], v[2:3]
	s_waitcnt vmcnt(4)
	v_fma_f64 v[2:3], v[37:38], v[157:158], v[2:3]
	ds_load_2addr_b64 v[151:154], v1 offset0:83 offset1:84
	ds_load_2addr_b64 v[155:158], v1 offset0:85 offset1:86
	s_waitcnt lgkmcnt(1)
	v_fma_f64 v[2:3], v[39:40], v[151:152], v[2:3]
	scratch_load_b128 v[37:40], off, off offset:240
	s_waitcnt vmcnt(4)
	v_fma_f64 v[2:3], v[41:42], v[153:154], v[2:3]
	s_waitcnt lgkmcnt(0)
	s_delay_alu instid0(VALU_DEP_1)
	v_fma_f64 v[2:3], v[43:44], v[155:156], v[2:3]
	scratch_load_b128 v[41:44], off, off offset:256
	s_waitcnt vmcnt(4)
	v_fma_f64 v[2:3], v[147:148], v[157:158], v[2:3]
	ds_load_2addr_b64 v[151:154], v1 offset0:87 offset1:88
	ds_load_2addr_b64 v[155:158], v1 offset0:89 offset1:90
	s_waitcnt lgkmcnt(1)
	v_fma_f64 v[2:3], v[149:150], v[151:152], v[2:3]
	scratch_load_b128 v[147:150], off, off offset:272
	s_waitcnt vmcnt(4)
	v_fma_f64 v[2:3], v[159:160], v[153:154], v[2:3]
	scratch_load_b128 v[151:154], off, off offset:288
	s_waitcnt lgkmcnt(0)
	v_fma_f64 v[2:3], v[161:162], v[155:156], v[2:3]
	s_waitcnt vmcnt(4)
	s_delay_alu instid0(VALU_DEP_1)
	v_fma_f64 v[2:3], v[15:16], v[157:158], v[2:3]
	ds_load_2addr_b64 v[155:158], v1 offset0:91 offset1:92
	ds_load_2addr_b64 v[159:162], v1 offset0:93 offset1:94
	s_waitcnt lgkmcnt(1)
	v_fma_f64 v[2:3], v[17:18], v[155:156], v[2:3]
	scratch_load_b128 v[15:18], off, off offset:304
	s_waitcnt vmcnt(4)
	v_fma_f64 v[2:3], v[37:38], v[157:158], v[2:3]
	s_waitcnt lgkmcnt(0)
	s_delay_alu instid0(VALU_DEP_1)
	v_fma_f64 v[2:3], v[39:40], v[159:160], v[2:3]
	scratch_load_b128 v[37:40], off, off offset:320
	s_waitcnt vmcnt(4)
	v_fma_f64 v[2:3], v[41:42], v[161:162], v[2:3]
	ds_load_2addr_b64 v[155:158], v1 offset0:95 offset1:96
	ds_load_2addr_b64 v[159:162], v1 offset0:97 offset1:98
	s_waitcnt lgkmcnt(1)
	v_fma_f64 v[2:3], v[43:44], v[155:156], v[2:3]
	scratch_load_b128 v[41:44], off, off offset:336
	s_waitcnt vmcnt(4)
	v_fma_f64 v[2:3], v[147:148], v[157:158], v[2:3]
	s_waitcnt lgkmcnt(0)
	s_delay_alu instid0(VALU_DEP_1)
	v_fma_f64 v[2:3], v[149:150], v[159:160], v[2:3]
	scratch_load_b128 v[147:150], off, off offset:352
	s_waitcnt vmcnt(4)
	v_fma_f64 v[2:3], v[151:152], v[161:162], v[2:3]
	ds_load_2addr_b64 v[155:158], v1 offset0:99 offset1:100
	ds_load_2addr_b64 v[159:162], v1 offset0:101 offset1:102
	s_waitcnt lgkmcnt(1)
	v_fma_f64 v[2:3], v[153:154], v[155:156], v[2:3]
	scratch_load_b128 v[151:154], off, off offset:368
	s_waitcnt vmcnt(4)
	v_fma_f64 v[2:3], v[15:16], v[157:158], v[2:3]
	s_waitcnt lgkmcnt(0)
	s_delay_alu instid0(VALU_DEP_1)
	v_fma_f64 v[2:3], v[17:18], v[159:160], v[2:3]
	scratch_load_b128 v[15:18], off, off offset:384
	s_waitcnt vmcnt(4)
	v_fma_f64 v[2:3], v[37:38], v[161:162], v[2:3]
	ds_load_2addr_b64 v[155:158], v1 offset0:103 offset1:104
	ds_load_2addr_b64 v[159:162], v1 offset0:105 offset1:106
	s_waitcnt lgkmcnt(1)
	v_fma_f64 v[2:3], v[39:40], v[155:156], v[2:3]
	scratch_load_b128 v[37:40], off, off offset:400
	s_waitcnt vmcnt(4)
	v_fma_f64 v[2:3], v[41:42], v[157:158], v[2:3]
	s_waitcnt lgkmcnt(0)
	s_delay_alu instid0(VALU_DEP_1)
	v_fma_f64 v[2:3], v[43:44], v[159:160], v[2:3]
	scratch_load_b128 v[41:44], off, off offset:416
	s_waitcnt vmcnt(4)
	v_fma_f64 v[2:3], v[147:148], v[161:162], v[2:3]
	ds_load_2addr_b64 v[155:158], v1 offset0:107 offset1:108
	ds_load_2addr_b64 v[159:162], v1 offset0:109 offset1:110
	s_waitcnt lgkmcnt(1)
	v_fma_f64 v[2:3], v[149:150], v[155:156], v[2:3]
	scratch_load_b128 v[147:150], off, off offset:432
	s_waitcnt vmcnt(4)
	v_fma_f64 v[2:3], v[151:152], v[157:158], v[2:3]
	s_waitcnt lgkmcnt(0)
	s_delay_alu instid0(VALU_DEP_1)
	v_fma_f64 v[2:3], v[153:154], v[159:160], v[2:3]
	scratch_load_b128 v[151:154], off, off offset:448
	s_waitcnt vmcnt(4)
	v_fma_f64 v[2:3], v[15:16], v[161:162], v[2:3]
	ds_load_2addr_b64 v[155:158], v1 offset0:111 offset1:112
	ds_load_2addr_b64 v[159:162], v1 offset0:113 offset1:114
	scratch_load_b64 v[19:20], off, off offset:480
	s_waitcnt lgkmcnt(1)
	v_fma_f64 v[2:3], v[17:18], v[155:156], v[2:3]
	scratch_load_b128 v[15:18], off, off offset:464
	s_waitcnt vmcnt(5)
	v_fma_f64 v[2:3], v[37:38], v[157:158], v[2:3]
	s_waitcnt lgkmcnt(0)
	s_delay_alu instid0(VALU_DEP_1)
	v_fma_f64 v[2:3], v[39:40], v[159:160], v[2:3]
	ds_load_2addr_b64 v[37:40], v1 offset0:115 offset1:116
	ds_load_2addr_b64 v[155:158], v1 offset0:117 offset1:118
	s_waitcnt vmcnt(4)
	v_fma_f64 v[2:3], v[41:42], v[161:162], v[2:3]
	s_waitcnt lgkmcnt(1)
	s_delay_alu instid0(VALU_DEP_1) | instskip(SKIP_1) | instid1(VALU_DEP_1)
	v_fma_f64 v[2:3], v[43:44], v[37:38], v[2:3]
	s_waitcnt vmcnt(3)
	v_fma_f64 v[2:3], v[147:148], v[39:40], v[2:3]
	s_waitcnt lgkmcnt(0)
	s_delay_alu instid0(VALU_DEP_1) | instskip(SKIP_1) | instid1(VALU_DEP_1)
	v_fma_f64 v[2:3], v[149:150], v[155:156], v[2:3]
	s_waitcnt vmcnt(2)
	v_fma_f64 v[31:32], v[151:152], v[157:158], v[2:3]
	ds_load_2addr_b64 v[37:40], v1 offset0:119 offset1:120
	ds_load_2addr_b64 v[1:4], v1 offset0:121 offset1:122
	s_waitcnt lgkmcnt(1)
	v_fma_f64 v[31:32], v[153:154], v[37:38], v[31:32]
	s_waitcnt vmcnt(0)
	s_delay_alu instid0(VALU_DEP_1) | instskip(SKIP_1) | instid1(VALU_DEP_1)
	v_fma_f64 v[15:16], v[15:16], v[39:40], v[31:32]
	s_waitcnt lgkmcnt(0)
	v_fma_f64 v[1:2], v[17:18], v[1:2], v[15:16]
	s_delay_alu instid0(VALU_DEP_1) | instskip(NEXT) | instid1(VALU_DEP_1)
	v_fma_f64 v[1:2], v[19:20], v[3:4], v[1:2]
	v_add_f64 v[1:2], v[13:14], -v[1:2]
	scratch_store_b64 off, v[1:2], off offset:128
	v_cmpx_lt_u32_e32 15, v0
	s_cbranch_execz .LBB124_345
; %bb.344:
	scratch_load_b64 v[1:2], off, off offset:120
	v_mov_b32_e32 v3, 0
	s_delay_alu instid0(VALU_DEP_1)
	v_mov_b32_e32 v4, v3
	scratch_store_b64 off, v[3:4], off offset:120
	s_waitcnt vmcnt(0)
	ds_store_b64 v5, v[1:2]
.LBB124_345:
	s_or_b32 exec_lo, exec_lo, s0
	s_waitcnt lgkmcnt(0)
	s_waitcnt_vscnt null, 0x0
	s_barrier
	buffer_gl0_inv
	s_clause 0x4
	scratch_load_b128 v[1:4], off, off offset:120
	scratch_load_b128 v[14:17], off, off offset:136
	;; [unrolled: 1-line block ×5, first 2 shown]
	v_mov_b32_e32 v13, 0
	ds_load_b128 v[151:154], v13 offset:624
	ds_load_b128 v[155:158], v13 offset:640
	scratch_load_b128 v[159:162], off, off offset:200
	s_mov_b32 s0, exec_lo
	s_waitcnt vmcnt(5) lgkmcnt(1)
	v_fma_f64 v[3:4], v[3:4], v[151:152], 0
	s_waitcnt vmcnt(4)
	s_delay_alu instid0(VALU_DEP_1) | instskip(SKIP_1) | instid1(VALU_DEP_1)
	v_fma_f64 v[3:4], v[14:15], v[153:154], v[3:4]
	s_waitcnt lgkmcnt(0)
	v_fma_f64 v[3:4], v[16:17], v[155:156], v[3:4]
	scratch_load_b128 v[14:17], off, off offset:216
	s_waitcnt vmcnt(4)
	v_fma_f64 v[3:4], v[37:38], v[157:158], v[3:4]
	ds_load_b128 v[151:154], v13 offset:656
	ds_load_b128 v[155:158], v13 offset:672
	s_waitcnt lgkmcnt(1)
	v_fma_f64 v[3:4], v[39:40], v[151:152], v[3:4]
	scratch_load_b128 v[37:40], off, off offset:232
	s_waitcnt vmcnt(4)
	v_fma_f64 v[3:4], v[41:42], v[153:154], v[3:4]
	s_waitcnt lgkmcnt(0)
	s_delay_alu instid0(VALU_DEP_1)
	v_fma_f64 v[3:4], v[43:44], v[155:156], v[3:4]
	scratch_load_b128 v[41:44], off, off offset:248
	s_waitcnt vmcnt(4)
	v_fma_f64 v[3:4], v[147:148], v[157:158], v[3:4]
	ds_load_b128 v[151:154], v13 offset:688
	ds_load_b128 v[155:158], v13 offset:704
	s_waitcnt lgkmcnt(1)
	v_fma_f64 v[3:4], v[149:150], v[151:152], v[3:4]
	scratch_load_b128 v[147:150], off, off offset:264
	s_waitcnt vmcnt(4)
	v_fma_f64 v[3:4], v[159:160], v[153:154], v[3:4]
	scratch_load_b128 v[151:154], off, off offset:280
	s_waitcnt lgkmcnt(0)
	v_fma_f64 v[3:4], v[161:162], v[155:156], v[3:4]
	s_waitcnt vmcnt(4)
	s_delay_alu instid0(VALU_DEP_1)
	v_fma_f64 v[3:4], v[14:15], v[157:158], v[3:4]
	ds_load_b128 v[155:158], v13 offset:720
	ds_load_b128 v[159:162], v13 offset:736
	s_waitcnt lgkmcnt(1)
	v_fma_f64 v[3:4], v[16:17], v[155:156], v[3:4]
	scratch_load_b128 v[14:17], off, off offset:296
	s_waitcnt vmcnt(4)
	v_fma_f64 v[3:4], v[37:38], v[157:158], v[3:4]
	s_waitcnt lgkmcnt(0)
	s_delay_alu instid0(VALU_DEP_1)
	v_fma_f64 v[3:4], v[39:40], v[159:160], v[3:4]
	scratch_load_b128 v[37:40], off, off offset:312
	s_waitcnt vmcnt(4)
	v_fma_f64 v[3:4], v[41:42], v[161:162], v[3:4]
	ds_load_b128 v[155:158], v13 offset:752
	ds_load_b128 v[159:162], v13 offset:768
	s_waitcnt lgkmcnt(1)
	v_fma_f64 v[3:4], v[43:44], v[155:156], v[3:4]
	scratch_load_b128 v[41:44], off, off offset:328
	s_waitcnt vmcnt(4)
	v_fma_f64 v[3:4], v[147:148], v[157:158], v[3:4]
	s_waitcnt lgkmcnt(0)
	s_delay_alu instid0(VALU_DEP_1)
	v_fma_f64 v[3:4], v[149:150], v[159:160], v[3:4]
	scratch_load_b128 v[147:150], off, off offset:344
	s_waitcnt vmcnt(4)
	;; [unrolled: 13-line block ×6, first 2 shown]
	v_fma_f64 v[3:4], v[41:42], v[161:162], v[3:4]
	ds_load_b128 v[155:158], v13 offset:912
	ds_load_b128 v[159:162], v13 offset:928
	s_waitcnt lgkmcnt(1)
	v_fma_f64 v[3:4], v[43:44], v[155:156], v[3:4]
	s_waitcnt vmcnt(3)
	s_delay_alu instid0(VALU_DEP_1) | instskip(SKIP_1) | instid1(VALU_DEP_1)
	v_fma_f64 v[3:4], v[147:148], v[157:158], v[3:4]
	s_waitcnt lgkmcnt(0)
	v_fma_f64 v[3:4], v[149:150], v[159:160], v[3:4]
	ds_load_b128 v[41:44], v13 offset:944
	ds_load_b128 v[147:150], v13 offset:960
	s_waitcnt vmcnt(2)
	v_fma_f64 v[3:4], v[151:152], v[161:162], v[3:4]
	s_waitcnt lgkmcnt(1)
	s_delay_alu instid0(VALU_DEP_1) | instskip(SKIP_1) | instid1(VALU_DEP_1)
	v_fma_f64 v[3:4], v[153:154], v[41:42], v[3:4]
	s_waitcnt vmcnt(1)
	v_fma_f64 v[3:4], v[14:15], v[43:44], v[3:4]
	ds_load_b64 v[14:15], v13 offset:976
	s_waitcnt lgkmcnt(1)
	v_fma_f64 v[3:4], v[16:17], v[147:148], v[3:4]
	s_waitcnt vmcnt(0)
	s_delay_alu instid0(VALU_DEP_1) | instskip(SKIP_1) | instid1(VALU_DEP_1)
	v_fma_f64 v[3:4], v[37:38], v[149:150], v[3:4]
	s_waitcnt lgkmcnt(0)
	v_fma_f64 v[3:4], v[39:40], v[14:15], v[3:4]
	s_delay_alu instid0(VALU_DEP_1)
	v_add_f64 v[1:2], v[1:2], -v[3:4]
	scratch_store_b64 off, v[1:2], off offset:120
	v_cmpx_lt_u32_e32 14, v0
	s_cbranch_execz .LBB124_347
; %bb.346:
	scratch_load_b64 v[1:2], off, off offset:112
	v_mov_b32_e32 v14, v13
	scratch_store_b64 off, v[13:14], off offset:112
	s_waitcnt vmcnt(0)
	ds_store_b64 v5, v[1:2]
.LBB124_347:
	s_or_b32 exec_lo, exec_lo, s0
	s_waitcnt lgkmcnt(0)
	s_waitcnt_vscnt null, 0x0
	s_barrier
	buffer_gl0_inv
	s_clause 0x4
	scratch_load_b128 v[1:4], off, off offset:112
	scratch_load_b128 v[14:17], off, off offset:128
	;; [unrolled: 1-line block ×5, first 2 shown]
	ds_load_2addr_b64 v[151:154], v13 offset0:77 offset1:78
	ds_load_2addr_b64 v[155:158], v13 offset0:79 offset1:80
	scratch_load_b128 v[159:162], off, off offset:192
	s_mov_b32 s0, exec_lo
	s_waitcnt vmcnt(5) lgkmcnt(1)
	v_fma_f64 v[3:4], v[3:4], v[151:152], 0
	s_waitcnt vmcnt(4)
	s_delay_alu instid0(VALU_DEP_1) | instskip(SKIP_1) | instid1(VALU_DEP_1)
	v_fma_f64 v[3:4], v[14:15], v[153:154], v[3:4]
	s_waitcnt lgkmcnt(0)
	v_fma_f64 v[3:4], v[16:17], v[155:156], v[3:4]
	scratch_load_b128 v[14:17], off, off offset:208
	s_waitcnt vmcnt(4)
	v_fma_f64 v[3:4], v[37:38], v[157:158], v[3:4]
	ds_load_2addr_b64 v[151:154], v13 offset0:81 offset1:82
	ds_load_2addr_b64 v[155:158], v13 offset0:83 offset1:84
	s_waitcnt lgkmcnt(1)
	v_fma_f64 v[3:4], v[39:40], v[151:152], v[3:4]
	scratch_load_b128 v[37:40], off, off offset:224
	s_waitcnt vmcnt(4)
	v_fma_f64 v[3:4], v[41:42], v[153:154], v[3:4]
	s_waitcnt lgkmcnt(0)
	s_delay_alu instid0(VALU_DEP_1)
	v_fma_f64 v[3:4], v[43:44], v[155:156], v[3:4]
	scratch_load_b128 v[41:44], off, off offset:240
	s_waitcnt vmcnt(4)
	v_fma_f64 v[3:4], v[147:148], v[157:158], v[3:4]
	ds_load_2addr_b64 v[151:154], v13 offset0:85 offset1:86
	ds_load_2addr_b64 v[155:158], v13 offset0:87 offset1:88
	s_waitcnt lgkmcnt(1)
	v_fma_f64 v[3:4], v[149:150], v[151:152], v[3:4]
	scratch_load_b128 v[147:150], off, off offset:256
	s_waitcnt vmcnt(4)
	v_fma_f64 v[3:4], v[159:160], v[153:154], v[3:4]
	scratch_load_b128 v[151:154], off, off offset:272
	s_waitcnt lgkmcnt(0)
	v_fma_f64 v[3:4], v[161:162], v[155:156], v[3:4]
	s_waitcnt vmcnt(4)
	s_delay_alu instid0(VALU_DEP_1)
	v_fma_f64 v[3:4], v[14:15], v[157:158], v[3:4]
	ds_load_2addr_b64 v[155:158], v13 offset0:89 offset1:90
	ds_load_2addr_b64 v[159:162], v13 offset0:91 offset1:92
	s_waitcnt lgkmcnt(1)
	v_fma_f64 v[3:4], v[16:17], v[155:156], v[3:4]
	scratch_load_b128 v[14:17], off, off offset:288
	s_waitcnt vmcnt(4)
	v_fma_f64 v[3:4], v[37:38], v[157:158], v[3:4]
	s_waitcnt lgkmcnt(0)
	s_delay_alu instid0(VALU_DEP_1)
	v_fma_f64 v[3:4], v[39:40], v[159:160], v[3:4]
	scratch_load_b128 v[37:40], off, off offset:304
	s_waitcnt vmcnt(4)
	v_fma_f64 v[3:4], v[41:42], v[161:162], v[3:4]
	ds_load_2addr_b64 v[155:158], v13 offset0:93 offset1:94
	ds_load_2addr_b64 v[159:162], v13 offset0:95 offset1:96
	s_waitcnt lgkmcnt(1)
	v_fma_f64 v[3:4], v[43:44], v[155:156], v[3:4]
	scratch_load_b128 v[41:44], off, off offset:320
	s_waitcnt vmcnt(4)
	v_fma_f64 v[3:4], v[147:148], v[157:158], v[3:4]
	s_waitcnt lgkmcnt(0)
	s_delay_alu instid0(VALU_DEP_1)
	v_fma_f64 v[3:4], v[149:150], v[159:160], v[3:4]
	scratch_load_b128 v[147:150], off, off offset:336
	s_waitcnt vmcnt(4)
	;; [unrolled: 13-line block ×6, first 2 shown]
	v_fma_f64 v[3:4], v[41:42], v[161:162], v[3:4]
	ds_load_2addr_b64 v[155:158], v13 offset0:113 offset1:114
	ds_load_2addr_b64 v[159:162], v13 offset0:115 offset1:116
	scratch_load_b64 v[18:19], off, off offset:480
	s_waitcnt lgkmcnt(1)
	v_fma_f64 v[3:4], v[43:44], v[155:156], v[3:4]
	s_waitcnt vmcnt(4)
	s_delay_alu instid0(VALU_DEP_1) | instskip(SKIP_1) | instid1(VALU_DEP_1)
	v_fma_f64 v[3:4], v[147:148], v[157:158], v[3:4]
	s_waitcnt lgkmcnt(0)
	v_fma_f64 v[3:4], v[149:150], v[159:160], v[3:4]
	ds_load_2addr_b64 v[41:44], v13 offset0:117 offset1:118
	ds_load_2addr_b64 v[147:150], v13 offset0:119 offset1:120
	s_waitcnt vmcnt(3)
	v_fma_f64 v[3:4], v[151:152], v[161:162], v[3:4]
	s_waitcnt lgkmcnt(1)
	s_delay_alu instid0(VALU_DEP_1) | instskip(SKIP_1) | instid1(VALU_DEP_1)
	v_fma_f64 v[3:4], v[153:154], v[41:42], v[3:4]
	s_waitcnt vmcnt(2)
	v_fma_f64 v[3:4], v[14:15], v[43:44], v[3:4]
	s_waitcnt lgkmcnt(0)
	s_delay_alu instid0(VALU_DEP_1) | instskip(SKIP_4) | instid1(VALU_DEP_1)
	v_fma_f64 v[3:4], v[16:17], v[147:148], v[3:4]
	ds_load_2addr_b64 v[13:16], v13 offset0:121 offset1:122
	s_waitcnt vmcnt(1)
	v_fma_f64 v[3:4], v[37:38], v[149:150], v[3:4]
	s_waitcnt lgkmcnt(0)
	v_fma_f64 v[3:4], v[39:40], v[13:14], v[3:4]
	s_waitcnt vmcnt(0)
	s_delay_alu instid0(VALU_DEP_1) | instskip(NEXT) | instid1(VALU_DEP_1)
	v_fma_f64 v[3:4], v[18:19], v[15:16], v[3:4]
	v_add_f64 v[1:2], v[1:2], -v[3:4]
	scratch_store_b64 off, v[1:2], off offset:112
	v_cmpx_lt_u32_e32 13, v0
	s_cbranch_execz .LBB124_349
; %bb.348:
	scratch_load_b64 v[1:2], off, off offset:104
	v_mov_b32_e32 v3, 0
	s_delay_alu instid0(VALU_DEP_1)
	v_mov_b32_e32 v4, v3
	scratch_store_b64 off, v[3:4], off offset:104
	s_waitcnt vmcnt(0)
	ds_store_b64 v5, v[1:2]
.LBB124_349:
	s_or_b32 exec_lo, exec_lo, s0
	s_waitcnt lgkmcnt(0)
	s_waitcnt_vscnt null, 0x0
	s_barrier
	buffer_gl0_inv
	s_clause 0x4
	scratch_load_b128 v[1:4], off, off offset:104
	scratch_load_b128 v[14:17], off, off offset:120
	;; [unrolled: 1-line block ×5, first 2 shown]
	v_mov_b32_e32 v13, 0
	ds_load_b128 v[151:154], v13 offset:608
	ds_load_b128 v[155:158], v13 offset:624
	scratch_load_b128 v[159:162], off, off offset:184
	s_mov_b32 s0, exec_lo
	s_waitcnt vmcnt(5) lgkmcnt(1)
	v_fma_f64 v[3:4], v[3:4], v[151:152], 0
	s_waitcnt vmcnt(4)
	s_delay_alu instid0(VALU_DEP_1) | instskip(SKIP_1) | instid1(VALU_DEP_1)
	v_fma_f64 v[3:4], v[14:15], v[153:154], v[3:4]
	s_waitcnt lgkmcnt(0)
	v_fma_f64 v[3:4], v[16:17], v[155:156], v[3:4]
	scratch_load_b128 v[14:17], off, off offset:200
	s_waitcnt vmcnt(4)
	v_fma_f64 v[3:4], v[37:38], v[157:158], v[3:4]
	ds_load_b128 v[151:154], v13 offset:640
	ds_load_b128 v[155:158], v13 offset:656
	s_waitcnt lgkmcnt(1)
	v_fma_f64 v[3:4], v[39:40], v[151:152], v[3:4]
	scratch_load_b128 v[37:40], off, off offset:216
	s_waitcnt vmcnt(4)
	v_fma_f64 v[3:4], v[41:42], v[153:154], v[3:4]
	s_waitcnt lgkmcnt(0)
	s_delay_alu instid0(VALU_DEP_1)
	v_fma_f64 v[3:4], v[43:44], v[155:156], v[3:4]
	scratch_load_b128 v[41:44], off, off offset:232
	s_waitcnt vmcnt(4)
	v_fma_f64 v[3:4], v[147:148], v[157:158], v[3:4]
	ds_load_b128 v[151:154], v13 offset:672
	ds_load_b128 v[155:158], v13 offset:688
	s_waitcnt lgkmcnt(1)
	v_fma_f64 v[3:4], v[149:150], v[151:152], v[3:4]
	scratch_load_b128 v[147:150], off, off offset:248
	s_waitcnt vmcnt(4)
	v_fma_f64 v[3:4], v[159:160], v[153:154], v[3:4]
	scratch_load_b128 v[151:154], off, off offset:264
	s_waitcnt lgkmcnt(0)
	v_fma_f64 v[3:4], v[161:162], v[155:156], v[3:4]
	s_waitcnt vmcnt(4)
	s_delay_alu instid0(VALU_DEP_1)
	v_fma_f64 v[3:4], v[14:15], v[157:158], v[3:4]
	ds_load_b128 v[155:158], v13 offset:704
	ds_load_b128 v[159:162], v13 offset:720
	s_waitcnt lgkmcnt(1)
	v_fma_f64 v[3:4], v[16:17], v[155:156], v[3:4]
	scratch_load_b128 v[14:17], off, off offset:280
	s_waitcnt vmcnt(4)
	v_fma_f64 v[3:4], v[37:38], v[157:158], v[3:4]
	s_waitcnt lgkmcnt(0)
	s_delay_alu instid0(VALU_DEP_1)
	v_fma_f64 v[3:4], v[39:40], v[159:160], v[3:4]
	scratch_load_b128 v[37:40], off, off offset:296
	s_waitcnt vmcnt(4)
	v_fma_f64 v[3:4], v[41:42], v[161:162], v[3:4]
	ds_load_b128 v[155:158], v13 offset:736
	ds_load_b128 v[159:162], v13 offset:752
	s_waitcnt lgkmcnt(1)
	v_fma_f64 v[3:4], v[43:44], v[155:156], v[3:4]
	scratch_load_b128 v[41:44], off, off offset:312
	s_waitcnt vmcnt(4)
	v_fma_f64 v[3:4], v[147:148], v[157:158], v[3:4]
	s_waitcnt lgkmcnt(0)
	s_delay_alu instid0(VALU_DEP_1)
	v_fma_f64 v[3:4], v[149:150], v[159:160], v[3:4]
	scratch_load_b128 v[147:150], off, off offset:328
	s_waitcnt vmcnt(4)
	v_fma_f64 v[3:4], v[151:152], v[161:162], v[3:4]
	ds_load_b128 v[155:158], v13 offset:768
	ds_load_b128 v[159:162], v13 offset:784
	s_waitcnt lgkmcnt(1)
	v_fma_f64 v[3:4], v[153:154], v[155:156], v[3:4]
	scratch_load_b128 v[151:154], off, off offset:344
	s_waitcnt vmcnt(4)
	v_fma_f64 v[3:4], v[14:15], v[157:158], v[3:4]
	s_waitcnt lgkmcnt(0)
	s_delay_alu instid0(VALU_DEP_1)
	v_fma_f64 v[3:4], v[16:17], v[159:160], v[3:4]
	scratch_load_b128 v[14:17], off, off offset:360
	s_waitcnt vmcnt(4)
	v_fma_f64 v[3:4], v[37:38], v[161:162], v[3:4]
	ds_load_b128 v[155:158], v13 offset:800
	ds_load_b128 v[159:162], v13 offset:816
	s_waitcnt lgkmcnt(1)
	v_fma_f64 v[3:4], v[39:40], v[155:156], v[3:4]
	scratch_load_b128 v[37:40], off, off offset:376
	s_waitcnt vmcnt(4)
	v_fma_f64 v[3:4], v[41:42], v[157:158], v[3:4]
	s_waitcnt lgkmcnt(0)
	s_delay_alu instid0(VALU_DEP_1)
	v_fma_f64 v[3:4], v[43:44], v[159:160], v[3:4]
	scratch_load_b128 v[41:44], off, off offset:392
	s_waitcnt vmcnt(4)
	v_fma_f64 v[3:4], v[147:148], v[161:162], v[3:4]
	ds_load_b128 v[155:158], v13 offset:832
	ds_load_b128 v[159:162], v13 offset:848
	s_waitcnt lgkmcnt(1)
	v_fma_f64 v[3:4], v[149:150], v[155:156], v[3:4]
	scratch_load_b128 v[147:150], off, off offset:408
	s_waitcnt vmcnt(4)
	v_fma_f64 v[3:4], v[151:152], v[157:158], v[3:4]
	s_waitcnt lgkmcnt(0)
	s_delay_alu instid0(VALU_DEP_1)
	v_fma_f64 v[3:4], v[153:154], v[159:160], v[3:4]
	scratch_load_b128 v[151:154], off, off offset:424
	s_waitcnt vmcnt(4)
	v_fma_f64 v[3:4], v[14:15], v[161:162], v[3:4]
	ds_load_b128 v[155:158], v13 offset:864
	ds_load_b128 v[159:162], v13 offset:880
	s_waitcnt lgkmcnt(1)
	v_fma_f64 v[3:4], v[16:17], v[155:156], v[3:4]
	scratch_load_b128 v[14:17], off, off offset:440
	s_waitcnt vmcnt(4)
	v_fma_f64 v[3:4], v[37:38], v[157:158], v[3:4]
	s_waitcnt lgkmcnt(0)
	s_delay_alu instid0(VALU_DEP_1)
	v_fma_f64 v[3:4], v[39:40], v[159:160], v[3:4]
	scratch_load_b128 v[37:40], off, off offset:456
	s_waitcnt vmcnt(4)
	v_fma_f64 v[3:4], v[41:42], v[161:162], v[3:4]
	ds_load_b128 v[155:158], v13 offset:896
	ds_load_b128 v[159:162], v13 offset:912
	s_waitcnt lgkmcnt(1)
	v_fma_f64 v[3:4], v[43:44], v[155:156], v[3:4]
	scratch_load_b128 v[41:44], off, off offset:472
	s_waitcnt vmcnt(4)
	v_fma_f64 v[3:4], v[147:148], v[157:158], v[3:4]
	s_waitcnt lgkmcnt(0)
	s_delay_alu instid0(VALU_DEP_1)
	v_fma_f64 v[3:4], v[149:150], v[159:160], v[3:4]
	ds_load_b128 v[147:150], v13 offset:928
	ds_load_b128 v[155:158], v13 offset:944
	s_waitcnt vmcnt(3)
	v_fma_f64 v[3:4], v[151:152], v[161:162], v[3:4]
	s_waitcnt lgkmcnt(1)
	s_delay_alu instid0(VALU_DEP_1) | instskip(SKIP_1) | instid1(VALU_DEP_1)
	v_fma_f64 v[3:4], v[153:154], v[147:148], v[3:4]
	s_waitcnt vmcnt(2)
	v_fma_f64 v[3:4], v[14:15], v[149:150], v[3:4]
	s_waitcnt lgkmcnt(0)
	s_delay_alu instid0(VALU_DEP_1)
	v_fma_f64 v[3:4], v[16:17], v[155:156], v[3:4]
	ds_load_b128 v[14:17], v13 offset:960
	ds_load_b64 v[18:19], v13 offset:976
	s_waitcnt vmcnt(1)
	v_fma_f64 v[3:4], v[37:38], v[157:158], v[3:4]
	s_waitcnt lgkmcnt(1)
	s_delay_alu instid0(VALU_DEP_1) | instskip(SKIP_1) | instid1(VALU_DEP_1)
	v_fma_f64 v[3:4], v[39:40], v[14:15], v[3:4]
	s_waitcnt vmcnt(0)
	v_fma_f64 v[3:4], v[41:42], v[16:17], v[3:4]
	s_waitcnt lgkmcnt(0)
	s_delay_alu instid0(VALU_DEP_1) | instskip(NEXT) | instid1(VALU_DEP_1)
	v_fma_f64 v[3:4], v[43:44], v[18:19], v[3:4]
	v_add_f64 v[1:2], v[1:2], -v[3:4]
	scratch_store_b64 off, v[1:2], off offset:104
	v_cmpx_lt_u32_e32 12, v0
	s_cbranch_execz .LBB124_351
; %bb.350:
	scratch_load_b64 v[1:2], off, off offset:96
	v_mov_b32_e32 v14, v13
	scratch_store_b64 off, v[13:14], off offset:96
	s_waitcnt vmcnt(0)
	ds_store_b64 v5, v[1:2]
.LBB124_351:
	s_or_b32 exec_lo, exec_lo, s0
	s_waitcnt lgkmcnt(0)
	s_waitcnt_vscnt null, 0x0
	s_barrier
	buffer_gl0_inv
	s_clause 0x4
	scratch_load_b128 v[1:4], off, off offset:96
	scratch_load_b128 v[14:17], off, off offset:112
	scratch_load_b128 v[37:40], off, off offset:128
	scratch_load_b128 v[41:44], off, off offset:144
	scratch_load_b128 v[147:150], off, off offset:160
	ds_load_2addr_b64 v[151:154], v13 offset0:75 offset1:76
	ds_load_2addr_b64 v[155:158], v13 offset0:77 offset1:78
	scratch_load_b128 v[159:162], off, off offset:176
	s_mov_b32 s0, exec_lo
	s_waitcnt vmcnt(5) lgkmcnt(1)
	v_fma_f64 v[3:4], v[3:4], v[151:152], 0
	s_waitcnt vmcnt(4)
	s_delay_alu instid0(VALU_DEP_1) | instskip(SKIP_1) | instid1(VALU_DEP_1)
	v_fma_f64 v[3:4], v[14:15], v[153:154], v[3:4]
	s_waitcnt lgkmcnt(0)
	v_fma_f64 v[3:4], v[16:17], v[155:156], v[3:4]
	scratch_load_b128 v[14:17], off, off offset:192
	s_waitcnt vmcnt(4)
	v_fma_f64 v[3:4], v[37:38], v[157:158], v[3:4]
	ds_load_2addr_b64 v[151:154], v13 offset0:79 offset1:80
	ds_load_2addr_b64 v[155:158], v13 offset0:81 offset1:82
	s_waitcnt lgkmcnt(1)
	v_fma_f64 v[3:4], v[39:40], v[151:152], v[3:4]
	scratch_load_b128 v[37:40], off, off offset:208
	s_waitcnt vmcnt(4)
	v_fma_f64 v[3:4], v[41:42], v[153:154], v[3:4]
	s_waitcnt lgkmcnt(0)
	s_delay_alu instid0(VALU_DEP_1)
	v_fma_f64 v[3:4], v[43:44], v[155:156], v[3:4]
	scratch_load_b128 v[41:44], off, off offset:224
	s_waitcnt vmcnt(4)
	v_fma_f64 v[3:4], v[147:148], v[157:158], v[3:4]
	ds_load_2addr_b64 v[151:154], v13 offset0:83 offset1:84
	ds_load_2addr_b64 v[155:158], v13 offset0:85 offset1:86
	s_waitcnt lgkmcnt(1)
	v_fma_f64 v[3:4], v[149:150], v[151:152], v[3:4]
	scratch_load_b128 v[147:150], off, off offset:240
	s_waitcnt vmcnt(4)
	v_fma_f64 v[3:4], v[159:160], v[153:154], v[3:4]
	scratch_load_b128 v[151:154], off, off offset:256
	s_waitcnt lgkmcnt(0)
	v_fma_f64 v[3:4], v[161:162], v[155:156], v[3:4]
	s_waitcnt vmcnt(4)
	s_delay_alu instid0(VALU_DEP_1)
	v_fma_f64 v[3:4], v[14:15], v[157:158], v[3:4]
	ds_load_2addr_b64 v[155:158], v13 offset0:87 offset1:88
	ds_load_2addr_b64 v[159:162], v13 offset0:89 offset1:90
	s_waitcnt lgkmcnt(1)
	v_fma_f64 v[3:4], v[16:17], v[155:156], v[3:4]
	scratch_load_b128 v[14:17], off, off offset:272
	s_waitcnt vmcnt(4)
	v_fma_f64 v[3:4], v[37:38], v[157:158], v[3:4]
	s_waitcnt lgkmcnt(0)
	s_delay_alu instid0(VALU_DEP_1)
	v_fma_f64 v[3:4], v[39:40], v[159:160], v[3:4]
	scratch_load_b128 v[37:40], off, off offset:288
	s_waitcnt vmcnt(4)
	v_fma_f64 v[3:4], v[41:42], v[161:162], v[3:4]
	ds_load_2addr_b64 v[155:158], v13 offset0:91 offset1:92
	ds_load_2addr_b64 v[159:162], v13 offset0:93 offset1:94
	s_waitcnt lgkmcnt(1)
	v_fma_f64 v[3:4], v[43:44], v[155:156], v[3:4]
	scratch_load_b128 v[41:44], off, off offset:304
	s_waitcnt vmcnt(4)
	v_fma_f64 v[3:4], v[147:148], v[157:158], v[3:4]
	s_waitcnt lgkmcnt(0)
	s_delay_alu instid0(VALU_DEP_1)
	v_fma_f64 v[3:4], v[149:150], v[159:160], v[3:4]
	scratch_load_b128 v[147:150], off, off offset:320
	s_waitcnt vmcnt(4)
	;; [unrolled: 13-line block ×6, first 2 shown]
	v_fma_f64 v[3:4], v[41:42], v[161:162], v[3:4]
	ds_load_2addr_b64 v[155:158], v13 offset0:111 offset1:112
	ds_load_2addr_b64 v[159:162], v13 offset0:113 offset1:114
	scratch_load_b64 v[18:19], off, off offset:480
	s_waitcnt lgkmcnt(1)
	v_fma_f64 v[3:4], v[43:44], v[155:156], v[3:4]
	scratch_load_b128 v[41:44], off, off offset:464
	s_waitcnt vmcnt(5)
	v_fma_f64 v[3:4], v[147:148], v[157:158], v[3:4]
	s_waitcnt lgkmcnt(0)
	s_delay_alu instid0(VALU_DEP_1)
	v_fma_f64 v[3:4], v[149:150], v[159:160], v[3:4]
	ds_load_2addr_b64 v[147:150], v13 offset0:115 offset1:116
	ds_load_2addr_b64 v[155:158], v13 offset0:117 offset1:118
	s_waitcnt vmcnt(4)
	v_fma_f64 v[3:4], v[151:152], v[161:162], v[3:4]
	s_waitcnt lgkmcnt(1)
	s_delay_alu instid0(VALU_DEP_1) | instskip(SKIP_1) | instid1(VALU_DEP_1)
	v_fma_f64 v[3:4], v[153:154], v[147:148], v[3:4]
	s_waitcnt vmcnt(3)
	v_fma_f64 v[3:4], v[14:15], v[149:150], v[3:4]
	s_waitcnt lgkmcnt(0)
	s_delay_alu instid0(VALU_DEP_1)
	v_fma_f64 v[3:4], v[16:17], v[155:156], v[3:4]
	ds_load_2addr_b64 v[14:17], v13 offset0:119 offset1:120
	ds_load_2addr_b64 v[147:150], v13 offset0:121 offset1:122
	s_waitcnt vmcnt(2)
	v_fma_f64 v[3:4], v[37:38], v[157:158], v[3:4]
	s_waitcnt lgkmcnt(1)
	s_delay_alu instid0(VALU_DEP_1) | instskip(SKIP_1) | instid1(VALU_DEP_1)
	v_fma_f64 v[3:4], v[39:40], v[14:15], v[3:4]
	s_waitcnt vmcnt(0)
	v_fma_f64 v[3:4], v[41:42], v[16:17], v[3:4]
	s_waitcnt lgkmcnt(0)
	s_delay_alu instid0(VALU_DEP_1) | instskip(NEXT) | instid1(VALU_DEP_1)
	v_fma_f64 v[3:4], v[43:44], v[147:148], v[3:4]
	v_fma_f64 v[3:4], v[18:19], v[149:150], v[3:4]
	s_delay_alu instid0(VALU_DEP_1)
	v_add_f64 v[1:2], v[1:2], -v[3:4]
	scratch_store_b64 off, v[1:2], off offset:96
	v_cmpx_lt_u32_e32 11, v0
	s_cbranch_execz .LBB124_353
; %bb.352:
	scratch_load_b64 v[1:2], off, off offset:88
	v_mov_b32_e32 v3, 0
	s_delay_alu instid0(VALU_DEP_1)
	v_mov_b32_e32 v4, v3
	scratch_store_b64 off, v[3:4], off offset:88
	s_waitcnt vmcnt(0)
	ds_store_b64 v5, v[1:2]
.LBB124_353:
	s_or_b32 exec_lo, exec_lo, s0
	s_waitcnt lgkmcnt(0)
	s_waitcnt_vscnt null, 0x0
	s_barrier
	buffer_gl0_inv
	s_clause 0x4
	scratch_load_b128 v[1:4], off, off offset:88
	scratch_load_b128 v[14:17], off, off offset:104
	;; [unrolled: 1-line block ×5, first 2 shown]
	v_mov_b32_e32 v13, 0
	ds_load_b128 v[151:154], v13 offset:592
	ds_load_b128 v[155:158], v13 offset:608
	scratch_load_b128 v[159:162], off, off offset:168
	s_mov_b32 s0, exec_lo
	s_waitcnt vmcnt(5) lgkmcnt(1)
	v_fma_f64 v[3:4], v[3:4], v[151:152], 0
	s_waitcnt vmcnt(4)
	s_delay_alu instid0(VALU_DEP_1) | instskip(SKIP_1) | instid1(VALU_DEP_1)
	v_fma_f64 v[3:4], v[14:15], v[153:154], v[3:4]
	s_waitcnt lgkmcnt(0)
	v_fma_f64 v[3:4], v[16:17], v[155:156], v[3:4]
	scratch_load_b128 v[14:17], off, off offset:184
	s_waitcnt vmcnt(4)
	v_fma_f64 v[3:4], v[37:38], v[157:158], v[3:4]
	ds_load_b128 v[151:154], v13 offset:624
	ds_load_b128 v[155:158], v13 offset:640
	s_waitcnt lgkmcnt(1)
	v_fma_f64 v[3:4], v[39:40], v[151:152], v[3:4]
	scratch_load_b128 v[37:40], off, off offset:200
	s_waitcnt vmcnt(4)
	v_fma_f64 v[3:4], v[41:42], v[153:154], v[3:4]
	s_waitcnt lgkmcnt(0)
	s_delay_alu instid0(VALU_DEP_1)
	v_fma_f64 v[3:4], v[43:44], v[155:156], v[3:4]
	scratch_load_b128 v[41:44], off, off offset:216
	s_waitcnt vmcnt(4)
	v_fma_f64 v[3:4], v[147:148], v[157:158], v[3:4]
	ds_load_b128 v[151:154], v13 offset:656
	ds_load_b128 v[155:158], v13 offset:672
	s_waitcnt lgkmcnt(1)
	v_fma_f64 v[3:4], v[149:150], v[151:152], v[3:4]
	scratch_load_b128 v[147:150], off, off offset:232
	s_waitcnt vmcnt(4)
	v_fma_f64 v[3:4], v[159:160], v[153:154], v[3:4]
	scratch_load_b128 v[151:154], off, off offset:248
	s_waitcnt lgkmcnt(0)
	v_fma_f64 v[3:4], v[161:162], v[155:156], v[3:4]
	s_waitcnt vmcnt(4)
	s_delay_alu instid0(VALU_DEP_1)
	v_fma_f64 v[3:4], v[14:15], v[157:158], v[3:4]
	ds_load_b128 v[155:158], v13 offset:688
	ds_load_b128 v[159:162], v13 offset:704
	s_waitcnt lgkmcnt(1)
	v_fma_f64 v[3:4], v[16:17], v[155:156], v[3:4]
	scratch_load_b128 v[14:17], off, off offset:264
	s_waitcnt vmcnt(4)
	v_fma_f64 v[3:4], v[37:38], v[157:158], v[3:4]
	s_waitcnt lgkmcnt(0)
	s_delay_alu instid0(VALU_DEP_1)
	v_fma_f64 v[3:4], v[39:40], v[159:160], v[3:4]
	scratch_load_b128 v[37:40], off, off offset:280
	s_waitcnt vmcnt(4)
	v_fma_f64 v[3:4], v[41:42], v[161:162], v[3:4]
	ds_load_b128 v[155:158], v13 offset:720
	ds_load_b128 v[159:162], v13 offset:736
	s_waitcnt lgkmcnt(1)
	v_fma_f64 v[3:4], v[43:44], v[155:156], v[3:4]
	scratch_load_b128 v[41:44], off, off offset:296
	s_waitcnt vmcnt(4)
	v_fma_f64 v[3:4], v[147:148], v[157:158], v[3:4]
	s_waitcnt lgkmcnt(0)
	s_delay_alu instid0(VALU_DEP_1)
	v_fma_f64 v[3:4], v[149:150], v[159:160], v[3:4]
	scratch_load_b128 v[147:150], off, off offset:312
	s_waitcnt vmcnt(4)
	;; [unrolled: 13-line block ×7, first 2 shown]
	v_fma_f64 v[3:4], v[151:152], v[161:162], v[3:4]
	ds_load_b128 v[155:158], v13 offset:912
	ds_load_b128 v[159:162], v13 offset:928
	s_waitcnt lgkmcnt(1)
	v_fma_f64 v[3:4], v[153:154], v[155:156], v[3:4]
	s_waitcnt vmcnt(3)
	s_delay_alu instid0(VALU_DEP_1) | instskip(SKIP_1) | instid1(VALU_DEP_1)
	v_fma_f64 v[3:4], v[14:15], v[157:158], v[3:4]
	s_waitcnt lgkmcnt(0)
	v_fma_f64 v[3:4], v[16:17], v[159:160], v[3:4]
	ds_load_b128 v[14:17], v13 offset:944
	ds_load_b128 v[151:154], v13 offset:960
	s_waitcnt vmcnt(2)
	v_fma_f64 v[3:4], v[37:38], v[161:162], v[3:4]
	s_waitcnt lgkmcnt(1)
	s_delay_alu instid0(VALU_DEP_1) | instskip(SKIP_4) | instid1(VALU_DEP_1)
	v_fma_f64 v[3:4], v[39:40], v[14:15], v[3:4]
	ds_load_b64 v[14:15], v13 offset:976
	s_waitcnt vmcnt(1)
	v_fma_f64 v[3:4], v[41:42], v[16:17], v[3:4]
	s_waitcnt lgkmcnt(1)
	v_fma_f64 v[3:4], v[43:44], v[151:152], v[3:4]
	s_waitcnt vmcnt(0)
	s_delay_alu instid0(VALU_DEP_1) | instskip(SKIP_1) | instid1(VALU_DEP_1)
	v_fma_f64 v[3:4], v[147:148], v[153:154], v[3:4]
	s_waitcnt lgkmcnt(0)
	v_fma_f64 v[3:4], v[149:150], v[14:15], v[3:4]
	s_delay_alu instid0(VALU_DEP_1)
	v_add_f64 v[1:2], v[1:2], -v[3:4]
	scratch_store_b64 off, v[1:2], off offset:88
	v_cmpx_lt_u32_e32 10, v0
	s_cbranch_execz .LBB124_355
; %bb.354:
	scratch_load_b64 v[1:2], off, off offset:80
	v_mov_b32_e32 v14, v13
	scratch_store_b64 off, v[13:14], off offset:80
	s_waitcnt vmcnt(0)
	ds_store_b64 v5, v[1:2]
.LBB124_355:
	s_or_b32 exec_lo, exec_lo, s0
	s_waitcnt lgkmcnt(0)
	s_waitcnt_vscnt null, 0x0
	s_barrier
	buffer_gl0_inv
	s_clause 0x4
	scratch_load_b128 v[1:4], off, off offset:80
	scratch_load_b128 v[14:17], off, off offset:96
	;; [unrolled: 1-line block ×5, first 2 shown]
	ds_load_2addr_b64 v[151:154], v13 offset0:73 offset1:74
	ds_load_2addr_b64 v[155:158], v13 offset0:75 offset1:76
	scratch_load_b128 v[159:162], off, off offset:160
	s_mov_b32 s0, exec_lo
	s_waitcnt vmcnt(5) lgkmcnt(1)
	v_fma_f64 v[3:4], v[3:4], v[151:152], 0
	s_waitcnt vmcnt(4)
	s_delay_alu instid0(VALU_DEP_1) | instskip(SKIP_1) | instid1(VALU_DEP_1)
	v_fma_f64 v[3:4], v[14:15], v[153:154], v[3:4]
	s_waitcnt lgkmcnt(0)
	v_fma_f64 v[3:4], v[16:17], v[155:156], v[3:4]
	scratch_load_b128 v[14:17], off, off offset:176
	s_waitcnt vmcnt(4)
	v_fma_f64 v[3:4], v[37:38], v[157:158], v[3:4]
	ds_load_2addr_b64 v[151:154], v13 offset0:77 offset1:78
	ds_load_2addr_b64 v[155:158], v13 offset0:79 offset1:80
	s_waitcnt lgkmcnt(1)
	v_fma_f64 v[3:4], v[39:40], v[151:152], v[3:4]
	scratch_load_b128 v[37:40], off, off offset:192
	s_waitcnt vmcnt(4)
	v_fma_f64 v[3:4], v[41:42], v[153:154], v[3:4]
	s_waitcnt lgkmcnt(0)
	s_delay_alu instid0(VALU_DEP_1)
	v_fma_f64 v[3:4], v[43:44], v[155:156], v[3:4]
	scratch_load_b128 v[41:44], off, off offset:208
	s_waitcnt vmcnt(4)
	v_fma_f64 v[3:4], v[147:148], v[157:158], v[3:4]
	ds_load_2addr_b64 v[151:154], v13 offset0:81 offset1:82
	ds_load_2addr_b64 v[155:158], v13 offset0:83 offset1:84
	s_waitcnt lgkmcnt(1)
	v_fma_f64 v[3:4], v[149:150], v[151:152], v[3:4]
	scratch_load_b128 v[147:150], off, off offset:224
	s_waitcnt vmcnt(4)
	v_fma_f64 v[3:4], v[159:160], v[153:154], v[3:4]
	scratch_load_b128 v[151:154], off, off offset:240
	s_waitcnt lgkmcnt(0)
	v_fma_f64 v[3:4], v[161:162], v[155:156], v[3:4]
	s_waitcnt vmcnt(4)
	s_delay_alu instid0(VALU_DEP_1)
	v_fma_f64 v[3:4], v[14:15], v[157:158], v[3:4]
	ds_load_2addr_b64 v[155:158], v13 offset0:85 offset1:86
	ds_load_2addr_b64 v[159:162], v13 offset0:87 offset1:88
	s_waitcnt lgkmcnt(1)
	v_fma_f64 v[3:4], v[16:17], v[155:156], v[3:4]
	scratch_load_b128 v[14:17], off, off offset:256
	s_waitcnt vmcnt(4)
	v_fma_f64 v[3:4], v[37:38], v[157:158], v[3:4]
	s_waitcnt lgkmcnt(0)
	s_delay_alu instid0(VALU_DEP_1)
	v_fma_f64 v[3:4], v[39:40], v[159:160], v[3:4]
	scratch_load_b128 v[37:40], off, off offset:272
	s_waitcnt vmcnt(4)
	v_fma_f64 v[3:4], v[41:42], v[161:162], v[3:4]
	ds_load_2addr_b64 v[155:158], v13 offset0:89 offset1:90
	ds_load_2addr_b64 v[159:162], v13 offset0:91 offset1:92
	s_waitcnt lgkmcnt(1)
	v_fma_f64 v[3:4], v[43:44], v[155:156], v[3:4]
	scratch_load_b128 v[41:44], off, off offset:288
	s_waitcnt vmcnt(4)
	v_fma_f64 v[3:4], v[147:148], v[157:158], v[3:4]
	s_waitcnt lgkmcnt(0)
	s_delay_alu instid0(VALU_DEP_1)
	v_fma_f64 v[3:4], v[149:150], v[159:160], v[3:4]
	scratch_load_b128 v[147:150], off, off offset:304
	s_waitcnt vmcnt(4)
	;; [unrolled: 13-line block ×7, first 2 shown]
	v_fma_f64 v[3:4], v[151:152], v[161:162], v[3:4]
	ds_load_2addr_b64 v[155:158], v13 offset0:113 offset1:114
	ds_load_2addr_b64 v[159:162], v13 offset0:115 offset1:116
	scratch_load_b64 v[18:19], off, off offset:480
	s_waitcnt lgkmcnt(1)
	v_fma_f64 v[3:4], v[153:154], v[155:156], v[3:4]
	s_waitcnt vmcnt(4)
	s_delay_alu instid0(VALU_DEP_1) | instskip(SKIP_1) | instid1(VALU_DEP_1)
	v_fma_f64 v[3:4], v[14:15], v[157:158], v[3:4]
	s_waitcnt lgkmcnt(0)
	v_fma_f64 v[3:4], v[16:17], v[159:160], v[3:4]
	ds_load_2addr_b64 v[14:17], v13 offset0:117 offset1:118
	ds_load_2addr_b64 v[151:154], v13 offset0:119 offset1:120
	s_waitcnt vmcnt(3)
	v_fma_f64 v[3:4], v[37:38], v[161:162], v[3:4]
	s_waitcnt lgkmcnt(1)
	s_delay_alu instid0(VALU_DEP_1) | instskip(SKIP_1) | instid1(VALU_DEP_1)
	v_fma_f64 v[3:4], v[39:40], v[14:15], v[3:4]
	s_waitcnt vmcnt(2)
	v_fma_f64 v[3:4], v[41:42], v[16:17], v[3:4]
	ds_load_2addr_b64 v[13:16], v13 offset0:121 offset1:122
	s_waitcnt lgkmcnt(1)
	v_fma_f64 v[3:4], v[43:44], v[151:152], v[3:4]
	s_waitcnt vmcnt(1)
	s_delay_alu instid0(VALU_DEP_1) | instskip(SKIP_1) | instid1(VALU_DEP_1)
	v_fma_f64 v[3:4], v[147:148], v[153:154], v[3:4]
	s_waitcnt lgkmcnt(0)
	v_fma_f64 v[3:4], v[149:150], v[13:14], v[3:4]
	s_waitcnt vmcnt(0)
	s_delay_alu instid0(VALU_DEP_1) | instskip(NEXT) | instid1(VALU_DEP_1)
	v_fma_f64 v[3:4], v[18:19], v[15:16], v[3:4]
	v_add_f64 v[1:2], v[1:2], -v[3:4]
	scratch_store_b64 off, v[1:2], off offset:80
	v_cmpx_lt_u32_e32 9, v0
	s_cbranch_execz .LBB124_357
; %bb.356:
	scratch_load_b64 v[1:2], off, off offset:72
	v_mov_b32_e32 v3, 0
	s_delay_alu instid0(VALU_DEP_1)
	v_mov_b32_e32 v4, v3
	scratch_store_b64 off, v[3:4], off offset:72
	s_waitcnt vmcnt(0)
	ds_store_b64 v5, v[1:2]
.LBB124_357:
	s_or_b32 exec_lo, exec_lo, s0
	s_waitcnt lgkmcnt(0)
	s_waitcnt_vscnt null, 0x0
	s_barrier
	buffer_gl0_inv
	s_clause 0x4
	scratch_load_b128 v[1:4], off, off offset:72
	scratch_load_b128 v[14:17], off, off offset:88
	;; [unrolled: 1-line block ×5, first 2 shown]
	v_mov_b32_e32 v13, 0
	ds_load_b128 v[151:154], v13 offset:576
	ds_load_b128 v[155:158], v13 offset:592
	scratch_load_b128 v[159:162], off, off offset:152
	s_mov_b32 s0, exec_lo
	s_waitcnt vmcnt(5) lgkmcnt(1)
	v_fma_f64 v[3:4], v[3:4], v[151:152], 0
	s_waitcnt vmcnt(4)
	s_delay_alu instid0(VALU_DEP_1) | instskip(SKIP_1) | instid1(VALU_DEP_1)
	v_fma_f64 v[3:4], v[14:15], v[153:154], v[3:4]
	s_waitcnt lgkmcnt(0)
	v_fma_f64 v[3:4], v[16:17], v[155:156], v[3:4]
	scratch_load_b128 v[14:17], off, off offset:168
	s_waitcnt vmcnt(4)
	v_fma_f64 v[3:4], v[37:38], v[157:158], v[3:4]
	ds_load_b128 v[151:154], v13 offset:608
	ds_load_b128 v[155:158], v13 offset:624
	s_waitcnt lgkmcnt(1)
	v_fma_f64 v[3:4], v[39:40], v[151:152], v[3:4]
	scratch_load_b128 v[37:40], off, off offset:184
	s_waitcnt vmcnt(4)
	v_fma_f64 v[3:4], v[41:42], v[153:154], v[3:4]
	s_waitcnt lgkmcnt(0)
	s_delay_alu instid0(VALU_DEP_1)
	v_fma_f64 v[3:4], v[43:44], v[155:156], v[3:4]
	scratch_load_b128 v[41:44], off, off offset:200
	s_waitcnt vmcnt(4)
	v_fma_f64 v[3:4], v[147:148], v[157:158], v[3:4]
	ds_load_b128 v[151:154], v13 offset:640
	ds_load_b128 v[155:158], v13 offset:656
	s_waitcnt lgkmcnt(1)
	v_fma_f64 v[3:4], v[149:150], v[151:152], v[3:4]
	scratch_load_b128 v[147:150], off, off offset:216
	s_waitcnt vmcnt(4)
	v_fma_f64 v[3:4], v[159:160], v[153:154], v[3:4]
	scratch_load_b128 v[151:154], off, off offset:232
	s_waitcnt lgkmcnt(0)
	v_fma_f64 v[3:4], v[161:162], v[155:156], v[3:4]
	s_waitcnt vmcnt(4)
	s_delay_alu instid0(VALU_DEP_1)
	v_fma_f64 v[3:4], v[14:15], v[157:158], v[3:4]
	ds_load_b128 v[155:158], v13 offset:672
	ds_load_b128 v[159:162], v13 offset:688
	s_waitcnt lgkmcnt(1)
	v_fma_f64 v[3:4], v[16:17], v[155:156], v[3:4]
	scratch_load_b128 v[14:17], off, off offset:248
	s_waitcnt vmcnt(4)
	v_fma_f64 v[3:4], v[37:38], v[157:158], v[3:4]
	s_waitcnt lgkmcnt(0)
	s_delay_alu instid0(VALU_DEP_1)
	v_fma_f64 v[3:4], v[39:40], v[159:160], v[3:4]
	scratch_load_b128 v[37:40], off, off offset:264
	s_waitcnt vmcnt(4)
	v_fma_f64 v[3:4], v[41:42], v[161:162], v[3:4]
	ds_load_b128 v[155:158], v13 offset:704
	ds_load_b128 v[159:162], v13 offset:720
	s_waitcnt lgkmcnt(1)
	v_fma_f64 v[3:4], v[43:44], v[155:156], v[3:4]
	scratch_load_b128 v[41:44], off, off offset:280
	s_waitcnt vmcnt(4)
	v_fma_f64 v[3:4], v[147:148], v[157:158], v[3:4]
	s_waitcnt lgkmcnt(0)
	s_delay_alu instid0(VALU_DEP_1)
	v_fma_f64 v[3:4], v[149:150], v[159:160], v[3:4]
	scratch_load_b128 v[147:150], off, off offset:296
	s_waitcnt vmcnt(4)
	;; [unrolled: 13-line block ×7, first 2 shown]
	v_fma_f64 v[3:4], v[151:152], v[161:162], v[3:4]
	ds_load_b128 v[155:158], v13 offset:896
	ds_load_b128 v[159:162], v13 offset:912
	s_waitcnt lgkmcnt(1)
	v_fma_f64 v[3:4], v[153:154], v[155:156], v[3:4]
	scratch_load_b128 v[151:154], off, off offset:472
	s_waitcnt vmcnt(4)
	v_fma_f64 v[3:4], v[14:15], v[157:158], v[3:4]
	s_waitcnt lgkmcnt(0)
	s_delay_alu instid0(VALU_DEP_1)
	v_fma_f64 v[3:4], v[16:17], v[159:160], v[3:4]
	ds_load_b128 v[14:17], v13 offset:928
	ds_load_b128 v[155:158], v13 offset:944
	s_waitcnt vmcnt(3)
	v_fma_f64 v[3:4], v[37:38], v[161:162], v[3:4]
	s_waitcnt lgkmcnt(1)
	s_delay_alu instid0(VALU_DEP_1) | instskip(SKIP_1) | instid1(VALU_DEP_1)
	v_fma_f64 v[3:4], v[39:40], v[14:15], v[3:4]
	s_waitcnt vmcnt(2)
	v_fma_f64 v[3:4], v[41:42], v[16:17], v[3:4]
	ds_load_b128 v[14:17], v13 offset:960
	ds_load_b64 v[18:19], v13 offset:976
	s_waitcnt lgkmcnt(2)
	v_fma_f64 v[3:4], v[43:44], v[155:156], v[3:4]
	s_waitcnt vmcnt(1)
	s_delay_alu instid0(VALU_DEP_1) | instskip(SKIP_1) | instid1(VALU_DEP_1)
	v_fma_f64 v[3:4], v[147:148], v[157:158], v[3:4]
	s_waitcnt lgkmcnt(1)
	v_fma_f64 v[3:4], v[149:150], v[14:15], v[3:4]
	s_waitcnt vmcnt(0)
	s_delay_alu instid0(VALU_DEP_1) | instskip(SKIP_1) | instid1(VALU_DEP_1)
	v_fma_f64 v[3:4], v[151:152], v[16:17], v[3:4]
	s_waitcnt lgkmcnt(0)
	v_fma_f64 v[3:4], v[153:154], v[18:19], v[3:4]
	s_delay_alu instid0(VALU_DEP_1)
	v_add_f64 v[1:2], v[1:2], -v[3:4]
	scratch_store_b64 off, v[1:2], off offset:72
	v_cmpx_lt_u32_e32 8, v0
	s_cbranch_execz .LBB124_359
; %bb.358:
	scratch_load_b64 v[1:2], off, off offset:64
	v_mov_b32_e32 v14, v13
	scratch_store_b64 off, v[13:14], off offset:64
	s_waitcnt vmcnt(0)
	ds_store_b64 v5, v[1:2]
.LBB124_359:
	s_or_b32 exec_lo, exec_lo, s0
	s_waitcnt lgkmcnt(0)
	s_waitcnt_vscnt null, 0x0
	s_barrier
	buffer_gl0_inv
	s_clause 0x4
	scratch_load_b128 v[1:4], off, off offset:64
	scratch_load_b128 v[14:17], off, off offset:80
	;; [unrolled: 1-line block ×5, first 2 shown]
	ds_load_2addr_b64 v[151:154], v13 offset0:71 offset1:72
	ds_load_2addr_b64 v[155:158], v13 offset0:73 offset1:74
	scratch_load_b128 v[159:162], off, off offset:144
	s_mov_b32 s0, exec_lo
	s_waitcnt vmcnt(5) lgkmcnt(1)
	v_fma_f64 v[3:4], v[3:4], v[151:152], 0
	s_waitcnt vmcnt(4)
	s_delay_alu instid0(VALU_DEP_1) | instskip(SKIP_1) | instid1(VALU_DEP_1)
	v_fma_f64 v[3:4], v[14:15], v[153:154], v[3:4]
	s_waitcnt lgkmcnt(0)
	v_fma_f64 v[3:4], v[16:17], v[155:156], v[3:4]
	scratch_load_b128 v[14:17], off, off offset:160
	s_waitcnt vmcnt(4)
	v_fma_f64 v[3:4], v[37:38], v[157:158], v[3:4]
	ds_load_2addr_b64 v[151:154], v13 offset0:75 offset1:76
	ds_load_2addr_b64 v[155:158], v13 offset0:77 offset1:78
	s_waitcnt lgkmcnt(1)
	v_fma_f64 v[3:4], v[39:40], v[151:152], v[3:4]
	scratch_load_b128 v[37:40], off, off offset:176
	s_waitcnt vmcnt(4)
	v_fma_f64 v[3:4], v[41:42], v[153:154], v[3:4]
	s_waitcnt lgkmcnt(0)
	s_delay_alu instid0(VALU_DEP_1)
	v_fma_f64 v[3:4], v[43:44], v[155:156], v[3:4]
	scratch_load_b128 v[41:44], off, off offset:192
	s_waitcnt vmcnt(4)
	v_fma_f64 v[3:4], v[147:148], v[157:158], v[3:4]
	ds_load_2addr_b64 v[151:154], v13 offset0:79 offset1:80
	ds_load_2addr_b64 v[155:158], v13 offset0:81 offset1:82
	s_waitcnt lgkmcnt(1)
	v_fma_f64 v[3:4], v[149:150], v[151:152], v[3:4]
	scratch_load_b128 v[147:150], off, off offset:208
	s_waitcnt vmcnt(4)
	v_fma_f64 v[3:4], v[159:160], v[153:154], v[3:4]
	scratch_load_b128 v[151:154], off, off offset:224
	s_waitcnt lgkmcnt(0)
	v_fma_f64 v[3:4], v[161:162], v[155:156], v[3:4]
	s_waitcnt vmcnt(4)
	s_delay_alu instid0(VALU_DEP_1)
	v_fma_f64 v[3:4], v[14:15], v[157:158], v[3:4]
	ds_load_2addr_b64 v[155:158], v13 offset0:83 offset1:84
	ds_load_2addr_b64 v[159:162], v13 offset0:85 offset1:86
	s_waitcnt lgkmcnt(1)
	v_fma_f64 v[3:4], v[16:17], v[155:156], v[3:4]
	scratch_load_b128 v[14:17], off, off offset:240
	s_waitcnt vmcnt(4)
	v_fma_f64 v[3:4], v[37:38], v[157:158], v[3:4]
	s_waitcnt lgkmcnt(0)
	s_delay_alu instid0(VALU_DEP_1)
	v_fma_f64 v[3:4], v[39:40], v[159:160], v[3:4]
	scratch_load_b128 v[37:40], off, off offset:256
	s_waitcnt vmcnt(4)
	v_fma_f64 v[3:4], v[41:42], v[161:162], v[3:4]
	ds_load_2addr_b64 v[155:158], v13 offset0:87 offset1:88
	ds_load_2addr_b64 v[159:162], v13 offset0:89 offset1:90
	s_waitcnt lgkmcnt(1)
	v_fma_f64 v[3:4], v[43:44], v[155:156], v[3:4]
	scratch_load_b128 v[41:44], off, off offset:272
	s_waitcnt vmcnt(4)
	v_fma_f64 v[3:4], v[147:148], v[157:158], v[3:4]
	s_waitcnt lgkmcnt(0)
	s_delay_alu instid0(VALU_DEP_1)
	v_fma_f64 v[3:4], v[149:150], v[159:160], v[3:4]
	scratch_load_b128 v[147:150], off, off offset:288
	s_waitcnt vmcnt(4)
	;; [unrolled: 13-line block ×7, first 2 shown]
	v_fma_f64 v[3:4], v[151:152], v[161:162], v[3:4]
	ds_load_2addr_b64 v[155:158], v13 offset0:111 offset1:112
	ds_load_2addr_b64 v[159:162], v13 offset0:113 offset1:114
	scratch_load_b64 v[18:19], off, off offset:480
	s_waitcnt lgkmcnt(1)
	v_fma_f64 v[3:4], v[153:154], v[155:156], v[3:4]
	scratch_load_b128 v[151:154], off, off offset:464
	s_waitcnt vmcnt(5)
	v_fma_f64 v[3:4], v[14:15], v[157:158], v[3:4]
	s_waitcnt lgkmcnt(0)
	s_delay_alu instid0(VALU_DEP_1)
	v_fma_f64 v[3:4], v[16:17], v[159:160], v[3:4]
	ds_load_2addr_b64 v[14:17], v13 offset0:115 offset1:116
	ds_load_2addr_b64 v[155:158], v13 offset0:117 offset1:118
	s_waitcnt vmcnt(4)
	v_fma_f64 v[3:4], v[37:38], v[161:162], v[3:4]
	s_waitcnt lgkmcnt(1)
	s_delay_alu instid0(VALU_DEP_1) | instskip(SKIP_1) | instid1(VALU_DEP_1)
	v_fma_f64 v[3:4], v[39:40], v[14:15], v[3:4]
	s_waitcnt vmcnt(3)
	v_fma_f64 v[3:4], v[41:42], v[16:17], v[3:4]
	ds_load_2addr_b64 v[14:17], v13 offset0:119 offset1:120
	ds_load_2addr_b64 v[37:40], v13 offset0:121 offset1:122
	s_waitcnt lgkmcnt(2)
	v_fma_f64 v[3:4], v[43:44], v[155:156], v[3:4]
	s_waitcnt vmcnt(2)
	s_delay_alu instid0(VALU_DEP_1) | instskip(SKIP_1) | instid1(VALU_DEP_1)
	v_fma_f64 v[3:4], v[147:148], v[157:158], v[3:4]
	s_waitcnt lgkmcnt(1)
	v_fma_f64 v[3:4], v[149:150], v[14:15], v[3:4]
	s_waitcnt vmcnt(0)
	s_delay_alu instid0(VALU_DEP_1) | instskip(SKIP_1) | instid1(VALU_DEP_1)
	v_fma_f64 v[3:4], v[151:152], v[16:17], v[3:4]
	s_waitcnt lgkmcnt(0)
	v_fma_f64 v[3:4], v[153:154], v[37:38], v[3:4]
	s_delay_alu instid0(VALU_DEP_1) | instskip(NEXT) | instid1(VALU_DEP_1)
	v_fma_f64 v[3:4], v[18:19], v[39:40], v[3:4]
	v_add_f64 v[1:2], v[1:2], -v[3:4]
	scratch_store_b64 off, v[1:2], off offset:64
	v_cmpx_lt_u32_e32 7, v0
	s_cbranch_execz .LBB124_361
; %bb.360:
	scratch_load_b64 v[1:2], off, off offset:56
	v_mov_b32_e32 v3, 0
	s_delay_alu instid0(VALU_DEP_1)
	v_mov_b32_e32 v4, v3
	scratch_store_b64 off, v[3:4], off offset:56
	s_waitcnt vmcnt(0)
	ds_store_b64 v5, v[1:2]
.LBB124_361:
	s_or_b32 exec_lo, exec_lo, s0
	s_waitcnt lgkmcnt(0)
	s_waitcnt_vscnt null, 0x0
	s_barrier
	buffer_gl0_inv
	s_clause 0x4
	scratch_load_b128 v[1:4], off, off offset:56
	scratch_load_b128 v[14:17], off, off offset:72
	;; [unrolled: 1-line block ×5, first 2 shown]
	v_mov_b32_e32 v13, 0
	ds_load_b128 v[151:154], v13 offset:560
	ds_load_b128 v[155:158], v13 offset:576
	scratch_load_b128 v[159:162], off, off offset:136
	s_mov_b32 s0, exec_lo
	s_waitcnt vmcnt(5) lgkmcnt(1)
	v_fma_f64 v[3:4], v[3:4], v[151:152], 0
	s_waitcnt vmcnt(4)
	s_delay_alu instid0(VALU_DEP_1) | instskip(SKIP_1) | instid1(VALU_DEP_1)
	v_fma_f64 v[3:4], v[14:15], v[153:154], v[3:4]
	s_waitcnt lgkmcnt(0)
	v_fma_f64 v[3:4], v[16:17], v[155:156], v[3:4]
	scratch_load_b128 v[14:17], off, off offset:152
	s_waitcnt vmcnt(4)
	v_fma_f64 v[3:4], v[37:38], v[157:158], v[3:4]
	ds_load_b128 v[151:154], v13 offset:592
	ds_load_b128 v[155:158], v13 offset:608
	s_waitcnt lgkmcnt(1)
	v_fma_f64 v[3:4], v[39:40], v[151:152], v[3:4]
	scratch_load_b128 v[37:40], off, off offset:168
	s_waitcnt vmcnt(4)
	v_fma_f64 v[3:4], v[41:42], v[153:154], v[3:4]
	s_waitcnt lgkmcnt(0)
	s_delay_alu instid0(VALU_DEP_1)
	v_fma_f64 v[3:4], v[43:44], v[155:156], v[3:4]
	scratch_load_b128 v[41:44], off, off offset:184
	s_waitcnt vmcnt(4)
	v_fma_f64 v[3:4], v[147:148], v[157:158], v[3:4]
	ds_load_b128 v[151:154], v13 offset:624
	ds_load_b128 v[155:158], v13 offset:640
	s_waitcnt lgkmcnt(1)
	v_fma_f64 v[3:4], v[149:150], v[151:152], v[3:4]
	scratch_load_b128 v[147:150], off, off offset:200
	s_waitcnt vmcnt(4)
	v_fma_f64 v[3:4], v[159:160], v[153:154], v[3:4]
	scratch_load_b128 v[151:154], off, off offset:216
	s_waitcnt lgkmcnt(0)
	v_fma_f64 v[3:4], v[161:162], v[155:156], v[3:4]
	s_waitcnt vmcnt(4)
	s_delay_alu instid0(VALU_DEP_1)
	v_fma_f64 v[3:4], v[14:15], v[157:158], v[3:4]
	ds_load_b128 v[155:158], v13 offset:656
	ds_load_b128 v[159:162], v13 offset:672
	s_waitcnt lgkmcnt(1)
	v_fma_f64 v[3:4], v[16:17], v[155:156], v[3:4]
	scratch_load_b128 v[14:17], off, off offset:232
	s_waitcnt vmcnt(4)
	v_fma_f64 v[3:4], v[37:38], v[157:158], v[3:4]
	s_waitcnt lgkmcnt(0)
	s_delay_alu instid0(VALU_DEP_1)
	v_fma_f64 v[3:4], v[39:40], v[159:160], v[3:4]
	scratch_load_b128 v[37:40], off, off offset:248
	s_waitcnt vmcnt(4)
	v_fma_f64 v[3:4], v[41:42], v[161:162], v[3:4]
	ds_load_b128 v[155:158], v13 offset:688
	ds_load_b128 v[159:162], v13 offset:704
	s_waitcnt lgkmcnt(1)
	v_fma_f64 v[3:4], v[43:44], v[155:156], v[3:4]
	scratch_load_b128 v[41:44], off, off offset:264
	s_waitcnt vmcnt(4)
	v_fma_f64 v[3:4], v[147:148], v[157:158], v[3:4]
	s_waitcnt lgkmcnt(0)
	s_delay_alu instid0(VALU_DEP_1)
	v_fma_f64 v[3:4], v[149:150], v[159:160], v[3:4]
	scratch_load_b128 v[147:150], off, off offset:280
	s_waitcnt vmcnt(4)
	;; [unrolled: 13-line block ×8, first 2 shown]
	v_fma_f64 v[3:4], v[37:38], v[161:162], v[3:4]
	ds_load_b128 v[155:158], v13 offset:912
	ds_load_b128 v[159:162], v13 offset:928
	s_waitcnt lgkmcnt(1)
	v_fma_f64 v[3:4], v[39:40], v[155:156], v[3:4]
	s_waitcnt vmcnt(3)
	s_delay_alu instid0(VALU_DEP_1) | instskip(SKIP_1) | instid1(VALU_DEP_1)
	v_fma_f64 v[3:4], v[41:42], v[157:158], v[3:4]
	s_waitcnt lgkmcnt(0)
	v_fma_f64 v[3:4], v[43:44], v[159:160], v[3:4]
	ds_load_b128 v[37:40], v13 offset:944
	ds_load_b128 v[41:44], v13 offset:960
	s_waitcnt vmcnt(2)
	v_fma_f64 v[3:4], v[147:148], v[161:162], v[3:4]
	s_waitcnt lgkmcnt(1)
	s_delay_alu instid0(VALU_DEP_1) | instskip(SKIP_1) | instid1(VALU_DEP_1)
	v_fma_f64 v[3:4], v[149:150], v[37:38], v[3:4]
	s_waitcnt vmcnt(1)
	v_fma_f64 v[3:4], v[151:152], v[39:40], v[3:4]
	s_waitcnt lgkmcnt(0)
	s_delay_alu instid0(VALU_DEP_1) | instskip(SKIP_1) | instid1(VALU_DEP_1)
	v_fma_f64 v[3:4], v[153:154], v[41:42], v[3:4]
	s_waitcnt vmcnt(0)
	v_fma_f64 v[3:4], v[14:15], v[43:44], v[3:4]
	ds_load_b64 v[14:15], v13 offset:976
	s_waitcnt lgkmcnt(0)
	v_fma_f64 v[3:4], v[16:17], v[14:15], v[3:4]
	s_delay_alu instid0(VALU_DEP_1)
	v_add_f64 v[1:2], v[1:2], -v[3:4]
	scratch_store_b64 off, v[1:2], off offset:56
	v_cmpx_lt_u32_e32 6, v0
	s_cbranch_execz .LBB124_363
; %bb.362:
	scratch_load_b64 v[1:2], off, off offset:48
	v_mov_b32_e32 v14, v13
	scratch_store_b64 off, v[13:14], off offset:48
	s_waitcnt vmcnt(0)
	ds_store_b64 v5, v[1:2]
.LBB124_363:
	s_or_b32 exec_lo, exec_lo, s0
	s_waitcnt lgkmcnt(0)
	s_waitcnt_vscnt null, 0x0
	s_barrier
	buffer_gl0_inv
	s_clause 0x4
	scratch_load_b128 v[1:4], off, off offset:48
	scratch_load_b128 v[14:17], off, off offset:64
	;; [unrolled: 1-line block ×5, first 2 shown]
	ds_load_2addr_b64 v[151:154], v13 offset0:69 offset1:70
	ds_load_2addr_b64 v[155:158], v13 offset0:71 offset1:72
	scratch_load_b128 v[159:162], off, off offset:128
	s_mov_b32 s0, exec_lo
	s_waitcnt vmcnt(5) lgkmcnt(1)
	v_fma_f64 v[3:4], v[3:4], v[151:152], 0
	s_waitcnt vmcnt(4)
	s_delay_alu instid0(VALU_DEP_1) | instskip(SKIP_1) | instid1(VALU_DEP_1)
	v_fma_f64 v[3:4], v[14:15], v[153:154], v[3:4]
	s_waitcnt lgkmcnt(0)
	v_fma_f64 v[3:4], v[16:17], v[155:156], v[3:4]
	scratch_load_b128 v[14:17], off, off offset:144
	s_waitcnt vmcnt(4)
	v_fma_f64 v[3:4], v[37:38], v[157:158], v[3:4]
	ds_load_2addr_b64 v[151:154], v13 offset0:73 offset1:74
	ds_load_2addr_b64 v[155:158], v13 offset0:75 offset1:76
	s_waitcnt lgkmcnt(1)
	v_fma_f64 v[3:4], v[39:40], v[151:152], v[3:4]
	scratch_load_b128 v[37:40], off, off offset:160
	s_waitcnt vmcnt(4)
	v_fma_f64 v[3:4], v[41:42], v[153:154], v[3:4]
	s_waitcnt lgkmcnt(0)
	s_delay_alu instid0(VALU_DEP_1)
	v_fma_f64 v[3:4], v[43:44], v[155:156], v[3:4]
	scratch_load_b128 v[41:44], off, off offset:176
	s_waitcnt vmcnt(4)
	v_fma_f64 v[3:4], v[147:148], v[157:158], v[3:4]
	ds_load_2addr_b64 v[151:154], v13 offset0:77 offset1:78
	ds_load_2addr_b64 v[155:158], v13 offset0:79 offset1:80
	s_waitcnt lgkmcnt(1)
	v_fma_f64 v[3:4], v[149:150], v[151:152], v[3:4]
	scratch_load_b128 v[147:150], off, off offset:192
	s_waitcnt vmcnt(4)
	v_fma_f64 v[3:4], v[159:160], v[153:154], v[3:4]
	scratch_load_b128 v[151:154], off, off offset:208
	s_waitcnt lgkmcnt(0)
	v_fma_f64 v[3:4], v[161:162], v[155:156], v[3:4]
	s_waitcnt vmcnt(4)
	s_delay_alu instid0(VALU_DEP_1)
	v_fma_f64 v[3:4], v[14:15], v[157:158], v[3:4]
	ds_load_2addr_b64 v[155:158], v13 offset0:81 offset1:82
	ds_load_2addr_b64 v[159:162], v13 offset0:83 offset1:84
	s_waitcnt lgkmcnt(1)
	v_fma_f64 v[3:4], v[16:17], v[155:156], v[3:4]
	scratch_load_b128 v[14:17], off, off offset:224
	s_waitcnt vmcnt(4)
	v_fma_f64 v[3:4], v[37:38], v[157:158], v[3:4]
	s_waitcnt lgkmcnt(0)
	s_delay_alu instid0(VALU_DEP_1)
	v_fma_f64 v[3:4], v[39:40], v[159:160], v[3:4]
	scratch_load_b128 v[37:40], off, off offset:240
	s_waitcnt vmcnt(4)
	v_fma_f64 v[3:4], v[41:42], v[161:162], v[3:4]
	ds_load_2addr_b64 v[155:158], v13 offset0:85 offset1:86
	ds_load_2addr_b64 v[159:162], v13 offset0:87 offset1:88
	s_waitcnt lgkmcnt(1)
	v_fma_f64 v[3:4], v[43:44], v[155:156], v[3:4]
	scratch_load_b128 v[41:44], off, off offset:256
	s_waitcnt vmcnt(4)
	v_fma_f64 v[3:4], v[147:148], v[157:158], v[3:4]
	s_waitcnt lgkmcnt(0)
	s_delay_alu instid0(VALU_DEP_1)
	v_fma_f64 v[3:4], v[149:150], v[159:160], v[3:4]
	scratch_load_b128 v[147:150], off, off offset:272
	s_waitcnt vmcnt(4)
	v_fma_f64 v[3:4], v[151:152], v[161:162], v[3:4]
	ds_load_2addr_b64 v[155:158], v13 offset0:89 offset1:90
	ds_load_2addr_b64 v[159:162], v13 offset0:91 offset1:92
	s_waitcnt lgkmcnt(1)
	v_fma_f64 v[3:4], v[153:154], v[155:156], v[3:4]
	scratch_load_b128 v[151:154], off, off offset:288
	s_waitcnt vmcnt(4)
	v_fma_f64 v[3:4], v[14:15], v[157:158], v[3:4]
	s_waitcnt lgkmcnt(0)
	s_delay_alu instid0(VALU_DEP_1)
	v_fma_f64 v[3:4], v[16:17], v[159:160], v[3:4]
	scratch_load_b128 v[14:17], off, off offset:304
	s_waitcnt vmcnt(4)
	v_fma_f64 v[3:4], v[37:38], v[161:162], v[3:4]
	ds_load_2addr_b64 v[155:158], v13 offset0:93 offset1:94
	ds_load_2addr_b64 v[159:162], v13 offset0:95 offset1:96
	s_waitcnt lgkmcnt(1)
	v_fma_f64 v[3:4], v[39:40], v[155:156], v[3:4]
	scratch_load_b128 v[37:40], off, off offset:320
	s_waitcnt vmcnt(4)
	v_fma_f64 v[3:4], v[41:42], v[157:158], v[3:4]
	s_waitcnt lgkmcnt(0)
	s_delay_alu instid0(VALU_DEP_1)
	v_fma_f64 v[3:4], v[43:44], v[159:160], v[3:4]
	scratch_load_b128 v[41:44], off, off offset:336
	s_waitcnt vmcnt(4)
	v_fma_f64 v[3:4], v[147:148], v[161:162], v[3:4]
	ds_load_2addr_b64 v[155:158], v13 offset0:97 offset1:98
	ds_load_2addr_b64 v[159:162], v13 offset0:99 offset1:100
	s_waitcnt lgkmcnt(1)
	v_fma_f64 v[3:4], v[149:150], v[155:156], v[3:4]
	scratch_load_b128 v[147:150], off, off offset:352
	s_waitcnt vmcnt(4)
	v_fma_f64 v[3:4], v[151:152], v[157:158], v[3:4]
	s_waitcnt lgkmcnt(0)
	s_delay_alu instid0(VALU_DEP_1)
	v_fma_f64 v[3:4], v[153:154], v[159:160], v[3:4]
	scratch_load_b128 v[151:154], off, off offset:368
	s_waitcnt vmcnt(4)
	v_fma_f64 v[3:4], v[14:15], v[161:162], v[3:4]
	ds_load_2addr_b64 v[155:158], v13 offset0:101 offset1:102
	ds_load_2addr_b64 v[159:162], v13 offset0:103 offset1:104
	s_waitcnt lgkmcnt(1)
	v_fma_f64 v[3:4], v[16:17], v[155:156], v[3:4]
	scratch_load_b128 v[14:17], off, off offset:384
	s_waitcnt vmcnt(4)
	v_fma_f64 v[3:4], v[37:38], v[157:158], v[3:4]
	s_waitcnt lgkmcnt(0)
	s_delay_alu instid0(VALU_DEP_1)
	v_fma_f64 v[3:4], v[39:40], v[159:160], v[3:4]
	scratch_load_b128 v[37:40], off, off offset:400
	s_waitcnt vmcnt(4)
	v_fma_f64 v[3:4], v[41:42], v[161:162], v[3:4]
	ds_load_2addr_b64 v[155:158], v13 offset0:105 offset1:106
	ds_load_2addr_b64 v[159:162], v13 offset0:107 offset1:108
	s_waitcnt lgkmcnt(1)
	v_fma_f64 v[3:4], v[43:44], v[155:156], v[3:4]
	scratch_load_b128 v[41:44], off, off offset:416
	s_waitcnt vmcnt(4)
	v_fma_f64 v[3:4], v[147:148], v[157:158], v[3:4]
	s_waitcnt lgkmcnt(0)
	s_delay_alu instid0(VALU_DEP_1)
	v_fma_f64 v[3:4], v[149:150], v[159:160], v[3:4]
	scratch_load_b128 v[147:150], off, off offset:432
	s_waitcnt vmcnt(4)
	v_fma_f64 v[3:4], v[151:152], v[161:162], v[3:4]
	ds_load_2addr_b64 v[155:158], v13 offset0:109 offset1:110
	ds_load_2addr_b64 v[159:162], v13 offset0:111 offset1:112
	s_waitcnt lgkmcnt(1)
	v_fma_f64 v[3:4], v[153:154], v[155:156], v[3:4]
	scratch_load_b128 v[151:154], off, off offset:448
	s_waitcnt vmcnt(4)
	v_fma_f64 v[3:4], v[14:15], v[157:158], v[3:4]
	s_waitcnt lgkmcnt(0)
	s_delay_alu instid0(VALU_DEP_1)
	v_fma_f64 v[3:4], v[16:17], v[159:160], v[3:4]
	scratch_load_b128 v[14:17], off, off offset:464
	s_waitcnt vmcnt(4)
	v_fma_f64 v[3:4], v[37:38], v[161:162], v[3:4]
	ds_load_2addr_b64 v[155:158], v13 offset0:113 offset1:114
	ds_load_2addr_b64 v[159:162], v13 offset0:115 offset1:116
	scratch_load_b64 v[18:19], off, off offset:480
	s_waitcnt lgkmcnt(1)
	v_fma_f64 v[3:4], v[39:40], v[155:156], v[3:4]
	s_waitcnt vmcnt(4)
	s_delay_alu instid0(VALU_DEP_1) | instskip(SKIP_1) | instid1(VALU_DEP_1)
	v_fma_f64 v[3:4], v[41:42], v[157:158], v[3:4]
	s_waitcnt lgkmcnt(0)
	v_fma_f64 v[3:4], v[43:44], v[159:160], v[3:4]
	ds_load_2addr_b64 v[37:40], v13 offset0:117 offset1:118
	ds_load_2addr_b64 v[41:44], v13 offset0:119 offset1:120
	s_waitcnt vmcnt(3)
	v_fma_f64 v[3:4], v[147:148], v[161:162], v[3:4]
	s_waitcnt lgkmcnt(1)
	s_delay_alu instid0(VALU_DEP_1) | instskip(SKIP_1) | instid1(VALU_DEP_1)
	v_fma_f64 v[3:4], v[149:150], v[37:38], v[3:4]
	s_waitcnt vmcnt(2)
	v_fma_f64 v[3:4], v[151:152], v[39:40], v[3:4]
	ds_load_2addr_b64 v[37:40], v13 offset0:121 offset1:122
	s_waitcnt lgkmcnt(1)
	v_fma_f64 v[3:4], v[153:154], v[41:42], v[3:4]
	s_waitcnt vmcnt(1)
	s_delay_alu instid0(VALU_DEP_1) | instskip(SKIP_1) | instid1(VALU_DEP_1)
	v_fma_f64 v[3:4], v[14:15], v[43:44], v[3:4]
	s_waitcnt lgkmcnt(0)
	v_fma_f64 v[3:4], v[16:17], v[37:38], v[3:4]
	s_waitcnt vmcnt(0)
	s_delay_alu instid0(VALU_DEP_1) | instskip(NEXT) | instid1(VALU_DEP_1)
	v_fma_f64 v[3:4], v[18:19], v[39:40], v[3:4]
	v_add_f64 v[1:2], v[1:2], -v[3:4]
	scratch_store_b64 off, v[1:2], off offset:48
	v_cmpx_lt_u32_e32 5, v0
	s_cbranch_execz .LBB124_365
; %bb.364:
	scratch_load_b64 v[1:2], off, off offset:40
	v_mov_b32_e32 v3, 0
	s_delay_alu instid0(VALU_DEP_1)
	v_mov_b32_e32 v4, v3
	scratch_store_b64 off, v[3:4], off offset:40
	s_waitcnt vmcnt(0)
	ds_store_b64 v5, v[1:2]
.LBB124_365:
	s_or_b32 exec_lo, exec_lo, s0
	s_waitcnt lgkmcnt(0)
	s_waitcnt_vscnt null, 0x0
	s_barrier
	buffer_gl0_inv
	s_clause 0x4
	scratch_load_b128 v[1:4], off, off offset:40
	scratch_load_b128 v[14:17], off, off offset:56
	;; [unrolled: 1-line block ×5, first 2 shown]
	v_mov_b32_e32 v13, 0
	ds_load_b128 v[151:154], v13 offset:544
	ds_load_b128 v[155:158], v13 offset:560
	scratch_load_b128 v[159:162], off, off offset:120
	s_mov_b32 s0, exec_lo
	s_waitcnt vmcnt(5) lgkmcnt(1)
	v_fma_f64 v[3:4], v[3:4], v[151:152], 0
	s_waitcnt vmcnt(4)
	s_delay_alu instid0(VALU_DEP_1) | instskip(SKIP_1) | instid1(VALU_DEP_1)
	v_fma_f64 v[3:4], v[14:15], v[153:154], v[3:4]
	s_waitcnt lgkmcnt(0)
	v_fma_f64 v[3:4], v[16:17], v[155:156], v[3:4]
	scratch_load_b128 v[14:17], off, off offset:136
	s_waitcnt vmcnt(4)
	v_fma_f64 v[3:4], v[37:38], v[157:158], v[3:4]
	ds_load_b128 v[151:154], v13 offset:576
	ds_load_b128 v[155:158], v13 offset:592
	s_waitcnt lgkmcnt(1)
	v_fma_f64 v[3:4], v[39:40], v[151:152], v[3:4]
	scratch_load_b128 v[37:40], off, off offset:152
	s_waitcnt vmcnt(4)
	v_fma_f64 v[3:4], v[41:42], v[153:154], v[3:4]
	s_waitcnt lgkmcnt(0)
	s_delay_alu instid0(VALU_DEP_1)
	v_fma_f64 v[3:4], v[43:44], v[155:156], v[3:4]
	scratch_load_b128 v[41:44], off, off offset:168
	s_waitcnt vmcnt(4)
	v_fma_f64 v[3:4], v[147:148], v[157:158], v[3:4]
	ds_load_b128 v[151:154], v13 offset:608
	ds_load_b128 v[155:158], v13 offset:624
	s_waitcnt lgkmcnt(1)
	v_fma_f64 v[3:4], v[149:150], v[151:152], v[3:4]
	scratch_load_b128 v[147:150], off, off offset:184
	s_waitcnt vmcnt(4)
	v_fma_f64 v[3:4], v[159:160], v[153:154], v[3:4]
	scratch_load_b128 v[151:154], off, off offset:200
	s_waitcnt lgkmcnt(0)
	v_fma_f64 v[3:4], v[161:162], v[155:156], v[3:4]
	s_waitcnt vmcnt(4)
	s_delay_alu instid0(VALU_DEP_1)
	v_fma_f64 v[3:4], v[14:15], v[157:158], v[3:4]
	ds_load_b128 v[155:158], v13 offset:640
	ds_load_b128 v[159:162], v13 offset:656
	s_waitcnt lgkmcnt(1)
	v_fma_f64 v[3:4], v[16:17], v[155:156], v[3:4]
	scratch_load_b128 v[14:17], off, off offset:216
	s_waitcnt vmcnt(4)
	v_fma_f64 v[3:4], v[37:38], v[157:158], v[3:4]
	s_waitcnt lgkmcnt(0)
	s_delay_alu instid0(VALU_DEP_1)
	v_fma_f64 v[3:4], v[39:40], v[159:160], v[3:4]
	scratch_load_b128 v[37:40], off, off offset:232
	s_waitcnt vmcnt(4)
	v_fma_f64 v[3:4], v[41:42], v[161:162], v[3:4]
	ds_load_b128 v[155:158], v13 offset:672
	ds_load_b128 v[159:162], v13 offset:688
	s_waitcnt lgkmcnt(1)
	v_fma_f64 v[3:4], v[43:44], v[155:156], v[3:4]
	scratch_load_b128 v[41:44], off, off offset:248
	s_waitcnt vmcnt(4)
	v_fma_f64 v[3:4], v[147:148], v[157:158], v[3:4]
	s_waitcnt lgkmcnt(0)
	s_delay_alu instid0(VALU_DEP_1)
	v_fma_f64 v[3:4], v[149:150], v[159:160], v[3:4]
	scratch_load_b128 v[147:150], off, off offset:264
	s_waitcnt vmcnt(4)
	;; [unrolled: 13-line block ×8, first 2 shown]
	v_fma_f64 v[3:4], v[37:38], v[161:162], v[3:4]
	ds_load_b128 v[155:158], v13 offset:896
	ds_load_b128 v[159:162], v13 offset:912
	s_waitcnt lgkmcnt(1)
	v_fma_f64 v[3:4], v[39:40], v[155:156], v[3:4]
	scratch_load_b128 v[37:40], off, off offset:472
	s_waitcnt vmcnt(4)
	v_fma_f64 v[3:4], v[41:42], v[157:158], v[3:4]
	s_waitcnt lgkmcnt(0)
	s_delay_alu instid0(VALU_DEP_1)
	v_fma_f64 v[3:4], v[43:44], v[159:160], v[3:4]
	ds_load_b128 v[41:44], v13 offset:928
	ds_load_b128 v[155:158], v13 offset:944
	s_waitcnt vmcnt(3)
	v_fma_f64 v[3:4], v[147:148], v[161:162], v[3:4]
	s_waitcnt lgkmcnt(1)
	s_delay_alu instid0(VALU_DEP_1) | instskip(SKIP_1) | instid1(VALU_DEP_1)
	v_fma_f64 v[3:4], v[149:150], v[41:42], v[3:4]
	s_waitcnt vmcnt(2)
	v_fma_f64 v[3:4], v[151:152], v[43:44], v[3:4]
	s_waitcnt lgkmcnt(0)
	s_delay_alu instid0(VALU_DEP_1) | instskip(SKIP_1) | instid1(VALU_DEP_1)
	v_fma_f64 v[3:4], v[153:154], v[155:156], v[3:4]
	s_waitcnt vmcnt(1)
	v_fma_f64 v[3:4], v[14:15], v[157:158], v[3:4]
	ds_load_b128 v[41:44], v13 offset:960
	ds_load_b64 v[14:15], v13 offset:976
	s_waitcnt lgkmcnt(1)
	v_fma_f64 v[3:4], v[16:17], v[41:42], v[3:4]
	s_waitcnt vmcnt(0)
	s_delay_alu instid0(VALU_DEP_1) | instskip(SKIP_1) | instid1(VALU_DEP_1)
	v_fma_f64 v[3:4], v[37:38], v[43:44], v[3:4]
	s_waitcnt lgkmcnt(0)
	v_fma_f64 v[3:4], v[39:40], v[14:15], v[3:4]
	s_delay_alu instid0(VALU_DEP_1)
	v_add_f64 v[1:2], v[1:2], -v[3:4]
	scratch_store_b64 off, v[1:2], off offset:40
	v_cmpx_lt_u32_e32 4, v0
	s_cbranch_execz .LBB124_367
; %bb.366:
	scratch_load_b64 v[1:2], off, off offset:32
	v_mov_b32_e32 v14, v13
	scratch_store_b64 off, v[13:14], off offset:32
	s_waitcnt vmcnt(0)
	ds_store_b64 v5, v[1:2]
.LBB124_367:
	s_or_b32 exec_lo, exec_lo, s0
	s_waitcnt lgkmcnt(0)
	s_waitcnt_vscnt null, 0x0
	s_barrier
	buffer_gl0_inv
	s_clause 0x4
	scratch_load_b128 v[1:4], off, off offset:32
	scratch_load_b128 v[14:17], off, off offset:48
	scratch_load_b128 v[37:40], off, off offset:64
	scratch_load_b128 v[41:44], off, off offset:80
	scratch_load_b128 v[147:150], off, off offset:96
	ds_load_2addr_b64 v[151:154], v13 offset0:67 offset1:68
	ds_load_2addr_b64 v[155:158], v13 offset0:69 offset1:70
	scratch_load_b128 v[159:162], off, off offset:112
	s_mov_b32 s0, exec_lo
	s_waitcnt vmcnt(5) lgkmcnt(1)
	v_fma_f64 v[3:4], v[3:4], v[151:152], 0
	s_waitcnt vmcnt(4)
	s_delay_alu instid0(VALU_DEP_1) | instskip(SKIP_1) | instid1(VALU_DEP_1)
	v_fma_f64 v[3:4], v[14:15], v[153:154], v[3:4]
	s_waitcnt lgkmcnt(0)
	v_fma_f64 v[3:4], v[16:17], v[155:156], v[3:4]
	scratch_load_b128 v[14:17], off, off offset:128
	s_waitcnt vmcnt(4)
	v_fma_f64 v[3:4], v[37:38], v[157:158], v[3:4]
	ds_load_2addr_b64 v[151:154], v13 offset0:71 offset1:72
	ds_load_2addr_b64 v[155:158], v13 offset0:73 offset1:74
	s_waitcnt lgkmcnt(1)
	v_fma_f64 v[3:4], v[39:40], v[151:152], v[3:4]
	scratch_load_b128 v[37:40], off, off offset:144
	s_waitcnt vmcnt(4)
	v_fma_f64 v[3:4], v[41:42], v[153:154], v[3:4]
	s_waitcnt lgkmcnt(0)
	s_delay_alu instid0(VALU_DEP_1)
	v_fma_f64 v[3:4], v[43:44], v[155:156], v[3:4]
	scratch_load_b128 v[41:44], off, off offset:160
	s_waitcnt vmcnt(4)
	v_fma_f64 v[3:4], v[147:148], v[157:158], v[3:4]
	ds_load_2addr_b64 v[151:154], v13 offset0:75 offset1:76
	ds_load_2addr_b64 v[155:158], v13 offset0:77 offset1:78
	s_waitcnt lgkmcnt(1)
	v_fma_f64 v[3:4], v[149:150], v[151:152], v[3:4]
	scratch_load_b128 v[147:150], off, off offset:176
	s_waitcnt vmcnt(4)
	v_fma_f64 v[3:4], v[159:160], v[153:154], v[3:4]
	scratch_load_b128 v[151:154], off, off offset:192
	s_waitcnt lgkmcnt(0)
	v_fma_f64 v[3:4], v[161:162], v[155:156], v[3:4]
	s_waitcnt vmcnt(4)
	s_delay_alu instid0(VALU_DEP_1)
	v_fma_f64 v[3:4], v[14:15], v[157:158], v[3:4]
	ds_load_2addr_b64 v[155:158], v13 offset0:79 offset1:80
	ds_load_2addr_b64 v[159:162], v13 offset0:81 offset1:82
	s_waitcnt lgkmcnt(1)
	v_fma_f64 v[3:4], v[16:17], v[155:156], v[3:4]
	scratch_load_b128 v[14:17], off, off offset:208
	s_waitcnt vmcnt(4)
	v_fma_f64 v[3:4], v[37:38], v[157:158], v[3:4]
	s_waitcnt lgkmcnt(0)
	s_delay_alu instid0(VALU_DEP_1)
	v_fma_f64 v[3:4], v[39:40], v[159:160], v[3:4]
	scratch_load_b128 v[37:40], off, off offset:224
	s_waitcnt vmcnt(4)
	v_fma_f64 v[3:4], v[41:42], v[161:162], v[3:4]
	ds_load_2addr_b64 v[155:158], v13 offset0:83 offset1:84
	ds_load_2addr_b64 v[159:162], v13 offset0:85 offset1:86
	s_waitcnt lgkmcnt(1)
	v_fma_f64 v[3:4], v[43:44], v[155:156], v[3:4]
	scratch_load_b128 v[41:44], off, off offset:240
	s_waitcnt vmcnt(4)
	v_fma_f64 v[3:4], v[147:148], v[157:158], v[3:4]
	s_waitcnt lgkmcnt(0)
	s_delay_alu instid0(VALU_DEP_1)
	v_fma_f64 v[3:4], v[149:150], v[159:160], v[3:4]
	scratch_load_b128 v[147:150], off, off offset:256
	s_waitcnt vmcnt(4)
	v_fma_f64 v[3:4], v[151:152], v[161:162], v[3:4]
	ds_load_2addr_b64 v[155:158], v13 offset0:87 offset1:88
	ds_load_2addr_b64 v[159:162], v13 offset0:89 offset1:90
	s_waitcnt lgkmcnt(1)
	v_fma_f64 v[3:4], v[153:154], v[155:156], v[3:4]
	scratch_load_b128 v[151:154], off, off offset:272
	s_waitcnt vmcnt(4)
	v_fma_f64 v[3:4], v[14:15], v[157:158], v[3:4]
	s_waitcnt lgkmcnt(0)
	s_delay_alu instid0(VALU_DEP_1)
	v_fma_f64 v[3:4], v[16:17], v[159:160], v[3:4]
	scratch_load_b128 v[14:17], off, off offset:288
	s_waitcnt vmcnt(4)
	v_fma_f64 v[3:4], v[37:38], v[161:162], v[3:4]
	ds_load_2addr_b64 v[155:158], v13 offset0:91 offset1:92
	ds_load_2addr_b64 v[159:162], v13 offset0:93 offset1:94
	s_waitcnt lgkmcnt(1)
	v_fma_f64 v[3:4], v[39:40], v[155:156], v[3:4]
	scratch_load_b128 v[37:40], off, off offset:304
	s_waitcnt vmcnt(4)
	v_fma_f64 v[3:4], v[41:42], v[157:158], v[3:4]
	s_waitcnt lgkmcnt(0)
	s_delay_alu instid0(VALU_DEP_1)
	v_fma_f64 v[3:4], v[43:44], v[159:160], v[3:4]
	scratch_load_b128 v[41:44], off, off offset:320
	s_waitcnt vmcnt(4)
	v_fma_f64 v[3:4], v[147:148], v[161:162], v[3:4]
	ds_load_2addr_b64 v[155:158], v13 offset0:95 offset1:96
	ds_load_2addr_b64 v[159:162], v13 offset0:97 offset1:98
	s_waitcnt lgkmcnt(1)
	v_fma_f64 v[3:4], v[149:150], v[155:156], v[3:4]
	scratch_load_b128 v[147:150], off, off offset:336
	s_waitcnt vmcnt(4)
	v_fma_f64 v[3:4], v[151:152], v[157:158], v[3:4]
	s_waitcnt lgkmcnt(0)
	s_delay_alu instid0(VALU_DEP_1)
	v_fma_f64 v[3:4], v[153:154], v[159:160], v[3:4]
	scratch_load_b128 v[151:154], off, off offset:352
	s_waitcnt vmcnt(4)
	v_fma_f64 v[3:4], v[14:15], v[161:162], v[3:4]
	ds_load_2addr_b64 v[155:158], v13 offset0:99 offset1:100
	ds_load_2addr_b64 v[159:162], v13 offset0:101 offset1:102
	s_waitcnt lgkmcnt(1)
	v_fma_f64 v[3:4], v[16:17], v[155:156], v[3:4]
	scratch_load_b128 v[14:17], off, off offset:368
	s_waitcnt vmcnt(4)
	v_fma_f64 v[3:4], v[37:38], v[157:158], v[3:4]
	s_waitcnt lgkmcnt(0)
	s_delay_alu instid0(VALU_DEP_1)
	v_fma_f64 v[3:4], v[39:40], v[159:160], v[3:4]
	scratch_load_b128 v[37:40], off, off offset:384
	s_waitcnt vmcnt(4)
	v_fma_f64 v[3:4], v[41:42], v[161:162], v[3:4]
	ds_load_2addr_b64 v[155:158], v13 offset0:103 offset1:104
	ds_load_2addr_b64 v[159:162], v13 offset0:105 offset1:106
	s_waitcnt lgkmcnt(1)
	v_fma_f64 v[3:4], v[43:44], v[155:156], v[3:4]
	scratch_load_b128 v[41:44], off, off offset:400
	s_waitcnt vmcnt(4)
	v_fma_f64 v[3:4], v[147:148], v[157:158], v[3:4]
	s_waitcnt lgkmcnt(0)
	s_delay_alu instid0(VALU_DEP_1)
	v_fma_f64 v[3:4], v[149:150], v[159:160], v[3:4]
	scratch_load_b128 v[147:150], off, off offset:416
	s_waitcnt vmcnt(4)
	v_fma_f64 v[3:4], v[151:152], v[161:162], v[3:4]
	ds_load_2addr_b64 v[155:158], v13 offset0:107 offset1:108
	ds_load_2addr_b64 v[159:162], v13 offset0:109 offset1:110
	s_waitcnt lgkmcnt(1)
	v_fma_f64 v[3:4], v[153:154], v[155:156], v[3:4]
	scratch_load_b128 v[151:154], off, off offset:432
	s_waitcnt vmcnt(4)
	v_fma_f64 v[3:4], v[14:15], v[157:158], v[3:4]
	s_waitcnt lgkmcnt(0)
	s_delay_alu instid0(VALU_DEP_1)
	v_fma_f64 v[3:4], v[16:17], v[159:160], v[3:4]
	scratch_load_b128 v[14:17], off, off offset:448
	s_waitcnt vmcnt(4)
	v_fma_f64 v[3:4], v[37:38], v[161:162], v[3:4]
	ds_load_2addr_b64 v[155:158], v13 offset0:111 offset1:112
	ds_load_2addr_b64 v[159:162], v13 offset0:113 offset1:114
	scratch_load_b64 v[18:19], off, off offset:480
	s_waitcnt lgkmcnt(1)
	v_fma_f64 v[3:4], v[39:40], v[155:156], v[3:4]
	scratch_load_b128 v[37:40], off, off offset:464
	s_waitcnt vmcnt(5)
	v_fma_f64 v[3:4], v[41:42], v[157:158], v[3:4]
	s_waitcnt lgkmcnt(0)
	s_delay_alu instid0(VALU_DEP_1)
	v_fma_f64 v[3:4], v[43:44], v[159:160], v[3:4]
	ds_load_2addr_b64 v[41:44], v13 offset0:115 offset1:116
	ds_load_2addr_b64 v[155:158], v13 offset0:117 offset1:118
	s_waitcnt vmcnt(4)
	v_fma_f64 v[3:4], v[147:148], v[161:162], v[3:4]
	s_waitcnt lgkmcnt(1)
	s_delay_alu instid0(VALU_DEP_1) | instskip(SKIP_1) | instid1(VALU_DEP_1)
	v_fma_f64 v[3:4], v[149:150], v[41:42], v[3:4]
	s_waitcnt vmcnt(3)
	v_fma_f64 v[3:4], v[151:152], v[43:44], v[3:4]
	ds_load_2addr_b64 v[41:44], v13 offset0:119 offset1:120
	ds_load_2addr_b64 v[147:150], v13 offset0:121 offset1:122
	s_waitcnt lgkmcnt(2)
	v_fma_f64 v[3:4], v[153:154], v[155:156], v[3:4]
	s_waitcnt vmcnt(2)
	s_delay_alu instid0(VALU_DEP_1) | instskip(SKIP_1) | instid1(VALU_DEP_1)
	v_fma_f64 v[3:4], v[14:15], v[157:158], v[3:4]
	s_waitcnt lgkmcnt(1)
	v_fma_f64 v[3:4], v[16:17], v[41:42], v[3:4]
	s_waitcnt vmcnt(0)
	s_delay_alu instid0(VALU_DEP_1) | instskip(SKIP_1) | instid1(VALU_DEP_1)
	v_fma_f64 v[3:4], v[37:38], v[43:44], v[3:4]
	s_waitcnt lgkmcnt(0)
	v_fma_f64 v[3:4], v[39:40], v[147:148], v[3:4]
	s_delay_alu instid0(VALU_DEP_1) | instskip(NEXT) | instid1(VALU_DEP_1)
	v_fma_f64 v[3:4], v[18:19], v[149:150], v[3:4]
	v_add_f64 v[1:2], v[1:2], -v[3:4]
	scratch_store_b64 off, v[1:2], off offset:32
	v_cmpx_lt_u32_e32 3, v0
	s_cbranch_execz .LBB124_369
; %bb.368:
	scratch_load_b64 v[1:2], off, off offset:24
	v_mov_b32_e32 v3, 0
	s_delay_alu instid0(VALU_DEP_1)
	v_mov_b32_e32 v4, v3
	scratch_store_b64 off, v[3:4], off offset:24
	s_waitcnt vmcnt(0)
	ds_store_b64 v5, v[1:2]
.LBB124_369:
	s_or_b32 exec_lo, exec_lo, s0
	s_waitcnt lgkmcnt(0)
	s_waitcnt_vscnt null, 0x0
	s_barrier
	buffer_gl0_inv
	s_clause 0x4
	scratch_load_b128 v[1:4], off, off offset:24
	scratch_load_b128 v[14:17], off, off offset:40
	;; [unrolled: 1-line block ×5, first 2 shown]
	v_mov_b32_e32 v13, 0
	ds_load_b128 v[151:154], v13 offset:528
	ds_load_b128 v[155:158], v13 offset:544
	scratch_load_b128 v[159:162], off, off offset:104
	s_mov_b32 s0, exec_lo
	s_waitcnt vmcnt(5) lgkmcnt(1)
	v_fma_f64 v[3:4], v[3:4], v[151:152], 0
	s_waitcnt vmcnt(4)
	s_delay_alu instid0(VALU_DEP_1) | instskip(SKIP_1) | instid1(VALU_DEP_1)
	v_fma_f64 v[3:4], v[14:15], v[153:154], v[3:4]
	s_waitcnt lgkmcnt(0)
	v_fma_f64 v[3:4], v[16:17], v[155:156], v[3:4]
	scratch_load_b128 v[14:17], off, off offset:120
	s_waitcnt vmcnt(4)
	v_fma_f64 v[3:4], v[37:38], v[157:158], v[3:4]
	ds_load_b128 v[151:154], v13 offset:560
	ds_load_b128 v[155:158], v13 offset:576
	s_waitcnt lgkmcnt(1)
	v_fma_f64 v[3:4], v[39:40], v[151:152], v[3:4]
	scratch_load_b128 v[37:40], off, off offset:136
	s_waitcnt vmcnt(4)
	v_fma_f64 v[3:4], v[41:42], v[153:154], v[3:4]
	s_waitcnt lgkmcnt(0)
	s_delay_alu instid0(VALU_DEP_1)
	v_fma_f64 v[3:4], v[43:44], v[155:156], v[3:4]
	scratch_load_b128 v[41:44], off, off offset:152
	s_waitcnt vmcnt(4)
	v_fma_f64 v[3:4], v[147:148], v[157:158], v[3:4]
	ds_load_b128 v[151:154], v13 offset:592
	ds_load_b128 v[155:158], v13 offset:608
	s_waitcnt lgkmcnt(1)
	v_fma_f64 v[3:4], v[149:150], v[151:152], v[3:4]
	scratch_load_b128 v[147:150], off, off offset:168
	s_waitcnt vmcnt(4)
	v_fma_f64 v[3:4], v[159:160], v[153:154], v[3:4]
	scratch_load_b128 v[151:154], off, off offset:184
	s_waitcnt lgkmcnt(0)
	v_fma_f64 v[3:4], v[161:162], v[155:156], v[3:4]
	s_waitcnt vmcnt(4)
	s_delay_alu instid0(VALU_DEP_1)
	v_fma_f64 v[3:4], v[14:15], v[157:158], v[3:4]
	ds_load_b128 v[155:158], v13 offset:624
	ds_load_b128 v[159:162], v13 offset:640
	s_waitcnt lgkmcnt(1)
	v_fma_f64 v[3:4], v[16:17], v[155:156], v[3:4]
	scratch_load_b128 v[14:17], off, off offset:200
	s_waitcnt vmcnt(4)
	v_fma_f64 v[3:4], v[37:38], v[157:158], v[3:4]
	s_waitcnt lgkmcnt(0)
	s_delay_alu instid0(VALU_DEP_1)
	v_fma_f64 v[3:4], v[39:40], v[159:160], v[3:4]
	scratch_load_b128 v[37:40], off, off offset:216
	s_waitcnt vmcnt(4)
	v_fma_f64 v[3:4], v[41:42], v[161:162], v[3:4]
	ds_load_b128 v[155:158], v13 offset:656
	ds_load_b128 v[159:162], v13 offset:672
	s_waitcnt lgkmcnt(1)
	v_fma_f64 v[3:4], v[43:44], v[155:156], v[3:4]
	scratch_load_b128 v[41:44], off, off offset:232
	s_waitcnt vmcnt(4)
	v_fma_f64 v[3:4], v[147:148], v[157:158], v[3:4]
	s_waitcnt lgkmcnt(0)
	s_delay_alu instid0(VALU_DEP_1)
	v_fma_f64 v[3:4], v[149:150], v[159:160], v[3:4]
	scratch_load_b128 v[147:150], off, off offset:248
	s_waitcnt vmcnt(4)
	;; [unrolled: 13-line block ×9, first 2 shown]
	v_fma_f64 v[3:4], v[147:148], v[161:162], v[3:4]
	ds_load_b128 v[155:158], v13 offset:912
	ds_load_b128 v[159:162], v13 offset:928
	s_waitcnt lgkmcnt(1)
	v_fma_f64 v[3:4], v[149:150], v[155:156], v[3:4]
	s_waitcnt vmcnt(3)
	s_delay_alu instid0(VALU_DEP_1) | instskip(SKIP_1) | instid1(VALU_DEP_1)
	v_fma_f64 v[3:4], v[151:152], v[157:158], v[3:4]
	s_waitcnt lgkmcnt(0)
	v_fma_f64 v[3:4], v[153:154], v[159:160], v[3:4]
	ds_load_b128 v[147:150], v13 offset:944
	ds_load_b128 v[151:154], v13 offset:960
	s_waitcnt vmcnt(2)
	v_fma_f64 v[3:4], v[14:15], v[161:162], v[3:4]
	ds_load_b64 v[14:15], v13 offset:976
	s_waitcnt lgkmcnt(2)
	v_fma_f64 v[3:4], v[16:17], v[147:148], v[3:4]
	s_waitcnt vmcnt(1)
	s_delay_alu instid0(VALU_DEP_1) | instskip(SKIP_1) | instid1(VALU_DEP_1)
	v_fma_f64 v[3:4], v[37:38], v[149:150], v[3:4]
	s_waitcnt lgkmcnt(1)
	v_fma_f64 v[3:4], v[39:40], v[151:152], v[3:4]
	s_waitcnt vmcnt(0)
	s_delay_alu instid0(VALU_DEP_1) | instskip(SKIP_1) | instid1(VALU_DEP_1)
	v_fma_f64 v[3:4], v[41:42], v[153:154], v[3:4]
	s_waitcnt lgkmcnt(0)
	v_fma_f64 v[3:4], v[43:44], v[14:15], v[3:4]
	s_delay_alu instid0(VALU_DEP_1)
	v_add_f64 v[1:2], v[1:2], -v[3:4]
	scratch_store_b64 off, v[1:2], off offset:24
	v_cmpx_lt_u32_e32 2, v0
	s_cbranch_execz .LBB124_371
; %bb.370:
	scratch_load_b64 v[1:2], off, off offset:16
	v_mov_b32_e32 v14, v13
	scratch_store_b64 off, v[13:14], off offset:16
	s_waitcnt vmcnt(0)
	ds_store_b64 v5, v[1:2]
.LBB124_371:
	s_or_b32 exec_lo, exec_lo, s0
	s_waitcnt lgkmcnt(0)
	s_waitcnt_vscnt null, 0x0
	s_barrier
	buffer_gl0_inv
	s_clause 0x4
	scratch_load_b128 v[1:4], off, off offset:16
	scratch_load_b128 v[14:17], off, off offset:32
	;; [unrolled: 1-line block ×5, first 2 shown]
	ds_load_2addr_b64 v[151:154], v13 offset0:65 offset1:66
	ds_load_2addr_b64 v[155:158], v13 offset0:67 offset1:68
	scratch_load_b128 v[159:162], off, off offset:96
	s_mov_b32 s0, exec_lo
	s_waitcnt vmcnt(5) lgkmcnt(1)
	v_fma_f64 v[3:4], v[3:4], v[151:152], 0
	s_waitcnt vmcnt(4)
	s_delay_alu instid0(VALU_DEP_1) | instskip(SKIP_1) | instid1(VALU_DEP_1)
	v_fma_f64 v[3:4], v[14:15], v[153:154], v[3:4]
	s_waitcnt lgkmcnt(0)
	v_fma_f64 v[3:4], v[16:17], v[155:156], v[3:4]
	scratch_load_b128 v[14:17], off, off offset:112
	s_waitcnt vmcnt(4)
	v_fma_f64 v[3:4], v[37:38], v[157:158], v[3:4]
	ds_load_2addr_b64 v[151:154], v13 offset0:69 offset1:70
	ds_load_2addr_b64 v[155:158], v13 offset0:71 offset1:72
	s_waitcnt lgkmcnt(1)
	v_fma_f64 v[3:4], v[39:40], v[151:152], v[3:4]
	scratch_load_b128 v[37:40], off, off offset:128
	s_waitcnt vmcnt(4)
	v_fma_f64 v[3:4], v[41:42], v[153:154], v[3:4]
	s_waitcnt lgkmcnt(0)
	s_delay_alu instid0(VALU_DEP_1)
	v_fma_f64 v[3:4], v[43:44], v[155:156], v[3:4]
	scratch_load_b128 v[41:44], off, off offset:144
	s_waitcnt vmcnt(4)
	v_fma_f64 v[3:4], v[147:148], v[157:158], v[3:4]
	ds_load_2addr_b64 v[151:154], v13 offset0:73 offset1:74
	ds_load_2addr_b64 v[155:158], v13 offset0:75 offset1:76
	s_waitcnt lgkmcnt(1)
	v_fma_f64 v[3:4], v[149:150], v[151:152], v[3:4]
	scratch_load_b128 v[147:150], off, off offset:160
	s_waitcnt vmcnt(4)
	v_fma_f64 v[3:4], v[159:160], v[153:154], v[3:4]
	scratch_load_b128 v[151:154], off, off offset:176
	s_waitcnt lgkmcnt(0)
	v_fma_f64 v[3:4], v[161:162], v[155:156], v[3:4]
	s_waitcnt vmcnt(4)
	s_delay_alu instid0(VALU_DEP_1)
	v_fma_f64 v[3:4], v[14:15], v[157:158], v[3:4]
	ds_load_2addr_b64 v[155:158], v13 offset0:77 offset1:78
	ds_load_2addr_b64 v[159:162], v13 offset0:79 offset1:80
	s_waitcnt lgkmcnt(1)
	v_fma_f64 v[3:4], v[16:17], v[155:156], v[3:4]
	scratch_load_b128 v[14:17], off, off offset:192
	s_waitcnt vmcnt(4)
	v_fma_f64 v[3:4], v[37:38], v[157:158], v[3:4]
	s_waitcnt lgkmcnt(0)
	s_delay_alu instid0(VALU_DEP_1)
	v_fma_f64 v[3:4], v[39:40], v[159:160], v[3:4]
	scratch_load_b128 v[37:40], off, off offset:208
	s_waitcnt vmcnt(4)
	v_fma_f64 v[3:4], v[41:42], v[161:162], v[3:4]
	ds_load_2addr_b64 v[155:158], v13 offset0:81 offset1:82
	ds_load_2addr_b64 v[159:162], v13 offset0:83 offset1:84
	s_waitcnt lgkmcnt(1)
	v_fma_f64 v[3:4], v[43:44], v[155:156], v[3:4]
	scratch_load_b128 v[41:44], off, off offset:224
	s_waitcnt vmcnt(4)
	v_fma_f64 v[3:4], v[147:148], v[157:158], v[3:4]
	s_waitcnt lgkmcnt(0)
	s_delay_alu instid0(VALU_DEP_1)
	v_fma_f64 v[3:4], v[149:150], v[159:160], v[3:4]
	scratch_load_b128 v[147:150], off, off offset:240
	s_waitcnt vmcnt(4)
	;; [unrolled: 13-line block ×9, first 2 shown]
	v_fma_f64 v[3:4], v[147:148], v[161:162], v[3:4]
	ds_load_2addr_b64 v[155:158], v13 offset0:113 offset1:114
	ds_load_2addr_b64 v[159:162], v13 offset0:115 offset1:116
	scratch_load_b64 v[18:19], off, off offset:480
	s_waitcnt lgkmcnt(1)
	v_fma_f64 v[3:4], v[149:150], v[155:156], v[3:4]
	s_waitcnt vmcnt(4)
	s_delay_alu instid0(VALU_DEP_1) | instskip(SKIP_1) | instid1(VALU_DEP_1)
	v_fma_f64 v[3:4], v[151:152], v[157:158], v[3:4]
	s_waitcnt lgkmcnt(0)
	v_fma_f64 v[3:4], v[153:154], v[159:160], v[3:4]
	ds_load_2addr_b64 v[147:150], v13 offset0:117 offset1:118
	ds_load_2addr_b64 v[151:154], v13 offset0:119 offset1:120
	s_waitcnt vmcnt(3)
	v_fma_f64 v[3:4], v[14:15], v[161:162], v[3:4]
	s_waitcnt lgkmcnt(1)
	s_delay_alu instid0(VALU_DEP_1) | instskip(SKIP_4) | instid1(VALU_DEP_1)
	v_fma_f64 v[3:4], v[16:17], v[147:148], v[3:4]
	ds_load_2addr_b64 v[13:16], v13 offset0:121 offset1:122
	s_waitcnt vmcnt(2)
	v_fma_f64 v[3:4], v[37:38], v[149:150], v[3:4]
	s_waitcnt lgkmcnt(1)
	v_fma_f64 v[3:4], v[39:40], v[151:152], v[3:4]
	s_waitcnt vmcnt(1)
	s_delay_alu instid0(VALU_DEP_1) | instskip(SKIP_1) | instid1(VALU_DEP_1)
	v_fma_f64 v[3:4], v[41:42], v[153:154], v[3:4]
	s_waitcnt lgkmcnt(0)
	v_fma_f64 v[3:4], v[43:44], v[13:14], v[3:4]
	s_waitcnt vmcnt(0)
	s_delay_alu instid0(VALU_DEP_1) | instskip(NEXT) | instid1(VALU_DEP_1)
	v_fma_f64 v[3:4], v[18:19], v[15:16], v[3:4]
	v_add_f64 v[1:2], v[1:2], -v[3:4]
	scratch_store_b64 off, v[1:2], off offset:16
	v_cmpx_lt_u32_e32 1, v0
	s_cbranch_execz .LBB124_373
; %bb.372:
	scratch_load_b64 v[1:2], off, off offset:8
	v_mov_b32_e32 v3, 0
	s_delay_alu instid0(VALU_DEP_1)
	v_mov_b32_e32 v4, v3
	scratch_store_b64 off, v[3:4], off offset:8
	s_waitcnt vmcnt(0)
	ds_store_b64 v5, v[1:2]
.LBB124_373:
	s_or_b32 exec_lo, exec_lo, s0
	s_waitcnt lgkmcnt(0)
	s_waitcnt_vscnt null, 0x0
	s_barrier
	buffer_gl0_inv
	s_clause 0x4
	scratch_load_b128 v[1:4], off, off offset:8
	scratch_load_b128 v[14:17], off, off offset:24
	;; [unrolled: 1-line block ×5, first 2 shown]
	v_mov_b32_e32 v13, 0
	ds_load_b128 v[151:154], v13 offset:512
	ds_load_b128 v[155:158], v13 offset:528
	scratch_load_b128 v[159:162], off, off offset:88
	s_mov_b32 s0, exec_lo
	s_waitcnt vmcnt(5) lgkmcnt(1)
	v_fma_f64 v[3:4], v[3:4], v[151:152], 0
	s_waitcnt vmcnt(4)
	s_delay_alu instid0(VALU_DEP_1) | instskip(SKIP_1) | instid1(VALU_DEP_1)
	v_fma_f64 v[3:4], v[14:15], v[153:154], v[3:4]
	s_waitcnt lgkmcnt(0)
	v_fma_f64 v[3:4], v[16:17], v[155:156], v[3:4]
	scratch_load_b128 v[14:17], off, off offset:104
	s_waitcnt vmcnt(4)
	v_fma_f64 v[3:4], v[37:38], v[157:158], v[3:4]
	ds_load_b128 v[151:154], v13 offset:544
	ds_load_b128 v[155:158], v13 offset:560
	s_waitcnt lgkmcnt(1)
	v_fma_f64 v[3:4], v[39:40], v[151:152], v[3:4]
	scratch_load_b128 v[37:40], off, off offset:120
	s_waitcnt vmcnt(4)
	v_fma_f64 v[3:4], v[41:42], v[153:154], v[3:4]
	s_waitcnt lgkmcnt(0)
	s_delay_alu instid0(VALU_DEP_1)
	v_fma_f64 v[3:4], v[43:44], v[155:156], v[3:4]
	scratch_load_b128 v[41:44], off, off offset:136
	s_waitcnt vmcnt(4)
	v_fma_f64 v[3:4], v[147:148], v[157:158], v[3:4]
	ds_load_b128 v[151:154], v13 offset:576
	ds_load_b128 v[155:158], v13 offset:592
	s_waitcnt lgkmcnt(1)
	v_fma_f64 v[3:4], v[149:150], v[151:152], v[3:4]
	scratch_load_b128 v[147:150], off, off offset:152
	s_waitcnt vmcnt(4)
	v_fma_f64 v[3:4], v[159:160], v[153:154], v[3:4]
	scratch_load_b128 v[151:154], off, off offset:168
	s_waitcnt lgkmcnt(0)
	v_fma_f64 v[3:4], v[161:162], v[155:156], v[3:4]
	s_waitcnt vmcnt(4)
	s_delay_alu instid0(VALU_DEP_1)
	v_fma_f64 v[3:4], v[14:15], v[157:158], v[3:4]
	ds_load_b128 v[155:158], v13 offset:608
	ds_load_b128 v[159:162], v13 offset:624
	s_waitcnt lgkmcnt(1)
	v_fma_f64 v[3:4], v[16:17], v[155:156], v[3:4]
	scratch_load_b128 v[14:17], off, off offset:184
	s_waitcnt vmcnt(4)
	v_fma_f64 v[3:4], v[37:38], v[157:158], v[3:4]
	s_waitcnt lgkmcnt(0)
	s_delay_alu instid0(VALU_DEP_1)
	v_fma_f64 v[3:4], v[39:40], v[159:160], v[3:4]
	scratch_load_b128 v[37:40], off, off offset:200
	s_waitcnt vmcnt(4)
	v_fma_f64 v[3:4], v[41:42], v[161:162], v[3:4]
	ds_load_b128 v[155:158], v13 offset:640
	ds_load_b128 v[159:162], v13 offset:656
	s_waitcnt lgkmcnt(1)
	v_fma_f64 v[3:4], v[43:44], v[155:156], v[3:4]
	scratch_load_b128 v[41:44], off, off offset:216
	s_waitcnt vmcnt(4)
	v_fma_f64 v[3:4], v[147:148], v[157:158], v[3:4]
	s_waitcnt lgkmcnt(0)
	s_delay_alu instid0(VALU_DEP_1)
	v_fma_f64 v[3:4], v[149:150], v[159:160], v[3:4]
	scratch_load_b128 v[147:150], off, off offset:232
	s_waitcnt vmcnt(4)
	;; [unrolled: 13-line block ×9, first 2 shown]
	v_fma_f64 v[3:4], v[147:148], v[161:162], v[3:4]
	ds_load_b128 v[155:158], v13 offset:896
	ds_load_b128 v[159:162], v13 offset:912
	s_waitcnt lgkmcnt(1)
	v_fma_f64 v[3:4], v[149:150], v[155:156], v[3:4]
	scratch_load_b128 v[147:150], off, off offset:472
	s_waitcnt vmcnt(4)
	v_fma_f64 v[3:4], v[151:152], v[157:158], v[3:4]
	s_waitcnt lgkmcnt(0)
	s_delay_alu instid0(VALU_DEP_1)
	v_fma_f64 v[3:4], v[153:154], v[159:160], v[3:4]
	ds_load_b128 v[151:154], v13 offset:928
	ds_load_b128 v[155:158], v13 offset:944
	s_waitcnt vmcnt(3)
	v_fma_f64 v[3:4], v[14:15], v[161:162], v[3:4]
	s_waitcnt lgkmcnt(1)
	s_delay_alu instid0(VALU_DEP_1)
	v_fma_f64 v[3:4], v[16:17], v[151:152], v[3:4]
	ds_load_b128 v[14:17], v13 offset:960
	ds_load_b64 v[18:19], v13 offset:976
	s_waitcnt vmcnt(2)
	v_fma_f64 v[3:4], v[37:38], v[153:154], v[3:4]
	s_waitcnt lgkmcnt(2)
	s_delay_alu instid0(VALU_DEP_1) | instskip(SKIP_1) | instid1(VALU_DEP_1)
	v_fma_f64 v[3:4], v[39:40], v[155:156], v[3:4]
	s_waitcnt vmcnt(1)
	v_fma_f64 v[3:4], v[41:42], v[157:158], v[3:4]
	s_waitcnt lgkmcnt(1)
	s_delay_alu instid0(VALU_DEP_1) | instskip(SKIP_1) | instid1(VALU_DEP_1)
	v_fma_f64 v[3:4], v[43:44], v[14:15], v[3:4]
	s_waitcnt vmcnt(0)
	v_fma_f64 v[3:4], v[147:148], v[16:17], v[3:4]
	s_waitcnt lgkmcnt(0)
	s_delay_alu instid0(VALU_DEP_1) | instskip(NEXT) | instid1(VALU_DEP_1)
	v_fma_f64 v[3:4], v[149:150], v[18:19], v[3:4]
	v_add_f64 v[1:2], v[1:2], -v[3:4]
	scratch_store_b64 off, v[1:2], off offset:8
	v_cmpx_ne_u32_e32 0, v0
	s_cbranch_execz .LBB124_375
; %bb.374:
	scratch_load_b64 v[0:1], off, off
	v_mov_b32_e32 v14, v13
	scratch_store_b64 off, v[13:14], off
	s_waitcnt vmcnt(0)
	ds_store_b64 v5, v[0:1]
.LBB124_375:
	s_or_b32 exec_lo, exec_lo, s0
	s_waitcnt lgkmcnt(0)
	s_waitcnt_vscnt null, 0x0
	s_barrier
	buffer_gl0_inv
	s_clause 0x4
	scratch_load_b128 v[0:3], off, off
	scratch_load_b128 v[14:17], off, off offset:16
	scratch_load_b128 v[37:40], off, off offset:32
	;; [unrolled: 1-line block ×4, first 2 shown]
	ds_load_2addr_b64 v[151:154], v13 offset0:63 offset1:64
	ds_load_2addr_b64 v[155:158], v13 offset0:65 offset1:66
	s_and_b32 vcc_lo, exec_lo, s12
	s_waitcnt vmcnt(4) lgkmcnt(1)
	v_fma_f64 v[18:19], v[2:3], v[151:152], 0
	scratch_load_b128 v[2:5], off, off offset:80
	s_waitcnt vmcnt(4)
	v_fma_f64 v[14:15], v[14:15], v[153:154], v[18:19]
	s_waitcnt lgkmcnt(0)
	s_delay_alu instid0(VALU_DEP_1)
	v_fma_f64 v[18:19], v[16:17], v[155:156], v[14:15]
	scratch_load_b128 v[14:17], off, off offset:96
	s_waitcnt vmcnt(4)
	v_fma_f64 v[18:19], v[37:38], v[157:158], v[18:19]
	ds_load_2addr_b64 v[151:154], v13 offset0:67 offset1:68
	ds_load_2addr_b64 v[155:158], v13 offset0:69 offset1:70
	s_waitcnt lgkmcnt(1)
	v_fma_f64 v[18:19], v[39:40], v[151:152], v[18:19]
	scratch_load_b128 v[37:40], off, off offset:112
	s_waitcnt vmcnt(4)
	v_fma_f64 v[18:19], v[41:42], v[153:154], v[18:19]
	s_waitcnt lgkmcnt(0)
	s_delay_alu instid0(VALU_DEP_1)
	v_fma_f64 v[18:19], v[43:44], v[155:156], v[18:19]
	scratch_load_b128 v[41:44], off, off offset:128
	s_waitcnt vmcnt(4)
	v_fma_f64 v[18:19], v[147:148], v[157:158], v[18:19]
	ds_load_2addr_b64 v[151:154], v13 offset0:71 offset1:72
	ds_load_2addr_b64 v[155:158], v13 offset0:73 offset1:74
	s_waitcnt lgkmcnt(1)
	;; [unrolled: 13-line block ×9, first 2 shown]
	v_fma_f64 v[18:19], v[43:44], v[151:152], v[18:19]
	scratch_load_b128 v[41:44], off, off offset:368
	s_waitcnt vmcnt(4)
	v_fma_f64 v[18:19], v[147:148], v[153:154], v[18:19]
	s_waitcnt lgkmcnt(0)
	s_delay_alu instid0(VALU_DEP_1)
	v_fma_f64 v[18:19], v[149:150], v[155:156], v[18:19]
	scratch_load_b128 v[147:150], off, off offset:384
	s_waitcnt vmcnt(4)
	v_fma_f64 v[2:3], v[2:3], v[157:158], v[18:19]
	ds_load_2addr_b64 v[151:154], v13 offset0:103 offset1:104
	ds_load_2addr_b64 v[155:158], v13 offset0:105 offset1:106
	scratch_load_b128 v[159:162], off, off offset:400
	s_waitcnt lgkmcnt(1)
	v_fma_f64 v[2:3], v[4:5], v[151:152], v[2:3]
	s_waitcnt vmcnt(4)
	s_delay_alu instid0(VALU_DEP_1) | instskip(SKIP_1) | instid1(VALU_DEP_1)
	v_fma_f64 v[2:3], v[14:15], v[153:154], v[2:3]
	s_waitcnt lgkmcnt(0)
	v_fma_f64 v[2:3], v[16:17], v[155:156], v[2:3]
	scratch_load_b128 v[14:17], off, off offset:416
	s_waitcnt vmcnt(4)
	v_fma_f64 v[18:19], v[37:38], v[157:158], v[2:3]
	ds_load_2addr_b64 v[2:5], v13 offset0:107 offset1:108
	ds_load_2addr_b64 v[151:154], v13 offset0:109 offset1:110
	s_waitcnt lgkmcnt(1)
	v_fma_f64 v[2:3], v[39:40], v[2:3], v[18:19]
	scratch_load_b128 v[37:40], off, off offset:432
	s_waitcnt vmcnt(4)
	v_fma_f64 v[2:3], v[41:42], v[4:5], v[2:3]
	s_waitcnt lgkmcnt(0)
	s_delay_alu instid0(VALU_DEP_1)
	v_fma_f64 v[2:3], v[43:44], v[151:152], v[2:3]
	scratch_load_b128 v[41:44], off, off offset:448
	s_waitcnt vmcnt(4)
	v_fma_f64 v[2:3], v[147:148], v[153:154], v[2:3]
	ds_load_2addr_b64 v[151:154], v13 offset0:111 offset1:112
	ds_load_2addr_b64 v[155:158], v13 offset0:113 offset1:114
	scratch_load_b64 v[31:32], off, off offset:480
	s_waitcnt lgkmcnt(1)
	v_fma_f64 v[18:19], v[149:150], v[151:152], v[2:3]
	scratch_load_b128 v[2:5], off, off offset:464
	s_waitcnt vmcnt(5)
	v_fma_f64 v[18:19], v[159:160], v[153:154], v[18:19]
	ds_load_2addr_b64 v[147:150], v13 offset0:115 offset1:116
	ds_load_2addr_b64 v[151:154], v13 offset0:117 offset1:118
	s_waitcnt lgkmcnt(2)
	v_fma_f64 v[18:19], v[161:162], v[155:156], v[18:19]
	s_waitcnt vmcnt(4)
	s_delay_alu instid0(VALU_DEP_1) | instskip(SKIP_1) | instid1(VALU_DEP_1)
	v_fma_f64 v[14:15], v[14:15], v[157:158], v[18:19]
	s_waitcnt lgkmcnt(1)
	v_fma_f64 v[14:15], v[16:17], v[147:148], v[14:15]
	s_waitcnt vmcnt(3)
	s_delay_alu instid0(VALU_DEP_1) | instskip(SKIP_1) | instid1(VALU_DEP_1)
	v_fma_f64 v[14:15], v[37:38], v[149:150], v[14:15]
	s_waitcnt lgkmcnt(0)
	v_fma_f64 v[14:15], v[39:40], v[151:152], v[14:15]
	s_waitcnt vmcnt(2)
	s_delay_alu instid0(VALU_DEP_1)
	v_fma_f64 v[18:19], v[41:42], v[153:154], v[14:15]
	ds_load_2addr_b64 v[14:17], v13 offset0:119 offset1:120
	ds_load_2addr_b64 v[37:40], v13 offset0:121 offset1:122
	s_waitcnt lgkmcnt(1)
	v_fma_f64 v[13:14], v[43:44], v[14:15], v[18:19]
	s_waitcnt vmcnt(0)
	s_delay_alu instid0(VALU_DEP_1) | instskip(SKIP_1) | instid1(VALU_DEP_1)
	v_fma_f64 v[2:3], v[2:3], v[16:17], v[13:14]
	s_waitcnt lgkmcnt(0)
	v_fma_f64 v[2:3], v[4:5], v[37:38], v[2:3]
	s_delay_alu instid0(VALU_DEP_1) | instskip(NEXT) | instid1(VALU_DEP_1)
	v_fma_f64 v[2:3], v[31:32], v[39:40], v[2:3]
	v_add_f64 v[0:1], v[0:1], -v[2:3]
	scratch_store_b64 off, v[0:1], off
	s_cbranch_vccz .LBB124_497
; %bb.376:
	v_dual_mov_b32 v0, s2 :: v_dual_mov_b32 v1, s3
	s_mov_b32 s0, exec_lo
	flat_load_b32 v0, v[0:1] offset:236
	s_waitcnt vmcnt(0) lgkmcnt(0)
	v_cmpx_ne_u32_e32 60, v0
	s_cbranch_execz .LBB124_378
; %bb.377:
	v_lshl_add_u32 v2, v0, 3, 0
	scratch_load_b64 v[0:1], v2, off offset:-8
	s_waitcnt vmcnt(0)
	scratch_store_b64 off, v[0:1], off offset:472
	scratch_store_b64 v2, v[4:5], off offset:-8
.LBB124_378:
	s_or_b32 exec_lo, exec_lo, s0
	v_dual_mov_b32 v0, s2 :: v_dual_mov_b32 v1, s3
	s_mov_b32 s0, exec_lo
	flat_load_b32 v0, v[0:1] offset:232
	s_waitcnt vmcnt(0) lgkmcnt(0)
	v_cmpx_ne_u32_e32 59, v0
	s_cbranch_execz .LBB124_380
; %bb.379:
	v_lshl_add_u32 v4, v0, 3, 0
	scratch_load_b64 v[0:1], v4, off offset:-8
	scratch_load_b64 v[2:3], off, off offset:464
	s_waitcnt vmcnt(1)
	scratch_store_b64 off, v[0:1], off offset:464
	s_waitcnt vmcnt(0)
	scratch_store_b64 v4, v[2:3], off offset:-8
.LBB124_380:
	s_or_b32 exec_lo, exec_lo, s0
	v_dual_mov_b32 v0, s2 :: v_dual_mov_b32 v1, s3
	s_mov_b32 s0, exec_lo
	flat_load_b32 v0, v[0:1] offset:228
	s_waitcnt vmcnt(0) lgkmcnt(0)
	v_cmpx_ne_u32_e32 58, v0
	s_cbranch_execz .LBB124_382
; %bb.381:
	v_lshl_add_u32 v4, v0, 3, 0
	scratch_load_b64 v[0:1], v4, off offset:-8
	scratch_load_b64 v[2:3], off, off offset:456
	s_waitcnt vmcnt(1)
	scratch_store_b64 off, v[0:1], off offset:456
	s_waitcnt vmcnt(0)
	scratch_store_b64 v4, v[2:3], off offset:-8
.LBB124_382:
	s_or_b32 exec_lo, exec_lo, s0
	v_dual_mov_b32 v0, s2 :: v_dual_mov_b32 v1, s3
	s_mov_b32 s0, exec_lo
	flat_load_b32 v0, v[0:1] offset:224
	s_waitcnt vmcnt(0) lgkmcnt(0)
	v_cmpx_ne_u32_e32 57, v0
	s_cbranch_execz .LBB124_384
; %bb.383:
	v_lshl_add_u32 v4, v0, 3, 0
	scratch_load_b64 v[0:1], v4, off offset:-8
	scratch_load_b64 v[2:3], off, off offset:448
	s_waitcnt vmcnt(1)
	scratch_store_b64 off, v[0:1], off offset:448
	s_waitcnt vmcnt(0)
	scratch_store_b64 v4, v[2:3], off offset:-8
.LBB124_384:
	s_or_b32 exec_lo, exec_lo, s0
	v_dual_mov_b32 v0, s2 :: v_dual_mov_b32 v1, s3
	s_mov_b32 s0, exec_lo
	flat_load_b32 v0, v[0:1] offset:220
	s_waitcnt vmcnt(0) lgkmcnt(0)
	v_cmpx_ne_u32_e32 56, v0
	s_cbranch_execz .LBB124_386
; %bb.385:
	v_lshl_add_u32 v4, v0, 3, 0
	scratch_load_b64 v[0:1], v4, off offset:-8
	scratch_load_b64 v[2:3], off, off offset:440
	s_waitcnt vmcnt(1)
	scratch_store_b64 off, v[0:1], off offset:440
	s_waitcnt vmcnt(0)
	scratch_store_b64 v4, v[2:3], off offset:-8
.LBB124_386:
	s_or_b32 exec_lo, exec_lo, s0
	v_dual_mov_b32 v0, s2 :: v_dual_mov_b32 v1, s3
	s_mov_b32 s0, exec_lo
	flat_load_b32 v0, v[0:1] offset:216
	s_waitcnt vmcnt(0) lgkmcnt(0)
	v_cmpx_ne_u32_e32 55, v0
	s_cbranch_execz .LBB124_388
; %bb.387:
	v_lshl_add_u32 v4, v0, 3, 0
	scratch_load_b64 v[0:1], v4, off offset:-8
	scratch_load_b64 v[2:3], off, off offset:432
	s_waitcnt vmcnt(1)
	scratch_store_b64 off, v[0:1], off offset:432
	s_waitcnt vmcnt(0)
	scratch_store_b64 v4, v[2:3], off offset:-8
.LBB124_388:
	s_or_b32 exec_lo, exec_lo, s0
	v_dual_mov_b32 v0, s2 :: v_dual_mov_b32 v1, s3
	s_mov_b32 s0, exec_lo
	flat_load_b32 v0, v[0:1] offset:212
	s_waitcnt vmcnt(0) lgkmcnt(0)
	v_cmpx_ne_u32_e32 54, v0
	s_cbranch_execz .LBB124_390
; %bb.389:
	v_lshl_add_u32 v4, v0, 3, 0
	scratch_load_b64 v[0:1], v4, off offset:-8
	scratch_load_b64 v[2:3], off, off offset:424
	s_waitcnt vmcnt(1)
	scratch_store_b64 off, v[0:1], off offset:424
	s_waitcnt vmcnt(0)
	scratch_store_b64 v4, v[2:3], off offset:-8
.LBB124_390:
	s_or_b32 exec_lo, exec_lo, s0
	v_dual_mov_b32 v0, s2 :: v_dual_mov_b32 v1, s3
	s_mov_b32 s0, exec_lo
	flat_load_b32 v0, v[0:1] offset:208
	s_waitcnt vmcnt(0) lgkmcnt(0)
	v_cmpx_ne_u32_e32 53, v0
	s_cbranch_execz .LBB124_392
; %bb.391:
	v_lshl_add_u32 v4, v0, 3, 0
	scratch_load_b64 v[0:1], v4, off offset:-8
	scratch_load_b64 v[2:3], off, off offset:416
	s_waitcnt vmcnt(1)
	scratch_store_b64 off, v[0:1], off offset:416
	s_waitcnt vmcnt(0)
	scratch_store_b64 v4, v[2:3], off offset:-8
.LBB124_392:
	s_or_b32 exec_lo, exec_lo, s0
	v_dual_mov_b32 v0, s2 :: v_dual_mov_b32 v1, s3
	s_mov_b32 s0, exec_lo
	flat_load_b32 v0, v[0:1] offset:204
	s_waitcnt vmcnt(0) lgkmcnt(0)
	v_cmpx_ne_u32_e32 52, v0
	s_cbranch_execz .LBB124_394
; %bb.393:
	v_lshl_add_u32 v4, v0, 3, 0
	scratch_load_b64 v[0:1], v4, off offset:-8
	scratch_load_b64 v[2:3], off, off offset:408
	s_waitcnt vmcnt(1)
	scratch_store_b64 off, v[0:1], off offset:408
	s_waitcnt vmcnt(0)
	scratch_store_b64 v4, v[2:3], off offset:-8
.LBB124_394:
	s_or_b32 exec_lo, exec_lo, s0
	v_dual_mov_b32 v0, s2 :: v_dual_mov_b32 v1, s3
	s_mov_b32 s0, exec_lo
	flat_load_b32 v0, v[0:1] offset:200
	s_waitcnt vmcnt(0) lgkmcnt(0)
	v_cmpx_ne_u32_e32 51, v0
	s_cbranch_execz .LBB124_396
; %bb.395:
	v_lshl_add_u32 v4, v0, 3, 0
	scratch_load_b64 v[0:1], v4, off offset:-8
	scratch_load_b64 v[2:3], off, off offset:400
	s_waitcnt vmcnt(1)
	scratch_store_b64 off, v[0:1], off offset:400
	s_waitcnt vmcnt(0)
	scratch_store_b64 v4, v[2:3], off offset:-8
.LBB124_396:
	s_or_b32 exec_lo, exec_lo, s0
	v_dual_mov_b32 v0, s2 :: v_dual_mov_b32 v1, s3
	s_mov_b32 s0, exec_lo
	flat_load_b32 v0, v[0:1] offset:196
	s_waitcnt vmcnt(0) lgkmcnt(0)
	v_cmpx_ne_u32_e32 50, v0
	s_cbranch_execz .LBB124_398
; %bb.397:
	v_lshl_add_u32 v4, v0, 3, 0
	scratch_load_b64 v[0:1], v4, off offset:-8
	scratch_load_b64 v[2:3], off, off offset:392
	s_waitcnt vmcnt(1)
	scratch_store_b64 off, v[0:1], off offset:392
	s_waitcnt vmcnt(0)
	scratch_store_b64 v4, v[2:3], off offset:-8
.LBB124_398:
	s_or_b32 exec_lo, exec_lo, s0
	v_dual_mov_b32 v0, s2 :: v_dual_mov_b32 v1, s3
	s_mov_b32 s0, exec_lo
	flat_load_b32 v0, v[0:1] offset:192
	s_waitcnt vmcnt(0) lgkmcnt(0)
	v_cmpx_ne_u32_e32 49, v0
	s_cbranch_execz .LBB124_400
; %bb.399:
	v_lshl_add_u32 v4, v0, 3, 0
	scratch_load_b64 v[0:1], v4, off offset:-8
	scratch_load_b64 v[2:3], off, off offset:384
	s_waitcnt vmcnt(1)
	scratch_store_b64 off, v[0:1], off offset:384
	s_waitcnt vmcnt(0)
	scratch_store_b64 v4, v[2:3], off offset:-8
.LBB124_400:
	s_or_b32 exec_lo, exec_lo, s0
	v_dual_mov_b32 v0, s2 :: v_dual_mov_b32 v1, s3
	s_mov_b32 s0, exec_lo
	flat_load_b32 v0, v[0:1] offset:188
	s_waitcnt vmcnt(0) lgkmcnt(0)
	v_cmpx_ne_u32_e32 48, v0
	s_cbranch_execz .LBB124_402
; %bb.401:
	v_lshl_add_u32 v4, v0, 3, 0
	scratch_load_b64 v[0:1], v4, off offset:-8
	scratch_load_b64 v[2:3], off, off offset:376
	s_waitcnt vmcnt(1)
	scratch_store_b64 off, v[0:1], off offset:376
	s_waitcnt vmcnt(0)
	scratch_store_b64 v4, v[2:3], off offset:-8
.LBB124_402:
	s_or_b32 exec_lo, exec_lo, s0
	v_dual_mov_b32 v0, s2 :: v_dual_mov_b32 v1, s3
	s_mov_b32 s0, exec_lo
	flat_load_b32 v0, v[0:1] offset:184
	s_waitcnt vmcnt(0) lgkmcnt(0)
	v_cmpx_ne_u32_e32 47, v0
	s_cbranch_execz .LBB124_404
; %bb.403:
	v_lshl_add_u32 v4, v0, 3, 0
	scratch_load_b64 v[0:1], v4, off offset:-8
	scratch_load_b64 v[2:3], off, off offset:368
	s_waitcnt vmcnt(1)
	scratch_store_b64 off, v[0:1], off offset:368
	s_waitcnt vmcnt(0)
	scratch_store_b64 v4, v[2:3], off offset:-8
.LBB124_404:
	s_or_b32 exec_lo, exec_lo, s0
	v_dual_mov_b32 v0, s2 :: v_dual_mov_b32 v1, s3
	s_mov_b32 s0, exec_lo
	flat_load_b32 v0, v[0:1] offset:180
	s_waitcnt vmcnt(0) lgkmcnt(0)
	v_cmpx_ne_u32_e32 46, v0
	s_cbranch_execz .LBB124_406
; %bb.405:
	v_lshl_add_u32 v4, v0, 3, 0
	scratch_load_b64 v[0:1], v4, off offset:-8
	scratch_load_b64 v[2:3], off, off offset:360
	s_waitcnt vmcnt(1)
	scratch_store_b64 off, v[0:1], off offset:360
	s_waitcnt vmcnt(0)
	scratch_store_b64 v4, v[2:3], off offset:-8
.LBB124_406:
	s_or_b32 exec_lo, exec_lo, s0
	v_dual_mov_b32 v0, s2 :: v_dual_mov_b32 v1, s3
	s_mov_b32 s0, exec_lo
	flat_load_b32 v0, v[0:1] offset:176
	s_waitcnt vmcnt(0) lgkmcnt(0)
	v_cmpx_ne_u32_e32 45, v0
	s_cbranch_execz .LBB124_408
; %bb.407:
	v_lshl_add_u32 v4, v0, 3, 0
	scratch_load_b64 v[0:1], v4, off offset:-8
	scratch_load_b64 v[2:3], off, off offset:352
	s_waitcnt vmcnt(1)
	scratch_store_b64 off, v[0:1], off offset:352
	s_waitcnt vmcnt(0)
	scratch_store_b64 v4, v[2:3], off offset:-8
.LBB124_408:
	s_or_b32 exec_lo, exec_lo, s0
	v_dual_mov_b32 v0, s2 :: v_dual_mov_b32 v1, s3
	s_mov_b32 s0, exec_lo
	flat_load_b32 v0, v[0:1] offset:172
	s_waitcnt vmcnt(0) lgkmcnt(0)
	v_cmpx_ne_u32_e32 44, v0
	s_cbranch_execz .LBB124_410
; %bb.409:
	v_lshl_add_u32 v4, v0, 3, 0
	scratch_load_b64 v[0:1], v4, off offset:-8
	scratch_load_b64 v[2:3], off, off offset:344
	s_waitcnt vmcnt(1)
	scratch_store_b64 off, v[0:1], off offset:344
	s_waitcnt vmcnt(0)
	scratch_store_b64 v4, v[2:3], off offset:-8
.LBB124_410:
	s_or_b32 exec_lo, exec_lo, s0
	v_dual_mov_b32 v0, s2 :: v_dual_mov_b32 v1, s3
	s_mov_b32 s0, exec_lo
	flat_load_b32 v0, v[0:1] offset:168
	s_waitcnt vmcnt(0) lgkmcnt(0)
	v_cmpx_ne_u32_e32 43, v0
	s_cbranch_execz .LBB124_412
; %bb.411:
	v_lshl_add_u32 v4, v0, 3, 0
	scratch_load_b64 v[0:1], v4, off offset:-8
	scratch_load_b64 v[2:3], off, off offset:336
	s_waitcnt vmcnt(1)
	scratch_store_b64 off, v[0:1], off offset:336
	s_waitcnt vmcnt(0)
	scratch_store_b64 v4, v[2:3], off offset:-8
.LBB124_412:
	s_or_b32 exec_lo, exec_lo, s0
	v_dual_mov_b32 v0, s2 :: v_dual_mov_b32 v1, s3
	s_mov_b32 s0, exec_lo
	flat_load_b32 v0, v[0:1] offset:164
	s_waitcnt vmcnt(0) lgkmcnt(0)
	v_cmpx_ne_u32_e32 42, v0
	s_cbranch_execz .LBB124_414
; %bb.413:
	v_lshl_add_u32 v4, v0, 3, 0
	scratch_load_b64 v[0:1], v4, off offset:-8
	scratch_load_b64 v[2:3], off, off offset:328
	s_waitcnt vmcnt(1)
	scratch_store_b64 off, v[0:1], off offset:328
	s_waitcnt vmcnt(0)
	scratch_store_b64 v4, v[2:3], off offset:-8
.LBB124_414:
	s_or_b32 exec_lo, exec_lo, s0
	v_dual_mov_b32 v0, s2 :: v_dual_mov_b32 v1, s3
	s_mov_b32 s0, exec_lo
	flat_load_b32 v0, v[0:1] offset:160
	s_waitcnt vmcnt(0) lgkmcnt(0)
	v_cmpx_ne_u32_e32 41, v0
	s_cbranch_execz .LBB124_416
; %bb.415:
	v_lshl_add_u32 v4, v0, 3, 0
	scratch_load_b64 v[0:1], v4, off offset:-8
	scratch_load_b64 v[2:3], off, off offset:320
	s_waitcnt vmcnt(1)
	scratch_store_b64 off, v[0:1], off offset:320
	s_waitcnt vmcnt(0)
	scratch_store_b64 v4, v[2:3], off offset:-8
.LBB124_416:
	s_or_b32 exec_lo, exec_lo, s0
	v_dual_mov_b32 v0, s2 :: v_dual_mov_b32 v1, s3
	s_mov_b32 s0, exec_lo
	flat_load_b32 v0, v[0:1] offset:156
	s_waitcnt vmcnt(0) lgkmcnt(0)
	v_cmpx_ne_u32_e32 40, v0
	s_cbranch_execz .LBB124_418
; %bb.417:
	v_lshl_add_u32 v4, v0, 3, 0
	scratch_load_b64 v[0:1], v4, off offset:-8
	scratch_load_b64 v[2:3], off, off offset:312
	s_waitcnt vmcnt(1)
	scratch_store_b64 off, v[0:1], off offset:312
	s_waitcnt vmcnt(0)
	scratch_store_b64 v4, v[2:3], off offset:-8
.LBB124_418:
	s_or_b32 exec_lo, exec_lo, s0
	v_dual_mov_b32 v0, s2 :: v_dual_mov_b32 v1, s3
	s_mov_b32 s0, exec_lo
	flat_load_b32 v0, v[0:1] offset:152
	s_waitcnt vmcnt(0) lgkmcnt(0)
	v_cmpx_ne_u32_e32 39, v0
	s_cbranch_execz .LBB124_420
; %bb.419:
	v_lshl_add_u32 v4, v0, 3, 0
	scratch_load_b64 v[0:1], v4, off offset:-8
	scratch_load_b64 v[2:3], off, off offset:304
	s_waitcnt vmcnt(1)
	scratch_store_b64 off, v[0:1], off offset:304
	s_waitcnt vmcnt(0)
	scratch_store_b64 v4, v[2:3], off offset:-8
.LBB124_420:
	s_or_b32 exec_lo, exec_lo, s0
	v_dual_mov_b32 v0, s2 :: v_dual_mov_b32 v1, s3
	s_mov_b32 s0, exec_lo
	flat_load_b32 v0, v[0:1] offset:148
	s_waitcnt vmcnt(0) lgkmcnt(0)
	v_cmpx_ne_u32_e32 38, v0
	s_cbranch_execz .LBB124_422
; %bb.421:
	v_lshl_add_u32 v4, v0, 3, 0
	scratch_load_b64 v[0:1], v4, off offset:-8
	scratch_load_b64 v[2:3], off, off offset:296
	s_waitcnt vmcnt(1)
	scratch_store_b64 off, v[0:1], off offset:296
	s_waitcnt vmcnt(0)
	scratch_store_b64 v4, v[2:3], off offset:-8
.LBB124_422:
	s_or_b32 exec_lo, exec_lo, s0
	v_dual_mov_b32 v0, s2 :: v_dual_mov_b32 v1, s3
	s_mov_b32 s0, exec_lo
	flat_load_b32 v0, v[0:1] offset:144
	s_waitcnt vmcnt(0) lgkmcnt(0)
	v_cmpx_ne_u32_e32 37, v0
	s_cbranch_execz .LBB124_424
; %bb.423:
	v_lshl_add_u32 v4, v0, 3, 0
	scratch_load_b64 v[0:1], v4, off offset:-8
	scratch_load_b64 v[2:3], off, off offset:288
	s_waitcnt vmcnt(1)
	scratch_store_b64 off, v[0:1], off offset:288
	s_waitcnt vmcnt(0)
	scratch_store_b64 v4, v[2:3], off offset:-8
.LBB124_424:
	s_or_b32 exec_lo, exec_lo, s0
	v_dual_mov_b32 v0, s2 :: v_dual_mov_b32 v1, s3
	s_mov_b32 s0, exec_lo
	flat_load_b32 v0, v[0:1] offset:140
	s_waitcnt vmcnt(0) lgkmcnt(0)
	v_cmpx_ne_u32_e32 36, v0
	s_cbranch_execz .LBB124_426
; %bb.425:
	v_lshl_add_u32 v4, v0, 3, 0
	scratch_load_b64 v[0:1], v4, off offset:-8
	scratch_load_b64 v[2:3], off, off offset:280
	s_waitcnt vmcnt(1)
	scratch_store_b64 off, v[0:1], off offset:280
	s_waitcnt vmcnt(0)
	scratch_store_b64 v4, v[2:3], off offset:-8
.LBB124_426:
	s_or_b32 exec_lo, exec_lo, s0
	v_dual_mov_b32 v0, s2 :: v_dual_mov_b32 v1, s3
	s_mov_b32 s0, exec_lo
	flat_load_b32 v0, v[0:1] offset:136
	s_waitcnt vmcnt(0) lgkmcnt(0)
	v_cmpx_ne_u32_e32 35, v0
	s_cbranch_execz .LBB124_428
; %bb.427:
	v_lshl_add_u32 v4, v0, 3, 0
	scratch_load_b64 v[0:1], v4, off offset:-8
	scratch_load_b64 v[2:3], off, off offset:272
	s_waitcnt vmcnt(1)
	scratch_store_b64 off, v[0:1], off offset:272
	s_waitcnt vmcnt(0)
	scratch_store_b64 v4, v[2:3], off offset:-8
.LBB124_428:
	s_or_b32 exec_lo, exec_lo, s0
	v_dual_mov_b32 v0, s2 :: v_dual_mov_b32 v1, s3
	s_mov_b32 s0, exec_lo
	flat_load_b32 v0, v[0:1] offset:132
	s_waitcnt vmcnt(0) lgkmcnt(0)
	v_cmpx_ne_u32_e32 34, v0
	s_cbranch_execz .LBB124_430
; %bb.429:
	v_lshl_add_u32 v4, v0, 3, 0
	scratch_load_b64 v[0:1], v4, off offset:-8
	scratch_load_b64 v[2:3], off, off offset:264
	s_waitcnt vmcnt(1)
	scratch_store_b64 off, v[0:1], off offset:264
	s_waitcnt vmcnt(0)
	scratch_store_b64 v4, v[2:3], off offset:-8
.LBB124_430:
	s_or_b32 exec_lo, exec_lo, s0
	v_dual_mov_b32 v0, s2 :: v_dual_mov_b32 v1, s3
	s_mov_b32 s0, exec_lo
	flat_load_b32 v0, v[0:1] offset:128
	s_waitcnt vmcnt(0) lgkmcnt(0)
	v_cmpx_ne_u32_e32 33, v0
	s_cbranch_execz .LBB124_432
; %bb.431:
	v_lshl_add_u32 v4, v0, 3, 0
	scratch_load_b64 v[0:1], v4, off offset:-8
	scratch_load_b64 v[2:3], off, off offset:256
	s_waitcnt vmcnt(1)
	scratch_store_b64 off, v[0:1], off offset:256
	s_waitcnt vmcnt(0)
	scratch_store_b64 v4, v[2:3], off offset:-8
.LBB124_432:
	s_or_b32 exec_lo, exec_lo, s0
	v_dual_mov_b32 v0, s2 :: v_dual_mov_b32 v1, s3
	s_mov_b32 s0, exec_lo
	flat_load_b32 v0, v[0:1] offset:124
	s_waitcnt vmcnt(0) lgkmcnt(0)
	v_cmpx_ne_u32_e32 32, v0
	s_cbranch_execz .LBB124_434
; %bb.433:
	v_lshl_add_u32 v4, v0, 3, 0
	scratch_load_b64 v[0:1], v4, off offset:-8
	scratch_load_b64 v[2:3], off, off offset:248
	s_waitcnt vmcnt(1)
	scratch_store_b64 off, v[0:1], off offset:248
	s_waitcnt vmcnt(0)
	scratch_store_b64 v4, v[2:3], off offset:-8
.LBB124_434:
	s_or_b32 exec_lo, exec_lo, s0
	v_dual_mov_b32 v0, s2 :: v_dual_mov_b32 v1, s3
	s_mov_b32 s0, exec_lo
	flat_load_b32 v0, v[0:1] offset:120
	s_waitcnt vmcnt(0) lgkmcnt(0)
	v_cmpx_ne_u32_e32 31, v0
	s_cbranch_execz .LBB124_436
; %bb.435:
	v_lshl_add_u32 v4, v0, 3, 0
	scratch_load_b64 v[0:1], v4, off offset:-8
	scratch_load_b64 v[2:3], off, off offset:240
	s_waitcnt vmcnt(1)
	scratch_store_b64 off, v[0:1], off offset:240
	s_waitcnt vmcnt(0)
	scratch_store_b64 v4, v[2:3], off offset:-8
.LBB124_436:
	s_or_b32 exec_lo, exec_lo, s0
	v_dual_mov_b32 v0, s2 :: v_dual_mov_b32 v1, s3
	s_mov_b32 s0, exec_lo
	flat_load_b32 v0, v[0:1] offset:116
	s_waitcnt vmcnt(0) lgkmcnt(0)
	v_cmpx_ne_u32_e32 30, v0
	s_cbranch_execz .LBB124_438
; %bb.437:
	v_lshl_add_u32 v4, v0, 3, 0
	scratch_load_b64 v[0:1], v4, off offset:-8
	scratch_load_b64 v[2:3], off, off offset:232
	s_waitcnt vmcnt(1)
	scratch_store_b64 off, v[0:1], off offset:232
	s_waitcnt vmcnt(0)
	scratch_store_b64 v4, v[2:3], off offset:-8
.LBB124_438:
	s_or_b32 exec_lo, exec_lo, s0
	v_dual_mov_b32 v0, s2 :: v_dual_mov_b32 v1, s3
	s_mov_b32 s0, exec_lo
	flat_load_b32 v0, v[0:1] offset:112
	s_waitcnt vmcnt(0) lgkmcnt(0)
	v_cmpx_ne_u32_e32 29, v0
	s_cbranch_execz .LBB124_440
; %bb.439:
	v_lshl_add_u32 v4, v0, 3, 0
	scratch_load_b64 v[0:1], v4, off offset:-8
	scratch_load_b64 v[2:3], off, off offset:224
	s_waitcnt vmcnt(1)
	scratch_store_b64 off, v[0:1], off offset:224
	s_waitcnt vmcnt(0)
	scratch_store_b64 v4, v[2:3], off offset:-8
.LBB124_440:
	s_or_b32 exec_lo, exec_lo, s0
	v_dual_mov_b32 v0, s2 :: v_dual_mov_b32 v1, s3
	s_mov_b32 s0, exec_lo
	flat_load_b32 v0, v[0:1] offset:108
	s_waitcnt vmcnt(0) lgkmcnt(0)
	v_cmpx_ne_u32_e32 28, v0
	s_cbranch_execz .LBB124_442
; %bb.441:
	v_lshl_add_u32 v4, v0, 3, 0
	scratch_load_b64 v[0:1], v4, off offset:-8
	scratch_load_b64 v[2:3], off, off offset:216
	s_waitcnt vmcnt(1)
	scratch_store_b64 off, v[0:1], off offset:216
	s_waitcnt vmcnt(0)
	scratch_store_b64 v4, v[2:3], off offset:-8
.LBB124_442:
	s_or_b32 exec_lo, exec_lo, s0
	v_dual_mov_b32 v0, s2 :: v_dual_mov_b32 v1, s3
	s_mov_b32 s0, exec_lo
	flat_load_b32 v0, v[0:1] offset:104
	s_waitcnt vmcnt(0) lgkmcnt(0)
	v_cmpx_ne_u32_e32 27, v0
	s_cbranch_execz .LBB124_444
; %bb.443:
	v_lshl_add_u32 v4, v0, 3, 0
	scratch_load_b64 v[0:1], v4, off offset:-8
	scratch_load_b64 v[2:3], off, off offset:208
	s_waitcnt vmcnt(1)
	scratch_store_b64 off, v[0:1], off offset:208
	s_waitcnt vmcnt(0)
	scratch_store_b64 v4, v[2:3], off offset:-8
.LBB124_444:
	s_or_b32 exec_lo, exec_lo, s0
	v_dual_mov_b32 v0, s2 :: v_dual_mov_b32 v1, s3
	s_mov_b32 s0, exec_lo
	flat_load_b32 v0, v[0:1] offset:100
	s_waitcnt vmcnt(0) lgkmcnt(0)
	v_cmpx_ne_u32_e32 26, v0
	s_cbranch_execz .LBB124_446
; %bb.445:
	v_lshl_add_u32 v4, v0, 3, 0
	scratch_load_b64 v[0:1], v4, off offset:-8
	scratch_load_b64 v[2:3], off, off offset:200
	s_waitcnt vmcnt(1)
	scratch_store_b64 off, v[0:1], off offset:200
	s_waitcnt vmcnt(0)
	scratch_store_b64 v4, v[2:3], off offset:-8
.LBB124_446:
	s_or_b32 exec_lo, exec_lo, s0
	v_dual_mov_b32 v0, s2 :: v_dual_mov_b32 v1, s3
	s_mov_b32 s0, exec_lo
	flat_load_b32 v0, v[0:1] offset:96
	s_waitcnt vmcnt(0) lgkmcnt(0)
	v_cmpx_ne_u32_e32 25, v0
	s_cbranch_execz .LBB124_448
; %bb.447:
	v_lshl_add_u32 v4, v0, 3, 0
	scratch_load_b64 v[0:1], v4, off offset:-8
	scratch_load_b64 v[2:3], off, off offset:192
	s_waitcnt vmcnt(1)
	scratch_store_b64 off, v[0:1], off offset:192
	s_waitcnt vmcnt(0)
	scratch_store_b64 v4, v[2:3], off offset:-8
.LBB124_448:
	s_or_b32 exec_lo, exec_lo, s0
	v_dual_mov_b32 v0, s2 :: v_dual_mov_b32 v1, s3
	s_mov_b32 s0, exec_lo
	flat_load_b32 v0, v[0:1] offset:92
	s_waitcnt vmcnt(0) lgkmcnt(0)
	v_cmpx_ne_u32_e32 24, v0
	s_cbranch_execz .LBB124_450
; %bb.449:
	v_lshl_add_u32 v4, v0, 3, 0
	scratch_load_b64 v[0:1], v4, off offset:-8
	scratch_load_b64 v[2:3], off, off offset:184
	s_waitcnt vmcnt(1)
	scratch_store_b64 off, v[0:1], off offset:184
	s_waitcnt vmcnt(0)
	scratch_store_b64 v4, v[2:3], off offset:-8
.LBB124_450:
	s_or_b32 exec_lo, exec_lo, s0
	v_dual_mov_b32 v0, s2 :: v_dual_mov_b32 v1, s3
	s_mov_b32 s0, exec_lo
	flat_load_b32 v0, v[0:1] offset:88
	s_waitcnt vmcnt(0) lgkmcnt(0)
	v_cmpx_ne_u32_e32 23, v0
	s_cbranch_execz .LBB124_452
; %bb.451:
	v_lshl_add_u32 v4, v0, 3, 0
	scratch_load_b64 v[0:1], v4, off offset:-8
	scratch_load_b64 v[2:3], off, off offset:176
	s_waitcnt vmcnt(1)
	scratch_store_b64 off, v[0:1], off offset:176
	s_waitcnt vmcnt(0)
	scratch_store_b64 v4, v[2:3], off offset:-8
.LBB124_452:
	s_or_b32 exec_lo, exec_lo, s0
	v_dual_mov_b32 v0, s2 :: v_dual_mov_b32 v1, s3
	s_mov_b32 s0, exec_lo
	flat_load_b32 v0, v[0:1] offset:84
	s_waitcnt vmcnt(0) lgkmcnt(0)
	v_cmpx_ne_u32_e32 22, v0
	s_cbranch_execz .LBB124_454
; %bb.453:
	v_lshl_add_u32 v4, v0, 3, 0
	scratch_load_b64 v[0:1], v4, off offset:-8
	scratch_load_b64 v[2:3], off, off offset:168
	s_waitcnt vmcnt(1)
	scratch_store_b64 off, v[0:1], off offset:168
	s_waitcnt vmcnt(0)
	scratch_store_b64 v4, v[2:3], off offset:-8
.LBB124_454:
	s_or_b32 exec_lo, exec_lo, s0
	v_dual_mov_b32 v0, s2 :: v_dual_mov_b32 v1, s3
	s_mov_b32 s0, exec_lo
	flat_load_b32 v0, v[0:1] offset:80
	s_waitcnt vmcnt(0) lgkmcnt(0)
	v_cmpx_ne_u32_e32 21, v0
	s_cbranch_execz .LBB124_456
; %bb.455:
	v_lshl_add_u32 v4, v0, 3, 0
	scratch_load_b64 v[0:1], v4, off offset:-8
	scratch_load_b64 v[2:3], off, off offset:160
	s_waitcnt vmcnt(1)
	scratch_store_b64 off, v[0:1], off offset:160
	s_waitcnt vmcnt(0)
	scratch_store_b64 v4, v[2:3], off offset:-8
.LBB124_456:
	s_or_b32 exec_lo, exec_lo, s0
	v_dual_mov_b32 v0, s2 :: v_dual_mov_b32 v1, s3
	s_mov_b32 s0, exec_lo
	flat_load_b32 v0, v[0:1] offset:76
	s_waitcnt vmcnt(0) lgkmcnt(0)
	v_cmpx_ne_u32_e32 20, v0
	s_cbranch_execz .LBB124_458
; %bb.457:
	v_lshl_add_u32 v4, v0, 3, 0
	scratch_load_b64 v[0:1], v4, off offset:-8
	scratch_load_b64 v[2:3], off, off offset:152
	s_waitcnt vmcnt(1)
	scratch_store_b64 off, v[0:1], off offset:152
	s_waitcnt vmcnt(0)
	scratch_store_b64 v4, v[2:3], off offset:-8
.LBB124_458:
	s_or_b32 exec_lo, exec_lo, s0
	v_dual_mov_b32 v0, s2 :: v_dual_mov_b32 v1, s3
	s_mov_b32 s0, exec_lo
	flat_load_b32 v0, v[0:1] offset:72
	s_waitcnt vmcnt(0) lgkmcnt(0)
	v_cmpx_ne_u32_e32 19, v0
	s_cbranch_execz .LBB124_460
; %bb.459:
	v_lshl_add_u32 v4, v0, 3, 0
	scratch_load_b64 v[0:1], v4, off offset:-8
	scratch_load_b64 v[2:3], off, off offset:144
	s_waitcnt vmcnt(1)
	scratch_store_b64 off, v[0:1], off offset:144
	s_waitcnt vmcnt(0)
	scratch_store_b64 v4, v[2:3], off offset:-8
.LBB124_460:
	s_or_b32 exec_lo, exec_lo, s0
	v_dual_mov_b32 v0, s2 :: v_dual_mov_b32 v1, s3
	s_mov_b32 s0, exec_lo
	flat_load_b32 v0, v[0:1] offset:68
	s_waitcnt vmcnt(0) lgkmcnt(0)
	v_cmpx_ne_u32_e32 18, v0
	s_cbranch_execz .LBB124_462
; %bb.461:
	v_lshl_add_u32 v4, v0, 3, 0
	scratch_load_b64 v[0:1], v4, off offset:-8
	scratch_load_b64 v[2:3], off, off offset:136
	s_waitcnt vmcnt(1)
	scratch_store_b64 off, v[0:1], off offset:136
	s_waitcnt vmcnt(0)
	scratch_store_b64 v4, v[2:3], off offset:-8
.LBB124_462:
	s_or_b32 exec_lo, exec_lo, s0
	v_dual_mov_b32 v0, s2 :: v_dual_mov_b32 v1, s3
	s_mov_b32 s0, exec_lo
	flat_load_b32 v0, v[0:1] offset:64
	s_waitcnt vmcnt(0) lgkmcnt(0)
	v_cmpx_ne_u32_e32 17, v0
	s_cbranch_execz .LBB124_464
; %bb.463:
	v_lshl_add_u32 v4, v0, 3, 0
	scratch_load_b64 v[0:1], v4, off offset:-8
	scratch_load_b64 v[2:3], off, off offset:128
	s_waitcnt vmcnt(1)
	scratch_store_b64 off, v[0:1], off offset:128
	s_waitcnt vmcnt(0)
	scratch_store_b64 v4, v[2:3], off offset:-8
.LBB124_464:
	s_or_b32 exec_lo, exec_lo, s0
	v_dual_mov_b32 v0, s2 :: v_dual_mov_b32 v1, s3
	s_mov_b32 s0, exec_lo
	flat_load_b32 v0, v[0:1] offset:60
	s_waitcnt vmcnt(0) lgkmcnt(0)
	v_cmpx_ne_u32_e32 16, v0
	s_cbranch_execz .LBB124_466
; %bb.465:
	v_lshl_add_u32 v4, v0, 3, 0
	scratch_load_b64 v[0:1], v4, off offset:-8
	scratch_load_b64 v[2:3], off, off offset:120
	s_waitcnt vmcnt(1)
	scratch_store_b64 off, v[0:1], off offset:120
	s_waitcnt vmcnt(0)
	scratch_store_b64 v4, v[2:3], off offset:-8
.LBB124_466:
	s_or_b32 exec_lo, exec_lo, s0
	v_dual_mov_b32 v0, s2 :: v_dual_mov_b32 v1, s3
	s_mov_b32 s0, exec_lo
	flat_load_b32 v0, v[0:1] offset:56
	s_waitcnt vmcnt(0) lgkmcnt(0)
	v_cmpx_ne_u32_e32 15, v0
	s_cbranch_execz .LBB124_468
; %bb.467:
	v_lshl_add_u32 v4, v0, 3, 0
	scratch_load_b64 v[0:1], v4, off offset:-8
	scratch_load_b64 v[2:3], off, off offset:112
	s_waitcnt vmcnt(1)
	scratch_store_b64 off, v[0:1], off offset:112
	s_waitcnt vmcnt(0)
	scratch_store_b64 v4, v[2:3], off offset:-8
.LBB124_468:
	s_or_b32 exec_lo, exec_lo, s0
	v_dual_mov_b32 v0, s2 :: v_dual_mov_b32 v1, s3
	s_mov_b32 s0, exec_lo
	flat_load_b32 v0, v[0:1] offset:52
	s_waitcnt vmcnt(0) lgkmcnt(0)
	v_cmpx_ne_u32_e32 14, v0
	s_cbranch_execz .LBB124_470
; %bb.469:
	v_lshl_add_u32 v4, v0, 3, 0
	scratch_load_b64 v[0:1], v4, off offset:-8
	scratch_load_b64 v[2:3], off, off offset:104
	s_waitcnt vmcnt(1)
	scratch_store_b64 off, v[0:1], off offset:104
	s_waitcnt vmcnt(0)
	scratch_store_b64 v4, v[2:3], off offset:-8
.LBB124_470:
	s_or_b32 exec_lo, exec_lo, s0
	v_dual_mov_b32 v0, s2 :: v_dual_mov_b32 v1, s3
	s_mov_b32 s0, exec_lo
	flat_load_b32 v0, v[0:1] offset:48
	s_waitcnt vmcnt(0) lgkmcnt(0)
	v_cmpx_ne_u32_e32 13, v0
	s_cbranch_execz .LBB124_472
; %bb.471:
	v_lshl_add_u32 v4, v0, 3, 0
	scratch_load_b64 v[0:1], v4, off offset:-8
	scratch_load_b64 v[2:3], off, off offset:96
	s_waitcnt vmcnt(1)
	scratch_store_b64 off, v[0:1], off offset:96
	s_waitcnt vmcnt(0)
	scratch_store_b64 v4, v[2:3], off offset:-8
.LBB124_472:
	s_or_b32 exec_lo, exec_lo, s0
	v_dual_mov_b32 v0, s2 :: v_dual_mov_b32 v1, s3
	s_mov_b32 s0, exec_lo
	flat_load_b32 v0, v[0:1] offset:44
	s_waitcnt vmcnt(0) lgkmcnt(0)
	v_cmpx_ne_u32_e32 12, v0
	s_cbranch_execz .LBB124_474
; %bb.473:
	v_lshl_add_u32 v4, v0, 3, 0
	scratch_load_b64 v[0:1], v4, off offset:-8
	scratch_load_b64 v[2:3], off, off offset:88
	s_waitcnt vmcnt(1)
	scratch_store_b64 off, v[0:1], off offset:88
	s_waitcnt vmcnt(0)
	scratch_store_b64 v4, v[2:3], off offset:-8
.LBB124_474:
	s_or_b32 exec_lo, exec_lo, s0
	v_dual_mov_b32 v0, s2 :: v_dual_mov_b32 v1, s3
	s_mov_b32 s0, exec_lo
	flat_load_b32 v0, v[0:1] offset:40
	s_waitcnt vmcnt(0) lgkmcnt(0)
	v_cmpx_ne_u32_e32 11, v0
	s_cbranch_execz .LBB124_476
; %bb.475:
	v_lshl_add_u32 v4, v0, 3, 0
	scratch_load_b64 v[0:1], v4, off offset:-8
	scratch_load_b64 v[2:3], off, off offset:80
	s_waitcnt vmcnt(1)
	scratch_store_b64 off, v[0:1], off offset:80
	s_waitcnt vmcnt(0)
	scratch_store_b64 v4, v[2:3], off offset:-8
.LBB124_476:
	s_or_b32 exec_lo, exec_lo, s0
	v_dual_mov_b32 v0, s2 :: v_dual_mov_b32 v1, s3
	s_mov_b32 s0, exec_lo
	flat_load_b32 v0, v[0:1] offset:36
	s_waitcnt vmcnt(0) lgkmcnt(0)
	v_cmpx_ne_u32_e32 10, v0
	s_cbranch_execz .LBB124_478
; %bb.477:
	v_lshl_add_u32 v4, v0, 3, 0
	scratch_load_b64 v[0:1], v4, off offset:-8
	scratch_load_b64 v[2:3], off, off offset:72
	s_waitcnt vmcnt(1)
	scratch_store_b64 off, v[0:1], off offset:72
	s_waitcnt vmcnt(0)
	scratch_store_b64 v4, v[2:3], off offset:-8
.LBB124_478:
	s_or_b32 exec_lo, exec_lo, s0
	v_dual_mov_b32 v0, s2 :: v_dual_mov_b32 v1, s3
	s_mov_b32 s0, exec_lo
	flat_load_b32 v0, v[0:1] offset:32
	s_waitcnt vmcnt(0) lgkmcnt(0)
	v_cmpx_ne_u32_e32 9, v0
	s_cbranch_execz .LBB124_480
; %bb.479:
	v_lshl_add_u32 v4, v0, 3, 0
	scratch_load_b64 v[0:1], v4, off offset:-8
	scratch_load_b64 v[2:3], off, off offset:64
	s_waitcnt vmcnt(1)
	scratch_store_b64 off, v[0:1], off offset:64
	s_waitcnt vmcnt(0)
	scratch_store_b64 v4, v[2:3], off offset:-8
.LBB124_480:
	s_or_b32 exec_lo, exec_lo, s0
	v_dual_mov_b32 v0, s2 :: v_dual_mov_b32 v1, s3
	s_mov_b32 s0, exec_lo
	flat_load_b32 v0, v[0:1] offset:28
	s_waitcnt vmcnt(0) lgkmcnt(0)
	v_cmpx_ne_u32_e32 8, v0
	s_cbranch_execz .LBB124_482
; %bb.481:
	v_lshl_add_u32 v4, v0, 3, 0
	scratch_load_b64 v[0:1], v4, off offset:-8
	scratch_load_b64 v[2:3], off, off offset:56
	s_waitcnt vmcnt(1)
	scratch_store_b64 off, v[0:1], off offset:56
	s_waitcnt vmcnt(0)
	scratch_store_b64 v4, v[2:3], off offset:-8
.LBB124_482:
	s_or_b32 exec_lo, exec_lo, s0
	v_dual_mov_b32 v0, s2 :: v_dual_mov_b32 v1, s3
	s_mov_b32 s0, exec_lo
	flat_load_b32 v0, v[0:1] offset:24
	s_waitcnt vmcnt(0) lgkmcnt(0)
	v_cmpx_ne_u32_e32 7, v0
	s_cbranch_execz .LBB124_484
; %bb.483:
	v_lshl_add_u32 v4, v0, 3, 0
	scratch_load_b64 v[0:1], v4, off offset:-8
	scratch_load_b64 v[2:3], off, off offset:48
	s_waitcnt vmcnt(1)
	scratch_store_b64 off, v[0:1], off offset:48
	s_waitcnt vmcnt(0)
	scratch_store_b64 v4, v[2:3], off offset:-8
.LBB124_484:
	s_or_b32 exec_lo, exec_lo, s0
	v_dual_mov_b32 v0, s2 :: v_dual_mov_b32 v1, s3
	s_mov_b32 s0, exec_lo
	flat_load_b32 v0, v[0:1] offset:20
	s_waitcnt vmcnt(0) lgkmcnt(0)
	v_cmpx_ne_u32_e32 6, v0
	s_cbranch_execz .LBB124_486
; %bb.485:
	v_lshl_add_u32 v4, v0, 3, 0
	scratch_load_b64 v[0:1], v4, off offset:-8
	scratch_load_b64 v[2:3], off, off offset:40
	s_waitcnt vmcnt(1)
	scratch_store_b64 off, v[0:1], off offset:40
	s_waitcnt vmcnt(0)
	scratch_store_b64 v4, v[2:3], off offset:-8
.LBB124_486:
	s_or_b32 exec_lo, exec_lo, s0
	v_dual_mov_b32 v0, s2 :: v_dual_mov_b32 v1, s3
	s_mov_b32 s0, exec_lo
	flat_load_b32 v0, v[0:1] offset:16
	s_waitcnt vmcnt(0) lgkmcnt(0)
	v_cmpx_ne_u32_e32 5, v0
	s_cbranch_execz .LBB124_488
; %bb.487:
	v_lshl_add_u32 v4, v0, 3, 0
	scratch_load_b64 v[0:1], v4, off offset:-8
	scratch_load_b64 v[2:3], off, off offset:32
	s_waitcnt vmcnt(1)
	scratch_store_b64 off, v[0:1], off offset:32
	s_waitcnt vmcnt(0)
	scratch_store_b64 v4, v[2:3], off offset:-8
.LBB124_488:
	s_or_b32 exec_lo, exec_lo, s0
	v_dual_mov_b32 v0, s2 :: v_dual_mov_b32 v1, s3
	s_mov_b32 s0, exec_lo
	flat_load_b32 v0, v[0:1] offset:12
	s_waitcnt vmcnt(0) lgkmcnt(0)
	v_cmpx_ne_u32_e32 4, v0
	s_cbranch_execz .LBB124_490
; %bb.489:
	v_lshl_add_u32 v4, v0, 3, 0
	scratch_load_b64 v[0:1], v4, off offset:-8
	scratch_load_b64 v[2:3], off, off offset:24
	s_waitcnt vmcnt(1)
	scratch_store_b64 off, v[0:1], off offset:24
	s_waitcnt vmcnt(0)
	scratch_store_b64 v4, v[2:3], off offset:-8
.LBB124_490:
	s_or_b32 exec_lo, exec_lo, s0
	v_dual_mov_b32 v0, s2 :: v_dual_mov_b32 v1, s3
	s_mov_b32 s0, exec_lo
	flat_load_b32 v0, v[0:1] offset:8
	s_waitcnt vmcnt(0) lgkmcnt(0)
	v_cmpx_ne_u32_e32 3, v0
	s_cbranch_execz .LBB124_492
; %bb.491:
	v_lshl_add_u32 v4, v0, 3, 0
	scratch_load_b64 v[0:1], v4, off offset:-8
	scratch_load_b64 v[2:3], off, off offset:16
	s_waitcnt vmcnt(1)
	scratch_store_b64 off, v[0:1], off offset:16
	s_waitcnt vmcnt(0)
	scratch_store_b64 v4, v[2:3], off offset:-8
.LBB124_492:
	s_or_b32 exec_lo, exec_lo, s0
	v_dual_mov_b32 v0, s2 :: v_dual_mov_b32 v1, s3
	s_mov_b32 s0, exec_lo
	flat_load_b32 v0, v[0:1] offset:4
	s_waitcnt vmcnt(0) lgkmcnt(0)
	v_cmpx_ne_u32_e32 2, v0
	s_cbranch_execz .LBB124_494
; %bb.493:
	v_lshl_add_u32 v4, v0, 3, 0
	scratch_load_b64 v[0:1], v4, off offset:-8
	scratch_load_b64 v[2:3], off, off offset:8
	s_waitcnt vmcnt(1)
	scratch_store_b64 off, v[0:1], off offset:8
	s_waitcnt vmcnt(0)
	scratch_store_b64 v4, v[2:3], off offset:-8
.LBB124_494:
	s_or_b32 exec_lo, exec_lo, s0
	v_dual_mov_b32 v0, s2 :: v_dual_mov_b32 v1, s3
	s_mov_b32 s0, exec_lo
	flat_load_b32 v2, v[0:1]
	scratch_load_b64 v[0:1], off, off
	s_waitcnt vmcnt(1) lgkmcnt(0)
	v_cmpx_ne_u32_e32 1, v2
	s_cbranch_execz .LBB124_496
; %bb.495:
	v_lshl_add_u32 v4, v2, 3, 0
	scratch_load_b64 v[2:3], v4, off offset:-8
	s_waitcnt vmcnt(0)
	scratch_store_b64 off, v[2:3], off
	scratch_store_b64 v4, v[0:1], off offset:-8
	scratch_load_b64 v[0:1], off, off
.LBB124_496:
	s_or_b32 exec_lo, exec_lo, s0
.LBB124_497:
	s_clause 0x9
	scratch_load_b128 v[2:5], off, off offset:8
	scratch_load_b128 v[13:16], off, off offset:24
	scratch_load_b128 v[17:20], off, off offset:40
	scratch_load_b128 v[37:40], off, off offset:56
	scratch_load_b128 v[41:44], off, off offset:72
	scratch_load_b128 v[147:150], off, off offset:88
	scratch_load_b128 v[151:154], off, off offset:104
	scratch_load_b128 v[155:158], off, off offset:120
	scratch_load_b128 v[159:162], off, off offset:136
	scratch_load_b128 v[163:166], off, off offset:152
	s_waitcnt vmcnt(10)
	global_store_b64 v[45:46], v[0:1], off
	s_waitcnt vmcnt(9)
	global_store_b64 v[47:48], v[2:3], off
	s_clause 0x1
	scratch_load_b128 v[0:3], off, off offset:168
	scratch_load_b128 v[45:48], off, off offset:184
	global_store_b64 v[49:50], v[4:5], off
	s_waitcnt vmcnt(10)
	global_store_b64 v[51:52], v[13:14], off
	scratch_load_b128 v[49:52], off, off offset:200
	global_store_b64 v[53:54], v[15:16], off
	scratch_load_b128 v[13:16], off, off offset:216
	s_waitcnt vmcnt(11)
	global_store_b64 v[55:56], v[17:18], off
	scratch_load_b128 v[53:56], off, off offset:232
	global_store_b64 v[57:58], v[19:20], off
	scratch_load_b128 v[17:20], off, off offset:248
	;; [unrolled: 5-line block ×6, first 2 shown]
	s_waitcnt vmcnt(16)
	global_store_b64 v[75:76], v[155:156], off
	scratch_load_b128 v[73:76], off, off offset:392
	global_store_b64 v[93:94], v[157:158], off
	s_clause 0x1
	scratch_load_b128 v[155:158], off, off offset:408
	scratch_load_b128 v[167:170], off, off offset:424
	s_waitcnt vmcnt(18)
	s_clause 0x1
	global_store_b64 v[89:90], v[159:160], off
	global_store_b64 v[87:88], v[161:162], off
	s_clause 0x1
	scratch_load_b128 v[87:90], off, off offset:440
	scratch_load_b128 v[159:162], off, off offset:456
	s_waitcnt vmcnt(19)
	s_clause 0x1
	global_store_b64 v[83:84], v[163:164], off
	global_store_b64 v[79:80], v[165:166], off
	scratch_load_b128 v[163:166], off, off offset:472
	s_waitcnt vmcnt(19)
	s_clause 0x1
	global_store_b64 v[77:78], v[0:1], off
	global_store_b64 v[81:82], v[2:3], off
	s_waitcnt vmcnt(18)
	s_clause 0x1
	global_store_b64 v[85:86], v[45:46], off
	global_store_b64 v[91:92], v[47:48], off
	;; [unrolled: 4-line block ×20, first 2 shown]
	s_endpgm
	.section	.rodata,"a",@progbits
	.p2align	6, 0x0
	.amdhsa_kernel _ZN9rocsolver6v33100L18getri_kernel_smallILi61EdPKPdEEvT1_iilPiilS6_bb
		.amdhsa_group_segment_fixed_size 984
		.amdhsa_private_segment_fixed_size 496
		.amdhsa_kernarg_size 60
		.amdhsa_user_sgpr_count 15
		.amdhsa_user_sgpr_dispatch_ptr 0
		.amdhsa_user_sgpr_queue_ptr 0
		.amdhsa_user_sgpr_kernarg_segment_ptr 1
		.amdhsa_user_sgpr_dispatch_id 0
		.amdhsa_user_sgpr_private_segment_size 0
		.amdhsa_wavefront_size32 1
		.amdhsa_uses_dynamic_stack 0
		.amdhsa_enable_private_segment 1
		.amdhsa_system_sgpr_workgroup_id_x 1
		.amdhsa_system_sgpr_workgroup_id_y 0
		.amdhsa_system_sgpr_workgroup_id_z 0
		.amdhsa_system_sgpr_workgroup_info 0
		.amdhsa_system_vgpr_workitem_id 0
		.amdhsa_next_free_vgpr 171
		.amdhsa_next_free_sgpr 17
		.amdhsa_reserve_vcc 1
		.amdhsa_float_round_mode_32 0
		.amdhsa_float_round_mode_16_64 0
		.amdhsa_float_denorm_mode_32 3
		.amdhsa_float_denorm_mode_16_64 3
		.amdhsa_dx10_clamp 1
		.amdhsa_ieee_mode 1
		.amdhsa_fp16_overflow 0
		.amdhsa_workgroup_processor_mode 1
		.amdhsa_memory_ordered 1
		.amdhsa_forward_progress 0
		.amdhsa_shared_vgpr_count 0
		.amdhsa_exception_fp_ieee_invalid_op 0
		.amdhsa_exception_fp_denorm_src 0
		.amdhsa_exception_fp_ieee_div_zero 0
		.amdhsa_exception_fp_ieee_overflow 0
		.amdhsa_exception_fp_ieee_underflow 0
		.amdhsa_exception_fp_ieee_inexact 0
		.amdhsa_exception_int_div_zero 0
	.end_amdhsa_kernel
	.section	.text._ZN9rocsolver6v33100L18getri_kernel_smallILi61EdPKPdEEvT1_iilPiilS6_bb,"axG",@progbits,_ZN9rocsolver6v33100L18getri_kernel_smallILi61EdPKPdEEvT1_iilPiilS6_bb,comdat
.Lfunc_end124:
	.size	_ZN9rocsolver6v33100L18getri_kernel_smallILi61EdPKPdEEvT1_iilPiilS6_bb, .Lfunc_end124-_ZN9rocsolver6v33100L18getri_kernel_smallILi61EdPKPdEEvT1_iilPiilS6_bb
                                        ; -- End function
	.section	.AMDGPU.csdata,"",@progbits
; Kernel info:
; codeLenInByte = 65808
; NumSgprs: 19
; NumVgprs: 171
; ScratchSize: 496
; MemoryBound: 0
; FloatMode: 240
; IeeeMode: 1
; LDSByteSize: 984 bytes/workgroup (compile time only)
; SGPRBlocks: 2
; VGPRBlocks: 21
; NumSGPRsForWavesPerEU: 19
; NumVGPRsForWavesPerEU: 171
; Occupancy: 8
; WaveLimiterHint : 1
; COMPUTE_PGM_RSRC2:SCRATCH_EN: 1
; COMPUTE_PGM_RSRC2:USER_SGPR: 15
; COMPUTE_PGM_RSRC2:TRAP_HANDLER: 0
; COMPUTE_PGM_RSRC2:TGID_X_EN: 1
; COMPUTE_PGM_RSRC2:TGID_Y_EN: 0
; COMPUTE_PGM_RSRC2:TGID_Z_EN: 0
; COMPUTE_PGM_RSRC2:TIDIG_COMP_CNT: 0
	.section	.text._ZN9rocsolver6v33100L18getri_kernel_smallILi62EdPKPdEEvT1_iilPiilS6_bb,"axG",@progbits,_ZN9rocsolver6v33100L18getri_kernel_smallILi62EdPKPdEEvT1_iilPiilS6_bb,comdat
	.globl	_ZN9rocsolver6v33100L18getri_kernel_smallILi62EdPKPdEEvT1_iilPiilS6_bb ; -- Begin function _ZN9rocsolver6v33100L18getri_kernel_smallILi62EdPKPdEEvT1_iilPiilS6_bb
	.p2align	8
	.type	_ZN9rocsolver6v33100L18getri_kernel_smallILi62EdPKPdEEvT1_iilPiilS6_bb,@function
_ZN9rocsolver6v33100L18getri_kernel_smallILi62EdPKPdEEvT1_iilPiilS6_bb: ; @_ZN9rocsolver6v33100L18getri_kernel_smallILi62EdPKPdEEvT1_iilPiilS6_bb
; %bb.0:
	s_mov_b32 s2, exec_lo
	v_cmpx_gt_u32_e32 62, v0
	s_cbranch_execz .LBB125_258
; %bb.1:
	s_clause 0x1
	s_load_b32 s13, s[0:1], 0x38
	s_load_b64 s[2:3], s[0:1], 0x0
	s_mov_b32 s8, s15
	s_load_b128 s[4:7], s[0:1], 0x28
	s_waitcnt lgkmcnt(0)
	s_bitcmp1_b32 s13, 8
	s_cselect_b32 s12, -1, 0
	s_ashr_i32 s9, s15, 31
	s_delay_alu instid0(SALU_CYCLE_1) | instskip(NEXT) | instid1(SALU_CYCLE_1)
	s_lshl_b64 s[10:11], s[8:9], 3
	s_add_u32 s2, s2, s10
	s_addc_u32 s3, s3, s11
	s_load_b64 s[10:11], s[2:3], 0x0
	s_bfe_u32 s2, s13, 0x10008
	s_delay_alu instid0(SALU_CYCLE_1)
	s_cmp_eq_u32 s2, 0
                                        ; implicit-def: $sgpr2_sgpr3
	s_cbranch_scc1 .LBB125_3
; %bb.2:
	s_clause 0x1
	s_load_b32 s2, s[0:1], 0x20
	s_load_b64 s[14:15], s[0:1], 0x18
	s_mul_i32 s3, s8, s5
	s_mul_hi_u32 s5, s8, s4
	s_mul_i32 s16, s9, s4
	s_add_i32 s3, s5, s3
	s_mul_i32 s4, s8, s4
	s_add_i32 s5, s3, s16
	s_delay_alu instid0(SALU_CYCLE_1)
	s_lshl_b64 s[4:5], s[4:5], 2
	s_waitcnt lgkmcnt(0)
	s_ashr_i32 s3, s2, 31
	s_add_u32 s4, s14, s4
	s_addc_u32 s5, s15, s5
	s_lshl_b64 s[2:3], s[2:3], 2
	s_delay_alu instid0(SALU_CYCLE_1)
	s_add_u32 s2, s4, s2
	s_addc_u32 s3, s5, s3
.LBB125_3:
	s_load_b64 s[0:1], s[0:1], 0x8
	v_lshlrev_b32_e32 v3, 3, v0
	s_waitcnt lgkmcnt(0)
	v_add3_u32 v1, s1, s1, v0
	s_ashr_i32 s5, s0, 31
	s_mov_b32 s4, s0
	s_mov_b32 s14, s1
	s_lshl_b64 s[4:5], s[4:5], 3
	v_add_nc_u32_e32 v4, s1, v1
	v_ashrrev_i32_e32 v2, 31, v1
	s_add_u32 s4, s10, s4
	s_addc_u32 s5, s11, s5
	v_add_co_u32 v36, s0, s4, v3
	v_add_nc_u32_e32 v6, s1, v4
	s_ashr_i32 s15, s1, 31
	v_add_co_ci_u32_e64 v37, null, s5, 0, s0
	v_ashrrev_i32_e32 v5, 31, v4
	s_delay_alu instid0(VALU_DEP_3)
	v_add_nc_u32_e32 v8, s1, v6
	v_lshlrev_b64 v[1:2], 3, v[1:2]
	s_lshl_b64 s[10:11], s[14:15], 3
	v_ashrrev_i32_e32 v7, 31, v6
	v_add_co_u32 v30, vcc_lo, v36, s10
	v_add_nc_u32_e32 v10, s1, v8
	v_add_co_ci_u32_e32 v31, vcc_lo, s11, v37, vcc_lo
	v_lshlrev_b64 v[4:5], 3, v[4:5]
	v_add_co_u32 v26, vcc_lo, s4, v1
	s_delay_alu instid0(VALU_DEP_4) | instskip(SKIP_3) | instid1(VALU_DEP_4)
	v_add_nc_u32_e32 v12, s1, v10
	v_add_co_ci_u32_e32 v27, vcc_lo, s5, v2, vcc_lo
	v_lshlrev_b64 v[1:2], 3, v[6:7]
	v_ashrrev_i32_e32 v9, 31, v8
	v_add_nc_u32_e32 v6, s1, v12
	s_clause 0x1
	global_load_b64 v[32:33], v3, s[4:5]
	global_load_b64 v[34:35], v[30:31], off
	v_add_co_u32 v28, vcc_lo, s4, v4
	v_ashrrev_i32_e32 v11, 31, v10
	v_add_co_ci_u32_e32 v29, vcc_lo, s5, v5, vcc_lo
	v_lshlrev_b64 v[4:5], 3, v[8:9]
	v_add_nc_u32_e32 v8, s1, v6
	v_add_co_u32 v22, vcc_lo, s4, v1
	v_ashrrev_i32_e32 v13, 31, v12
	v_add_co_ci_u32_e32 v23, vcc_lo, s5, v2, vcc_lo
	v_lshlrev_b64 v[1:2], 3, v[10:11]
	v_add_nc_u32_e32 v10, s1, v8
	v_add_co_u32 v16, vcc_lo, s4, v4
	v_lshlrev_b64 v[11:12], 3, v[12:13]
	v_ashrrev_i32_e32 v7, 31, v6
	v_add_co_ci_u32_e32 v17, vcc_lo, s5, v5, vcc_lo
	v_add_co_u32 v24, vcc_lo, s4, v1
	v_ashrrev_i32_e32 v9, 31, v8
	v_add_nc_u32_e32 v4, s1, v10
	v_add_co_ci_u32_e32 v25, vcc_lo, s5, v2, vcc_lo
	v_lshlrev_b64 v[1:2], 3, v[6:7]
	v_add_co_u32 v20, vcc_lo, s4, v11
	v_ashrrev_i32_e32 v11, 31, v10
	v_lshlrev_b64 v[8:9], 3, v[8:9]
	v_ashrrev_i32_e32 v5, 31, v4
	v_add_co_ci_u32_e32 v21, vcc_lo, s5, v12, vcc_lo
	v_add_co_u32 v12, vcc_lo, s4, v1
	v_lshlrev_b64 v[10:11], 3, v[10:11]
	v_add_co_ci_u32_e32 v13, vcc_lo, s5, v2, vcc_lo
	v_add_nc_u32_e32 v14, s1, v4
	v_add_co_u32 v8, vcc_lo, s4, v8
	v_lshlrev_b64 v[4:5], 3, v[4:5]
	s_clause 0x3
	global_load_b64 v[60:61], v[26:27], off
	global_load_b64 v[62:63], v[28:29], off
	;; [unrolled: 1-line block ×4, first 2 shown]
	v_add_co_ci_u32_e32 v9, vcc_lo, s5, v9, vcc_lo
	v_add_co_u32 v18, vcc_lo, s4, v10
	v_add_co_ci_u32_e32 v19, vcc_lo, s5, v11, vcc_lo
	v_add_co_u32 v10, vcc_lo, s4, v4
	v_add_co_ci_u32_e32 v11, vcc_lo, s5, v5, vcc_lo
	s_clause 0x5
	global_load_b64 v[68:69], v[24:25], off
	global_load_b64 v[70:71], v[20:21], off
	;; [unrolled: 1-line block ×6, first 2 shown]
	v_add_nc_u32_e32 v6, s1, v14
	v_ashrrev_i32_e32 v15, 31, v14
	s_bitcmp0_b32 s13, 0
	s_delay_alu instid0(VALU_DEP_2) | instskip(SKIP_1) | instid1(VALU_DEP_3)
	v_add_nc_u32_e32 v38, s1, v6
	v_ashrrev_i32_e32 v7, 31, v6
	v_lshlrev_b64 v[14:15], 3, v[14:15]
	s_delay_alu instid0(VALU_DEP_3) | instskip(SKIP_1) | instid1(VALU_DEP_4)
	v_add_nc_u32_e32 v1, s1, v38
	v_ashrrev_i32_e32 v39, 31, v38
	v_lshlrev_b64 v[5:6], 3, v[6:7]
	s_delay_alu instid0(VALU_DEP_4) | instskip(NEXT) | instid1(VALU_DEP_4)
	v_add_co_u32 v58, vcc_lo, s4, v14
	v_add_nc_u32_e32 v40, s1, v1
	v_add_co_ci_u32_e32 v59, vcc_lo, s5, v15, vcc_lo
	v_lshlrev_b64 v[14:15], 3, v[38:39]
	v_ashrrev_i32_e32 v2, 31, v1
	s_delay_alu instid0(VALU_DEP_4) | instskip(SKIP_3) | instid1(VALU_DEP_4)
	v_add_nc_u32_e32 v42, s1, v40
	v_add_co_u32 v56, vcc_lo, s4, v5
	v_ashrrev_i32_e32 v41, 31, v40
	v_add_co_ci_u32_e32 v57, vcc_lo, s5, v6, vcc_lo
	v_add_nc_u32_e32 v44, s1, v42
	v_lshlrev_b64 v[1:2], 3, v[1:2]
	v_add_co_u32 v50, vcc_lo, s4, v14
	v_add_co_ci_u32_e32 v51, vcc_lo, s5, v15, vcc_lo
	s_delay_alu instid0(VALU_DEP_4) | instskip(SKIP_3) | instid1(VALU_DEP_4)
	v_add_nc_u32_e32 v46, s1, v44
	v_lshlrev_b64 v[14:15], 3, v[40:41]
	v_ashrrev_i32_e32 v43, 31, v42
	v_add_co_u32 v54, vcc_lo, s4, v1
	v_add_nc_u32_e32 v48, s1, v46
	v_add_co_ci_u32_e32 v55, vcc_lo, s5, v2, vcc_lo
	s_delay_alu instid0(VALU_DEP_4) | instskip(SKIP_1) | instid1(VALU_DEP_4)
	v_lshlrev_b64 v[1:2], 3, v[42:43]
	v_ashrrev_i32_e32 v45, 31, v44
	v_add_nc_u32_e32 v4, s1, v48
	v_add_co_u32 v42, vcc_lo, s4, v14
	v_add_co_ci_u32_e32 v43, vcc_lo, s5, v15, vcc_lo
	s_delay_alu instid0(VALU_DEP_3)
	v_add_nc_u32_e32 v52, s1, v4
	v_ashrrev_i32_e32 v47, 31, v46
	v_lshlrev_b64 v[14:15], 3, v[44:45]
	v_ashrrev_i32_e32 v49, 31, v48
	s_clause 0x1
	global_load_b64 v[80:81], v[58:59], off
	global_load_b64 v[82:83], v[56:57], off
	v_add_nc_u32_e32 v100, s1, v52
	v_ashrrev_i32_e32 v53, 31, v52
	s_delay_alu instid0(VALU_DEP_2) | instskip(SKIP_1) | instid1(VALU_DEP_2)
	v_add_nc_u32_e32 v102, s1, v100
	v_ashrrev_i32_e32 v101, 31, v100
	v_add_nc_u32_e32 v104, s1, v102
	v_ashrrev_i32_e32 v103, 31, v102
	s_delay_alu instid0(VALU_DEP_2) | instskip(SKIP_1) | instid1(VALU_DEP_2)
	v_add_nc_u32_e32 v108, s1, v104
	v_ashrrev_i32_e32 v105, 31, v104
	;; [unrolled: 5-line block ×19, first 2 shown]
	v_add_nc_u32_e32 v5, s1, v178
	v_ashrrev_i32_e32 v179, 31, v178
	s_mov_b32 s1, -1
	s_delay_alu instid0(VALU_DEP_2) | instskip(NEXT) | instid1(VALU_DEP_1)
	v_ashrrev_i32_e32 v6, 31, v5
	v_lshlrev_b64 v[6:7], 3, v[5:6]
	v_ashrrev_i32_e32 v5, 31, v4
	s_delay_alu instid0(VALU_DEP_2) | instskip(NEXT) | instid1(VALU_DEP_3)
	v_add_co_u32 v6, vcc_lo, s4, v6
	v_add_co_ci_u32_e32 v7, vcc_lo, s5, v7, vcc_lo
	v_add_co_u32 v38, vcc_lo, s4, v1
	v_add_co_ci_u32_e32 v39, vcc_lo, s5, v2, vcc_lo
	global_load_b64 v[132:133], v[6:7], off
	v_lshlrev_b64 v[1:2], 3, v[46:47]
	v_add_co_u32 v46, vcc_lo, s4, v14
	v_add_co_ci_u32_e32 v47, vcc_lo, s5, v15, vcc_lo
	v_lshlrev_b64 v[14:15], 3, v[48:49]
	s_delay_alu instid0(VALU_DEP_4)
	v_add_co_u32 v40, vcc_lo, s4, v1
	v_add_co_ci_u32_e32 v41, vcc_lo, s5, v2, vcc_lo
	v_lshlrev_b64 v[1:2], 3, v[4:5]
	s_waitcnt vmcnt(13)
	scratch_store_b128 off, v[32:35], off
	v_add_co_u32 v32, vcc_lo, s4, v14
	v_add_co_ci_u32_e32 v33, vcc_lo, s5, v15, vcc_lo
	v_add_co_u32 v14, vcc_lo, s4, v1
	v_add_co_ci_u32_e32 v15, vcc_lo, s5, v2, vcc_lo
	v_lshlrev_b64 v[1:2], 3, v[52:53]
	v_lshlrev_b64 v[4:5], 3, v[100:101]
	s_clause 0x3
	global_load_b64 v[84:85], v[50:51], off
	global_load_b64 v[86:87], v[54:55], off
	;; [unrolled: 1-line block ×4, first 2 shown]
	s_waitcnt vmcnt(15)
	scratch_store_b128 off, v[60:63], off offset:16
	s_waitcnt vmcnt(13)
	scratch_store_b128 off, v[64:67], off offset:32
	v_add_co_u32 v34, vcc_lo, s4, v1
	v_add_co_ci_u32_e32 v35, vcc_lo, s5, v2, vcc_lo
	v_lshlrev_b64 v[1:2], 3, v[102:103]
	v_add_co_u32 v44, vcc_lo, s4, v4
	v_add_co_ci_u32_e32 v45, vcc_lo, s5, v5, vcc_lo
	v_lshlrev_b64 v[4:5], 3, v[104:105]
	s_delay_alu instid0(VALU_DEP_4) | instskip(SKIP_2) | instid1(VALU_DEP_4)
	v_add_co_u32 v48, vcc_lo, s4, v1
	v_add_co_ci_u32_e32 v49, vcc_lo, s5, v2, vcc_lo
	v_lshlrev_b64 v[1:2], 3, v[108:109]
	v_add_co_u32 v52, vcc_lo, s4, v4
	v_add_co_ci_u32_e32 v53, vcc_lo, s5, v5, vcc_lo
	v_lshlrev_b64 v[4:5], 3, v[110:111]
	s_clause 0x3
	global_load_b64 v[92:93], v[46:47], off
	global_load_b64 v[94:95], v[40:41], off
	;; [unrolled: 1-line block ×4, first 2 shown]
	v_add_co_u32 v60, vcc_lo, s4, v1
	v_add_co_ci_u32_e32 v61, vcc_lo, s5, v2, vcc_lo
	v_add_co_u32 v62, vcc_lo, s4, v4
	v_add_co_ci_u32_e32 v63, vcc_lo, s5, v5, vcc_lo
	s_waitcnt vmcnt(15)
	scratch_store_b128 off, v[68:71], off offset:48
	s_waitcnt vmcnt(13)
	scratch_store_b128 off, v[72:75], off offset:64
	s_clause 0x3
	global_load_b64 v[100:101], v[34:35], off
	global_load_b64 v[102:103], v[44:45], off
	;; [unrolled: 1-line block ×4, first 2 shown]
	s_waitcnt vmcnt(15)
	scratch_store_b128 off, v[76:79], off offset:80
	s_clause 0x1
	global_load_b64 v[108:109], v[60:61], off
	global_load_b64 v[110:111], v[62:63], off
	v_lshlrev_b64 v[1:2], 3, v[112:113]
	v_lshlrev_b64 v[4:5], 3, v[114:115]
	s_delay_alu instid0(VALU_DEP_2) | instskip(NEXT) | instid1(VALU_DEP_3)
	v_add_co_u32 v64, vcc_lo, s4, v1
	v_add_co_ci_u32_e32 v65, vcc_lo, s5, v2, vcc_lo
	v_lshlrev_b64 v[1:2], 3, v[116:117]
	s_delay_alu instid0(VALU_DEP_4) | instskip(SKIP_2) | instid1(VALU_DEP_4)
	v_add_co_u32 v66, vcc_lo, s4, v4
	v_add_co_ci_u32_e32 v67, vcc_lo, s5, v5, vcc_lo
	v_lshlrev_b64 v[4:5], 3, v[118:119]
	v_add_co_u32 v68, vcc_lo, s4, v1
	v_add_co_ci_u32_e32 v69, vcc_lo, s5, v2, vcc_lo
	v_lshlrev_b64 v[1:2], 3, v[120:121]
	s_delay_alu instid0(VALU_DEP_4) | instskip(SKIP_2) | instid1(VALU_DEP_4)
	v_add_co_u32 v70, vcc_lo, s4, v4
	v_add_co_ci_u32_e32 v71, vcc_lo, s5, v5, vcc_lo
	v_lshlrev_b64 v[4:5], 3, v[122:123]
	v_add_co_u32 v72, vcc_lo, s4, v1
	v_add_co_ci_u32_e32 v73, vcc_lo, s5, v2, vcc_lo
	v_lshlrev_b64 v[1:2], 3, v[124:125]
	s_delay_alu instid0(VALU_DEP_4) | instskip(SKIP_2) | instid1(VALU_DEP_4)
	v_add_co_u32 v74, vcc_lo, s4, v4
	v_add_co_ci_u32_e32 v75, vcc_lo, s5, v5, vcc_lo
	v_lshlrev_b64 v[4:5], 3, v[126:127]
	v_add_co_u32 v76, vcc_lo, s4, v1
	v_add_co_ci_u32_e32 v77, vcc_lo, s5, v2, vcc_lo
	v_lshlrev_b64 v[1:2], 3, v[128:129]
	s_delay_alu instid0(VALU_DEP_4)
	v_add_co_u32 v78, vcc_lo, s4, v4
	v_add_co_ci_u32_e32 v79, vcc_lo, s5, v5, vcc_lo
	v_lshlrev_b64 v[4:5], 3, v[130:131]
	s_clause 0x1
	global_load_b64 v[112:113], v[64:65], off
	global_load_b64 v[114:115], v[66:67], off
	s_waitcnt vmcnt(17)
	scratch_store_b128 off, v[80:83], off offset:96
	v_add_co_u32 v80, vcc_lo, s4, v1
	v_add_co_ci_u32_e32 v81, vcc_lo, s5, v2, vcc_lo
	v_lshlrev_b64 v[1:2], 3, v[134:135]
	v_add_co_u32 v82, vcc_lo, s4, v4
	v_add_co_ci_u32_e32 v83, vcc_lo, s5, v5, vcc_lo
	v_lshlrev_b64 v[4:5], 3, v[136:137]
	s_waitcnt vmcnt(14)
	scratch_store_b128 off, v[84:87], off offset:112
	s_waitcnt vmcnt(12)
	scratch_store_b128 off, v[88:91], off offset:128
	s_clause 0x3
	global_load_b64 v[116:117], v[68:69], off
	global_load_b64 v[118:119], v[70:71], off
	;; [unrolled: 1-line block ×4, first 2 shown]
	v_add_co_u32 v84, vcc_lo, s4, v1
	v_add_co_ci_u32_e32 v85, vcc_lo, s5, v2, vcc_lo
	v_lshlrev_b64 v[1:2], 3, v[138:139]
	v_add_co_u32 v86, vcc_lo, s4, v4
	v_add_co_ci_u32_e32 v87, vcc_lo, s5, v5, vcc_lo
	v_lshlrev_b64 v[4:5], 3, v[140:141]
	s_delay_alu instid0(VALU_DEP_4) | instskip(SKIP_2) | instid1(VALU_DEP_4)
	v_add_co_u32 v88, vcc_lo, s4, v1
	v_add_co_ci_u32_e32 v89, vcc_lo, s5, v2, vcc_lo
	v_lshlrev_b64 v[1:2], 3, v[142:143]
	v_add_co_u32 v90, vcc_lo, s4, v4
	s_waitcnt vmcnt(14)
	scratch_store_b128 off, v[92:95], off offset:144
	s_waitcnt vmcnt(12)
	scratch_store_b128 off, v[96:99], off offset:160
	v_add_co_ci_u32_e32 v91, vcc_lo, s5, v5, vcc_lo
	v_lshlrev_b64 v[4:5], 3, v[144:145]
	s_clause 0x3
	global_load_b64 v[124:125], v[76:77], off
	global_load_b64 v[126:127], v[78:79], off
	;; [unrolled: 1-line block ×4, first 2 shown]
	v_add_co_u32 v92, vcc_lo, s4, v1
	v_add_co_ci_u32_e32 v93, vcc_lo, s5, v2, vcc_lo
	v_add_co_u32 v94, vcc_lo, s4, v4
	v_add_co_ci_u32_e32 v95, vcc_lo, s5, v5, vcc_lo
	s_waitcnt vmcnt(14)
	scratch_store_b128 off, v[100:103], off offset:176
	s_waitcnt vmcnt(12)
	scratch_store_b128 off, v[104:107], off offset:192
	s_clause 0x3
	global_load_b64 v[134:135], v[84:85], off
	global_load_b64 v[136:137], v[86:87], off
	;; [unrolled: 1-line block ×4, first 2 shown]
	s_waitcnt vmcnt(14)
	scratch_store_b128 off, v[108:111], off offset:208
	s_clause 0x1
	global_load_b64 v[142:143], v[92:93], off
	global_load_b64 v[144:145], v[94:95], off
	v_lshlrev_b64 v[1:2], 3, v[146:147]
	v_lshlrev_b64 v[4:5], 3, v[150:151]
	s_delay_alu instid0(VALU_DEP_2) | instskip(NEXT) | instid1(VALU_DEP_3)
	v_add_co_u32 v96, vcc_lo, s4, v1
	v_add_co_ci_u32_e32 v97, vcc_lo, s5, v2, vcc_lo
	v_lshlrev_b64 v[1:2], 3, v[148:149]
	global_load_b64 v[146:147], v[96:97], off
	v_add_co_u32 v98, vcc_lo, s4, v1
	v_add_co_ci_u32_e32 v99, vcc_lo, s5, v2, vcc_lo
	v_lshlrev_b64 v[1:2], 3, v[152:153]
	v_add_co_u32 v100, vcc_lo, s4, v4
	v_add_co_ci_u32_e32 v101, vcc_lo, s5, v5, vcc_lo
	v_lshlrev_b64 v[4:5], 3, v[154:155]
	s_delay_alu instid0(VALU_DEP_4) | instskip(SKIP_2) | instid1(VALU_DEP_4)
	v_add_co_u32 v102, vcc_lo, s4, v1
	v_add_co_ci_u32_e32 v103, vcc_lo, s5, v2, vcc_lo
	v_lshlrev_b64 v[1:2], 3, v[156:157]
	v_add_co_u32 v104, vcc_lo, s4, v4
	v_add_co_ci_u32_e32 v105, vcc_lo, s5, v5, vcc_lo
	v_lshlrev_b64 v[4:5], 3, v[158:159]
	s_delay_alu instid0(VALU_DEP_4) | instskip(SKIP_2) | instid1(VALU_DEP_4)
	v_add_co_u32 v106, vcc_lo, s4, v1
	v_add_co_ci_u32_e32 v107, vcc_lo, s5, v2, vcc_lo
	v_lshlrev_b64 v[1:2], 3, v[160:161]
	v_add_co_u32 v108, vcc_lo, s4, v4
	v_add_co_ci_u32_e32 v109, vcc_lo, s5, v5, vcc_lo
	v_lshlrev_b64 v[4:5], 3, v[162:163]
	s_delay_alu instid0(VALU_DEP_4)
	v_add_co_u32 v110, vcc_lo, s4, v1
	v_add_co_ci_u32_e32 v111, vcc_lo, s5, v2, vcc_lo
	v_lshlrev_b64 v[1:2], 3, v[164:165]
	s_waitcnt vmcnt(15)
	scratch_store_b128 off, v[112:115], off offset:224
	v_add_co_u32 v112, vcc_lo, s4, v4
	v_add_co_ci_u32_e32 v113, vcc_lo, s5, v5, vcc_lo
	v_lshlrev_b64 v[4:5], 3, v[166:167]
	v_add_co_u32 v114, vcc_lo, s4, v1
	v_add_co_ci_u32_e32 v115, vcc_lo, s5, v2, vcc_lo
	v_lshlrev_b64 v[1:2], 3, v[168:169]
	s_waitcnt vmcnt(13)
	scratch_store_b128 off, v[116:119], off offset:240
	s_waitcnt vmcnt(11)
	scratch_store_b128 off, v[120:123], off offset:256
	v_add_co_u32 v116, vcc_lo, s4, v4
	v_add_co_ci_u32_e32 v117, vcc_lo, s5, v5, vcc_lo
	v_lshlrev_b64 v[4:5], 3, v[170:171]
	v_add_co_u32 v118, vcc_lo, s4, v1
	v_add_co_ci_u32_e32 v119, vcc_lo, s5, v2, vcc_lo
	v_lshlrev_b64 v[1:2], 3, v[172:173]
	s_delay_alu instid0(VALU_DEP_4) | instskip(SKIP_2) | instid1(VALU_DEP_4)
	v_add_co_u32 v120, vcc_lo, s4, v4
	v_add_co_ci_u32_e32 v121, vcc_lo, s5, v5, vcc_lo
	v_lshlrev_b64 v[4:5], 3, v[174:175]
	v_add_co_u32 v122, vcc_lo, s4, v1
	v_add_co_ci_u32_e32 v123, vcc_lo, s5, v2, vcc_lo
	v_lshlrev_b64 v[1:2], 3, v[176:177]
	s_clause 0x3
	global_load_b64 v[148:149], v[98:99], off
	global_load_b64 v[150:151], v[100:101], off
	;; [unrolled: 1-line block ×4, first 2 shown]
	s_waitcnt vmcnt(13)
	scratch_store_b128 off, v[124:127], off offset:272
	s_waitcnt vmcnt(11)
	scratch_store_b128 off, v[128:131], off offset:288
	v_add_co_u32 v124, vcc_lo, s4, v4
	v_add_co_ci_u32_e32 v125, vcc_lo, s5, v5, vcc_lo
	v_lshlrev_b64 v[4:5], 3, v[178:179]
	v_add_co_u32 v126, vcc_lo, s4, v1
	v_add_co_ci_u32_e32 v127, vcc_lo, s5, v2, vcc_lo
	s_clause 0x3
	global_load_b64 v[156:157], v[106:107], off
	global_load_b64 v[158:159], v[108:109], off
	;; [unrolled: 1-line block ×4, first 2 shown]
	v_add_co_u32 v128, vcc_lo, s4, v4
	s_waitcnt vmcnt(13)
	scratch_store_b128 off, v[134:137], off offset:304
	s_waitcnt vmcnt(11)
	scratch_store_b128 off, v[138:141], off offset:320
	v_add_co_ci_u32_e32 v129, vcc_lo, s5, v5, vcc_lo
	s_clause 0x3
	global_load_b64 v[164:165], v[114:115], off
	global_load_b64 v[134:135], v[116:117], off
	;; [unrolled: 1-line block ×4, first 2 shown]
	s_waitcnt vmcnt(13)
	scratch_store_b128 off, v[142:145], off offset:336
	s_clause 0x3
	global_load_b64 v[140:141], v[122:123], off
	global_load_b64 v[142:143], v[124:125], off
	;; [unrolled: 1-line block ×4, first 2 shown]
	s_waitcnt vmcnt(15)
	scratch_store_b128 off, v[146:149], off offset:352
	s_waitcnt vmcnt(13)
	scratch_store_b128 off, v[150:153], off offset:368
	;; [unrolled: 2-line block ×9, first 2 shown]
	s_cbranch_scc1 .LBB125_256
; %bb.4:
	v_cmp_eq_u32_e64 s0, 0, v0
	s_delay_alu instid0(VALU_DEP_1)
	s_and_saveexec_b32 s1, s0
	s_cbranch_execz .LBB125_6
; %bb.5:
	v_mov_b32_e32 v1, 0
	ds_store_b32 v1, v1 offset:992
.LBB125_6:
	s_or_b32 exec_lo, exec_lo, s1
	s_waitcnt lgkmcnt(0)
	s_waitcnt_vscnt null, 0x0
	s_barrier
	buffer_gl0_inv
	scratch_load_b64 v[1:2], v3, off
	s_mov_b32 s4, exec_lo
	s_waitcnt vmcnt(0)
	v_cmpx_eq_f64_e32 0, v[1:2]
	s_cbranch_execz .LBB125_10
; %bb.7:
	v_mov_b32_e32 v1, 0
	s_mov_b32 s5, 0
	ds_load_b32 v2, v1 offset:992
	s_waitcnt lgkmcnt(0)
	v_readfirstlane_b32 s1, v2
	v_add_nc_u32_e32 v2, 1, v0
	s_delay_alu instid0(VALU_DEP_2) | instskip(NEXT) | instid1(VALU_DEP_1)
	s_cmp_eq_u32 s1, 0
	v_cmp_gt_i32_e32 vcc_lo, s1, v2
	s_cselect_b32 s10, -1, 0
	s_delay_alu instid0(SALU_CYCLE_1) | instskip(NEXT) | instid1(SALU_CYCLE_1)
	s_or_b32 s10, s10, vcc_lo
	s_and_b32 exec_lo, exec_lo, s10
	s_cbranch_execz .LBB125_10
; %bb.8:
	v_mov_b32_e32 v4, s1
.LBB125_9:                              ; =>This Inner Loop Header: Depth=1
	ds_cmpstore_rtn_b32 v4, v1, v2, v4 offset:992
	s_waitcnt lgkmcnt(0)
	v_cmp_ne_u32_e32 vcc_lo, 0, v4
	v_cmp_le_i32_e64 s1, v4, v2
	s_delay_alu instid0(VALU_DEP_1) | instskip(NEXT) | instid1(SALU_CYCLE_1)
	s_and_b32 s1, vcc_lo, s1
	s_and_b32 s1, exec_lo, s1
	s_delay_alu instid0(SALU_CYCLE_1) | instskip(NEXT) | instid1(SALU_CYCLE_1)
	s_or_b32 s5, s1, s5
	s_and_not1_b32 exec_lo, exec_lo, s5
	s_cbranch_execnz .LBB125_9
.LBB125_10:
	s_or_b32 exec_lo, exec_lo, s4
	v_mov_b32_e32 v1, 0
	s_barrier
	buffer_gl0_inv
	ds_load_b32 v2, v1 offset:992
	s_and_saveexec_b32 s1, s0
	s_cbranch_execz .LBB125_12
; %bb.11:
	s_lshl_b64 s[4:5], s[8:9], 2
	s_delay_alu instid0(SALU_CYCLE_1)
	s_add_u32 s4, s6, s4
	s_addc_u32 s5, s7, s5
	s_waitcnt lgkmcnt(0)
	global_store_b32 v1, v2, s[4:5]
.LBB125_12:
	s_or_b32 exec_lo, exec_lo, s1
	s_waitcnt lgkmcnt(0)
	v_cmp_ne_u32_e32 vcc_lo, 0, v2
	s_mov_b32 s1, 0
	s_cbranch_vccnz .LBB125_256
; %bb.13:
	v_add_nc_u32_e32 v4, 0, v3
	v_add_nc_u32_e32 v5, 0x1f0, v3
	scratch_load_b64 v[1:2], v4, off
	s_waitcnt vmcnt(0)
	v_div_scale_f64 v[130:131], null, v[1:2], v[1:2], 1.0
	v_div_scale_f64 v[136:137], vcc_lo, 1.0, v[1:2], 1.0
	s_delay_alu instid0(VALU_DEP_2) | instskip(SKIP_2) | instid1(VALU_DEP_1)
	v_rcp_f64_e32 v[132:133], v[130:131]
	s_waitcnt_depctr 0xfff
	v_fma_f64 v[134:135], -v[130:131], v[132:133], 1.0
	v_fma_f64 v[132:133], v[132:133], v[134:135], v[132:133]
	s_delay_alu instid0(VALU_DEP_1) | instskip(NEXT) | instid1(VALU_DEP_1)
	v_fma_f64 v[134:135], -v[130:131], v[132:133], 1.0
	v_fma_f64 v[132:133], v[132:133], v[134:135], v[132:133]
	s_delay_alu instid0(VALU_DEP_1) | instskip(NEXT) | instid1(VALU_DEP_1)
	v_mul_f64 v[134:135], v[136:137], v[132:133]
	v_fma_f64 v[130:131], -v[130:131], v[134:135], v[136:137]
	s_delay_alu instid0(VALU_DEP_1) | instskip(NEXT) | instid1(VALU_DEP_1)
	v_div_fmas_f64 v[130:131], v[130:131], v[132:133], v[134:135]
	v_div_fixup_f64 v[1:2], v[130:131], v[1:2], 1.0
	scratch_store_b64 v4, v[1:2], off
	scratch_load_b64 v[130:131], off, off offset:8
	v_xor_b32_e32 v2, 0x80000000, v2
	s_waitcnt vmcnt(0)
	ds_store_2addr_b64 v3, v[1:2], v[130:131] offset1:62
	s_waitcnt lgkmcnt(0)
	s_waitcnt_vscnt null, 0x0
	s_barrier
	buffer_gl0_inv
	s_and_saveexec_b32 s1, s0
	s_cbranch_execz .LBB125_15
; %bb.14:
	scratch_load_b64 v[1:2], v4, off
	ds_load_b64 v[130:131], v5
	s_waitcnt vmcnt(0) lgkmcnt(0)
	v_fma_f64 v[1:2], v[1:2], v[130:131], 0
	v_mov_b32_e32 v130, 0
	ds_load_b64 v[130:131], v130 offset:8
	s_waitcnt lgkmcnt(0)
	v_mul_f64 v[1:2], v[1:2], v[130:131]
	scratch_store_b64 off, v[1:2], off offset:8
.LBB125_15:
	s_or_b32 exec_lo, exec_lo, s1
	s_waitcnt_vscnt null, 0x0
	s_barrier
	buffer_gl0_inv
	scratch_load_b64 v[1:2], off, off offset:16
	s_mov_b32 s1, exec_lo
	s_waitcnt vmcnt(0)
	ds_store_b64 v5, v[1:2]
	s_waitcnt lgkmcnt(0)
	s_barrier
	buffer_gl0_inv
	v_cmpx_gt_u32_e32 2, v0
	s_cbranch_execz .LBB125_19
; %bb.16:
	scratch_load_b64 v[1:2], v4, off
	ds_load_b64 v[130:131], v5
	s_waitcnt vmcnt(0) lgkmcnt(0)
	v_fma_f64 v[1:2], v[1:2], v[130:131], 0
	s_and_saveexec_b32 s4, s0
	s_cbranch_execz .LBB125_18
; %bb.17:
	scratch_load_b64 v[130:131], off, off offset:8
	v_mov_b32_e32 v132, 0
	ds_load_b64 v[132:133], v132 offset:504
	s_waitcnt vmcnt(0) lgkmcnt(0)
	v_fma_f64 v[1:2], v[130:131], v[132:133], v[1:2]
.LBB125_18:
	s_or_b32 exec_lo, exec_lo, s4
	v_mov_b32_e32 v130, 0
	ds_load_b64 v[130:131], v130 offset:16
	s_waitcnt lgkmcnt(0)
	v_mul_f64 v[1:2], v[1:2], v[130:131]
	scratch_store_b64 off, v[1:2], off offset:16
.LBB125_19:
	s_or_b32 exec_lo, exec_lo, s1
	s_waitcnt_vscnt null, 0x0
	s_barrier
	buffer_gl0_inv
	scratch_load_b64 v[1:2], off, off offset:24
	v_add_nc_u32_e32 v130, -1, v0
	s_mov_b32 s0, exec_lo
	s_waitcnt vmcnt(0)
	ds_store_b64 v5, v[1:2]
	s_waitcnt lgkmcnt(0)
	s_barrier
	buffer_gl0_inv
	v_cmpx_gt_u32_e32 3, v0
	s_cbranch_execz .LBB125_23
; %bb.20:
	v_dual_mov_b32 v1, 0 :: v_dual_add_nc_u32 v132, 0x1f0, v3
	v_dual_mov_b32 v2, 0 :: v_dual_add_nc_u32 v131, -1, v0
	v_add_nc_u32_e32 v133, 0, v3
	s_mov_b32 s1, 0
.LBB125_21:                             ; =>This Inner Loop Header: Depth=1
	scratch_load_b64 v[134:135], v133, off
	ds_load_b64 v[136:137], v132
	v_add_nc_u32_e32 v131, 1, v131
	v_add_nc_u32_e32 v132, 8, v132
	v_add_nc_u32_e32 v133, 8, v133
	s_delay_alu instid0(VALU_DEP_3)
	v_cmp_lt_u32_e32 vcc_lo, 1, v131
	s_or_b32 s1, vcc_lo, s1
	s_waitcnt vmcnt(0) lgkmcnt(0)
	v_fma_f64 v[1:2], v[134:135], v[136:137], v[1:2]
	s_and_not1_b32 exec_lo, exec_lo, s1
	s_cbranch_execnz .LBB125_21
; %bb.22:
	s_or_b32 exec_lo, exec_lo, s1
	v_mov_b32_e32 v131, 0
	ds_load_b64 v[131:132], v131 offset:24
	s_waitcnt lgkmcnt(0)
	v_mul_f64 v[1:2], v[1:2], v[131:132]
	scratch_store_b64 off, v[1:2], off offset:24
.LBB125_23:
	s_or_b32 exec_lo, exec_lo, s0
	s_waitcnt_vscnt null, 0x0
	s_barrier
	buffer_gl0_inv
	scratch_load_b64 v[1:2], off, off offset:32
	s_mov_b32 s0, exec_lo
	s_waitcnt vmcnt(0)
	ds_store_b64 v5, v[1:2]
	s_waitcnt lgkmcnt(0)
	s_barrier
	buffer_gl0_inv
	v_cmpx_gt_u32_e32 4, v0
	s_cbranch_execz .LBB125_27
; %bb.24:
	v_dual_mov_b32 v1, 0 :: v_dual_add_nc_u32 v132, 0x1f0, v3
	v_dual_mov_b32 v2, 0 :: v_dual_add_nc_u32 v131, -1, v0
	v_add_nc_u32_e32 v133, 0, v3
	s_mov_b32 s1, 0
.LBB125_25:                             ; =>This Inner Loop Header: Depth=1
	scratch_load_b64 v[134:135], v133, off
	ds_load_b64 v[136:137], v132
	v_add_nc_u32_e32 v131, 1, v131
	v_add_nc_u32_e32 v132, 8, v132
	v_add_nc_u32_e32 v133, 8, v133
	s_delay_alu instid0(VALU_DEP_3)
	v_cmp_lt_u32_e32 vcc_lo, 2, v131
	s_or_b32 s1, vcc_lo, s1
	s_waitcnt vmcnt(0) lgkmcnt(0)
	v_fma_f64 v[1:2], v[134:135], v[136:137], v[1:2]
	s_and_not1_b32 exec_lo, exec_lo, s1
	s_cbranch_execnz .LBB125_25
; %bb.26:
	s_or_b32 exec_lo, exec_lo, s1
	v_mov_b32_e32 v131, 0
	ds_load_b64 v[131:132], v131 offset:32
	s_waitcnt lgkmcnt(0)
	v_mul_f64 v[1:2], v[1:2], v[131:132]
	scratch_store_b64 off, v[1:2], off offset:32
.LBB125_27:
	s_or_b32 exec_lo, exec_lo, s0
	s_waitcnt_vscnt null, 0x0
	s_barrier
	buffer_gl0_inv
	scratch_load_b64 v[1:2], off, off offset:40
	;; [unrolled: 39-line block ×20, first 2 shown]
	s_mov_b32 s0, exec_lo
	s_waitcnt vmcnt(0)
	ds_store_b64 v5, v[1:2]
	s_waitcnt lgkmcnt(0)
	s_barrier
	buffer_gl0_inv
	v_cmpx_gt_u32_e32 23, v0
	s_cbranch_execz .LBB125_103
; %bb.100:
	v_dual_mov_b32 v1, 0 :: v_dual_add_nc_u32 v132, 0x1f0, v3
	v_dual_mov_b32 v2, 0 :: v_dual_add_nc_u32 v131, -1, v0
	v_add_nc_u32_e32 v133, 0, v3
	s_mov_b32 s1, 0
.LBB125_101:                            ; =>This Inner Loop Header: Depth=1
	scratch_load_b64 v[134:135], v133, off
	ds_load_b64 v[136:137], v132
	v_add_nc_u32_e32 v131, 1, v131
	v_add_nc_u32_e32 v132, 8, v132
	v_add_nc_u32_e32 v133, 8, v133
	s_delay_alu instid0(VALU_DEP_3)
	v_cmp_lt_u32_e32 vcc_lo, 21, v131
	s_or_b32 s1, vcc_lo, s1
	s_waitcnt vmcnt(0) lgkmcnt(0)
	v_fma_f64 v[1:2], v[134:135], v[136:137], v[1:2]
	s_and_not1_b32 exec_lo, exec_lo, s1
	s_cbranch_execnz .LBB125_101
; %bb.102:
	s_or_b32 exec_lo, exec_lo, s1
	v_mov_b32_e32 v131, 0
	ds_load_b64 v[131:132], v131 offset:184
	s_waitcnt lgkmcnt(0)
	v_mul_f64 v[1:2], v[1:2], v[131:132]
	scratch_store_b64 off, v[1:2], off offset:184
.LBB125_103:
	s_or_b32 exec_lo, exec_lo, s0
	s_waitcnt_vscnt null, 0x0
	s_barrier
	buffer_gl0_inv
	scratch_load_b64 v[1:2], off, off offset:192
	s_mov_b32 s0, exec_lo
	s_waitcnt vmcnt(0)
	ds_store_b64 v5, v[1:2]
	s_waitcnt lgkmcnt(0)
	s_barrier
	buffer_gl0_inv
	v_cmpx_gt_u32_e32 24, v0
	s_cbranch_execz .LBB125_107
; %bb.104:
	v_dual_mov_b32 v1, 0 :: v_dual_add_nc_u32 v132, 0x1f0, v3
	v_dual_mov_b32 v2, 0 :: v_dual_add_nc_u32 v131, -1, v0
	v_add_nc_u32_e32 v133, 0, v3
	s_mov_b32 s1, 0
.LBB125_105:                            ; =>This Inner Loop Header: Depth=1
	scratch_load_b64 v[134:135], v133, off
	ds_load_b64 v[136:137], v132
	v_add_nc_u32_e32 v131, 1, v131
	v_add_nc_u32_e32 v132, 8, v132
	v_add_nc_u32_e32 v133, 8, v133
	s_delay_alu instid0(VALU_DEP_3)
	v_cmp_lt_u32_e32 vcc_lo, 22, v131
	s_or_b32 s1, vcc_lo, s1
	s_waitcnt vmcnt(0) lgkmcnt(0)
	v_fma_f64 v[1:2], v[134:135], v[136:137], v[1:2]
	s_and_not1_b32 exec_lo, exec_lo, s1
	s_cbranch_execnz .LBB125_105
; %bb.106:
	s_or_b32 exec_lo, exec_lo, s1
	v_mov_b32_e32 v131, 0
	ds_load_b64 v[131:132], v131 offset:192
	s_waitcnt lgkmcnt(0)
	v_mul_f64 v[1:2], v[1:2], v[131:132]
	scratch_store_b64 off, v[1:2], off offset:192
.LBB125_107:
	s_or_b32 exec_lo, exec_lo, s0
	s_waitcnt_vscnt null, 0x0
	s_barrier
	buffer_gl0_inv
	scratch_load_b64 v[1:2], off, off offset:200
	;; [unrolled: 39-line block ×38, first 2 shown]
	s_mov_b32 s0, exec_lo
	s_waitcnt vmcnt(0)
	ds_store_b64 v5, v[1:2]
	s_waitcnt lgkmcnt(0)
	s_barrier
	buffer_gl0_inv
	v_cmpx_ne_u32_e32 61, v0
	s_cbranch_execz .LBB125_255
; %bb.252:
	v_mov_b32_e32 v1, 0
	v_mov_b32_e32 v2, 0
	s_mov_b32 s1, 0
.LBB125_253:                            ; =>This Inner Loop Header: Depth=1
	scratch_load_b64 v[131:132], v4, off
	ds_load_b64 v[133:134], v5
	v_add_nc_u32_e32 v130, 1, v130
	v_add_nc_u32_e32 v5, 8, v5
	;; [unrolled: 1-line block ×3, first 2 shown]
	s_delay_alu instid0(VALU_DEP_3)
	v_cmp_lt_u32_e32 vcc_lo, 59, v130
	s_or_b32 s1, vcc_lo, s1
	s_waitcnt vmcnt(0) lgkmcnt(0)
	v_fma_f64 v[1:2], v[131:132], v[133:134], v[1:2]
	s_and_not1_b32 exec_lo, exec_lo, s1
	s_cbranch_execnz .LBB125_253
; %bb.254:
	s_or_b32 exec_lo, exec_lo, s1
	v_mov_b32_e32 v3, 0
	ds_load_b64 v[3:4], v3 offset:488
	s_waitcnt lgkmcnt(0)
	v_mul_f64 v[1:2], v[1:2], v[3:4]
	scratch_store_b64 off, v[1:2], off offset:488
.LBB125_255:
	s_or_b32 exec_lo, exec_lo, s0
	s_mov_b32 s1, -1
	s_waitcnt_vscnt null, 0x0
	s_barrier
	buffer_gl0_inv
.LBB125_256:
	s_and_b32 vcc_lo, exec_lo, s1
	s_cbranch_vccz .LBB125_258
; %bb.257:
	s_lshl_b64 s[0:1], s[8:9], 2
	v_mov_b32_e32 v1, 0
	s_add_u32 s0, s6, s0
	s_addc_u32 s1, s7, s1
	global_load_b32 v1, v1, s[0:1]
	s_waitcnt vmcnt(0)
	v_cmp_ne_u32_e32 vcc_lo, 0, v1
	s_cbranch_vccz .LBB125_259
.LBB125_258:
	s_endpgm
.LBB125_259:
	v_lshl_add_u32 v5, v0, 3, 0x1f0
	s_mov_b32 s0, exec_lo
	v_cmpx_eq_u32_e32 61, v0
	s_cbranch_execz .LBB125_261
; %bb.260:
	scratch_load_b64 v[1:2], off, off offset:480
	v_mov_b32_e32 v3, 0
	s_delay_alu instid0(VALU_DEP_1)
	v_mov_b32_e32 v4, v3
	scratch_store_b64 off, v[3:4], off offset:480
	s_waitcnt vmcnt(0)
	ds_store_b64 v5, v[1:2]
.LBB125_261:
	s_or_b32 exec_lo, exec_lo, s0
	s_waitcnt lgkmcnt(0)
	s_waitcnt_vscnt null, 0x0
	s_barrier
	buffer_gl0_inv
	scratch_load_b128 v[130:133], off, off offset:480
	v_mov_b32_e32 v1, 0
	s_mov_b32 s0, exec_lo
	ds_load_b64 v[2:3], v1 offset:984
	s_waitcnt vmcnt(0) lgkmcnt(0)
	v_fma_f64 v[2:3], v[132:133], v[2:3], 0
	s_delay_alu instid0(VALU_DEP_1)
	v_add_f64 v[2:3], v[130:131], -v[2:3]
	scratch_store_b64 off, v[2:3], off offset:480
	v_cmpx_lt_u32_e32 59, v0
	s_cbranch_execz .LBB125_263
; %bb.262:
	scratch_load_b64 v[3:4], off, off offset:472
	v_mov_b32_e32 v2, v1
	scratch_store_b64 off, v[1:2], off offset:472
	s_waitcnt vmcnt(0)
	ds_store_b64 v5, v[3:4]
.LBB125_263:
	s_or_b32 exec_lo, exec_lo, s0
	s_waitcnt lgkmcnt(0)
	s_waitcnt_vscnt null, 0x0
	s_barrier
	buffer_gl0_inv
	s_clause 0x1
	scratch_load_b128 v[130:133], off, off offset:472
	scratch_load_b64 v[134:135], off, off offset:488
	ds_load_b128 v[1:4], v1 offset:976
	s_mov_b32 s0, exec_lo
	s_waitcnt vmcnt(1) lgkmcnt(0)
	v_fma_f64 v[1:2], v[132:133], v[1:2], 0
	s_waitcnt vmcnt(0)
	s_delay_alu instid0(VALU_DEP_1) | instskip(NEXT) | instid1(VALU_DEP_1)
	v_fma_f64 v[1:2], v[134:135], v[3:4], v[1:2]
	v_add_f64 v[1:2], v[130:131], -v[1:2]
	scratch_store_b64 off, v[1:2], off offset:472
	v_cmpx_lt_u32_e32 58, v0
	s_cbranch_execz .LBB125_265
; %bb.264:
	scratch_load_b64 v[1:2], off, off offset:464
	v_mov_b32_e32 v3, 0
	s_delay_alu instid0(VALU_DEP_1)
	v_mov_b32_e32 v4, v3
	scratch_store_b64 off, v[3:4], off offset:464
	s_waitcnt vmcnt(0)
	ds_store_b64 v5, v[1:2]
.LBB125_265:
	s_or_b32 exec_lo, exec_lo, s0
	s_waitcnt lgkmcnt(0)
	s_waitcnt_vscnt null, 0x0
	s_barrier
	buffer_gl0_inv
	s_clause 0x1
	scratch_load_b128 v[130:133], off, off offset:464
	scratch_load_b128 v[134:137], off, off offset:480
	v_mov_b32_e32 v1, 0
	ds_load_2addr_b64 v[138:141], v1 offset0:121 offset1:122
	ds_load_b64 v[2:3], v1 offset:984
	s_mov_b32 s0, exec_lo
	s_waitcnt vmcnt(1) lgkmcnt(1)
	v_fma_f64 v[132:133], v[132:133], v[138:139], 0
	s_waitcnt vmcnt(0)
	s_delay_alu instid0(VALU_DEP_1) | instskip(SKIP_1) | instid1(VALU_DEP_1)
	v_fma_f64 v[132:133], v[134:135], v[140:141], v[132:133]
	s_waitcnt lgkmcnt(0)
	v_fma_f64 v[2:3], v[136:137], v[2:3], v[132:133]
	s_delay_alu instid0(VALU_DEP_1)
	v_add_f64 v[2:3], v[130:131], -v[2:3]
	scratch_store_b64 off, v[2:3], off offset:464
	v_cmpx_lt_u32_e32 57, v0
	s_cbranch_execz .LBB125_267
; %bb.266:
	scratch_load_b64 v[3:4], off, off offset:456
	v_mov_b32_e32 v2, v1
	scratch_store_b64 off, v[1:2], off offset:456
	s_waitcnt vmcnt(0)
	ds_store_b64 v5, v[3:4]
.LBB125_267:
	s_or_b32 exec_lo, exec_lo, s0
	s_waitcnt lgkmcnt(0)
	s_waitcnt_vscnt null, 0x0
	s_barrier
	buffer_gl0_inv
	s_clause 0x2
	scratch_load_b128 v[130:133], off, off offset:456
	scratch_load_b128 v[134:137], off, off offset:472
	scratch_load_b64 v[142:143], off, off offset:488
	ds_load_b128 v[138:141], v1 offset:960
	s_mov_b32 s0, exec_lo
	s_waitcnt vmcnt(2) lgkmcnt(0)
	v_fma_f64 v[2:3], v[132:133], v[138:139], 0
	s_waitcnt vmcnt(1)
	s_delay_alu instid0(VALU_DEP_1) | instskip(SKIP_4) | instid1(VALU_DEP_1)
	v_fma_f64 v[132:133], v[134:135], v[140:141], v[2:3]
	ds_load_b128 v[1:4], v1 offset:976
	s_waitcnt lgkmcnt(0)
	v_fma_f64 v[1:2], v[136:137], v[1:2], v[132:133]
	s_waitcnt vmcnt(0)
	v_fma_f64 v[1:2], v[142:143], v[3:4], v[1:2]
	s_delay_alu instid0(VALU_DEP_1)
	v_add_f64 v[1:2], v[130:131], -v[1:2]
	scratch_store_b64 off, v[1:2], off offset:456
	v_cmpx_lt_u32_e32 56, v0
	s_cbranch_execz .LBB125_269
; %bb.268:
	scratch_load_b64 v[1:2], off, off offset:448
	v_mov_b32_e32 v3, 0
	s_delay_alu instid0(VALU_DEP_1)
	v_mov_b32_e32 v4, v3
	scratch_store_b64 off, v[3:4], off offset:448
	s_waitcnt vmcnt(0)
	ds_store_b64 v5, v[1:2]
.LBB125_269:
	s_or_b32 exec_lo, exec_lo, s0
	s_waitcnt lgkmcnt(0)
	s_waitcnt_vscnt null, 0x0
	s_barrier
	buffer_gl0_inv
	s_clause 0x2
	scratch_load_b128 v[130:133], off, off offset:448
	scratch_load_b128 v[134:137], off, off offset:464
	;; [unrolled: 1-line block ×3, first 2 shown]
	v_mov_b32_e32 v1, 0
	s_mov_b32 s0, exec_lo
	ds_load_2addr_b64 v[142:145], v1 offset0:119 offset1:120
	s_waitcnt vmcnt(2) lgkmcnt(0)
	v_fma_f64 v[2:3], v[132:133], v[142:143], 0
	s_waitcnt vmcnt(1)
	s_delay_alu instid0(VALU_DEP_1)
	v_fma_f64 v[2:3], v[134:135], v[144:145], v[2:3]
	ds_load_2addr_b64 v[132:135], v1 offset0:121 offset1:122
	s_waitcnt lgkmcnt(0)
	v_fma_f64 v[2:3], v[136:137], v[132:133], v[2:3]
	ds_load_b64 v[132:133], v1 offset:984
	s_waitcnt vmcnt(0)
	v_fma_f64 v[2:3], v[138:139], v[134:135], v[2:3]
	s_waitcnt lgkmcnt(0)
	s_delay_alu instid0(VALU_DEP_1) | instskip(NEXT) | instid1(VALU_DEP_1)
	v_fma_f64 v[2:3], v[140:141], v[132:133], v[2:3]
	v_add_f64 v[2:3], v[130:131], -v[2:3]
	scratch_store_b64 off, v[2:3], off offset:448
	v_cmpx_lt_u32_e32 55, v0
	s_cbranch_execz .LBB125_271
; %bb.270:
	scratch_load_b64 v[3:4], off, off offset:440
	v_mov_b32_e32 v2, v1
	scratch_store_b64 off, v[1:2], off offset:440
	s_waitcnt vmcnt(0)
	ds_store_b64 v5, v[3:4]
.LBB125_271:
	s_or_b32 exec_lo, exec_lo, s0
	s_waitcnt lgkmcnt(0)
	s_waitcnt_vscnt null, 0x0
	s_barrier
	buffer_gl0_inv
	s_clause 0x3
	scratch_load_b128 v[130:133], off, off offset:440
	scratch_load_b128 v[134:137], off, off offset:456
	;; [unrolled: 1-line block ×3, first 2 shown]
	scratch_load_b64 v[150:151], off, off offset:488
	ds_load_b128 v[142:145], v1 offset:944
	ds_load_b128 v[146:149], v1 offset:960
	s_mov_b32 s0, exec_lo
	s_waitcnt vmcnt(3) lgkmcnt(1)
	v_fma_f64 v[2:3], v[132:133], v[142:143], 0
	s_waitcnt vmcnt(2)
	s_delay_alu instid0(VALU_DEP_1) | instskip(SKIP_1) | instid1(VALU_DEP_1)
	v_fma_f64 v[2:3], v[134:135], v[144:145], v[2:3]
	s_waitcnt lgkmcnt(0)
	v_fma_f64 v[2:3], v[136:137], v[146:147], v[2:3]
	s_waitcnt vmcnt(1)
	s_delay_alu instid0(VALU_DEP_1) | instskip(SKIP_4) | instid1(VALU_DEP_1)
	v_fma_f64 v[132:133], v[138:139], v[148:149], v[2:3]
	ds_load_b128 v[1:4], v1 offset:976
	s_waitcnt lgkmcnt(0)
	v_fma_f64 v[1:2], v[140:141], v[1:2], v[132:133]
	s_waitcnt vmcnt(0)
	v_fma_f64 v[1:2], v[150:151], v[3:4], v[1:2]
	s_delay_alu instid0(VALU_DEP_1)
	v_add_f64 v[1:2], v[130:131], -v[1:2]
	scratch_store_b64 off, v[1:2], off offset:440
	v_cmpx_lt_u32_e32 54, v0
	s_cbranch_execz .LBB125_273
; %bb.272:
	scratch_load_b64 v[1:2], off, off offset:432
	v_mov_b32_e32 v3, 0
	s_delay_alu instid0(VALU_DEP_1)
	v_mov_b32_e32 v4, v3
	scratch_store_b64 off, v[3:4], off offset:432
	s_waitcnt vmcnt(0)
	ds_store_b64 v5, v[1:2]
.LBB125_273:
	s_or_b32 exec_lo, exec_lo, s0
	s_waitcnt lgkmcnt(0)
	s_waitcnt_vscnt null, 0x0
	s_barrier
	buffer_gl0_inv
	s_clause 0x3
	scratch_load_b128 v[130:133], off, off offset:432
	scratch_load_b128 v[134:137], off, off offset:448
	;; [unrolled: 1-line block ×4, first 2 shown]
	v_mov_b32_e32 v1, 0
	ds_load_2addr_b64 v[146:149], v1 offset0:117 offset1:118
	ds_load_2addr_b64 v[150:153], v1 offset0:119 offset1:120
	s_mov_b32 s0, exec_lo
	s_waitcnt vmcnt(3) lgkmcnt(1)
	v_fma_f64 v[2:3], v[132:133], v[146:147], 0
	s_waitcnt vmcnt(2)
	s_delay_alu instid0(VALU_DEP_1) | instskip(SKIP_1) | instid1(VALU_DEP_1)
	v_fma_f64 v[2:3], v[134:135], v[148:149], v[2:3]
	s_waitcnt lgkmcnt(0)
	v_fma_f64 v[2:3], v[136:137], v[150:151], v[2:3]
	ds_load_2addr_b64 v[132:135], v1 offset0:121 offset1:122
	ds_load_b64 v[136:137], v1 offset:984
	s_waitcnt vmcnt(1)
	v_fma_f64 v[2:3], v[138:139], v[152:153], v[2:3]
	s_waitcnt lgkmcnt(1)
	s_delay_alu instid0(VALU_DEP_1) | instskip(SKIP_1) | instid1(VALU_DEP_1)
	v_fma_f64 v[2:3], v[140:141], v[132:133], v[2:3]
	s_waitcnt vmcnt(0)
	v_fma_f64 v[2:3], v[142:143], v[134:135], v[2:3]
	s_waitcnt lgkmcnt(0)
	s_delay_alu instid0(VALU_DEP_1) | instskip(NEXT) | instid1(VALU_DEP_1)
	v_fma_f64 v[2:3], v[144:145], v[136:137], v[2:3]
	v_add_f64 v[2:3], v[130:131], -v[2:3]
	scratch_store_b64 off, v[2:3], off offset:432
	v_cmpx_lt_u32_e32 53, v0
	s_cbranch_execz .LBB125_275
; %bb.274:
	scratch_load_b64 v[3:4], off, off offset:424
	v_mov_b32_e32 v2, v1
	scratch_store_b64 off, v[1:2], off offset:424
	s_waitcnt vmcnt(0)
	ds_store_b64 v5, v[3:4]
.LBB125_275:
	s_or_b32 exec_lo, exec_lo, s0
	s_waitcnt lgkmcnt(0)
	s_waitcnt_vscnt null, 0x0
	s_barrier
	buffer_gl0_inv
	s_clause 0x4
	scratch_load_b128 v[130:133], off, off offset:424
	scratch_load_b128 v[134:137], off, off offset:440
	;; [unrolled: 1-line block ×4, first 2 shown]
	scratch_load_b64 v[154:155], off, off offset:488
	ds_load_b128 v[146:149], v1 offset:928
	ds_load_b128 v[150:153], v1 offset:944
	s_mov_b32 s0, exec_lo
	s_waitcnt vmcnt(4) lgkmcnt(1)
	v_fma_f64 v[2:3], v[132:133], v[146:147], 0
	s_waitcnt vmcnt(3)
	s_delay_alu instid0(VALU_DEP_1) | instskip(SKIP_1) | instid1(VALU_DEP_1)
	v_fma_f64 v[2:3], v[134:135], v[148:149], v[2:3]
	s_waitcnt lgkmcnt(0)
	v_fma_f64 v[2:3], v[136:137], v[150:151], v[2:3]
	s_waitcnt vmcnt(2)
	s_delay_alu instid0(VALU_DEP_1)
	v_fma_f64 v[136:137], v[138:139], v[152:153], v[2:3]
	ds_load_b128 v[132:135], v1 offset:960
	ds_load_b128 v[1:4], v1 offset:976
	s_waitcnt lgkmcnt(1)
	v_fma_f64 v[132:133], v[140:141], v[132:133], v[136:137]
	s_waitcnt vmcnt(1)
	s_delay_alu instid0(VALU_DEP_1) | instskip(SKIP_1) | instid1(VALU_DEP_1)
	v_fma_f64 v[132:133], v[142:143], v[134:135], v[132:133]
	s_waitcnt lgkmcnt(0)
	v_fma_f64 v[1:2], v[144:145], v[1:2], v[132:133]
	s_waitcnt vmcnt(0)
	s_delay_alu instid0(VALU_DEP_1) | instskip(NEXT) | instid1(VALU_DEP_1)
	v_fma_f64 v[1:2], v[154:155], v[3:4], v[1:2]
	v_add_f64 v[1:2], v[130:131], -v[1:2]
	scratch_store_b64 off, v[1:2], off offset:424
	v_cmpx_lt_u32_e32 52, v0
	s_cbranch_execz .LBB125_277
; %bb.276:
	scratch_load_b64 v[1:2], off, off offset:416
	v_mov_b32_e32 v3, 0
	s_delay_alu instid0(VALU_DEP_1)
	v_mov_b32_e32 v4, v3
	scratch_store_b64 off, v[3:4], off offset:416
	s_waitcnt vmcnt(0)
	ds_store_b64 v5, v[1:2]
.LBB125_277:
	s_or_b32 exec_lo, exec_lo, s0
	s_waitcnt lgkmcnt(0)
	s_waitcnt_vscnt null, 0x0
	s_barrier
	buffer_gl0_inv
	s_clause 0x4
	scratch_load_b128 v[130:133], off, off offset:416
	scratch_load_b128 v[134:137], off, off offset:432
	;; [unrolled: 1-line block ×5, first 2 shown]
	v_mov_b32_e32 v1, 0
	ds_load_2addr_b64 v[150:153], v1 offset0:115 offset1:116
	ds_load_2addr_b64 v[154:157], v1 offset0:117 offset1:118
	s_mov_b32 s0, exec_lo
	s_waitcnt vmcnt(4) lgkmcnt(1)
	v_fma_f64 v[2:3], v[132:133], v[150:151], 0
	s_waitcnt vmcnt(3)
	s_delay_alu instid0(VALU_DEP_1) | instskip(SKIP_1) | instid1(VALU_DEP_1)
	v_fma_f64 v[2:3], v[134:135], v[152:153], v[2:3]
	s_waitcnt lgkmcnt(0)
	v_fma_f64 v[2:3], v[136:137], v[154:155], v[2:3]
	s_waitcnt vmcnt(2)
	s_delay_alu instid0(VALU_DEP_1)
	v_fma_f64 v[2:3], v[138:139], v[156:157], v[2:3]
	ds_load_2addr_b64 v[132:135], v1 offset0:119 offset1:120
	ds_load_2addr_b64 v[136:139], v1 offset0:121 offset1:122
	s_waitcnt lgkmcnt(1)
	v_fma_f64 v[2:3], v[140:141], v[132:133], v[2:3]
	ds_load_b64 v[132:133], v1 offset:984
	s_waitcnt vmcnt(1)
	v_fma_f64 v[2:3], v[142:143], v[134:135], v[2:3]
	s_waitcnt lgkmcnt(1)
	s_delay_alu instid0(VALU_DEP_1) | instskip(SKIP_1) | instid1(VALU_DEP_1)
	v_fma_f64 v[2:3], v[144:145], v[136:137], v[2:3]
	s_waitcnt vmcnt(0)
	v_fma_f64 v[2:3], v[146:147], v[138:139], v[2:3]
	s_waitcnt lgkmcnt(0)
	s_delay_alu instid0(VALU_DEP_1) | instskip(NEXT) | instid1(VALU_DEP_1)
	v_fma_f64 v[2:3], v[148:149], v[132:133], v[2:3]
	v_add_f64 v[2:3], v[130:131], -v[2:3]
	scratch_store_b64 off, v[2:3], off offset:416
	v_cmpx_lt_u32_e32 51, v0
	s_cbranch_execz .LBB125_279
; %bb.278:
	scratch_load_b64 v[3:4], off, off offset:408
	v_mov_b32_e32 v2, v1
	scratch_store_b64 off, v[1:2], off offset:408
	s_waitcnt vmcnt(0)
	ds_store_b64 v5, v[3:4]
.LBB125_279:
	s_or_b32 exec_lo, exec_lo, s0
	s_waitcnt lgkmcnt(0)
	s_waitcnt_vscnt null, 0x0
	s_barrier
	buffer_gl0_inv
	s_clause 0x4
	scratch_load_b128 v[130:133], off, off offset:408
	scratch_load_b128 v[134:137], off, off offset:424
	;; [unrolled: 1-line block ×5, first 2 shown]
	ds_load_b128 v[150:153], v1 offset:912
	ds_load_b128 v[154:157], v1 offset:928
	s_mov_b32 s0, exec_lo
	s_waitcnt vmcnt(4) lgkmcnt(1)
	v_fma_f64 v[2:3], v[132:133], v[150:151], 0
	scratch_load_b64 v[150:151], off, off offset:488
	s_waitcnt vmcnt(4)
	v_fma_f64 v[2:3], v[134:135], v[152:153], v[2:3]
	s_waitcnt lgkmcnt(0)
	s_delay_alu instid0(VALU_DEP_1) | instskip(SKIP_1) | instid1(VALU_DEP_1)
	v_fma_f64 v[2:3], v[136:137], v[154:155], v[2:3]
	s_waitcnt vmcnt(3)
	v_fma_f64 v[2:3], v[138:139], v[156:157], v[2:3]
	ds_load_b128 v[132:135], v1 offset:944
	ds_load_b128 v[136:139], v1 offset:960
	s_waitcnt lgkmcnt(1)
	v_fma_f64 v[2:3], v[140:141], v[132:133], v[2:3]
	s_waitcnt vmcnt(2)
	s_delay_alu instid0(VALU_DEP_1) | instskip(SKIP_1) | instid1(VALU_DEP_1)
	v_fma_f64 v[2:3], v[142:143], v[134:135], v[2:3]
	s_waitcnt lgkmcnt(0)
	v_fma_f64 v[2:3], v[144:145], v[136:137], v[2:3]
	s_waitcnt vmcnt(1)
	s_delay_alu instid0(VALU_DEP_1) | instskip(SKIP_4) | instid1(VALU_DEP_1)
	v_fma_f64 v[132:133], v[146:147], v[138:139], v[2:3]
	ds_load_b128 v[1:4], v1 offset:976
	s_waitcnt lgkmcnt(0)
	v_fma_f64 v[1:2], v[148:149], v[1:2], v[132:133]
	s_waitcnt vmcnt(0)
	v_fma_f64 v[1:2], v[150:151], v[3:4], v[1:2]
	s_delay_alu instid0(VALU_DEP_1)
	v_add_f64 v[1:2], v[130:131], -v[1:2]
	scratch_store_b64 off, v[1:2], off offset:408
	v_cmpx_lt_u32_e32 50, v0
	s_cbranch_execz .LBB125_281
; %bb.280:
	scratch_load_b64 v[1:2], off, off offset:400
	v_mov_b32_e32 v3, 0
	s_delay_alu instid0(VALU_DEP_1)
	v_mov_b32_e32 v4, v3
	scratch_store_b64 off, v[3:4], off offset:400
	s_waitcnt vmcnt(0)
	ds_store_b64 v5, v[1:2]
.LBB125_281:
	s_or_b32 exec_lo, exec_lo, s0
	s_waitcnt lgkmcnt(0)
	s_waitcnt_vscnt null, 0x0
	s_barrier
	buffer_gl0_inv
	s_clause 0x4
	scratch_load_b128 v[130:133], off, off offset:400
	scratch_load_b128 v[134:137], off, off offset:416
	;; [unrolled: 1-line block ×5, first 2 shown]
	v_mov_b32_e32 v1, 0
	ds_load_2addr_b64 v[150:153], v1 offset0:113 offset1:114
	ds_load_2addr_b64 v[154:157], v1 offset0:115 offset1:116
	scratch_load_b128 v[158:161], off, off offset:480
	s_mov_b32 s0, exec_lo
	s_waitcnt vmcnt(5) lgkmcnt(1)
	v_fma_f64 v[2:3], v[132:133], v[150:151], 0
	s_waitcnt vmcnt(4)
	s_delay_alu instid0(VALU_DEP_1) | instskip(SKIP_1) | instid1(VALU_DEP_1)
	v_fma_f64 v[2:3], v[134:135], v[152:153], v[2:3]
	s_waitcnt lgkmcnt(0)
	v_fma_f64 v[2:3], v[136:137], v[154:155], v[2:3]
	s_waitcnt vmcnt(3)
	s_delay_alu instid0(VALU_DEP_1)
	v_fma_f64 v[2:3], v[138:139], v[156:157], v[2:3]
	ds_load_2addr_b64 v[132:135], v1 offset0:117 offset1:118
	ds_load_2addr_b64 v[136:139], v1 offset0:119 offset1:120
	s_waitcnt lgkmcnt(1)
	v_fma_f64 v[2:3], v[140:141], v[132:133], v[2:3]
	s_waitcnt vmcnt(2)
	s_delay_alu instid0(VALU_DEP_1) | instskip(SKIP_1) | instid1(VALU_DEP_1)
	v_fma_f64 v[2:3], v[142:143], v[134:135], v[2:3]
	s_waitcnt lgkmcnt(0)
	v_fma_f64 v[2:3], v[144:145], v[136:137], v[2:3]
	ds_load_2addr_b64 v[132:135], v1 offset0:121 offset1:122
	ds_load_b64 v[136:137], v1 offset:984
	s_waitcnt vmcnt(1)
	v_fma_f64 v[2:3], v[146:147], v[138:139], v[2:3]
	s_waitcnt lgkmcnt(1)
	s_delay_alu instid0(VALU_DEP_1) | instskip(SKIP_1) | instid1(VALU_DEP_1)
	v_fma_f64 v[2:3], v[148:149], v[132:133], v[2:3]
	s_waitcnt vmcnt(0)
	v_fma_f64 v[2:3], v[158:159], v[134:135], v[2:3]
	s_waitcnt lgkmcnt(0)
	s_delay_alu instid0(VALU_DEP_1) | instskip(NEXT) | instid1(VALU_DEP_1)
	v_fma_f64 v[2:3], v[160:161], v[136:137], v[2:3]
	v_add_f64 v[2:3], v[130:131], -v[2:3]
	scratch_store_b64 off, v[2:3], off offset:400
	v_cmpx_lt_u32_e32 49, v0
	s_cbranch_execz .LBB125_283
; %bb.282:
	scratch_load_b64 v[3:4], off, off offset:392
	v_mov_b32_e32 v2, v1
	scratch_store_b64 off, v[1:2], off offset:392
	s_waitcnt vmcnt(0)
	ds_store_b64 v5, v[3:4]
.LBB125_283:
	s_or_b32 exec_lo, exec_lo, s0
	s_waitcnt lgkmcnt(0)
	s_waitcnt_vscnt null, 0x0
	s_barrier
	buffer_gl0_inv
	s_clause 0x4
	scratch_load_b128 v[130:133], off, off offset:392
	scratch_load_b128 v[134:137], off, off offset:408
	;; [unrolled: 1-line block ×5, first 2 shown]
	ds_load_b128 v[150:153], v1 offset:896
	ds_load_b128 v[154:157], v1 offset:912
	scratch_load_b128 v[158:161], off, off offset:472
	s_mov_b32 s0, exec_lo
	s_waitcnt vmcnt(5) lgkmcnt(1)
	v_fma_f64 v[2:3], v[132:133], v[150:151], 0
	scratch_load_b64 v[150:151], off, off offset:488
	s_waitcnt vmcnt(5)
	v_fma_f64 v[2:3], v[134:135], v[152:153], v[2:3]
	s_waitcnt lgkmcnt(0)
	s_delay_alu instid0(VALU_DEP_1) | instskip(SKIP_1) | instid1(VALU_DEP_1)
	v_fma_f64 v[2:3], v[136:137], v[154:155], v[2:3]
	s_waitcnt vmcnt(4)
	v_fma_f64 v[2:3], v[138:139], v[156:157], v[2:3]
	ds_load_b128 v[132:135], v1 offset:928
	ds_load_b128 v[136:139], v1 offset:944
	s_waitcnt lgkmcnt(1)
	v_fma_f64 v[2:3], v[140:141], v[132:133], v[2:3]
	s_waitcnt vmcnt(3)
	s_delay_alu instid0(VALU_DEP_1) | instskip(SKIP_1) | instid1(VALU_DEP_1)
	v_fma_f64 v[2:3], v[142:143], v[134:135], v[2:3]
	s_waitcnt lgkmcnt(0)
	v_fma_f64 v[2:3], v[144:145], v[136:137], v[2:3]
	s_waitcnt vmcnt(2)
	s_delay_alu instid0(VALU_DEP_1)
	v_fma_f64 v[136:137], v[146:147], v[138:139], v[2:3]
	ds_load_b128 v[132:135], v1 offset:960
	ds_load_b128 v[1:4], v1 offset:976
	s_waitcnt lgkmcnt(1)
	v_fma_f64 v[132:133], v[148:149], v[132:133], v[136:137]
	s_waitcnt vmcnt(1)
	s_delay_alu instid0(VALU_DEP_1) | instskip(SKIP_1) | instid1(VALU_DEP_1)
	v_fma_f64 v[132:133], v[158:159], v[134:135], v[132:133]
	s_waitcnt lgkmcnt(0)
	v_fma_f64 v[1:2], v[160:161], v[1:2], v[132:133]
	s_waitcnt vmcnt(0)
	s_delay_alu instid0(VALU_DEP_1) | instskip(NEXT) | instid1(VALU_DEP_1)
	v_fma_f64 v[1:2], v[150:151], v[3:4], v[1:2]
	v_add_f64 v[1:2], v[130:131], -v[1:2]
	scratch_store_b64 off, v[1:2], off offset:392
	v_cmpx_lt_u32_e32 48, v0
	s_cbranch_execz .LBB125_285
; %bb.284:
	scratch_load_b64 v[1:2], off, off offset:384
	v_mov_b32_e32 v3, 0
	s_delay_alu instid0(VALU_DEP_1)
	v_mov_b32_e32 v4, v3
	scratch_store_b64 off, v[3:4], off offset:384
	s_waitcnt vmcnt(0)
	ds_store_b64 v5, v[1:2]
.LBB125_285:
	s_or_b32 exec_lo, exec_lo, s0
	s_waitcnt lgkmcnt(0)
	s_waitcnt_vscnt null, 0x0
	s_barrier
	buffer_gl0_inv
	s_clause 0x4
	scratch_load_b128 v[130:133], off, off offset:384
	scratch_load_b128 v[134:137], off, off offset:400
	;; [unrolled: 1-line block ×5, first 2 shown]
	v_mov_b32_e32 v1, 0
	ds_load_2addr_b64 v[150:153], v1 offset0:111 offset1:112
	ds_load_2addr_b64 v[154:157], v1 offset0:113 offset1:114
	scratch_load_b128 v[158:161], off, off offset:464
	s_mov_b32 s0, exec_lo
	s_waitcnt vmcnt(5) lgkmcnt(1)
	v_fma_f64 v[2:3], v[132:133], v[150:151], 0
	s_waitcnt vmcnt(4)
	s_delay_alu instid0(VALU_DEP_1) | instskip(SKIP_4) | instid1(VALU_DEP_1)
	v_fma_f64 v[2:3], v[134:135], v[152:153], v[2:3]
	scratch_load_b128 v[132:135], off, off offset:480
	s_waitcnt lgkmcnt(0)
	v_fma_f64 v[2:3], v[136:137], v[154:155], v[2:3]
	s_waitcnt vmcnt(4)
	v_fma_f64 v[2:3], v[138:139], v[156:157], v[2:3]
	ds_load_2addr_b64 v[136:139], v1 offset0:115 offset1:116
	ds_load_2addr_b64 v[150:153], v1 offset0:117 offset1:118
	s_waitcnt lgkmcnt(1)
	v_fma_f64 v[2:3], v[140:141], v[136:137], v[2:3]
	s_waitcnt vmcnt(3)
	s_delay_alu instid0(VALU_DEP_1)
	v_fma_f64 v[2:3], v[142:143], v[138:139], v[2:3]
	ds_load_2addr_b64 v[136:139], v1 offset0:119 offset1:120
	ds_load_2addr_b64 v[140:143], v1 offset0:121 offset1:122
	s_waitcnt lgkmcnt(2)
	v_fma_f64 v[2:3], v[144:145], v[150:151], v[2:3]
	s_waitcnt vmcnt(2)
	s_delay_alu instid0(VALU_DEP_1) | instskip(SKIP_1) | instid1(VALU_DEP_1)
	v_fma_f64 v[2:3], v[146:147], v[152:153], v[2:3]
	s_waitcnt lgkmcnt(1)
	v_fma_f64 v[2:3], v[148:149], v[136:137], v[2:3]
	s_waitcnt vmcnt(1)
	s_delay_alu instid0(VALU_DEP_1) | instskip(SKIP_1) | instid1(VALU_DEP_1)
	v_fma_f64 v[2:3], v[158:159], v[138:139], v[2:3]
	s_waitcnt lgkmcnt(0)
	v_fma_f64 v[2:3], v[160:161], v[140:141], v[2:3]
	s_waitcnt vmcnt(0)
	s_delay_alu instid0(VALU_DEP_1) | instskip(SKIP_3) | instid1(VALU_DEP_1)
	v_fma_f64 v[2:3], v[132:133], v[142:143], v[2:3]
	ds_load_b64 v[132:133], v1 offset:984
	s_waitcnt lgkmcnt(0)
	v_fma_f64 v[2:3], v[134:135], v[132:133], v[2:3]
	v_add_f64 v[2:3], v[130:131], -v[2:3]
	scratch_store_b64 off, v[2:3], off offset:384
	v_cmpx_lt_u32_e32 47, v0
	s_cbranch_execz .LBB125_287
; %bb.286:
	scratch_load_b64 v[3:4], off, off offset:376
	v_mov_b32_e32 v2, v1
	scratch_store_b64 off, v[1:2], off offset:376
	s_waitcnt vmcnt(0)
	ds_store_b64 v5, v[3:4]
.LBB125_287:
	s_or_b32 exec_lo, exec_lo, s0
	s_waitcnt lgkmcnt(0)
	s_waitcnt_vscnt null, 0x0
	s_barrier
	buffer_gl0_inv
	s_clause 0x4
	scratch_load_b128 v[130:133], off, off offset:376
	scratch_load_b128 v[134:137], off, off offset:392
	;; [unrolled: 1-line block ×5, first 2 shown]
	ds_load_b128 v[150:153], v1 offset:880
	ds_load_b128 v[154:157], v1 offset:896
	scratch_load_b128 v[158:161], off, off offset:456
	s_mov_b32 s0, exec_lo
	s_waitcnt vmcnt(5) lgkmcnt(1)
	v_fma_f64 v[2:3], v[132:133], v[150:151], 0
	s_waitcnt vmcnt(4)
	s_delay_alu instid0(VALU_DEP_1) | instskip(SKIP_4) | instid1(VALU_DEP_1)
	v_fma_f64 v[2:3], v[134:135], v[152:153], v[2:3]
	scratch_load_b128 v[132:135], off, off offset:472
	s_waitcnt lgkmcnt(0)
	v_fma_f64 v[2:3], v[136:137], v[154:155], v[2:3]
	s_waitcnt vmcnt(4)
	v_fma_f64 v[2:3], v[138:139], v[156:157], v[2:3]
	ds_load_b128 v[136:139], v1 offset:912
	ds_load_b128 v[150:153], v1 offset:928
	scratch_load_b64 v[154:155], off, off offset:488
	s_waitcnt lgkmcnt(1)
	v_fma_f64 v[2:3], v[140:141], v[136:137], v[2:3]
	s_waitcnt vmcnt(4)
	s_delay_alu instid0(VALU_DEP_1)
	v_fma_f64 v[2:3], v[142:143], v[138:139], v[2:3]
	ds_load_b128 v[136:139], v1 offset:944
	ds_load_b128 v[140:143], v1 offset:960
	s_waitcnt lgkmcnt(2)
	v_fma_f64 v[2:3], v[144:145], v[150:151], v[2:3]
	s_waitcnt vmcnt(3)
	s_delay_alu instid0(VALU_DEP_1) | instskip(SKIP_1) | instid1(VALU_DEP_1)
	v_fma_f64 v[2:3], v[146:147], v[152:153], v[2:3]
	s_waitcnt lgkmcnt(1)
	v_fma_f64 v[2:3], v[148:149], v[136:137], v[2:3]
	s_waitcnt vmcnt(2)
	s_delay_alu instid0(VALU_DEP_1) | instskip(SKIP_1) | instid1(VALU_DEP_1)
	v_fma_f64 v[2:3], v[158:159], v[138:139], v[2:3]
	s_waitcnt lgkmcnt(0)
	v_fma_f64 v[2:3], v[160:161], v[140:141], v[2:3]
	s_waitcnt vmcnt(1)
	s_delay_alu instid0(VALU_DEP_1) | instskip(SKIP_4) | instid1(VALU_DEP_1)
	v_fma_f64 v[132:133], v[132:133], v[142:143], v[2:3]
	ds_load_b128 v[1:4], v1 offset:976
	s_waitcnt lgkmcnt(0)
	v_fma_f64 v[1:2], v[134:135], v[1:2], v[132:133]
	s_waitcnt vmcnt(0)
	v_fma_f64 v[1:2], v[154:155], v[3:4], v[1:2]
	s_delay_alu instid0(VALU_DEP_1)
	v_add_f64 v[1:2], v[130:131], -v[1:2]
	scratch_store_b64 off, v[1:2], off offset:376
	v_cmpx_lt_u32_e32 46, v0
	s_cbranch_execz .LBB125_289
; %bb.288:
	scratch_load_b64 v[1:2], off, off offset:368
	v_mov_b32_e32 v3, 0
	s_delay_alu instid0(VALU_DEP_1)
	v_mov_b32_e32 v4, v3
	scratch_store_b64 off, v[3:4], off offset:368
	s_waitcnt vmcnt(0)
	ds_store_b64 v5, v[1:2]
.LBB125_289:
	s_or_b32 exec_lo, exec_lo, s0
	s_waitcnt lgkmcnt(0)
	s_waitcnt_vscnt null, 0x0
	s_barrier
	buffer_gl0_inv
	s_clause 0x4
	scratch_load_b128 v[130:133], off, off offset:368
	scratch_load_b128 v[134:137], off, off offset:384
	scratch_load_b128 v[138:141], off, off offset:400
	scratch_load_b128 v[142:145], off, off offset:416
	scratch_load_b128 v[146:149], off, off offset:432
	v_mov_b32_e32 v1, 0
	ds_load_2addr_b64 v[150:153], v1 offset0:109 offset1:110
	ds_load_2addr_b64 v[154:157], v1 offset0:111 offset1:112
	scratch_load_b128 v[158:161], off, off offset:448
	s_mov_b32 s0, exec_lo
	s_waitcnt vmcnt(5) lgkmcnt(1)
	v_fma_f64 v[2:3], v[132:133], v[150:151], 0
	s_waitcnt vmcnt(4)
	s_delay_alu instid0(VALU_DEP_1) | instskip(SKIP_4) | instid1(VALU_DEP_1)
	v_fma_f64 v[2:3], v[134:135], v[152:153], v[2:3]
	scratch_load_b128 v[132:135], off, off offset:464
	s_waitcnt lgkmcnt(0)
	v_fma_f64 v[2:3], v[136:137], v[154:155], v[2:3]
	s_waitcnt vmcnt(4)
	v_fma_f64 v[2:3], v[138:139], v[156:157], v[2:3]
	ds_load_2addr_b64 v[136:139], v1 offset0:113 offset1:114
	ds_load_2addr_b64 v[150:153], v1 offset0:115 offset1:116
	scratch_load_b128 v[154:157], off, off offset:480
	s_waitcnt lgkmcnt(1)
	v_fma_f64 v[2:3], v[140:141], v[136:137], v[2:3]
	s_waitcnt vmcnt(4)
	s_delay_alu instid0(VALU_DEP_1)
	v_fma_f64 v[2:3], v[142:143], v[138:139], v[2:3]
	ds_load_2addr_b64 v[136:139], v1 offset0:117 offset1:118
	ds_load_2addr_b64 v[140:143], v1 offset0:119 offset1:120
	s_waitcnt lgkmcnt(2)
	v_fma_f64 v[2:3], v[144:145], v[150:151], v[2:3]
	s_waitcnt vmcnt(3)
	s_delay_alu instid0(VALU_DEP_1) | instskip(SKIP_1) | instid1(VALU_DEP_1)
	v_fma_f64 v[2:3], v[146:147], v[152:153], v[2:3]
	s_waitcnt lgkmcnt(1)
	v_fma_f64 v[2:3], v[148:149], v[136:137], v[2:3]
	s_waitcnt vmcnt(2)
	s_delay_alu instid0(VALU_DEP_1) | instskip(SKIP_1) | instid1(VALU_DEP_1)
	v_fma_f64 v[2:3], v[158:159], v[138:139], v[2:3]
	s_waitcnt lgkmcnt(0)
	v_fma_f64 v[2:3], v[160:161], v[140:141], v[2:3]
	s_waitcnt vmcnt(1)
	s_delay_alu instid0(VALU_DEP_1)
	v_fma_f64 v[2:3], v[132:133], v[142:143], v[2:3]
	ds_load_2addr_b64 v[136:139], v1 offset0:121 offset1:122
	ds_load_b64 v[132:133], v1 offset:984
	s_waitcnt lgkmcnt(1)
	v_fma_f64 v[2:3], v[134:135], v[136:137], v[2:3]
	s_waitcnt vmcnt(0)
	s_delay_alu instid0(VALU_DEP_1) | instskip(SKIP_1) | instid1(VALU_DEP_1)
	v_fma_f64 v[2:3], v[154:155], v[138:139], v[2:3]
	s_waitcnt lgkmcnt(0)
	v_fma_f64 v[2:3], v[156:157], v[132:133], v[2:3]
	s_delay_alu instid0(VALU_DEP_1)
	v_add_f64 v[2:3], v[130:131], -v[2:3]
	scratch_store_b64 off, v[2:3], off offset:368
	v_cmpx_lt_u32_e32 45, v0
	s_cbranch_execz .LBB125_291
; %bb.290:
	scratch_load_b64 v[3:4], off, off offset:360
	v_mov_b32_e32 v2, v1
	scratch_store_b64 off, v[1:2], off offset:360
	s_waitcnt vmcnt(0)
	ds_store_b64 v5, v[3:4]
.LBB125_291:
	s_or_b32 exec_lo, exec_lo, s0
	s_waitcnt lgkmcnt(0)
	s_waitcnt_vscnt null, 0x0
	s_barrier
	buffer_gl0_inv
	s_clause 0x4
	scratch_load_b128 v[130:133], off, off offset:360
	scratch_load_b128 v[134:137], off, off offset:376
	;; [unrolled: 1-line block ×5, first 2 shown]
	ds_load_b128 v[150:153], v1 offset:864
	ds_load_b128 v[154:157], v1 offset:880
	scratch_load_b128 v[158:161], off, off offset:440
	s_mov_b32 s0, exec_lo
	s_waitcnt vmcnt(5) lgkmcnt(1)
	v_fma_f64 v[2:3], v[132:133], v[150:151], 0
	s_waitcnt vmcnt(4)
	s_delay_alu instid0(VALU_DEP_1) | instskip(SKIP_4) | instid1(VALU_DEP_1)
	v_fma_f64 v[2:3], v[134:135], v[152:153], v[2:3]
	scratch_load_b128 v[132:135], off, off offset:456
	s_waitcnt lgkmcnt(0)
	v_fma_f64 v[2:3], v[136:137], v[154:155], v[2:3]
	s_waitcnt vmcnt(4)
	v_fma_f64 v[2:3], v[138:139], v[156:157], v[2:3]
	ds_load_b128 v[136:139], v1 offset:896
	ds_load_b128 v[150:153], v1 offset:912
	scratch_load_b128 v[154:157], off, off offset:472
	s_waitcnt lgkmcnt(1)
	v_fma_f64 v[2:3], v[140:141], v[136:137], v[2:3]
	s_waitcnt vmcnt(4)
	s_delay_alu instid0(VALU_DEP_1) | instskip(SKIP_1) | instid1(VALU_DEP_1)
	v_fma_f64 v[2:3], v[142:143], v[138:139], v[2:3]
	s_waitcnt lgkmcnt(0)
	v_fma_f64 v[2:3], v[144:145], v[150:151], v[2:3]
	scratch_load_b64 v[144:145], off, off offset:488
	ds_load_b128 v[136:139], v1 offset:928
	ds_load_b128 v[140:143], v1 offset:944
	s_waitcnt vmcnt(4)
	v_fma_f64 v[2:3], v[146:147], v[152:153], v[2:3]
	s_waitcnt lgkmcnt(1)
	s_delay_alu instid0(VALU_DEP_1) | instskip(SKIP_1) | instid1(VALU_DEP_1)
	v_fma_f64 v[2:3], v[148:149], v[136:137], v[2:3]
	s_waitcnt vmcnt(3)
	v_fma_f64 v[2:3], v[158:159], v[138:139], v[2:3]
	s_waitcnt lgkmcnt(0)
	s_delay_alu instid0(VALU_DEP_1) | instskip(SKIP_1) | instid1(VALU_DEP_1)
	v_fma_f64 v[2:3], v[160:161], v[140:141], v[2:3]
	s_waitcnt vmcnt(2)
	v_fma_f64 v[132:133], v[132:133], v[142:143], v[2:3]
	ds_load_b128 v[136:139], v1 offset:960
	ds_load_b128 v[1:4], v1 offset:976
	s_waitcnt lgkmcnt(1)
	v_fma_f64 v[132:133], v[134:135], v[136:137], v[132:133]
	s_waitcnt vmcnt(1)
	s_delay_alu instid0(VALU_DEP_1) | instskip(SKIP_1) | instid1(VALU_DEP_1)
	v_fma_f64 v[132:133], v[154:155], v[138:139], v[132:133]
	s_waitcnt lgkmcnt(0)
	v_fma_f64 v[1:2], v[156:157], v[1:2], v[132:133]
	s_waitcnt vmcnt(0)
	s_delay_alu instid0(VALU_DEP_1) | instskip(NEXT) | instid1(VALU_DEP_1)
	v_fma_f64 v[1:2], v[144:145], v[3:4], v[1:2]
	v_add_f64 v[1:2], v[130:131], -v[1:2]
	scratch_store_b64 off, v[1:2], off offset:360
	v_cmpx_lt_u32_e32 44, v0
	s_cbranch_execz .LBB125_293
; %bb.292:
	scratch_load_b64 v[1:2], off, off offset:352
	v_mov_b32_e32 v3, 0
	s_delay_alu instid0(VALU_DEP_1)
	v_mov_b32_e32 v4, v3
	scratch_store_b64 off, v[3:4], off offset:352
	s_waitcnt vmcnt(0)
	ds_store_b64 v5, v[1:2]
.LBB125_293:
	s_or_b32 exec_lo, exec_lo, s0
	s_waitcnt lgkmcnt(0)
	s_waitcnt_vscnt null, 0x0
	s_barrier
	buffer_gl0_inv
	s_clause 0x4
	scratch_load_b128 v[130:133], off, off offset:352
	scratch_load_b128 v[134:137], off, off offset:368
	;; [unrolled: 1-line block ×5, first 2 shown]
	v_mov_b32_e32 v1, 0
	ds_load_2addr_b64 v[150:153], v1 offset0:107 offset1:108
	ds_load_2addr_b64 v[154:157], v1 offset0:109 offset1:110
	scratch_load_b128 v[158:161], off, off offset:432
	s_mov_b32 s0, exec_lo
	s_waitcnt vmcnt(5) lgkmcnt(1)
	v_fma_f64 v[2:3], v[132:133], v[150:151], 0
	s_waitcnt vmcnt(4)
	s_delay_alu instid0(VALU_DEP_1) | instskip(SKIP_4) | instid1(VALU_DEP_1)
	v_fma_f64 v[2:3], v[134:135], v[152:153], v[2:3]
	scratch_load_b128 v[132:135], off, off offset:448
	s_waitcnt lgkmcnt(0)
	v_fma_f64 v[2:3], v[136:137], v[154:155], v[2:3]
	s_waitcnt vmcnt(4)
	v_fma_f64 v[2:3], v[138:139], v[156:157], v[2:3]
	ds_load_2addr_b64 v[136:139], v1 offset0:111 offset1:112
	ds_load_2addr_b64 v[150:153], v1 offset0:113 offset1:114
	scratch_load_b128 v[154:157], off, off offset:464
	s_waitcnt lgkmcnt(1)
	v_fma_f64 v[2:3], v[140:141], v[136:137], v[2:3]
	s_waitcnt vmcnt(4)
	s_delay_alu instid0(VALU_DEP_1) | instskip(SKIP_4) | instid1(VALU_DEP_1)
	v_fma_f64 v[2:3], v[142:143], v[138:139], v[2:3]
	scratch_load_b128 v[136:139], off, off offset:480
	s_waitcnt lgkmcnt(0)
	v_fma_f64 v[2:3], v[144:145], v[150:151], v[2:3]
	s_waitcnt vmcnt(4)
	v_fma_f64 v[2:3], v[146:147], v[152:153], v[2:3]
	ds_load_2addr_b64 v[140:143], v1 offset0:115 offset1:116
	ds_load_2addr_b64 v[144:147], v1 offset0:117 offset1:118
	s_waitcnt lgkmcnt(1)
	v_fma_f64 v[2:3], v[148:149], v[140:141], v[2:3]
	s_waitcnt vmcnt(3)
	s_delay_alu instid0(VALU_DEP_1) | instskip(SKIP_1) | instid1(VALU_DEP_1)
	v_fma_f64 v[2:3], v[158:159], v[142:143], v[2:3]
	s_waitcnt lgkmcnt(0)
	v_fma_f64 v[2:3], v[160:161], v[144:145], v[2:3]
	s_waitcnt vmcnt(2)
	s_delay_alu instid0(VALU_DEP_1)
	v_fma_f64 v[2:3], v[132:133], v[146:147], v[2:3]
	ds_load_2addr_b64 v[140:143], v1 offset0:119 offset1:120
	ds_load_2addr_b64 v[144:147], v1 offset0:121 offset1:122
	ds_load_b64 v[132:133], v1 offset:984
	s_waitcnt lgkmcnt(2)
	v_fma_f64 v[2:3], v[134:135], v[140:141], v[2:3]
	s_waitcnt vmcnt(1)
	s_delay_alu instid0(VALU_DEP_1) | instskip(SKIP_1) | instid1(VALU_DEP_1)
	v_fma_f64 v[2:3], v[154:155], v[142:143], v[2:3]
	s_waitcnt lgkmcnt(1)
	v_fma_f64 v[2:3], v[156:157], v[144:145], v[2:3]
	s_waitcnt vmcnt(0)
	s_delay_alu instid0(VALU_DEP_1) | instskip(SKIP_1) | instid1(VALU_DEP_1)
	v_fma_f64 v[2:3], v[136:137], v[146:147], v[2:3]
	s_waitcnt lgkmcnt(0)
	v_fma_f64 v[2:3], v[138:139], v[132:133], v[2:3]
	s_delay_alu instid0(VALU_DEP_1)
	v_add_f64 v[2:3], v[130:131], -v[2:3]
	scratch_store_b64 off, v[2:3], off offset:352
	v_cmpx_lt_u32_e32 43, v0
	s_cbranch_execz .LBB125_295
; %bb.294:
	scratch_load_b64 v[3:4], off, off offset:344
	v_mov_b32_e32 v2, v1
	scratch_store_b64 off, v[1:2], off offset:344
	s_waitcnt vmcnt(0)
	ds_store_b64 v5, v[3:4]
.LBB125_295:
	s_or_b32 exec_lo, exec_lo, s0
	s_waitcnt lgkmcnt(0)
	s_waitcnt_vscnt null, 0x0
	s_barrier
	buffer_gl0_inv
	s_clause 0x4
	scratch_load_b128 v[130:133], off, off offset:344
	scratch_load_b128 v[134:137], off, off offset:360
	;; [unrolled: 1-line block ×5, first 2 shown]
	ds_load_b128 v[150:153], v1 offset:848
	ds_load_b128 v[154:157], v1 offset:864
	scratch_load_b128 v[158:161], off, off offset:424
	s_mov_b32 s0, exec_lo
	s_waitcnt vmcnt(5) lgkmcnt(1)
	v_fma_f64 v[2:3], v[132:133], v[150:151], 0
	s_waitcnt vmcnt(4)
	s_delay_alu instid0(VALU_DEP_1) | instskip(SKIP_4) | instid1(VALU_DEP_1)
	v_fma_f64 v[2:3], v[134:135], v[152:153], v[2:3]
	scratch_load_b128 v[132:135], off, off offset:440
	s_waitcnt lgkmcnt(0)
	v_fma_f64 v[2:3], v[136:137], v[154:155], v[2:3]
	s_waitcnt vmcnt(4)
	v_fma_f64 v[2:3], v[138:139], v[156:157], v[2:3]
	ds_load_b128 v[136:139], v1 offset:880
	ds_load_b128 v[150:153], v1 offset:896
	scratch_load_b128 v[154:157], off, off offset:456
	s_waitcnt lgkmcnt(1)
	v_fma_f64 v[2:3], v[140:141], v[136:137], v[2:3]
	s_waitcnt vmcnt(4)
	s_delay_alu instid0(VALU_DEP_1) | instskip(SKIP_4) | instid1(VALU_DEP_1)
	v_fma_f64 v[2:3], v[142:143], v[138:139], v[2:3]
	scratch_load_b128 v[136:139], off, off offset:472
	s_waitcnt lgkmcnt(0)
	v_fma_f64 v[2:3], v[144:145], v[150:151], v[2:3]
	s_waitcnt vmcnt(4)
	v_fma_f64 v[2:3], v[146:147], v[152:153], v[2:3]
	ds_load_b128 v[140:143], v1 offset:912
	ds_load_b128 v[144:147], v1 offset:928
	s_waitcnt lgkmcnt(1)
	v_fma_f64 v[2:3], v[148:149], v[140:141], v[2:3]
	scratch_load_b64 v[148:149], off, off offset:488
	s_waitcnt vmcnt(4)
	v_fma_f64 v[2:3], v[158:159], v[142:143], v[2:3]
	s_waitcnt lgkmcnt(0)
	s_delay_alu instid0(VALU_DEP_1) | instskip(SKIP_1) | instid1(VALU_DEP_1)
	v_fma_f64 v[2:3], v[160:161], v[144:145], v[2:3]
	s_waitcnt vmcnt(3)
	v_fma_f64 v[2:3], v[132:133], v[146:147], v[2:3]
	ds_load_b128 v[140:143], v1 offset:944
	ds_load_b128 v[144:147], v1 offset:960
	s_waitcnt lgkmcnt(1)
	v_fma_f64 v[2:3], v[134:135], v[140:141], v[2:3]
	s_waitcnt vmcnt(2)
	s_delay_alu instid0(VALU_DEP_1) | instskip(SKIP_1) | instid1(VALU_DEP_1)
	v_fma_f64 v[2:3], v[154:155], v[142:143], v[2:3]
	s_waitcnt lgkmcnt(0)
	v_fma_f64 v[2:3], v[156:157], v[144:145], v[2:3]
	s_waitcnt vmcnt(1)
	s_delay_alu instid0(VALU_DEP_1) | instskip(SKIP_4) | instid1(VALU_DEP_1)
	v_fma_f64 v[132:133], v[136:137], v[146:147], v[2:3]
	ds_load_b128 v[1:4], v1 offset:976
	s_waitcnt lgkmcnt(0)
	v_fma_f64 v[1:2], v[138:139], v[1:2], v[132:133]
	s_waitcnt vmcnt(0)
	v_fma_f64 v[1:2], v[148:149], v[3:4], v[1:2]
	s_delay_alu instid0(VALU_DEP_1)
	v_add_f64 v[1:2], v[130:131], -v[1:2]
	scratch_store_b64 off, v[1:2], off offset:344
	v_cmpx_lt_u32_e32 42, v0
	s_cbranch_execz .LBB125_297
; %bb.296:
	scratch_load_b64 v[1:2], off, off offset:336
	v_mov_b32_e32 v3, 0
	s_delay_alu instid0(VALU_DEP_1)
	v_mov_b32_e32 v4, v3
	scratch_store_b64 off, v[3:4], off offset:336
	s_waitcnt vmcnt(0)
	ds_store_b64 v5, v[1:2]
.LBB125_297:
	s_or_b32 exec_lo, exec_lo, s0
	s_waitcnt lgkmcnt(0)
	s_waitcnt_vscnt null, 0x0
	s_barrier
	buffer_gl0_inv
	s_clause 0x4
	scratch_load_b128 v[130:133], off, off offset:336
	scratch_load_b128 v[134:137], off, off offset:352
	;; [unrolled: 1-line block ×5, first 2 shown]
	v_mov_b32_e32 v1, 0
	ds_load_2addr_b64 v[150:153], v1 offset0:105 offset1:106
	ds_load_2addr_b64 v[154:157], v1 offset0:107 offset1:108
	scratch_load_b128 v[158:161], off, off offset:416
	s_mov_b32 s0, exec_lo
	s_waitcnt vmcnt(5) lgkmcnt(1)
	v_fma_f64 v[2:3], v[132:133], v[150:151], 0
	s_waitcnt vmcnt(4)
	s_delay_alu instid0(VALU_DEP_1) | instskip(SKIP_4) | instid1(VALU_DEP_1)
	v_fma_f64 v[2:3], v[134:135], v[152:153], v[2:3]
	scratch_load_b128 v[132:135], off, off offset:432
	s_waitcnt lgkmcnt(0)
	v_fma_f64 v[2:3], v[136:137], v[154:155], v[2:3]
	s_waitcnt vmcnt(4)
	v_fma_f64 v[2:3], v[138:139], v[156:157], v[2:3]
	ds_load_2addr_b64 v[136:139], v1 offset0:109 offset1:110
	ds_load_2addr_b64 v[150:153], v1 offset0:111 offset1:112
	scratch_load_b128 v[154:157], off, off offset:448
	s_waitcnt lgkmcnt(1)
	v_fma_f64 v[2:3], v[140:141], v[136:137], v[2:3]
	s_waitcnt vmcnt(4)
	s_delay_alu instid0(VALU_DEP_1) | instskip(SKIP_4) | instid1(VALU_DEP_1)
	v_fma_f64 v[2:3], v[142:143], v[138:139], v[2:3]
	scratch_load_b128 v[136:139], off, off offset:464
	s_waitcnt lgkmcnt(0)
	v_fma_f64 v[2:3], v[144:145], v[150:151], v[2:3]
	s_waitcnt vmcnt(4)
	v_fma_f64 v[2:3], v[146:147], v[152:153], v[2:3]
	ds_load_2addr_b64 v[140:143], v1 offset0:113 offset1:114
	ds_load_2addr_b64 v[144:147], v1 offset0:115 offset1:116
	s_waitcnt lgkmcnt(1)
	v_fma_f64 v[2:3], v[148:149], v[140:141], v[2:3]
	scratch_load_b128 v[148:151], off, off offset:480
	s_waitcnt vmcnt(4)
	v_fma_f64 v[2:3], v[158:159], v[142:143], v[2:3]
	s_waitcnt lgkmcnt(0)
	s_delay_alu instid0(VALU_DEP_1) | instskip(SKIP_1) | instid1(VALU_DEP_1)
	v_fma_f64 v[2:3], v[160:161], v[144:145], v[2:3]
	s_waitcnt vmcnt(3)
	v_fma_f64 v[2:3], v[132:133], v[146:147], v[2:3]
	ds_load_2addr_b64 v[140:143], v1 offset0:117 offset1:118
	ds_load_2addr_b64 v[144:147], v1 offset0:119 offset1:120
	s_waitcnt lgkmcnt(1)
	v_fma_f64 v[2:3], v[134:135], v[140:141], v[2:3]
	s_waitcnt vmcnt(2)
	s_delay_alu instid0(VALU_DEP_1) | instskip(SKIP_1) | instid1(VALU_DEP_1)
	v_fma_f64 v[2:3], v[154:155], v[142:143], v[2:3]
	s_waitcnt lgkmcnt(0)
	v_fma_f64 v[2:3], v[156:157], v[144:145], v[2:3]
	s_waitcnt vmcnt(1)
	s_delay_alu instid0(VALU_DEP_1)
	v_fma_f64 v[2:3], v[136:137], v[146:147], v[2:3]
	ds_load_2addr_b64 v[132:135], v1 offset0:121 offset1:122
	ds_load_b64 v[136:137], v1 offset:984
	s_waitcnt lgkmcnt(1)
	v_fma_f64 v[2:3], v[138:139], v[132:133], v[2:3]
	s_waitcnt vmcnt(0)
	s_delay_alu instid0(VALU_DEP_1) | instskip(SKIP_1) | instid1(VALU_DEP_1)
	v_fma_f64 v[2:3], v[148:149], v[134:135], v[2:3]
	s_waitcnt lgkmcnt(0)
	v_fma_f64 v[2:3], v[150:151], v[136:137], v[2:3]
	s_delay_alu instid0(VALU_DEP_1)
	v_add_f64 v[2:3], v[130:131], -v[2:3]
	scratch_store_b64 off, v[2:3], off offset:336
	v_cmpx_lt_u32_e32 41, v0
	s_cbranch_execz .LBB125_299
; %bb.298:
	scratch_load_b64 v[3:4], off, off offset:328
	v_mov_b32_e32 v2, v1
	scratch_store_b64 off, v[1:2], off offset:328
	s_waitcnt vmcnt(0)
	ds_store_b64 v5, v[3:4]
.LBB125_299:
	s_or_b32 exec_lo, exec_lo, s0
	s_waitcnt lgkmcnt(0)
	s_waitcnt_vscnt null, 0x0
	s_barrier
	buffer_gl0_inv
	s_clause 0x4
	scratch_load_b128 v[130:133], off, off offset:328
	scratch_load_b128 v[134:137], off, off offset:344
	;; [unrolled: 1-line block ×5, first 2 shown]
	ds_load_b128 v[150:153], v1 offset:832
	ds_load_b128 v[154:157], v1 offset:848
	scratch_load_b128 v[158:161], off, off offset:408
	s_mov_b32 s0, exec_lo
	s_waitcnt vmcnt(5) lgkmcnt(1)
	v_fma_f64 v[2:3], v[132:133], v[150:151], 0
	s_waitcnt vmcnt(4)
	s_delay_alu instid0(VALU_DEP_1) | instskip(SKIP_4) | instid1(VALU_DEP_1)
	v_fma_f64 v[2:3], v[134:135], v[152:153], v[2:3]
	scratch_load_b128 v[132:135], off, off offset:424
	s_waitcnt lgkmcnt(0)
	v_fma_f64 v[2:3], v[136:137], v[154:155], v[2:3]
	s_waitcnt vmcnt(4)
	v_fma_f64 v[2:3], v[138:139], v[156:157], v[2:3]
	ds_load_b128 v[136:139], v1 offset:864
	ds_load_b128 v[150:153], v1 offset:880
	scratch_load_b128 v[154:157], off, off offset:440
	s_waitcnt lgkmcnt(1)
	v_fma_f64 v[2:3], v[140:141], v[136:137], v[2:3]
	s_waitcnt vmcnt(4)
	s_delay_alu instid0(VALU_DEP_1) | instskip(SKIP_4) | instid1(VALU_DEP_1)
	v_fma_f64 v[2:3], v[142:143], v[138:139], v[2:3]
	scratch_load_b128 v[136:139], off, off offset:456
	s_waitcnt lgkmcnt(0)
	v_fma_f64 v[2:3], v[144:145], v[150:151], v[2:3]
	s_waitcnt vmcnt(4)
	v_fma_f64 v[2:3], v[146:147], v[152:153], v[2:3]
	ds_load_b128 v[140:143], v1 offset:896
	ds_load_b128 v[144:147], v1 offset:912
	scratch_load_b64 v[152:153], off, off offset:488
	s_waitcnt lgkmcnt(1)
	v_fma_f64 v[2:3], v[148:149], v[140:141], v[2:3]
	scratch_load_b128 v[148:151], off, off offset:472
	s_waitcnt vmcnt(5)
	v_fma_f64 v[2:3], v[158:159], v[142:143], v[2:3]
	s_waitcnt lgkmcnt(0)
	s_delay_alu instid0(VALU_DEP_1) | instskip(SKIP_1) | instid1(VALU_DEP_1)
	v_fma_f64 v[2:3], v[160:161], v[144:145], v[2:3]
	s_waitcnt vmcnt(4)
	v_fma_f64 v[2:3], v[132:133], v[146:147], v[2:3]
	ds_load_b128 v[140:143], v1 offset:928
	ds_load_b128 v[144:147], v1 offset:944
	s_waitcnt lgkmcnt(1)
	v_fma_f64 v[2:3], v[134:135], v[140:141], v[2:3]
	s_waitcnt vmcnt(3)
	s_delay_alu instid0(VALU_DEP_1) | instskip(SKIP_1) | instid1(VALU_DEP_1)
	v_fma_f64 v[2:3], v[154:155], v[142:143], v[2:3]
	s_waitcnt lgkmcnt(0)
	v_fma_f64 v[2:3], v[156:157], v[144:145], v[2:3]
	s_waitcnt vmcnt(2)
	s_delay_alu instid0(VALU_DEP_1)
	v_fma_f64 v[136:137], v[136:137], v[146:147], v[2:3]
	ds_load_b128 v[132:135], v1 offset:960
	ds_load_b128 v[1:4], v1 offset:976
	s_waitcnt lgkmcnt(1)
	v_fma_f64 v[132:133], v[138:139], v[132:133], v[136:137]
	s_waitcnt vmcnt(0)
	s_delay_alu instid0(VALU_DEP_1) | instskip(SKIP_1) | instid1(VALU_DEP_1)
	v_fma_f64 v[132:133], v[148:149], v[134:135], v[132:133]
	s_waitcnt lgkmcnt(0)
	v_fma_f64 v[1:2], v[150:151], v[1:2], v[132:133]
	s_delay_alu instid0(VALU_DEP_1) | instskip(NEXT) | instid1(VALU_DEP_1)
	v_fma_f64 v[1:2], v[152:153], v[3:4], v[1:2]
	v_add_f64 v[1:2], v[130:131], -v[1:2]
	scratch_store_b64 off, v[1:2], off offset:328
	v_cmpx_lt_u32_e32 40, v0
	s_cbranch_execz .LBB125_301
; %bb.300:
	scratch_load_b64 v[1:2], off, off offset:320
	v_mov_b32_e32 v3, 0
	s_delay_alu instid0(VALU_DEP_1)
	v_mov_b32_e32 v4, v3
	scratch_store_b64 off, v[3:4], off offset:320
	s_waitcnt vmcnt(0)
	ds_store_b64 v5, v[1:2]
.LBB125_301:
	s_or_b32 exec_lo, exec_lo, s0
	s_waitcnt lgkmcnt(0)
	s_waitcnt_vscnt null, 0x0
	s_barrier
	buffer_gl0_inv
	s_clause 0x4
	scratch_load_b128 v[130:133], off, off offset:320
	scratch_load_b128 v[134:137], off, off offset:336
	scratch_load_b128 v[138:141], off, off offset:352
	scratch_load_b128 v[142:145], off, off offset:368
	scratch_load_b128 v[146:149], off, off offset:384
	v_mov_b32_e32 v1, 0
	ds_load_2addr_b64 v[150:153], v1 offset0:103 offset1:104
	ds_load_2addr_b64 v[154:157], v1 offset0:105 offset1:106
	scratch_load_b128 v[158:161], off, off offset:400
	s_mov_b32 s0, exec_lo
	s_waitcnt vmcnt(5) lgkmcnt(1)
	v_fma_f64 v[2:3], v[132:133], v[150:151], 0
	s_waitcnt vmcnt(4)
	s_delay_alu instid0(VALU_DEP_1) | instskip(SKIP_4) | instid1(VALU_DEP_1)
	v_fma_f64 v[2:3], v[134:135], v[152:153], v[2:3]
	scratch_load_b128 v[132:135], off, off offset:416
	s_waitcnt lgkmcnt(0)
	v_fma_f64 v[2:3], v[136:137], v[154:155], v[2:3]
	s_waitcnt vmcnt(4)
	v_fma_f64 v[2:3], v[138:139], v[156:157], v[2:3]
	ds_load_2addr_b64 v[136:139], v1 offset0:107 offset1:108
	ds_load_2addr_b64 v[150:153], v1 offset0:109 offset1:110
	scratch_load_b128 v[154:157], off, off offset:432
	s_waitcnt lgkmcnt(1)
	v_fma_f64 v[2:3], v[140:141], v[136:137], v[2:3]
	s_waitcnt vmcnt(4)
	s_delay_alu instid0(VALU_DEP_1) | instskip(SKIP_4) | instid1(VALU_DEP_1)
	v_fma_f64 v[2:3], v[142:143], v[138:139], v[2:3]
	scratch_load_b128 v[136:139], off, off offset:448
	s_waitcnt lgkmcnt(0)
	v_fma_f64 v[2:3], v[144:145], v[150:151], v[2:3]
	s_waitcnt vmcnt(4)
	v_fma_f64 v[2:3], v[146:147], v[152:153], v[2:3]
	ds_load_2addr_b64 v[140:143], v1 offset0:111 offset1:112
	ds_load_2addr_b64 v[144:147], v1 offset0:113 offset1:114
	s_waitcnt lgkmcnt(1)
	v_fma_f64 v[2:3], v[148:149], v[140:141], v[2:3]
	scratch_load_b128 v[148:151], off, off offset:464
	s_waitcnt vmcnt(4)
	v_fma_f64 v[2:3], v[158:159], v[142:143], v[2:3]
	scratch_load_b128 v[140:143], off, off offset:480
	s_waitcnt lgkmcnt(0)
	v_fma_f64 v[2:3], v[160:161], v[144:145], v[2:3]
	s_waitcnt vmcnt(4)
	s_delay_alu instid0(VALU_DEP_1)
	v_fma_f64 v[2:3], v[132:133], v[146:147], v[2:3]
	ds_load_2addr_b64 v[144:147], v1 offset0:115 offset1:116
	ds_load_2addr_b64 v[158:161], v1 offset0:117 offset1:118
	s_waitcnt lgkmcnt(1)
	v_fma_f64 v[2:3], v[134:135], v[144:145], v[2:3]
	s_waitcnt vmcnt(3)
	s_delay_alu instid0(VALU_DEP_1)
	v_fma_f64 v[2:3], v[154:155], v[146:147], v[2:3]
	ds_load_2addr_b64 v[132:135], v1 offset0:119 offset1:120
	ds_load_2addr_b64 v[144:147], v1 offset0:121 offset1:122
	s_waitcnt lgkmcnt(2)
	v_fma_f64 v[2:3], v[156:157], v[158:159], v[2:3]
	s_waitcnt vmcnt(2)
	s_delay_alu instid0(VALU_DEP_1) | instskip(SKIP_1) | instid1(VALU_DEP_1)
	v_fma_f64 v[2:3], v[136:137], v[160:161], v[2:3]
	s_waitcnt lgkmcnt(1)
	v_fma_f64 v[2:3], v[138:139], v[132:133], v[2:3]
	ds_load_b64 v[132:133], v1 offset:984
	s_waitcnt vmcnt(1)
	v_fma_f64 v[2:3], v[148:149], v[134:135], v[2:3]
	s_waitcnt lgkmcnt(1)
	s_delay_alu instid0(VALU_DEP_1) | instskip(SKIP_1) | instid1(VALU_DEP_1)
	v_fma_f64 v[2:3], v[150:151], v[144:145], v[2:3]
	s_waitcnt vmcnt(0)
	v_fma_f64 v[2:3], v[140:141], v[146:147], v[2:3]
	s_waitcnt lgkmcnt(0)
	s_delay_alu instid0(VALU_DEP_1) | instskip(NEXT) | instid1(VALU_DEP_1)
	v_fma_f64 v[2:3], v[142:143], v[132:133], v[2:3]
	v_add_f64 v[2:3], v[130:131], -v[2:3]
	scratch_store_b64 off, v[2:3], off offset:320
	v_cmpx_lt_u32_e32 39, v0
	s_cbranch_execz .LBB125_303
; %bb.302:
	scratch_load_b64 v[3:4], off, off offset:312
	v_mov_b32_e32 v2, v1
	scratch_store_b64 off, v[1:2], off offset:312
	s_waitcnt vmcnt(0)
	ds_store_b64 v5, v[3:4]
.LBB125_303:
	s_or_b32 exec_lo, exec_lo, s0
	s_waitcnt lgkmcnt(0)
	s_waitcnt_vscnt null, 0x0
	s_barrier
	buffer_gl0_inv
	s_clause 0x4
	scratch_load_b128 v[130:133], off, off offset:312
	scratch_load_b128 v[134:137], off, off offset:328
	;; [unrolled: 1-line block ×5, first 2 shown]
	ds_load_b128 v[150:153], v1 offset:816
	ds_load_b128 v[154:157], v1 offset:832
	scratch_load_b128 v[158:161], off, off offset:392
	s_mov_b32 s0, exec_lo
	s_waitcnt vmcnt(5) lgkmcnt(1)
	v_fma_f64 v[2:3], v[132:133], v[150:151], 0
	s_waitcnt vmcnt(4)
	s_delay_alu instid0(VALU_DEP_1) | instskip(SKIP_4) | instid1(VALU_DEP_1)
	v_fma_f64 v[2:3], v[134:135], v[152:153], v[2:3]
	scratch_load_b128 v[132:135], off, off offset:408
	s_waitcnt lgkmcnt(0)
	v_fma_f64 v[2:3], v[136:137], v[154:155], v[2:3]
	s_waitcnt vmcnt(4)
	v_fma_f64 v[2:3], v[138:139], v[156:157], v[2:3]
	ds_load_b128 v[136:139], v1 offset:848
	ds_load_b128 v[150:153], v1 offset:864
	scratch_load_b128 v[154:157], off, off offset:424
	s_waitcnt lgkmcnt(1)
	v_fma_f64 v[2:3], v[140:141], v[136:137], v[2:3]
	s_waitcnt vmcnt(4)
	s_delay_alu instid0(VALU_DEP_1) | instskip(SKIP_4) | instid1(VALU_DEP_1)
	v_fma_f64 v[2:3], v[142:143], v[138:139], v[2:3]
	scratch_load_b128 v[136:139], off, off offset:440
	s_waitcnt lgkmcnt(0)
	v_fma_f64 v[2:3], v[144:145], v[150:151], v[2:3]
	s_waitcnt vmcnt(4)
	v_fma_f64 v[2:3], v[146:147], v[152:153], v[2:3]
	ds_load_b128 v[140:143], v1 offset:880
	ds_load_b128 v[144:147], v1 offset:896
	s_waitcnt lgkmcnt(1)
	v_fma_f64 v[2:3], v[148:149], v[140:141], v[2:3]
	scratch_load_b128 v[148:151], off, off offset:456
	s_waitcnt vmcnt(4)
	v_fma_f64 v[2:3], v[158:159], v[142:143], v[2:3]
	scratch_load_b128 v[140:143], off, off offset:472
	s_waitcnt lgkmcnt(0)
	v_fma_f64 v[2:3], v[160:161], v[144:145], v[2:3]
	s_waitcnt vmcnt(4)
	s_delay_alu instid0(VALU_DEP_1)
	v_fma_f64 v[2:3], v[132:133], v[146:147], v[2:3]
	ds_load_b128 v[144:147], v1 offset:912
	ds_load_b128 v[158:161], v1 offset:928
	scratch_load_b64 v[152:153], off, off offset:488
	s_waitcnt lgkmcnt(1)
	v_fma_f64 v[2:3], v[134:135], v[144:145], v[2:3]
	s_waitcnt vmcnt(4)
	s_delay_alu instid0(VALU_DEP_1)
	v_fma_f64 v[2:3], v[154:155], v[146:147], v[2:3]
	ds_load_b128 v[132:135], v1 offset:944
	ds_load_b128 v[144:147], v1 offset:960
	s_waitcnt lgkmcnt(2)
	v_fma_f64 v[2:3], v[156:157], v[158:159], v[2:3]
	s_waitcnt vmcnt(3)
	s_delay_alu instid0(VALU_DEP_1) | instskip(SKIP_1) | instid1(VALU_DEP_1)
	v_fma_f64 v[2:3], v[136:137], v[160:161], v[2:3]
	s_waitcnt lgkmcnt(1)
	v_fma_f64 v[2:3], v[138:139], v[132:133], v[2:3]
	s_waitcnt vmcnt(2)
	s_delay_alu instid0(VALU_DEP_1) | instskip(SKIP_1) | instid1(VALU_DEP_1)
	v_fma_f64 v[2:3], v[148:149], v[134:135], v[2:3]
	s_waitcnt lgkmcnt(0)
	v_fma_f64 v[2:3], v[150:151], v[144:145], v[2:3]
	s_waitcnt vmcnt(1)
	s_delay_alu instid0(VALU_DEP_1) | instskip(SKIP_4) | instid1(VALU_DEP_1)
	v_fma_f64 v[132:133], v[140:141], v[146:147], v[2:3]
	ds_load_b128 v[1:4], v1 offset:976
	s_waitcnt lgkmcnt(0)
	v_fma_f64 v[1:2], v[142:143], v[1:2], v[132:133]
	s_waitcnt vmcnt(0)
	v_fma_f64 v[1:2], v[152:153], v[3:4], v[1:2]
	s_delay_alu instid0(VALU_DEP_1)
	v_add_f64 v[1:2], v[130:131], -v[1:2]
	scratch_store_b64 off, v[1:2], off offset:312
	v_cmpx_lt_u32_e32 38, v0
	s_cbranch_execz .LBB125_305
; %bb.304:
	scratch_load_b64 v[1:2], off, off offset:304
	v_mov_b32_e32 v3, 0
	s_delay_alu instid0(VALU_DEP_1)
	v_mov_b32_e32 v4, v3
	scratch_store_b64 off, v[3:4], off offset:304
	s_waitcnt vmcnt(0)
	ds_store_b64 v5, v[1:2]
.LBB125_305:
	s_or_b32 exec_lo, exec_lo, s0
	s_waitcnt lgkmcnt(0)
	s_waitcnt_vscnt null, 0x0
	s_barrier
	buffer_gl0_inv
	s_clause 0x4
	scratch_load_b128 v[130:133], off, off offset:304
	scratch_load_b128 v[134:137], off, off offset:320
	;; [unrolled: 1-line block ×5, first 2 shown]
	v_mov_b32_e32 v1, 0
	ds_load_2addr_b64 v[150:153], v1 offset0:101 offset1:102
	ds_load_2addr_b64 v[154:157], v1 offset0:103 offset1:104
	scratch_load_b128 v[158:161], off, off offset:384
	s_mov_b32 s0, exec_lo
	s_waitcnt vmcnt(5) lgkmcnt(1)
	v_fma_f64 v[2:3], v[132:133], v[150:151], 0
	s_waitcnt vmcnt(4)
	s_delay_alu instid0(VALU_DEP_1) | instskip(SKIP_4) | instid1(VALU_DEP_1)
	v_fma_f64 v[2:3], v[134:135], v[152:153], v[2:3]
	scratch_load_b128 v[132:135], off, off offset:400
	s_waitcnt lgkmcnt(0)
	v_fma_f64 v[2:3], v[136:137], v[154:155], v[2:3]
	s_waitcnt vmcnt(4)
	v_fma_f64 v[2:3], v[138:139], v[156:157], v[2:3]
	ds_load_2addr_b64 v[136:139], v1 offset0:105 offset1:106
	ds_load_2addr_b64 v[150:153], v1 offset0:107 offset1:108
	scratch_load_b128 v[154:157], off, off offset:416
	s_waitcnt lgkmcnt(1)
	v_fma_f64 v[2:3], v[140:141], v[136:137], v[2:3]
	s_waitcnt vmcnt(4)
	s_delay_alu instid0(VALU_DEP_1) | instskip(SKIP_4) | instid1(VALU_DEP_1)
	v_fma_f64 v[2:3], v[142:143], v[138:139], v[2:3]
	scratch_load_b128 v[136:139], off, off offset:432
	s_waitcnt lgkmcnt(0)
	v_fma_f64 v[2:3], v[144:145], v[150:151], v[2:3]
	s_waitcnt vmcnt(4)
	v_fma_f64 v[2:3], v[146:147], v[152:153], v[2:3]
	ds_load_2addr_b64 v[140:143], v1 offset0:109 offset1:110
	ds_load_2addr_b64 v[144:147], v1 offset0:111 offset1:112
	s_waitcnt lgkmcnt(1)
	v_fma_f64 v[2:3], v[148:149], v[140:141], v[2:3]
	scratch_load_b128 v[148:151], off, off offset:448
	s_waitcnt vmcnt(4)
	v_fma_f64 v[2:3], v[158:159], v[142:143], v[2:3]
	scratch_load_b128 v[140:143], off, off offset:464
	s_waitcnt lgkmcnt(0)
	v_fma_f64 v[2:3], v[160:161], v[144:145], v[2:3]
	s_waitcnt vmcnt(4)
	s_delay_alu instid0(VALU_DEP_1)
	v_fma_f64 v[2:3], v[132:133], v[146:147], v[2:3]
	ds_load_2addr_b64 v[144:147], v1 offset0:113 offset1:114
	ds_load_2addr_b64 v[158:161], v1 offset0:115 offset1:116
	s_waitcnt lgkmcnt(1)
	v_fma_f64 v[2:3], v[134:135], v[144:145], v[2:3]
	scratch_load_b128 v[132:135], off, off offset:480
	s_waitcnt vmcnt(4)
	v_fma_f64 v[2:3], v[154:155], v[146:147], v[2:3]
	ds_load_2addr_b64 v[144:147], v1 offset0:117 offset1:118
	ds_load_2addr_b64 v[152:155], v1 offset0:119 offset1:120
	s_waitcnt lgkmcnt(2)
	v_fma_f64 v[2:3], v[156:157], v[158:159], v[2:3]
	s_waitcnt vmcnt(3)
	s_delay_alu instid0(VALU_DEP_1) | instskip(SKIP_1) | instid1(VALU_DEP_1)
	v_fma_f64 v[2:3], v[136:137], v[160:161], v[2:3]
	s_waitcnt lgkmcnt(1)
	v_fma_f64 v[2:3], v[138:139], v[144:145], v[2:3]
	s_waitcnt vmcnt(2)
	s_delay_alu instid0(VALU_DEP_1) | instskip(SKIP_1) | instid1(VALU_DEP_1)
	v_fma_f64 v[2:3], v[148:149], v[146:147], v[2:3]
	s_waitcnt lgkmcnt(0)
	v_fma_f64 v[2:3], v[150:151], v[152:153], v[2:3]
	s_waitcnt vmcnt(1)
	s_delay_alu instid0(VALU_DEP_1)
	v_fma_f64 v[2:3], v[140:141], v[154:155], v[2:3]
	ds_load_2addr_b64 v[136:139], v1 offset0:121 offset1:122
	ds_load_b64 v[140:141], v1 offset:984
	s_waitcnt lgkmcnt(1)
	v_fma_f64 v[2:3], v[142:143], v[136:137], v[2:3]
	s_waitcnt vmcnt(0)
	s_delay_alu instid0(VALU_DEP_1) | instskip(SKIP_1) | instid1(VALU_DEP_1)
	v_fma_f64 v[2:3], v[132:133], v[138:139], v[2:3]
	s_waitcnt lgkmcnt(0)
	v_fma_f64 v[2:3], v[134:135], v[140:141], v[2:3]
	s_delay_alu instid0(VALU_DEP_1)
	v_add_f64 v[2:3], v[130:131], -v[2:3]
	scratch_store_b64 off, v[2:3], off offset:304
	v_cmpx_lt_u32_e32 37, v0
	s_cbranch_execz .LBB125_307
; %bb.306:
	scratch_load_b64 v[3:4], off, off offset:296
	v_mov_b32_e32 v2, v1
	scratch_store_b64 off, v[1:2], off offset:296
	s_waitcnt vmcnt(0)
	ds_store_b64 v5, v[3:4]
.LBB125_307:
	s_or_b32 exec_lo, exec_lo, s0
	s_waitcnt lgkmcnt(0)
	s_waitcnt_vscnt null, 0x0
	s_barrier
	buffer_gl0_inv
	s_clause 0x4
	scratch_load_b128 v[130:133], off, off offset:296
	scratch_load_b128 v[134:137], off, off offset:312
	;; [unrolled: 1-line block ×5, first 2 shown]
	ds_load_b128 v[150:153], v1 offset:800
	ds_load_b128 v[154:157], v1 offset:816
	scratch_load_b128 v[158:161], off, off offset:376
	s_mov_b32 s0, exec_lo
	s_waitcnt vmcnt(5) lgkmcnt(1)
	v_fma_f64 v[2:3], v[132:133], v[150:151], 0
	s_waitcnt vmcnt(4)
	s_delay_alu instid0(VALU_DEP_1) | instskip(SKIP_4) | instid1(VALU_DEP_1)
	v_fma_f64 v[2:3], v[134:135], v[152:153], v[2:3]
	scratch_load_b128 v[132:135], off, off offset:392
	s_waitcnt lgkmcnt(0)
	v_fma_f64 v[2:3], v[136:137], v[154:155], v[2:3]
	s_waitcnt vmcnt(4)
	v_fma_f64 v[2:3], v[138:139], v[156:157], v[2:3]
	ds_load_b128 v[136:139], v1 offset:832
	ds_load_b128 v[150:153], v1 offset:848
	scratch_load_b128 v[154:157], off, off offset:408
	s_waitcnt lgkmcnt(1)
	v_fma_f64 v[2:3], v[140:141], v[136:137], v[2:3]
	s_waitcnt vmcnt(4)
	s_delay_alu instid0(VALU_DEP_1) | instskip(SKIP_4) | instid1(VALU_DEP_1)
	v_fma_f64 v[2:3], v[142:143], v[138:139], v[2:3]
	scratch_load_b128 v[136:139], off, off offset:424
	s_waitcnt lgkmcnt(0)
	v_fma_f64 v[2:3], v[144:145], v[150:151], v[2:3]
	s_waitcnt vmcnt(4)
	v_fma_f64 v[2:3], v[146:147], v[152:153], v[2:3]
	ds_load_b128 v[140:143], v1 offset:864
	ds_load_b128 v[144:147], v1 offset:880
	s_waitcnt lgkmcnt(1)
	v_fma_f64 v[2:3], v[148:149], v[140:141], v[2:3]
	scratch_load_b128 v[148:151], off, off offset:440
	s_waitcnt vmcnt(4)
	v_fma_f64 v[2:3], v[158:159], v[142:143], v[2:3]
	scratch_load_b128 v[140:143], off, off offset:456
	s_waitcnt lgkmcnt(0)
	v_fma_f64 v[2:3], v[160:161], v[144:145], v[2:3]
	s_waitcnt vmcnt(4)
	s_delay_alu instid0(VALU_DEP_1)
	v_fma_f64 v[2:3], v[132:133], v[146:147], v[2:3]
	ds_load_b128 v[144:147], v1 offset:896
	ds_load_b128 v[158:161], v1 offset:912
	s_waitcnt lgkmcnt(1)
	v_fma_f64 v[2:3], v[134:135], v[144:145], v[2:3]
	scratch_load_b128 v[132:135], off, off offset:472
	s_waitcnt vmcnt(4)
	v_fma_f64 v[2:3], v[154:155], v[146:147], v[2:3]
	s_waitcnt lgkmcnt(0)
	s_delay_alu instid0(VALU_DEP_1)
	v_fma_f64 v[2:3], v[156:157], v[158:159], v[2:3]
	scratch_load_b64 v[156:157], off, off offset:488
	ds_load_b128 v[144:147], v1 offset:928
	ds_load_b128 v[152:155], v1 offset:944
	s_waitcnt vmcnt(4)
	v_fma_f64 v[2:3], v[136:137], v[160:161], v[2:3]
	s_waitcnt lgkmcnt(1)
	s_delay_alu instid0(VALU_DEP_1) | instskip(SKIP_1) | instid1(VALU_DEP_1)
	v_fma_f64 v[2:3], v[138:139], v[144:145], v[2:3]
	s_waitcnt vmcnt(3)
	v_fma_f64 v[2:3], v[148:149], v[146:147], v[2:3]
	s_waitcnt lgkmcnt(0)
	s_delay_alu instid0(VALU_DEP_1) | instskip(SKIP_1) | instid1(VALU_DEP_1)
	v_fma_f64 v[2:3], v[150:151], v[152:153], v[2:3]
	s_waitcnt vmcnt(2)
	v_fma_f64 v[140:141], v[140:141], v[154:155], v[2:3]
	ds_load_b128 v[136:139], v1 offset:960
	ds_load_b128 v[1:4], v1 offset:976
	s_waitcnt lgkmcnt(1)
	v_fma_f64 v[136:137], v[142:143], v[136:137], v[140:141]
	s_waitcnt vmcnt(1)
	s_delay_alu instid0(VALU_DEP_1) | instskip(SKIP_1) | instid1(VALU_DEP_1)
	v_fma_f64 v[132:133], v[132:133], v[138:139], v[136:137]
	s_waitcnt lgkmcnt(0)
	v_fma_f64 v[1:2], v[134:135], v[1:2], v[132:133]
	s_waitcnt vmcnt(0)
	s_delay_alu instid0(VALU_DEP_1) | instskip(NEXT) | instid1(VALU_DEP_1)
	v_fma_f64 v[1:2], v[156:157], v[3:4], v[1:2]
	v_add_f64 v[1:2], v[130:131], -v[1:2]
	scratch_store_b64 off, v[1:2], off offset:296
	v_cmpx_lt_u32_e32 36, v0
	s_cbranch_execz .LBB125_309
; %bb.308:
	scratch_load_b64 v[1:2], off, off offset:288
	v_mov_b32_e32 v3, 0
	s_delay_alu instid0(VALU_DEP_1)
	v_mov_b32_e32 v4, v3
	scratch_store_b64 off, v[3:4], off offset:288
	s_waitcnt vmcnt(0)
	ds_store_b64 v5, v[1:2]
.LBB125_309:
	s_or_b32 exec_lo, exec_lo, s0
	s_waitcnt lgkmcnt(0)
	s_waitcnt_vscnt null, 0x0
	s_barrier
	buffer_gl0_inv
	s_clause 0x4
	scratch_load_b128 v[130:133], off, off offset:288
	scratch_load_b128 v[134:137], off, off offset:304
	;; [unrolled: 1-line block ×5, first 2 shown]
	v_mov_b32_e32 v1, 0
	ds_load_2addr_b64 v[150:153], v1 offset0:99 offset1:100
	ds_load_2addr_b64 v[154:157], v1 offset0:101 offset1:102
	scratch_load_b128 v[158:161], off, off offset:368
	s_mov_b32 s0, exec_lo
	s_waitcnt vmcnt(5) lgkmcnt(1)
	v_fma_f64 v[2:3], v[132:133], v[150:151], 0
	s_waitcnt vmcnt(4)
	s_delay_alu instid0(VALU_DEP_1) | instskip(SKIP_4) | instid1(VALU_DEP_1)
	v_fma_f64 v[2:3], v[134:135], v[152:153], v[2:3]
	scratch_load_b128 v[132:135], off, off offset:384
	s_waitcnt lgkmcnt(0)
	v_fma_f64 v[2:3], v[136:137], v[154:155], v[2:3]
	s_waitcnt vmcnt(4)
	v_fma_f64 v[2:3], v[138:139], v[156:157], v[2:3]
	ds_load_2addr_b64 v[136:139], v1 offset0:103 offset1:104
	ds_load_2addr_b64 v[150:153], v1 offset0:105 offset1:106
	scratch_load_b128 v[154:157], off, off offset:400
	s_waitcnt lgkmcnt(1)
	v_fma_f64 v[2:3], v[140:141], v[136:137], v[2:3]
	s_waitcnt vmcnt(4)
	s_delay_alu instid0(VALU_DEP_1) | instskip(SKIP_4) | instid1(VALU_DEP_1)
	v_fma_f64 v[2:3], v[142:143], v[138:139], v[2:3]
	scratch_load_b128 v[136:139], off, off offset:416
	s_waitcnt lgkmcnt(0)
	v_fma_f64 v[2:3], v[144:145], v[150:151], v[2:3]
	s_waitcnt vmcnt(4)
	v_fma_f64 v[2:3], v[146:147], v[152:153], v[2:3]
	ds_load_2addr_b64 v[140:143], v1 offset0:107 offset1:108
	ds_load_2addr_b64 v[144:147], v1 offset0:109 offset1:110
	s_waitcnt lgkmcnt(1)
	v_fma_f64 v[2:3], v[148:149], v[140:141], v[2:3]
	scratch_load_b128 v[148:151], off, off offset:432
	s_waitcnt vmcnt(4)
	v_fma_f64 v[2:3], v[158:159], v[142:143], v[2:3]
	scratch_load_b128 v[140:143], off, off offset:448
	s_waitcnt lgkmcnt(0)
	v_fma_f64 v[2:3], v[160:161], v[144:145], v[2:3]
	s_waitcnt vmcnt(4)
	s_delay_alu instid0(VALU_DEP_1)
	v_fma_f64 v[2:3], v[132:133], v[146:147], v[2:3]
	ds_load_2addr_b64 v[144:147], v1 offset0:111 offset1:112
	ds_load_2addr_b64 v[158:161], v1 offset0:113 offset1:114
	s_waitcnt lgkmcnt(1)
	v_fma_f64 v[2:3], v[134:135], v[144:145], v[2:3]
	scratch_load_b128 v[132:135], off, off offset:464
	s_waitcnt vmcnt(4)
	v_fma_f64 v[2:3], v[154:155], v[146:147], v[2:3]
	scratch_load_b128 v[144:147], off, off offset:480
	s_waitcnt lgkmcnt(0)
	v_fma_f64 v[2:3], v[156:157], v[158:159], v[2:3]
	ds_load_2addr_b64 v[152:155], v1 offset0:115 offset1:116
	ds_load_2addr_b64 v[156:159], v1 offset0:117 offset1:118
	s_waitcnt vmcnt(4)
	v_fma_f64 v[2:3], v[136:137], v[160:161], v[2:3]
	s_waitcnt lgkmcnt(1)
	s_delay_alu instid0(VALU_DEP_1) | instskip(SKIP_1) | instid1(VALU_DEP_1)
	v_fma_f64 v[2:3], v[138:139], v[152:153], v[2:3]
	s_waitcnt vmcnt(3)
	v_fma_f64 v[2:3], v[148:149], v[154:155], v[2:3]
	s_waitcnt lgkmcnt(0)
	s_delay_alu instid0(VALU_DEP_1)
	v_fma_f64 v[2:3], v[150:151], v[156:157], v[2:3]
	ds_load_2addr_b64 v[136:139], v1 offset0:119 offset1:120
	ds_load_2addr_b64 v[148:151], v1 offset0:121 offset1:122
	s_waitcnt vmcnt(2)
	v_fma_f64 v[2:3], v[140:141], v[158:159], v[2:3]
	s_waitcnt lgkmcnt(1)
	s_delay_alu instid0(VALU_DEP_1) | instskip(SKIP_1) | instid1(VALU_DEP_1)
	v_fma_f64 v[2:3], v[142:143], v[136:137], v[2:3]
	s_waitcnt vmcnt(1)
	v_fma_f64 v[2:3], v[132:133], v[138:139], v[2:3]
	ds_load_b64 v[132:133], v1 offset:984
	s_waitcnt lgkmcnt(1)
	v_fma_f64 v[2:3], v[134:135], v[148:149], v[2:3]
	s_waitcnt vmcnt(0)
	s_delay_alu instid0(VALU_DEP_1) | instskip(SKIP_1) | instid1(VALU_DEP_1)
	v_fma_f64 v[2:3], v[144:145], v[150:151], v[2:3]
	s_waitcnt lgkmcnt(0)
	v_fma_f64 v[2:3], v[146:147], v[132:133], v[2:3]
	s_delay_alu instid0(VALU_DEP_1)
	v_add_f64 v[2:3], v[130:131], -v[2:3]
	scratch_store_b64 off, v[2:3], off offset:288
	v_cmpx_lt_u32_e32 35, v0
	s_cbranch_execz .LBB125_311
; %bb.310:
	scratch_load_b64 v[3:4], off, off offset:280
	v_mov_b32_e32 v2, v1
	scratch_store_b64 off, v[1:2], off offset:280
	s_waitcnt vmcnt(0)
	ds_store_b64 v5, v[3:4]
.LBB125_311:
	s_or_b32 exec_lo, exec_lo, s0
	s_waitcnt lgkmcnt(0)
	s_waitcnt_vscnt null, 0x0
	s_barrier
	buffer_gl0_inv
	s_clause 0x4
	scratch_load_b128 v[130:133], off, off offset:280
	scratch_load_b128 v[134:137], off, off offset:296
	;; [unrolled: 1-line block ×5, first 2 shown]
	ds_load_b128 v[150:153], v1 offset:784
	ds_load_b128 v[154:157], v1 offset:800
	scratch_load_b128 v[158:161], off, off offset:360
	s_mov_b32 s0, exec_lo
	s_waitcnt vmcnt(5) lgkmcnt(1)
	v_fma_f64 v[2:3], v[132:133], v[150:151], 0
	s_waitcnt vmcnt(4)
	s_delay_alu instid0(VALU_DEP_1) | instskip(SKIP_4) | instid1(VALU_DEP_1)
	v_fma_f64 v[2:3], v[134:135], v[152:153], v[2:3]
	scratch_load_b128 v[132:135], off, off offset:376
	s_waitcnt lgkmcnt(0)
	v_fma_f64 v[2:3], v[136:137], v[154:155], v[2:3]
	s_waitcnt vmcnt(4)
	v_fma_f64 v[2:3], v[138:139], v[156:157], v[2:3]
	ds_load_b128 v[136:139], v1 offset:816
	ds_load_b128 v[150:153], v1 offset:832
	scratch_load_b128 v[154:157], off, off offset:392
	s_waitcnt lgkmcnt(1)
	v_fma_f64 v[2:3], v[140:141], v[136:137], v[2:3]
	s_waitcnt vmcnt(4)
	s_delay_alu instid0(VALU_DEP_1) | instskip(SKIP_4) | instid1(VALU_DEP_1)
	v_fma_f64 v[2:3], v[142:143], v[138:139], v[2:3]
	scratch_load_b128 v[136:139], off, off offset:408
	s_waitcnt lgkmcnt(0)
	v_fma_f64 v[2:3], v[144:145], v[150:151], v[2:3]
	s_waitcnt vmcnt(4)
	v_fma_f64 v[2:3], v[146:147], v[152:153], v[2:3]
	ds_load_b128 v[140:143], v1 offset:848
	ds_load_b128 v[144:147], v1 offset:864
	s_waitcnt lgkmcnt(1)
	v_fma_f64 v[2:3], v[148:149], v[140:141], v[2:3]
	scratch_load_b128 v[148:151], off, off offset:424
	s_waitcnt vmcnt(4)
	v_fma_f64 v[2:3], v[158:159], v[142:143], v[2:3]
	scratch_load_b128 v[140:143], off, off offset:440
	s_waitcnt lgkmcnt(0)
	v_fma_f64 v[2:3], v[160:161], v[144:145], v[2:3]
	s_waitcnt vmcnt(4)
	s_delay_alu instid0(VALU_DEP_1)
	v_fma_f64 v[2:3], v[132:133], v[146:147], v[2:3]
	ds_load_b128 v[144:147], v1 offset:880
	ds_load_b128 v[158:161], v1 offset:896
	s_waitcnt lgkmcnt(1)
	v_fma_f64 v[2:3], v[134:135], v[144:145], v[2:3]
	scratch_load_b128 v[132:135], off, off offset:456
	s_waitcnt vmcnt(4)
	v_fma_f64 v[2:3], v[154:155], v[146:147], v[2:3]
	scratch_load_b128 v[144:147], off, off offset:472
	s_waitcnt lgkmcnt(0)
	v_fma_f64 v[2:3], v[156:157], v[158:159], v[2:3]
	ds_load_b128 v[152:155], v1 offset:912
	ds_load_b128 v[156:159], v1 offset:928
	s_waitcnt vmcnt(4)
	v_fma_f64 v[2:3], v[136:137], v[160:161], v[2:3]
	s_waitcnt lgkmcnt(1)
	s_delay_alu instid0(VALU_DEP_1) | instskip(SKIP_4) | instid1(VALU_DEP_1)
	v_fma_f64 v[2:3], v[138:139], v[152:153], v[2:3]
	scratch_load_b64 v[152:153], off, off offset:488
	s_waitcnt vmcnt(4)
	v_fma_f64 v[2:3], v[148:149], v[154:155], v[2:3]
	s_waitcnt lgkmcnt(0)
	v_fma_f64 v[2:3], v[150:151], v[156:157], v[2:3]
	ds_load_b128 v[136:139], v1 offset:944
	ds_load_b128 v[148:151], v1 offset:960
	s_waitcnt vmcnt(3)
	v_fma_f64 v[2:3], v[140:141], v[158:159], v[2:3]
	s_waitcnt lgkmcnt(1)
	s_delay_alu instid0(VALU_DEP_1) | instskip(SKIP_1) | instid1(VALU_DEP_1)
	v_fma_f64 v[2:3], v[142:143], v[136:137], v[2:3]
	s_waitcnt vmcnt(2)
	v_fma_f64 v[2:3], v[132:133], v[138:139], v[2:3]
	s_waitcnt lgkmcnt(0)
	s_delay_alu instid0(VALU_DEP_1) | instskip(SKIP_1) | instid1(VALU_DEP_1)
	v_fma_f64 v[2:3], v[134:135], v[148:149], v[2:3]
	s_waitcnt vmcnt(1)
	v_fma_f64 v[132:133], v[144:145], v[150:151], v[2:3]
	ds_load_b128 v[1:4], v1 offset:976
	s_waitcnt lgkmcnt(0)
	v_fma_f64 v[1:2], v[146:147], v[1:2], v[132:133]
	s_waitcnt vmcnt(0)
	s_delay_alu instid0(VALU_DEP_1) | instskip(NEXT) | instid1(VALU_DEP_1)
	v_fma_f64 v[1:2], v[152:153], v[3:4], v[1:2]
	v_add_f64 v[1:2], v[130:131], -v[1:2]
	scratch_store_b64 off, v[1:2], off offset:280
	v_cmpx_lt_u32_e32 34, v0
	s_cbranch_execz .LBB125_313
; %bb.312:
	scratch_load_b64 v[1:2], off, off offset:272
	v_mov_b32_e32 v3, 0
	s_delay_alu instid0(VALU_DEP_1)
	v_mov_b32_e32 v4, v3
	scratch_store_b64 off, v[3:4], off offset:272
	s_waitcnt vmcnt(0)
	ds_store_b64 v5, v[1:2]
.LBB125_313:
	s_or_b32 exec_lo, exec_lo, s0
	s_waitcnt lgkmcnt(0)
	s_waitcnt_vscnt null, 0x0
	s_barrier
	buffer_gl0_inv
	s_clause 0x4
	scratch_load_b128 v[130:133], off, off offset:272
	scratch_load_b128 v[134:137], off, off offset:288
	;; [unrolled: 1-line block ×5, first 2 shown]
	v_mov_b32_e32 v1, 0
	ds_load_2addr_b64 v[150:153], v1 offset0:97 offset1:98
	ds_load_2addr_b64 v[154:157], v1 offset0:99 offset1:100
	scratch_load_b128 v[158:161], off, off offset:352
	s_mov_b32 s0, exec_lo
	s_waitcnt vmcnt(5) lgkmcnt(1)
	v_fma_f64 v[2:3], v[132:133], v[150:151], 0
	s_waitcnt vmcnt(4)
	s_delay_alu instid0(VALU_DEP_1) | instskip(SKIP_4) | instid1(VALU_DEP_1)
	v_fma_f64 v[2:3], v[134:135], v[152:153], v[2:3]
	scratch_load_b128 v[132:135], off, off offset:368
	s_waitcnt lgkmcnt(0)
	v_fma_f64 v[2:3], v[136:137], v[154:155], v[2:3]
	s_waitcnt vmcnt(4)
	v_fma_f64 v[2:3], v[138:139], v[156:157], v[2:3]
	ds_load_2addr_b64 v[136:139], v1 offset0:101 offset1:102
	ds_load_2addr_b64 v[150:153], v1 offset0:103 offset1:104
	scratch_load_b128 v[154:157], off, off offset:384
	s_waitcnt lgkmcnt(1)
	v_fma_f64 v[2:3], v[140:141], v[136:137], v[2:3]
	s_waitcnt vmcnt(4)
	s_delay_alu instid0(VALU_DEP_1) | instskip(SKIP_4) | instid1(VALU_DEP_1)
	v_fma_f64 v[2:3], v[142:143], v[138:139], v[2:3]
	scratch_load_b128 v[136:139], off, off offset:400
	s_waitcnt lgkmcnt(0)
	v_fma_f64 v[2:3], v[144:145], v[150:151], v[2:3]
	s_waitcnt vmcnt(4)
	v_fma_f64 v[2:3], v[146:147], v[152:153], v[2:3]
	ds_load_2addr_b64 v[140:143], v1 offset0:105 offset1:106
	ds_load_2addr_b64 v[144:147], v1 offset0:107 offset1:108
	s_waitcnt lgkmcnt(1)
	v_fma_f64 v[2:3], v[148:149], v[140:141], v[2:3]
	scratch_load_b128 v[148:151], off, off offset:416
	s_waitcnt vmcnt(4)
	v_fma_f64 v[2:3], v[158:159], v[142:143], v[2:3]
	scratch_load_b128 v[140:143], off, off offset:432
	s_waitcnt lgkmcnt(0)
	v_fma_f64 v[2:3], v[160:161], v[144:145], v[2:3]
	s_waitcnt vmcnt(4)
	s_delay_alu instid0(VALU_DEP_1)
	v_fma_f64 v[2:3], v[132:133], v[146:147], v[2:3]
	ds_load_2addr_b64 v[144:147], v1 offset0:109 offset1:110
	ds_load_2addr_b64 v[158:161], v1 offset0:111 offset1:112
	s_waitcnt lgkmcnt(1)
	v_fma_f64 v[2:3], v[134:135], v[144:145], v[2:3]
	scratch_load_b128 v[132:135], off, off offset:448
	s_waitcnt vmcnt(4)
	v_fma_f64 v[2:3], v[154:155], v[146:147], v[2:3]
	scratch_load_b128 v[144:147], off, off offset:464
	s_waitcnt lgkmcnt(0)
	v_fma_f64 v[2:3], v[156:157], v[158:159], v[2:3]
	ds_load_2addr_b64 v[152:155], v1 offset0:113 offset1:114
	ds_load_2addr_b64 v[156:159], v1 offset0:115 offset1:116
	s_waitcnt vmcnt(4)
	v_fma_f64 v[2:3], v[136:137], v[160:161], v[2:3]
	s_waitcnt lgkmcnt(1)
	s_delay_alu instid0(VALU_DEP_1) | instskip(SKIP_4) | instid1(VALU_DEP_1)
	v_fma_f64 v[2:3], v[138:139], v[152:153], v[2:3]
	scratch_load_b128 v[136:139], off, off offset:480
	s_waitcnt vmcnt(4)
	v_fma_f64 v[2:3], v[148:149], v[154:155], v[2:3]
	s_waitcnt lgkmcnt(0)
	v_fma_f64 v[2:3], v[150:151], v[156:157], v[2:3]
	ds_load_2addr_b64 v[148:151], v1 offset0:117 offset1:118
	ds_load_2addr_b64 v[152:155], v1 offset0:119 offset1:120
	s_waitcnt vmcnt(3)
	v_fma_f64 v[2:3], v[140:141], v[158:159], v[2:3]
	s_waitcnt lgkmcnt(1)
	s_delay_alu instid0(VALU_DEP_1) | instskip(SKIP_1) | instid1(VALU_DEP_1)
	v_fma_f64 v[2:3], v[142:143], v[148:149], v[2:3]
	s_waitcnt vmcnt(2)
	v_fma_f64 v[2:3], v[132:133], v[150:151], v[2:3]
	s_waitcnt lgkmcnt(0)
	s_delay_alu instid0(VALU_DEP_1)
	v_fma_f64 v[2:3], v[134:135], v[152:153], v[2:3]
	ds_load_2addr_b64 v[132:135], v1 offset0:121 offset1:122
	ds_load_b64 v[140:141], v1 offset:984
	s_waitcnt vmcnt(1)
	v_fma_f64 v[2:3], v[144:145], v[154:155], v[2:3]
	s_waitcnt lgkmcnt(1)
	s_delay_alu instid0(VALU_DEP_1) | instskip(SKIP_1) | instid1(VALU_DEP_1)
	v_fma_f64 v[2:3], v[146:147], v[132:133], v[2:3]
	s_waitcnt vmcnt(0)
	v_fma_f64 v[2:3], v[136:137], v[134:135], v[2:3]
	s_waitcnt lgkmcnt(0)
	s_delay_alu instid0(VALU_DEP_1) | instskip(NEXT) | instid1(VALU_DEP_1)
	v_fma_f64 v[2:3], v[138:139], v[140:141], v[2:3]
	v_add_f64 v[2:3], v[130:131], -v[2:3]
	scratch_store_b64 off, v[2:3], off offset:272
	v_cmpx_lt_u32_e32 33, v0
	s_cbranch_execz .LBB125_315
; %bb.314:
	scratch_load_b64 v[3:4], off, off offset:264
	v_mov_b32_e32 v2, v1
	scratch_store_b64 off, v[1:2], off offset:264
	s_waitcnt vmcnt(0)
	ds_store_b64 v5, v[3:4]
.LBB125_315:
	s_or_b32 exec_lo, exec_lo, s0
	s_waitcnt lgkmcnt(0)
	s_waitcnt_vscnt null, 0x0
	s_barrier
	buffer_gl0_inv
	s_clause 0x4
	scratch_load_b128 v[130:133], off, off offset:264
	scratch_load_b128 v[134:137], off, off offset:280
	;; [unrolled: 1-line block ×5, first 2 shown]
	ds_load_b128 v[150:153], v1 offset:768
	ds_load_b128 v[154:157], v1 offset:784
	scratch_load_b128 v[158:161], off, off offset:344
	s_mov_b32 s0, exec_lo
	s_waitcnt vmcnt(5) lgkmcnt(1)
	v_fma_f64 v[2:3], v[132:133], v[150:151], 0
	s_waitcnt vmcnt(4)
	s_delay_alu instid0(VALU_DEP_1) | instskip(SKIP_4) | instid1(VALU_DEP_1)
	v_fma_f64 v[2:3], v[134:135], v[152:153], v[2:3]
	scratch_load_b128 v[132:135], off, off offset:360
	s_waitcnt lgkmcnt(0)
	v_fma_f64 v[2:3], v[136:137], v[154:155], v[2:3]
	s_waitcnt vmcnt(4)
	v_fma_f64 v[2:3], v[138:139], v[156:157], v[2:3]
	ds_load_b128 v[136:139], v1 offset:800
	ds_load_b128 v[150:153], v1 offset:816
	scratch_load_b128 v[154:157], off, off offset:376
	s_waitcnt lgkmcnt(1)
	v_fma_f64 v[2:3], v[140:141], v[136:137], v[2:3]
	s_waitcnt vmcnt(4)
	s_delay_alu instid0(VALU_DEP_1) | instskip(SKIP_4) | instid1(VALU_DEP_1)
	v_fma_f64 v[2:3], v[142:143], v[138:139], v[2:3]
	scratch_load_b128 v[136:139], off, off offset:392
	s_waitcnt lgkmcnt(0)
	v_fma_f64 v[2:3], v[144:145], v[150:151], v[2:3]
	s_waitcnt vmcnt(4)
	v_fma_f64 v[2:3], v[146:147], v[152:153], v[2:3]
	ds_load_b128 v[140:143], v1 offset:832
	ds_load_b128 v[144:147], v1 offset:848
	s_waitcnt lgkmcnt(1)
	v_fma_f64 v[2:3], v[148:149], v[140:141], v[2:3]
	scratch_load_b128 v[148:151], off, off offset:408
	s_waitcnt vmcnt(4)
	v_fma_f64 v[2:3], v[158:159], v[142:143], v[2:3]
	scratch_load_b128 v[140:143], off, off offset:424
	s_waitcnt lgkmcnt(0)
	v_fma_f64 v[2:3], v[160:161], v[144:145], v[2:3]
	s_waitcnt vmcnt(4)
	s_delay_alu instid0(VALU_DEP_1)
	v_fma_f64 v[2:3], v[132:133], v[146:147], v[2:3]
	ds_load_b128 v[144:147], v1 offset:864
	ds_load_b128 v[158:161], v1 offset:880
	s_waitcnt lgkmcnt(1)
	v_fma_f64 v[2:3], v[134:135], v[144:145], v[2:3]
	scratch_load_b128 v[132:135], off, off offset:440
	s_waitcnt vmcnt(4)
	v_fma_f64 v[2:3], v[154:155], v[146:147], v[2:3]
	scratch_load_b128 v[144:147], off, off offset:456
	s_waitcnt lgkmcnt(0)
	v_fma_f64 v[2:3], v[156:157], v[158:159], v[2:3]
	ds_load_b128 v[152:155], v1 offset:896
	ds_load_b128 v[156:159], v1 offset:912
	s_waitcnt vmcnt(4)
	v_fma_f64 v[2:3], v[136:137], v[160:161], v[2:3]
	s_waitcnt lgkmcnt(1)
	s_delay_alu instid0(VALU_DEP_1) | instskip(SKIP_4) | instid1(VALU_DEP_1)
	v_fma_f64 v[2:3], v[138:139], v[152:153], v[2:3]
	scratch_load_b128 v[136:139], off, off offset:472
	s_waitcnt vmcnt(4)
	v_fma_f64 v[2:3], v[148:149], v[154:155], v[2:3]
	s_waitcnt lgkmcnt(0)
	v_fma_f64 v[2:3], v[150:151], v[156:157], v[2:3]
	scratch_load_b64 v[156:157], off, off offset:488
	ds_load_b128 v[148:151], v1 offset:928
	ds_load_b128 v[152:155], v1 offset:944
	s_waitcnt vmcnt(4)
	v_fma_f64 v[2:3], v[140:141], v[158:159], v[2:3]
	s_waitcnt lgkmcnt(1)
	s_delay_alu instid0(VALU_DEP_1) | instskip(SKIP_1) | instid1(VALU_DEP_1)
	v_fma_f64 v[2:3], v[142:143], v[148:149], v[2:3]
	s_waitcnt vmcnt(3)
	v_fma_f64 v[2:3], v[132:133], v[150:151], v[2:3]
	s_waitcnt lgkmcnt(0)
	s_delay_alu instid0(VALU_DEP_1) | instskip(SKIP_1) | instid1(VALU_DEP_1)
	v_fma_f64 v[2:3], v[134:135], v[152:153], v[2:3]
	s_waitcnt vmcnt(2)
	v_fma_f64 v[140:141], v[144:145], v[154:155], v[2:3]
	ds_load_b128 v[132:135], v1 offset:960
	ds_load_b128 v[1:4], v1 offset:976
	s_waitcnt lgkmcnt(1)
	v_fma_f64 v[132:133], v[146:147], v[132:133], v[140:141]
	s_waitcnt vmcnt(1)
	s_delay_alu instid0(VALU_DEP_1) | instskip(SKIP_1) | instid1(VALU_DEP_1)
	v_fma_f64 v[132:133], v[136:137], v[134:135], v[132:133]
	s_waitcnt lgkmcnt(0)
	v_fma_f64 v[1:2], v[138:139], v[1:2], v[132:133]
	s_waitcnt vmcnt(0)
	s_delay_alu instid0(VALU_DEP_1) | instskip(NEXT) | instid1(VALU_DEP_1)
	v_fma_f64 v[1:2], v[156:157], v[3:4], v[1:2]
	v_add_f64 v[1:2], v[130:131], -v[1:2]
	scratch_store_b64 off, v[1:2], off offset:264
	v_cmpx_lt_u32_e32 32, v0
	s_cbranch_execz .LBB125_317
; %bb.316:
	scratch_load_b64 v[1:2], off, off offset:256
	v_mov_b32_e32 v3, 0
	s_delay_alu instid0(VALU_DEP_1)
	v_mov_b32_e32 v4, v3
	scratch_store_b64 off, v[3:4], off offset:256
	s_waitcnt vmcnt(0)
	ds_store_b64 v5, v[1:2]
.LBB125_317:
	s_or_b32 exec_lo, exec_lo, s0
	s_waitcnt lgkmcnt(0)
	s_waitcnt_vscnt null, 0x0
	s_barrier
	buffer_gl0_inv
	s_clause 0x4
	scratch_load_b128 v[130:133], off, off offset:256
	scratch_load_b128 v[134:137], off, off offset:272
	scratch_load_b128 v[138:141], off, off offset:288
	scratch_load_b128 v[142:145], off, off offset:304
	scratch_load_b128 v[146:149], off, off offset:320
	v_mov_b32_e32 v1, 0
	ds_load_2addr_b64 v[150:153], v1 offset0:95 offset1:96
	ds_load_2addr_b64 v[154:157], v1 offset0:97 offset1:98
	scratch_load_b128 v[158:161], off, off offset:336
	s_mov_b32 s0, exec_lo
	s_waitcnt vmcnt(5) lgkmcnt(1)
	v_fma_f64 v[2:3], v[132:133], v[150:151], 0
	s_waitcnt vmcnt(4)
	s_delay_alu instid0(VALU_DEP_1) | instskip(SKIP_4) | instid1(VALU_DEP_1)
	v_fma_f64 v[2:3], v[134:135], v[152:153], v[2:3]
	scratch_load_b128 v[132:135], off, off offset:352
	s_waitcnt lgkmcnt(0)
	v_fma_f64 v[2:3], v[136:137], v[154:155], v[2:3]
	s_waitcnt vmcnt(4)
	v_fma_f64 v[2:3], v[138:139], v[156:157], v[2:3]
	ds_load_2addr_b64 v[136:139], v1 offset0:99 offset1:100
	ds_load_2addr_b64 v[150:153], v1 offset0:101 offset1:102
	scratch_load_b128 v[154:157], off, off offset:368
	s_waitcnt lgkmcnt(1)
	v_fma_f64 v[2:3], v[140:141], v[136:137], v[2:3]
	s_waitcnt vmcnt(4)
	s_delay_alu instid0(VALU_DEP_1) | instskip(SKIP_4) | instid1(VALU_DEP_1)
	v_fma_f64 v[2:3], v[142:143], v[138:139], v[2:3]
	scratch_load_b128 v[136:139], off, off offset:384
	s_waitcnt lgkmcnt(0)
	v_fma_f64 v[2:3], v[144:145], v[150:151], v[2:3]
	s_waitcnt vmcnt(4)
	v_fma_f64 v[2:3], v[146:147], v[152:153], v[2:3]
	ds_load_2addr_b64 v[140:143], v1 offset0:103 offset1:104
	ds_load_2addr_b64 v[144:147], v1 offset0:105 offset1:106
	s_waitcnt lgkmcnt(1)
	v_fma_f64 v[2:3], v[148:149], v[140:141], v[2:3]
	scratch_load_b128 v[148:151], off, off offset:400
	s_waitcnt vmcnt(4)
	v_fma_f64 v[2:3], v[158:159], v[142:143], v[2:3]
	scratch_load_b128 v[140:143], off, off offset:416
	s_waitcnt lgkmcnt(0)
	v_fma_f64 v[2:3], v[160:161], v[144:145], v[2:3]
	s_waitcnt vmcnt(4)
	s_delay_alu instid0(VALU_DEP_1)
	v_fma_f64 v[2:3], v[132:133], v[146:147], v[2:3]
	ds_load_2addr_b64 v[144:147], v1 offset0:107 offset1:108
	ds_load_2addr_b64 v[158:161], v1 offset0:109 offset1:110
	s_waitcnt lgkmcnt(1)
	v_fma_f64 v[2:3], v[134:135], v[144:145], v[2:3]
	scratch_load_b128 v[132:135], off, off offset:432
	s_waitcnt vmcnt(4)
	v_fma_f64 v[2:3], v[154:155], v[146:147], v[2:3]
	scratch_load_b128 v[144:147], off, off offset:448
	s_waitcnt lgkmcnt(0)
	v_fma_f64 v[2:3], v[156:157], v[158:159], v[2:3]
	ds_load_2addr_b64 v[152:155], v1 offset0:111 offset1:112
	ds_load_2addr_b64 v[156:159], v1 offset0:113 offset1:114
	s_waitcnt vmcnt(4)
	v_fma_f64 v[2:3], v[136:137], v[160:161], v[2:3]
	s_waitcnt lgkmcnt(1)
	s_delay_alu instid0(VALU_DEP_1) | instskip(SKIP_4) | instid1(VALU_DEP_1)
	v_fma_f64 v[2:3], v[138:139], v[152:153], v[2:3]
	scratch_load_b128 v[136:139], off, off offset:464
	s_waitcnt vmcnt(4)
	v_fma_f64 v[2:3], v[148:149], v[154:155], v[2:3]
	s_waitcnt lgkmcnt(0)
	v_fma_f64 v[2:3], v[150:151], v[156:157], v[2:3]
	scratch_load_b128 v[148:151], off, off offset:480
	s_waitcnt vmcnt(4)
	v_fma_f64 v[2:3], v[140:141], v[158:159], v[2:3]
	ds_load_2addr_b64 v[152:155], v1 offset0:115 offset1:116
	ds_load_2addr_b64 v[156:159], v1 offset0:117 offset1:118
	s_waitcnt lgkmcnt(1)
	v_fma_f64 v[2:3], v[142:143], v[152:153], v[2:3]
	s_waitcnt vmcnt(3)
	s_delay_alu instid0(VALU_DEP_1) | instskip(SKIP_1) | instid1(VALU_DEP_1)
	v_fma_f64 v[2:3], v[132:133], v[154:155], v[2:3]
	s_waitcnt lgkmcnt(0)
	v_fma_f64 v[2:3], v[134:135], v[156:157], v[2:3]
	ds_load_2addr_b64 v[132:135], v1 offset0:119 offset1:120
	ds_load_2addr_b64 v[140:143], v1 offset0:121 offset1:122
	s_waitcnt vmcnt(2)
	v_fma_f64 v[2:3], v[144:145], v[158:159], v[2:3]
	s_waitcnt lgkmcnt(1)
	s_delay_alu instid0(VALU_DEP_1) | instskip(SKIP_4) | instid1(VALU_DEP_1)
	v_fma_f64 v[2:3], v[146:147], v[132:133], v[2:3]
	ds_load_b64 v[132:133], v1 offset:984
	s_waitcnt vmcnt(1)
	v_fma_f64 v[2:3], v[136:137], v[134:135], v[2:3]
	s_waitcnt lgkmcnt(1)
	v_fma_f64 v[2:3], v[138:139], v[140:141], v[2:3]
	s_waitcnt vmcnt(0)
	s_delay_alu instid0(VALU_DEP_1) | instskip(SKIP_1) | instid1(VALU_DEP_1)
	v_fma_f64 v[2:3], v[148:149], v[142:143], v[2:3]
	s_waitcnt lgkmcnt(0)
	v_fma_f64 v[2:3], v[150:151], v[132:133], v[2:3]
	s_delay_alu instid0(VALU_DEP_1)
	v_add_f64 v[2:3], v[130:131], -v[2:3]
	scratch_store_b64 off, v[2:3], off offset:256
	v_cmpx_lt_u32_e32 31, v0
	s_cbranch_execz .LBB125_319
; %bb.318:
	scratch_load_b64 v[3:4], off, off offset:248
	v_mov_b32_e32 v2, v1
	scratch_store_b64 off, v[1:2], off offset:248
	s_waitcnt vmcnt(0)
	ds_store_b64 v5, v[3:4]
.LBB125_319:
	s_or_b32 exec_lo, exec_lo, s0
	s_waitcnt lgkmcnt(0)
	s_waitcnt_vscnt null, 0x0
	s_barrier
	buffer_gl0_inv
	s_clause 0x4
	scratch_load_b128 v[130:133], off, off offset:248
	scratch_load_b128 v[134:137], off, off offset:264
	;; [unrolled: 1-line block ×5, first 2 shown]
	ds_load_b128 v[150:153], v1 offset:752
	ds_load_b128 v[154:157], v1 offset:768
	scratch_load_b128 v[158:161], off, off offset:328
	s_mov_b32 s0, exec_lo
	s_waitcnt vmcnt(5) lgkmcnt(1)
	v_fma_f64 v[2:3], v[132:133], v[150:151], 0
	s_waitcnt vmcnt(4)
	s_delay_alu instid0(VALU_DEP_1) | instskip(SKIP_4) | instid1(VALU_DEP_1)
	v_fma_f64 v[2:3], v[134:135], v[152:153], v[2:3]
	scratch_load_b128 v[132:135], off, off offset:344
	s_waitcnt lgkmcnt(0)
	v_fma_f64 v[2:3], v[136:137], v[154:155], v[2:3]
	s_waitcnt vmcnt(4)
	v_fma_f64 v[2:3], v[138:139], v[156:157], v[2:3]
	ds_load_b128 v[136:139], v1 offset:784
	ds_load_b128 v[150:153], v1 offset:800
	scratch_load_b128 v[154:157], off, off offset:360
	s_waitcnt lgkmcnt(1)
	v_fma_f64 v[2:3], v[140:141], v[136:137], v[2:3]
	s_waitcnt vmcnt(4)
	s_delay_alu instid0(VALU_DEP_1) | instskip(SKIP_4) | instid1(VALU_DEP_1)
	v_fma_f64 v[2:3], v[142:143], v[138:139], v[2:3]
	scratch_load_b128 v[136:139], off, off offset:376
	s_waitcnt lgkmcnt(0)
	v_fma_f64 v[2:3], v[144:145], v[150:151], v[2:3]
	s_waitcnt vmcnt(4)
	v_fma_f64 v[2:3], v[146:147], v[152:153], v[2:3]
	ds_load_b128 v[140:143], v1 offset:816
	ds_load_b128 v[144:147], v1 offset:832
	s_waitcnt lgkmcnt(1)
	v_fma_f64 v[2:3], v[148:149], v[140:141], v[2:3]
	scratch_load_b128 v[148:151], off, off offset:392
	s_waitcnt vmcnt(4)
	v_fma_f64 v[2:3], v[158:159], v[142:143], v[2:3]
	scratch_load_b128 v[140:143], off, off offset:408
	s_waitcnt lgkmcnt(0)
	v_fma_f64 v[2:3], v[160:161], v[144:145], v[2:3]
	s_waitcnt vmcnt(4)
	s_delay_alu instid0(VALU_DEP_1)
	v_fma_f64 v[2:3], v[132:133], v[146:147], v[2:3]
	ds_load_b128 v[144:147], v1 offset:848
	ds_load_b128 v[158:161], v1 offset:864
	s_waitcnt lgkmcnt(1)
	v_fma_f64 v[2:3], v[134:135], v[144:145], v[2:3]
	scratch_load_b128 v[132:135], off, off offset:424
	s_waitcnt vmcnt(4)
	v_fma_f64 v[2:3], v[154:155], v[146:147], v[2:3]
	scratch_load_b128 v[144:147], off, off offset:440
	s_waitcnt lgkmcnt(0)
	v_fma_f64 v[2:3], v[156:157], v[158:159], v[2:3]
	ds_load_b128 v[152:155], v1 offset:880
	ds_load_b128 v[156:159], v1 offset:896
	s_waitcnt vmcnt(4)
	v_fma_f64 v[2:3], v[136:137], v[160:161], v[2:3]
	s_waitcnt lgkmcnt(1)
	s_delay_alu instid0(VALU_DEP_1) | instskip(SKIP_4) | instid1(VALU_DEP_1)
	v_fma_f64 v[2:3], v[138:139], v[152:153], v[2:3]
	scratch_load_b128 v[136:139], off, off offset:456
	s_waitcnt vmcnt(4)
	v_fma_f64 v[2:3], v[148:149], v[154:155], v[2:3]
	s_waitcnt lgkmcnt(0)
	v_fma_f64 v[2:3], v[150:151], v[156:157], v[2:3]
	scratch_load_b128 v[148:151], off, off offset:472
	s_waitcnt vmcnt(4)
	v_fma_f64 v[2:3], v[140:141], v[158:159], v[2:3]
	ds_load_b128 v[152:155], v1 offset:912
	ds_load_b128 v[156:159], v1 offset:928
	s_waitcnt lgkmcnt(1)
	v_fma_f64 v[2:3], v[142:143], v[152:153], v[2:3]
	scratch_load_b64 v[152:153], off, off offset:488
	s_waitcnt vmcnt(4)
	v_fma_f64 v[2:3], v[132:133], v[154:155], v[2:3]
	s_waitcnt lgkmcnt(0)
	s_delay_alu instid0(VALU_DEP_1)
	v_fma_f64 v[2:3], v[134:135], v[156:157], v[2:3]
	ds_load_b128 v[132:135], v1 offset:944
	ds_load_b128 v[140:143], v1 offset:960
	s_waitcnt vmcnt(3)
	v_fma_f64 v[2:3], v[144:145], v[158:159], v[2:3]
	s_waitcnt lgkmcnt(1)
	s_delay_alu instid0(VALU_DEP_1) | instskip(SKIP_1) | instid1(VALU_DEP_1)
	v_fma_f64 v[2:3], v[146:147], v[132:133], v[2:3]
	s_waitcnt vmcnt(2)
	v_fma_f64 v[2:3], v[136:137], v[134:135], v[2:3]
	s_waitcnt lgkmcnt(0)
	s_delay_alu instid0(VALU_DEP_1) | instskip(SKIP_1) | instid1(VALU_DEP_1)
	v_fma_f64 v[2:3], v[138:139], v[140:141], v[2:3]
	s_waitcnt vmcnt(1)
	v_fma_f64 v[132:133], v[148:149], v[142:143], v[2:3]
	ds_load_b128 v[1:4], v1 offset:976
	s_waitcnt lgkmcnt(0)
	v_fma_f64 v[1:2], v[150:151], v[1:2], v[132:133]
	s_waitcnt vmcnt(0)
	s_delay_alu instid0(VALU_DEP_1) | instskip(NEXT) | instid1(VALU_DEP_1)
	v_fma_f64 v[1:2], v[152:153], v[3:4], v[1:2]
	v_add_f64 v[1:2], v[130:131], -v[1:2]
	scratch_store_b64 off, v[1:2], off offset:248
	v_cmpx_lt_u32_e32 30, v0
	s_cbranch_execz .LBB125_321
; %bb.320:
	scratch_load_b64 v[1:2], off, off offset:240
	v_mov_b32_e32 v3, 0
	s_delay_alu instid0(VALU_DEP_1)
	v_mov_b32_e32 v4, v3
	scratch_store_b64 off, v[3:4], off offset:240
	s_waitcnt vmcnt(0)
	ds_store_b64 v5, v[1:2]
.LBB125_321:
	s_or_b32 exec_lo, exec_lo, s0
	s_waitcnt lgkmcnt(0)
	s_waitcnt_vscnt null, 0x0
	s_barrier
	buffer_gl0_inv
	s_clause 0x4
	scratch_load_b128 v[130:133], off, off offset:240
	scratch_load_b128 v[134:137], off, off offset:256
	;; [unrolled: 1-line block ×5, first 2 shown]
	v_mov_b32_e32 v1, 0
	ds_load_2addr_b64 v[150:153], v1 offset0:93 offset1:94
	ds_load_2addr_b64 v[154:157], v1 offset0:95 offset1:96
	scratch_load_b128 v[158:161], off, off offset:320
	s_mov_b32 s0, exec_lo
	s_waitcnt vmcnt(5) lgkmcnt(1)
	v_fma_f64 v[2:3], v[132:133], v[150:151], 0
	s_waitcnt vmcnt(4)
	s_delay_alu instid0(VALU_DEP_1) | instskip(SKIP_4) | instid1(VALU_DEP_1)
	v_fma_f64 v[2:3], v[134:135], v[152:153], v[2:3]
	scratch_load_b128 v[132:135], off, off offset:336
	s_waitcnt lgkmcnt(0)
	v_fma_f64 v[2:3], v[136:137], v[154:155], v[2:3]
	s_waitcnt vmcnt(4)
	v_fma_f64 v[2:3], v[138:139], v[156:157], v[2:3]
	ds_load_2addr_b64 v[136:139], v1 offset0:97 offset1:98
	ds_load_2addr_b64 v[150:153], v1 offset0:99 offset1:100
	scratch_load_b128 v[154:157], off, off offset:352
	s_waitcnt lgkmcnt(1)
	v_fma_f64 v[2:3], v[140:141], v[136:137], v[2:3]
	s_waitcnt vmcnt(4)
	s_delay_alu instid0(VALU_DEP_1) | instskip(SKIP_4) | instid1(VALU_DEP_1)
	v_fma_f64 v[2:3], v[142:143], v[138:139], v[2:3]
	scratch_load_b128 v[136:139], off, off offset:368
	s_waitcnt lgkmcnt(0)
	v_fma_f64 v[2:3], v[144:145], v[150:151], v[2:3]
	s_waitcnt vmcnt(4)
	v_fma_f64 v[2:3], v[146:147], v[152:153], v[2:3]
	ds_load_2addr_b64 v[140:143], v1 offset0:101 offset1:102
	ds_load_2addr_b64 v[144:147], v1 offset0:103 offset1:104
	s_waitcnt lgkmcnt(1)
	v_fma_f64 v[2:3], v[148:149], v[140:141], v[2:3]
	scratch_load_b128 v[148:151], off, off offset:384
	s_waitcnt vmcnt(4)
	v_fma_f64 v[2:3], v[158:159], v[142:143], v[2:3]
	scratch_load_b128 v[140:143], off, off offset:400
	s_waitcnt lgkmcnt(0)
	v_fma_f64 v[2:3], v[160:161], v[144:145], v[2:3]
	s_waitcnt vmcnt(4)
	s_delay_alu instid0(VALU_DEP_1)
	v_fma_f64 v[2:3], v[132:133], v[146:147], v[2:3]
	ds_load_2addr_b64 v[144:147], v1 offset0:105 offset1:106
	ds_load_2addr_b64 v[158:161], v1 offset0:107 offset1:108
	s_waitcnt lgkmcnt(1)
	v_fma_f64 v[2:3], v[134:135], v[144:145], v[2:3]
	scratch_load_b128 v[132:135], off, off offset:416
	s_waitcnt vmcnt(4)
	v_fma_f64 v[2:3], v[154:155], v[146:147], v[2:3]
	scratch_load_b128 v[144:147], off, off offset:432
	s_waitcnt lgkmcnt(0)
	v_fma_f64 v[2:3], v[156:157], v[158:159], v[2:3]
	ds_load_2addr_b64 v[152:155], v1 offset0:109 offset1:110
	ds_load_2addr_b64 v[156:159], v1 offset0:111 offset1:112
	s_waitcnt vmcnt(4)
	v_fma_f64 v[2:3], v[136:137], v[160:161], v[2:3]
	s_waitcnt lgkmcnt(1)
	s_delay_alu instid0(VALU_DEP_1) | instskip(SKIP_4) | instid1(VALU_DEP_1)
	v_fma_f64 v[2:3], v[138:139], v[152:153], v[2:3]
	scratch_load_b128 v[136:139], off, off offset:448
	s_waitcnt vmcnt(4)
	v_fma_f64 v[2:3], v[148:149], v[154:155], v[2:3]
	s_waitcnt lgkmcnt(0)
	v_fma_f64 v[2:3], v[150:151], v[156:157], v[2:3]
	scratch_load_b128 v[148:151], off, off offset:464
	s_waitcnt vmcnt(4)
	v_fma_f64 v[2:3], v[140:141], v[158:159], v[2:3]
	ds_load_2addr_b64 v[152:155], v1 offset0:113 offset1:114
	ds_load_2addr_b64 v[156:159], v1 offset0:115 offset1:116
	s_waitcnt lgkmcnt(1)
	v_fma_f64 v[2:3], v[142:143], v[152:153], v[2:3]
	scratch_load_b128 v[140:143], off, off offset:480
	s_waitcnt vmcnt(4)
	v_fma_f64 v[2:3], v[132:133], v[154:155], v[2:3]
	s_waitcnt lgkmcnt(0)
	s_delay_alu instid0(VALU_DEP_1)
	v_fma_f64 v[2:3], v[134:135], v[156:157], v[2:3]
	ds_load_2addr_b64 v[132:135], v1 offset0:117 offset1:118
	ds_load_2addr_b64 v[152:155], v1 offset0:119 offset1:120
	s_waitcnt vmcnt(3)
	v_fma_f64 v[2:3], v[144:145], v[158:159], v[2:3]
	s_waitcnt lgkmcnt(1)
	s_delay_alu instid0(VALU_DEP_1) | instskip(SKIP_1) | instid1(VALU_DEP_1)
	v_fma_f64 v[2:3], v[146:147], v[132:133], v[2:3]
	s_waitcnt vmcnt(2)
	v_fma_f64 v[2:3], v[136:137], v[134:135], v[2:3]
	ds_load_2addr_b64 v[132:135], v1 offset0:121 offset1:122
	ds_load_b64 v[136:137], v1 offset:984
	s_waitcnt lgkmcnt(2)
	v_fma_f64 v[2:3], v[138:139], v[152:153], v[2:3]
	s_waitcnt vmcnt(1)
	s_delay_alu instid0(VALU_DEP_1) | instskip(SKIP_1) | instid1(VALU_DEP_1)
	v_fma_f64 v[2:3], v[148:149], v[154:155], v[2:3]
	s_waitcnt lgkmcnt(1)
	v_fma_f64 v[2:3], v[150:151], v[132:133], v[2:3]
	s_waitcnt vmcnt(0)
	s_delay_alu instid0(VALU_DEP_1) | instskip(SKIP_1) | instid1(VALU_DEP_1)
	v_fma_f64 v[2:3], v[140:141], v[134:135], v[2:3]
	s_waitcnt lgkmcnt(0)
	v_fma_f64 v[2:3], v[142:143], v[136:137], v[2:3]
	s_delay_alu instid0(VALU_DEP_1)
	v_add_f64 v[2:3], v[130:131], -v[2:3]
	scratch_store_b64 off, v[2:3], off offset:240
	v_cmpx_lt_u32_e32 29, v0
	s_cbranch_execz .LBB125_323
; %bb.322:
	scratch_load_b64 v[3:4], off, off offset:232
	v_mov_b32_e32 v2, v1
	scratch_store_b64 off, v[1:2], off offset:232
	s_waitcnt vmcnt(0)
	ds_store_b64 v5, v[3:4]
.LBB125_323:
	s_or_b32 exec_lo, exec_lo, s0
	s_waitcnt lgkmcnt(0)
	s_waitcnt_vscnt null, 0x0
	s_barrier
	buffer_gl0_inv
	s_clause 0x4
	scratch_load_b128 v[130:133], off, off offset:232
	scratch_load_b128 v[134:137], off, off offset:248
	;; [unrolled: 1-line block ×5, first 2 shown]
	ds_load_b128 v[150:153], v1 offset:736
	ds_load_b128 v[154:157], v1 offset:752
	scratch_load_b128 v[158:161], off, off offset:312
	s_mov_b32 s0, exec_lo
	s_waitcnt vmcnt(5) lgkmcnt(1)
	v_fma_f64 v[2:3], v[132:133], v[150:151], 0
	s_waitcnt vmcnt(4)
	s_delay_alu instid0(VALU_DEP_1) | instskip(SKIP_4) | instid1(VALU_DEP_1)
	v_fma_f64 v[2:3], v[134:135], v[152:153], v[2:3]
	scratch_load_b128 v[132:135], off, off offset:328
	s_waitcnt lgkmcnt(0)
	v_fma_f64 v[2:3], v[136:137], v[154:155], v[2:3]
	s_waitcnt vmcnt(4)
	v_fma_f64 v[2:3], v[138:139], v[156:157], v[2:3]
	ds_load_b128 v[136:139], v1 offset:768
	ds_load_b128 v[150:153], v1 offset:784
	scratch_load_b128 v[154:157], off, off offset:344
	s_waitcnt lgkmcnt(1)
	v_fma_f64 v[2:3], v[140:141], v[136:137], v[2:3]
	s_waitcnt vmcnt(4)
	s_delay_alu instid0(VALU_DEP_1) | instskip(SKIP_4) | instid1(VALU_DEP_1)
	v_fma_f64 v[2:3], v[142:143], v[138:139], v[2:3]
	scratch_load_b128 v[136:139], off, off offset:360
	s_waitcnt lgkmcnt(0)
	v_fma_f64 v[2:3], v[144:145], v[150:151], v[2:3]
	s_waitcnt vmcnt(4)
	v_fma_f64 v[2:3], v[146:147], v[152:153], v[2:3]
	ds_load_b128 v[140:143], v1 offset:800
	ds_load_b128 v[144:147], v1 offset:816
	s_waitcnt lgkmcnt(1)
	v_fma_f64 v[2:3], v[148:149], v[140:141], v[2:3]
	scratch_load_b128 v[148:151], off, off offset:376
	s_waitcnt vmcnt(4)
	v_fma_f64 v[2:3], v[158:159], v[142:143], v[2:3]
	scratch_load_b128 v[140:143], off, off offset:392
	s_waitcnt lgkmcnt(0)
	v_fma_f64 v[2:3], v[160:161], v[144:145], v[2:3]
	s_waitcnt vmcnt(4)
	s_delay_alu instid0(VALU_DEP_1)
	v_fma_f64 v[2:3], v[132:133], v[146:147], v[2:3]
	ds_load_b128 v[144:147], v1 offset:832
	ds_load_b128 v[158:161], v1 offset:848
	s_waitcnt lgkmcnt(1)
	v_fma_f64 v[2:3], v[134:135], v[144:145], v[2:3]
	scratch_load_b128 v[132:135], off, off offset:408
	s_waitcnt vmcnt(4)
	v_fma_f64 v[2:3], v[154:155], v[146:147], v[2:3]
	scratch_load_b128 v[144:147], off, off offset:424
	s_waitcnt lgkmcnt(0)
	v_fma_f64 v[2:3], v[156:157], v[158:159], v[2:3]
	ds_load_b128 v[152:155], v1 offset:864
	ds_load_b128 v[156:159], v1 offset:880
	s_waitcnt vmcnt(4)
	v_fma_f64 v[2:3], v[136:137], v[160:161], v[2:3]
	s_waitcnt lgkmcnt(1)
	s_delay_alu instid0(VALU_DEP_1) | instskip(SKIP_4) | instid1(VALU_DEP_1)
	v_fma_f64 v[2:3], v[138:139], v[152:153], v[2:3]
	scratch_load_b128 v[136:139], off, off offset:440
	s_waitcnt vmcnt(4)
	v_fma_f64 v[2:3], v[148:149], v[154:155], v[2:3]
	s_waitcnt lgkmcnt(0)
	v_fma_f64 v[2:3], v[150:151], v[156:157], v[2:3]
	scratch_load_b128 v[148:151], off, off offset:456
	s_waitcnt vmcnt(4)
	v_fma_f64 v[2:3], v[140:141], v[158:159], v[2:3]
	ds_load_b128 v[152:155], v1 offset:896
	ds_load_b128 v[156:159], v1 offset:912
	s_waitcnt lgkmcnt(1)
	v_fma_f64 v[2:3], v[142:143], v[152:153], v[2:3]
	scratch_load_b128 v[140:143], off, off offset:472
	s_waitcnt vmcnt(4)
	v_fma_f64 v[2:3], v[132:133], v[154:155], v[2:3]
	s_waitcnt lgkmcnt(0)
	s_delay_alu instid0(VALU_DEP_1)
	v_fma_f64 v[2:3], v[134:135], v[156:157], v[2:3]
	scratch_load_b64 v[156:157], off, off offset:488
	ds_load_b128 v[132:135], v1 offset:928
	ds_load_b128 v[152:155], v1 offset:944
	s_waitcnt vmcnt(4)
	v_fma_f64 v[2:3], v[144:145], v[158:159], v[2:3]
	s_waitcnt lgkmcnt(1)
	s_delay_alu instid0(VALU_DEP_1) | instskip(SKIP_1) | instid1(VALU_DEP_1)
	v_fma_f64 v[2:3], v[146:147], v[132:133], v[2:3]
	s_waitcnt vmcnt(3)
	v_fma_f64 v[2:3], v[136:137], v[134:135], v[2:3]
	s_waitcnt lgkmcnt(0)
	s_delay_alu instid0(VALU_DEP_1) | instskip(SKIP_1) | instid1(VALU_DEP_1)
	v_fma_f64 v[2:3], v[138:139], v[152:153], v[2:3]
	s_waitcnt vmcnt(2)
	v_fma_f64 v[136:137], v[148:149], v[154:155], v[2:3]
	ds_load_b128 v[132:135], v1 offset:960
	ds_load_b128 v[1:4], v1 offset:976
	s_waitcnt lgkmcnt(1)
	v_fma_f64 v[132:133], v[150:151], v[132:133], v[136:137]
	s_waitcnt vmcnt(1)
	s_delay_alu instid0(VALU_DEP_1) | instskip(SKIP_1) | instid1(VALU_DEP_1)
	v_fma_f64 v[132:133], v[140:141], v[134:135], v[132:133]
	s_waitcnt lgkmcnt(0)
	v_fma_f64 v[1:2], v[142:143], v[1:2], v[132:133]
	s_waitcnt vmcnt(0)
	s_delay_alu instid0(VALU_DEP_1) | instskip(NEXT) | instid1(VALU_DEP_1)
	v_fma_f64 v[1:2], v[156:157], v[3:4], v[1:2]
	v_add_f64 v[1:2], v[130:131], -v[1:2]
	scratch_store_b64 off, v[1:2], off offset:232
	v_cmpx_lt_u32_e32 28, v0
	s_cbranch_execz .LBB125_325
; %bb.324:
	scratch_load_b64 v[1:2], off, off offset:224
	v_mov_b32_e32 v3, 0
	s_delay_alu instid0(VALU_DEP_1)
	v_mov_b32_e32 v4, v3
	scratch_store_b64 off, v[3:4], off offset:224
	s_waitcnt vmcnt(0)
	ds_store_b64 v5, v[1:2]
.LBB125_325:
	s_or_b32 exec_lo, exec_lo, s0
	s_waitcnt lgkmcnt(0)
	s_waitcnt_vscnt null, 0x0
	s_barrier
	buffer_gl0_inv
	s_clause 0x4
	scratch_load_b128 v[130:133], off, off offset:224
	scratch_load_b128 v[134:137], off, off offset:240
	;; [unrolled: 1-line block ×5, first 2 shown]
	v_mov_b32_e32 v1, 0
	ds_load_2addr_b64 v[150:153], v1 offset0:91 offset1:92
	ds_load_2addr_b64 v[154:157], v1 offset0:93 offset1:94
	scratch_load_b128 v[158:161], off, off offset:304
	s_mov_b32 s0, exec_lo
	s_waitcnt vmcnt(5) lgkmcnt(1)
	v_fma_f64 v[2:3], v[132:133], v[150:151], 0
	s_waitcnt vmcnt(4)
	s_delay_alu instid0(VALU_DEP_1) | instskip(SKIP_4) | instid1(VALU_DEP_1)
	v_fma_f64 v[2:3], v[134:135], v[152:153], v[2:3]
	scratch_load_b128 v[132:135], off, off offset:320
	s_waitcnt lgkmcnt(0)
	v_fma_f64 v[2:3], v[136:137], v[154:155], v[2:3]
	s_waitcnt vmcnt(4)
	v_fma_f64 v[2:3], v[138:139], v[156:157], v[2:3]
	ds_load_2addr_b64 v[136:139], v1 offset0:95 offset1:96
	ds_load_2addr_b64 v[150:153], v1 offset0:97 offset1:98
	scratch_load_b128 v[154:157], off, off offset:336
	s_waitcnt lgkmcnt(1)
	v_fma_f64 v[2:3], v[140:141], v[136:137], v[2:3]
	s_waitcnt vmcnt(4)
	s_delay_alu instid0(VALU_DEP_1) | instskip(SKIP_4) | instid1(VALU_DEP_1)
	v_fma_f64 v[2:3], v[142:143], v[138:139], v[2:3]
	scratch_load_b128 v[136:139], off, off offset:352
	s_waitcnt lgkmcnt(0)
	v_fma_f64 v[2:3], v[144:145], v[150:151], v[2:3]
	s_waitcnt vmcnt(4)
	v_fma_f64 v[2:3], v[146:147], v[152:153], v[2:3]
	ds_load_2addr_b64 v[140:143], v1 offset0:99 offset1:100
	ds_load_2addr_b64 v[144:147], v1 offset0:101 offset1:102
	s_waitcnt lgkmcnt(1)
	v_fma_f64 v[2:3], v[148:149], v[140:141], v[2:3]
	scratch_load_b128 v[148:151], off, off offset:368
	s_waitcnt vmcnt(4)
	v_fma_f64 v[2:3], v[158:159], v[142:143], v[2:3]
	scratch_load_b128 v[140:143], off, off offset:384
	s_waitcnt lgkmcnt(0)
	v_fma_f64 v[2:3], v[160:161], v[144:145], v[2:3]
	s_waitcnt vmcnt(4)
	s_delay_alu instid0(VALU_DEP_1)
	v_fma_f64 v[2:3], v[132:133], v[146:147], v[2:3]
	ds_load_2addr_b64 v[144:147], v1 offset0:103 offset1:104
	ds_load_2addr_b64 v[158:161], v1 offset0:105 offset1:106
	s_waitcnt lgkmcnt(1)
	v_fma_f64 v[2:3], v[134:135], v[144:145], v[2:3]
	scratch_load_b128 v[132:135], off, off offset:400
	s_waitcnt vmcnt(4)
	v_fma_f64 v[2:3], v[154:155], v[146:147], v[2:3]
	scratch_load_b128 v[144:147], off, off offset:416
	s_waitcnt lgkmcnt(0)
	v_fma_f64 v[2:3], v[156:157], v[158:159], v[2:3]
	ds_load_2addr_b64 v[152:155], v1 offset0:107 offset1:108
	ds_load_2addr_b64 v[156:159], v1 offset0:109 offset1:110
	s_waitcnt vmcnt(4)
	v_fma_f64 v[2:3], v[136:137], v[160:161], v[2:3]
	s_waitcnt lgkmcnt(1)
	s_delay_alu instid0(VALU_DEP_1) | instskip(SKIP_4) | instid1(VALU_DEP_1)
	v_fma_f64 v[2:3], v[138:139], v[152:153], v[2:3]
	scratch_load_b128 v[136:139], off, off offset:432
	s_waitcnt vmcnt(4)
	v_fma_f64 v[2:3], v[148:149], v[154:155], v[2:3]
	s_waitcnt lgkmcnt(0)
	v_fma_f64 v[2:3], v[150:151], v[156:157], v[2:3]
	scratch_load_b128 v[148:151], off, off offset:448
	s_waitcnt vmcnt(4)
	v_fma_f64 v[2:3], v[140:141], v[158:159], v[2:3]
	ds_load_2addr_b64 v[152:155], v1 offset0:111 offset1:112
	ds_load_2addr_b64 v[156:159], v1 offset0:113 offset1:114
	s_waitcnt lgkmcnt(1)
	v_fma_f64 v[2:3], v[142:143], v[152:153], v[2:3]
	scratch_load_b128 v[140:143], off, off offset:464
	s_waitcnt vmcnt(4)
	v_fma_f64 v[2:3], v[132:133], v[154:155], v[2:3]
	s_waitcnt lgkmcnt(0)
	s_delay_alu instid0(VALU_DEP_1)
	v_fma_f64 v[2:3], v[134:135], v[156:157], v[2:3]
	scratch_load_b128 v[132:135], off, off offset:480
	s_waitcnt vmcnt(4)
	v_fma_f64 v[2:3], v[144:145], v[158:159], v[2:3]
	ds_load_2addr_b64 v[152:155], v1 offset0:115 offset1:116
	ds_load_2addr_b64 v[156:159], v1 offset0:117 offset1:118
	s_waitcnt lgkmcnt(1)
	v_fma_f64 v[2:3], v[146:147], v[152:153], v[2:3]
	s_waitcnt vmcnt(3)
	s_delay_alu instid0(VALU_DEP_1) | instskip(SKIP_1) | instid1(VALU_DEP_1)
	v_fma_f64 v[2:3], v[136:137], v[154:155], v[2:3]
	s_waitcnt lgkmcnt(0)
	v_fma_f64 v[2:3], v[138:139], v[156:157], v[2:3]
	ds_load_2addr_b64 v[136:139], v1 offset0:119 offset1:120
	ds_load_2addr_b64 v[144:147], v1 offset0:121 offset1:122
	s_waitcnt vmcnt(2)
	v_fma_f64 v[2:3], v[148:149], v[158:159], v[2:3]
	s_waitcnt lgkmcnt(1)
	s_delay_alu instid0(VALU_DEP_1) | instskip(SKIP_1) | instid1(VALU_DEP_1)
	v_fma_f64 v[2:3], v[150:151], v[136:137], v[2:3]
	s_waitcnt vmcnt(1)
	v_fma_f64 v[2:3], v[140:141], v[138:139], v[2:3]
	s_waitcnt lgkmcnt(0)
	s_delay_alu instid0(VALU_DEP_1) | instskip(SKIP_1) | instid1(VALU_DEP_1)
	v_fma_f64 v[2:3], v[142:143], v[144:145], v[2:3]
	s_waitcnt vmcnt(0)
	v_fma_f64 v[2:3], v[132:133], v[146:147], v[2:3]
	ds_load_b64 v[132:133], v1 offset:984
	s_waitcnt lgkmcnt(0)
	v_fma_f64 v[2:3], v[134:135], v[132:133], v[2:3]
	s_delay_alu instid0(VALU_DEP_1)
	v_add_f64 v[2:3], v[130:131], -v[2:3]
	scratch_store_b64 off, v[2:3], off offset:224
	v_cmpx_lt_u32_e32 27, v0
	s_cbranch_execz .LBB125_327
; %bb.326:
	scratch_load_b64 v[3:4], off, off offset:216
	v_mov_b32_e32 v2, v1
	scratch_store_b64 off, v[1:2], off offset:216
	s_waitcnt vmcnt(0)
	ds_store_b64 v5, v[3:4]
.LBB125_327:
	s_or_b32 exec_lo, exec_lo, s0
	s_waitcnt lgkmcnt(0)
	s_waitcnt_vscnt null, 0x0
	s_barrier
	buffer_gl0_inv
	s_clause 0x4
	scratch_load_b128 v[130:133], off, off offset:216
	scratch_load_b128 v[134:137], off, off offset:232
	;; [unrolled: 1-line block ×5, first 2 shown]
	ds_load_b128 v[150:153], v1 offset:720
	ds_load_b128 v[154:157], v1 offset:736
	scratch_load_b128 v[158:161], off, off offset:296
	s_mov_b32 s0, exec_lo
	s_waitcnt vmcnt(5) lgkmcnt(1)
	v_fma_f64 v[2:3], v[132:133], v[150:151], 0
	s_waitcnt vmcnt(4)
	s_delay_alu instid0(VALU_DEP_1) | instskip(SKIP_4) | instid1(VALU_DEP_1)
	v_fma_f64 v[2:3], v[134:135], v[152:153], v[2:3]
	scratch_load_b128 v[132:135], off, off offset:312
	s_waitcnt lgkmcnt(0)
	v_fma_f64 v[2:3], v[136:137], v[154:155], v[2:3]
	s_waitcnt vmcnt(4)
	v_fma_f64 v[2:3], v[138:139], v[156:157], v[2:3]
	ds_load_b128 v[136:139], v1 offset:752
	ds_load_b128 v[150:153], v1 offset:768
	scratch_load_b128 v[154:157], off, off offset:328
	s_waitcnt lgkmcnt(1)
	v_fma_f64 v[2:3], v[140:141], v[136:137], v[2:3]
	s_waitcnt vmcnt(4)
	s_delay_alu instid0(VALU_DEP_1) | instskip(SKIP_4) | instid1(VALU_DEP_1)
	v_fma_f64 v[2:3], v[142:143], v[138:139], v[2:3]
	scratch_load_b128 v[136:139], off, off offset:344
	s_waitcnt lgkmcnt(0)
	v_fma_f64 v[2:3], v[144:145], v[150:151], v[2:3]
	s_waitcnt vmcnt(4)
	v_fma_f64 v[2:3], v[146:147], v[152:153], v[2:3]
	ds_load_b128 v[140:143], v1 offset:784
	ds_load_b128 v[144:147], v1 offset:800
	s_waitcnt lgkmcnt(1)
	v_fma_f64 v[2:3], v[148:149], v[140:141], v[2:3]
	scratch_load_b128 v[148:151], off, off offset:360
	s_waitcnt vmcnt(4)
	v_fma_f64 v[2:3], v[158:159], v[142:143], v[2:3]
	scratch_load_b128 v[140:143], off, off offset:376
	s_waitcnt lgkmcnt(0)
	v_fma_f64 v[2:3], v[160:161], v[144:145], v[2:3]
	s_waitcnt vmcnt(4)
	s_delay_alu instid0(VALU_DEP_1)
	v_fma_f64 v[2:3], v[132:133], v[146:147], v[2:3]
	ds_load_b128 v[144:147], v1 offset:816
	ds_load_b128 v[158:161], v1 offset:832
	s_waitcnt lgkmcnt(1)
	v_fma_f64 v[2:3], v[134:135], v[144:145], v[2:3]
	scratch_load_b128 v[132:135], off, off offset:392
	s_waitcnt vmcnt(4)
	v_fma_f64 v[2:3], v[154:155], v[146:147], v[2:3]
	scratch_load_b128 v[144:147], off, off offset:408
	s_waitcnt lgkmcnt(0)
	v_fma_f64 v[2:3], v[156:157], v[158:159], v[2:3]
	ds_load_b128 v[152:155], v1 offset:848
	ds_load_b128 v[156:159], v1 offset:864
	s_waitcnt vmcnt(4)
	v_fma_f64 v[2:3], v[136:137], v[160:161], v[2:3]
	s_waitcnt lgkmcnt(1)
	s_delay_alu instid0(VALU_DEP_1) | instskip(SKIP_4) | instid1(VALU_DEP_1)
	v_fma_f64 v[2:3], v[138:139], v[152:153], v[2:3]
	scratch_load_b128 v[136:139], off, off offset:424
	s_waitcnt vmcnt(4)
	v_fma_f64 v[2:3], v[148:149], v[154:155], v[2:3]
	s_waitcnt lgkmcnt(0)
	v_fma_f64 v[2:3], v[150:151], v[156:157], v[2:3]
	scratch_load_b128 v[148:151], off, off offset:440
	s_waitcnt vmcnt(4)
	v_fma_f64 v[2:3], v[140:141], v[158:159], v[2:3]
	ds_load_b128 v[152:155], v1 offset:880
	ds_load_b128 v[156:159], v1 offset:896
	s_waitcnt lgkmcnt(1)
	v_fma_f64 v[2:3], v[142:143], v[152:153], v[2:3]
	scratch_load_b128 v[140:143], off, off offset:456
	s_waitcnt vmcnt(4)
	v_fma_f64 v[2:3], v[132:133], v[154:155], v[2:3]
	s_waitcnt lgkmcnt(0)
	s_delay_alu instid0(VALU_DEP_1)
	v_fma_f64 v[2:3], v[134:135], v[156:157], v[2:3]
	scratch_load_b128 v[132:135], off, off offset:472
	s_waitcnt vmcnt(4)
	v_fma_f64 v[2:3], v[144:145], v[158:159], v[2:3]
	ds_load_b128 v[152:155], v1 offset:912
	ds_load_b128 v[156:159], v1 offset:928
	s_waitcnt lgkmcnt(1)
	v_fma_f64 v[2:3], v[146:147], v[152:153], v[2:3]
	scratch_load_b64 v[152:153], off, off offset:488
	s_waitcnt vmcnt(4)
	v_fma_f64 v[2:3], v[136:137], v[154:155], v[2:3]
	s_waitcnt lgkmcnt(0)
	s_delay_alu instid0(VALU_DEP_1)
	v_fma_f64 v[2:3], v[138:139], v[156:157], v[2:3]
	ds_load_b128 v[136:139], v1 offset:944
	ds_load_b128 v[144:147], v1 offset:960
	s_waitcnt vmcnt(3)
	v_fma_f64 v[2:3], v[148:149], v[158:159], v[2:3]
	s_waitcnt lgkmcnt(1)
	s_delay_alu instid0(VALU_DEP_1) | instskip(SKIP_1) | instid1(VALU_DEP_1)
	v_fma_f64 v[2:3], v[150:151], v[136:137], v[2:3]
	s_waitcnt vmcnt(2)
	v_fma_f64 v[2:3], v[140:141], v[138:139], v[2:3]
	s_waitcnt lgkmcnt(0)
	s_delay_alu instid0(VALU_DEP_1) | instskip(SKIP_1) | instid1(VALU_DEP_1)
	v_fma_f64 v[2:3], v[142:143], v[144:145], v[2:3]
	s_waitcnt vmcnt(1)
	v_fma_f64 v[132:133], v[132:133], v[146:147], v[2:3]
	ds_load_b128 v[1:4], v1 offset:976
	s_waitcnt lgkmcnt(0)
	v_fma_f64 v[1:2], v[134:135], v[1:2], v[132:133]
	s_waitcnt vmcnt(0)
	s_delay_alu instid0(VALU_DEP_1) | instskip(NEXT) | instid1(VALU_DEP_1)
	v_fma_f64 v[1:2], v[152:153], v[3:4], v[1:2]
	v_add_f64 v[1:2], v[130:131], -v[1:2]
	scratch_store_b64 off, v[1:2], off offset:216
	v_cmpx_lt_u32_e32 26, v0
	s_cbranch_execz .LBB125_329
; %bb.328:
	scratch_load_b64 v[1:2], off, off offset:208
	v_mov_b32_e32 v3, 0
	s_delay_alu instid0(VALU_DEP_1)
	v_mov_b32_e32 v4, v3
	scratch_store_b64 off, v[3:4], off offset:208
	s_waitcnt vmcnt(0)
	ds_store_b64 v5, v[1:2]
.LBB125_329:
	s_or_b32 exec_lo, exec_lo, s0
	s_waitcnt lgkmcnt(0)
	s_waitcnt_vscnt null, 0x0
	s_barrier
	buffer_gl0_inv
	s_clause 0x4
	scratch_load_b128 v[130:133], off, off offset:208
	scratch_load_b128 v[134:137], off, off offset:224
	;; [unrolled: 1-line block ×5, first 2 shown]
	v_mov_b32_e32 v1, 0
	ds_load_2addr_b64 v[150:153], v1 offset0:89 offset1:90
	ds_load_2addr_b64 v[154:157], v1 offset0:91 offset1:92
	scratch_load_b128 v[158:161], off, off offset:288
	s_mov_b32 s0, exec_lo
	s_waitcnt vmcnt(5) lgkmcnt(1)
	v_fma_f64 v[2:3], v[132:133], v[150:151], 0
	s_waitcnt vmcnt(4)
	s_delay_alu instid0(VALU_DEP_1) | instskip(SKIP_4) | instid1(VALU_DEP_1)
	v_fma_f64 v[2:3], v[134:135], v[152:153], v[2:3]
	scratch_load_b128 v[132:135], off, off offset:304
	s_waitcnt lgkmcnt(0)
	v_fma_f64 v[2:3], v[136:137], v[154:155], v[2:3]
	s_waitcnt vmcnt(4)
	v_fma_f64 v[2:3], v[138:139], v[156:157], v[2:3]
	ds_load_2addr_b64 v[136:139], v1 offset0:93 offset1:94
	ds_load_2addr_b64 v[150:153], v1 offset0:95 offset1:96
	scratch_load_b128 v[154:157], off, off offset:320
	s_waitcnt lgkmcnt(1)
	v_fma_f64 v[2:3], v[140:141], v[136:137], v[2:3]
	s_waitcnt vmcnt(4)
	s_delay_alu instid0(VALU_DEP_1) | instskip(SKIP_4) | instid1(VALU_DEP_1)
	v_fma_f64 v[2:3], v[142:143], v[138:139], v[2:3]
	scratch_load_b128 v[136:139], off, off offset:336
	s_waitcnt lgkmcnt(0)
	v_fma_f64 v[2:3], v[144:145], v[150:151], v[2:3]
	s_waitcnt vmcnt(4)
	v_fma_f64 v[2:3], v[146:147], v[152:153], v[2:3]
	ds_load_2addr_b64 v[140:143], v1 offset0:97 offset1:98
	ds_load_2addr_b64 v[144:147], v1 offset0:99 offset1:100
	s_waitcnt lgkmcnt(1)
	v_fma_f64 v[2:3], v[148:149], v[140:141], v[2:3]
	scratch_load_b128 v[148:151], off, off offset:352
	s_waitcnt vmcnt(4)
	v_fma_f64 v[2:3], v[158:159], v[142:143], v[2:3]
	scratch_load_b128 v[140:143], off, off offset:368
	s_waitcnt lgkmcnt(0)
	v_fma_f64 v[2:3], v[160:161], v[144:145], v[2:3]
	s_waitcnt vmcnt(4)
	s_delay_alu instid0(VALU_DEP_1)
	v_fma_f64 v[2:3], v[132:133], v[146:147], v[2:3]
	ds_load_2addr_b64 v[144:147], v1 offset0:101 offset1:102
	ds_load_2addr_b64 v[158:161], v1 offset0:103 offset1:104
	s_waitcnt lgkmcnt(1)
	v_fma_f64 v[2:3], v[134:135], v[144:145], v[2:3]
	scratch_load_b128 v[132:135], off, off offset:384
	s_waitcnt vmcnt(4)
	v_fma_f64 v[2:3], v[154:155], v[146:147], v[2:3]
	scratch_load_b128 v[144:147], off, off offset:400
	s_waitcnt lgkmcnt(0)
	v_fma_f64 v[2:3], v[156:157], v[158:159], v[2:3]
	ds_load_2addr_b64 v[152:155], v1 offset0:105 offset1:106
	ds_load_2addr_b64 v[156:159], v1 offset0:107 offset1:108
	s_waitcnt vmcnt(4)
	v_fma_f64 v[2:3], v[136:137], v[160:161], v[2:3]
	s_waitcnt lgkmcnt(1)
	s_delay_alu instid0(VALU_DEP_1) | instskip(SKIP_4) | instid1(VALU_DEP_1)
	v_fma_f64 v[2:3], v[138:139], v[152:153], v[2:3]
	scratch_load_b128 v[136:139], off, off offset:416
	s_waitcnt vmcnt(4)
	v_fma_f64 v[2:3], v[148:149], v[154:155], v[2:3]
	s_waitcnt lgkmcnt(0)
	v_fma_f64 v[2:3], v[150:151], v[156:157], v[2:3]
	scratch_load_b128 v[148:151], off, off offset:432
	s_waitcnt vmcnt(4)
	v_fma_f64 v[2:3], v[140:141], v[158:159], v[2:3]
	ds_load_2addr_b64 v[152:155], v1 offset0:109 offset1:110
	ds_load_2addr_b64 v[156:159], v1 offset0:111 offset1:112
	s_waitcnt lgkmcnt(1)
	v_fma_f64 v[2:3], v[142:143], v[152:153], v[2:3]
	scratch_load_b128 v[140:143], off, off offset:448
	s_waitcnt vmcnt(4)
	v_fma_f64 v[2:3], v[132:133], v[154:155], v[2:3]
	s_waitcnt lgkmcnt(0)
	s_delay_alu instid0(VALU_DEP_1)
	v_fma_f64 v[2:3], v[134:135], v[156:157], v[2:3]
	scratch_load_b128 v[132:135], off, off offset:464
	s_waitcnt vmcnt(4)
	v_fma_f64 v[2:3], v[144:145], v[158:159], v[2:3]
	ds_load_2addr_b64 v[152:155], v1 offset0:113 offset1:114
	ds_load_2addr_b64 v[156:159], v1 offset0:115 offset1:116
	s_waitcnt lgkmcnt(1)
	v_fma_f64 v[2:3], v[146:147], v[152:153], v[2:3]
	scratch_load_b128 v[144:147], off, off offset:480
	s_waitcnt vmcnt(4)
	v_fma_f64 v[2:3], v[136:137], v[154:155], v[2:3]
	s_waitcnt lgkmcnt(0)
	s_delay_alu instid0(VALU_DEP_1)
	v_fma_f64 v[2:3], v[138:139], v[156:157], v[2:3]
	ds_load_2addr_b64 v[136:139], v1 offset0:117 offset1:118
	ds_load_2addr_b64 v[152:155], v1 offset0:119 offset1:120
	s_waitcnt vmcnt(3)
	v_fma_f64 v[2:3], v[148:149], v[158:159], v[2:3]
	s_waitcnt lgkmcnt(1)
	s_delay_alu instid0(VALU_DEP_1) | instskip(SKIP_1) | instid1(VALU_DEP_1)
	v_fma_f64 v[2:3], v[150:151], v[136:137], v[2:3]
	s_waitcnt vmcnt(2)
	v_fma_f64 v[2:3], v[140:141], v[138:139], v[2:3]
	s_waitcnt lgkmcnt(0)
	s_delay_alu instid0(VALU_DEP_1) | instskip(SKIP_1) | instid1(VALU_DEP_1)
	v_fma_f64 v[2:3], v[142:143], v[152:153], v[2:3]
	s_waitcnt vmcnt(1)
	v_fma_f64 v[2:3], v[132:133], v[154:155], v[2:3]
	ds_load_2addr_b64 v[136:139], v1 offset0:121 offset1:122
	ds_load_b64 v[132:133], v1 offset:984
	s_waitcnt lgkmcnt(1)
	v_fma_f64 v[2:3], v[134:135], v[136:137], v[2:3]
	s_waitcnt vmcnt(0)
	s_delay_alu instid0(VALU_DEP_1) | instskip(SKIP_1) | instid1(VALU_DEP_1)
	v_fma_f64 v[2:3], v[144:145], v[138:139], v[2:3]
	s_waitcnt lgkmcnt(0)
	v_fma_f64 v[2:3], v[146:147], v[132:133], v[2:3]
	s_delay_alu instid0(VALU_DEP_1)
	v_add_f64 v[2:3], v[130:131], -v[2:3]
	scratch_store_b64 off, v[2:3], off offset:208
	v_cmpx_lt_u32_e32 25, v0
	s_cbranch_execz .LBB125_331
; %bb.330:
	scratch_load_b64 v[3:4], off, off offset:200
	v_mov_b32_e32 v2, v1
	scratch_store_b64 off, v[1:2], off offset:200
	s_waitcnt vmcnt(0)
	ds_store_b64 v5, v[3:4]
.LBB125_331:
	s_or_b32 exec_lo, exec_lo, s0
	s_waitcnt lgkmcnt(0)
	s_waitcnt_vscnt null, 0x0
	s_barrier
	buffer_gl0_inv
	s_clause 0x4
	scratch_load_b128 v[130:133], off, off offset:200
	scratch_load_b128 v[134:137], off, off offset:216
	;; [unrolled: 1-line block ×5, first 2 shown]
	ds_load_b128 v[150:153], v1 offset:704
	ds_load_b128 v[154:157], v1 offset:720
	scratch_load_b128 v[158:161], off, off offset:280
	s_mov_b32 s0, exec_lo
	s_waitcnt vmcnt(5) lgkmcnt(1)
	v_fma_f64 v[2:3], v[132:133], v[150:151], 0
	s_waitcnt vmcnt(4)
	s_delay_alu instid0(VALU_DEP_1) | instskip(SKIP_4) | instid1(VALU_DEP_1)
	v_fma_f64 v[2:3], v[134:135], v[152:153], v[2:3]
	scratch_load_b128 v[132:135], off, off offset:296
	s_waitcnt lgkmcnt(0)
	v_fma_f64 v[2:3], v[136:137], v[154:155], v[2:3]
	s_waitcnt vmcnt(4)
	v_fma_f64 v[2:3], v[138:139], v[156:157], v[2:3]
	ds_load_b128 v[136:139], v1 offset:736
	ds_load_b128 v[150:153], v1 offset:752
	scratch_load_b128 v[154:157], off, off offset:312
	s_waitcnt lgkmcnt(1)
	v_fma_f64 v[2:3], v[140:141], v[136:137], v[2:3]
	s_waitcnt vmcnt(4)
	s_delay_alu instid0(VALU_DEP_1) | instskip(SKIP_4) | instid1(VALU_DEP_1)
	v_fma_f64 v[2:3], v[142:143], v[138:139], v[2:3]
	scratch_load_b128 v[136:139], off, off offset:328
	s_waitcnt lgkmcnt(0)
	v_fma_f64 v[2:3], v[144:145], v[150:151], v[2:3]
	s_waitcnt vmcnt(4)
	v_fma_f64 v[2:3], v[146:147], v[152:153], v[2:3]
	ds_load_b128 v[140:143], v1 offset:768
	ds_load_b128 v[144:147], v1 offset:784
	s_waitcnt lgkmcnt(1)
	v_fma_f64 v[2:3], v[148:149], v[140:141], v[2:3]
	scratch_load_b128 v[148:151], off, off offset:344
	s_waitcnt vmcnt(4)
	v_fma_f64 v[2:3], v[158:159], v[142:143], v[2:3]
	scratch_load_b128 v[140:143], off, off offset:360
	s_waitcnt lgkmcnt(0)
	v_fma_f64 v[2:3], v[160:161], v[144:145], v[2:3]
	s_waitcnt vmcnt(4)
	s_delay_alu instid0(VALU_DEP_1)
	v_fma_f64 v[2:3], v[132:133], v[146:147], v[2:3]
	ds_load_b128 v[144:147], v1 offset:800
	ds_load_b128 v[158:161], v1 offset:816
	s_waitcnt lgkmcnt(1)
	v_fma_f64 v[2:3], v[134:135], v[144:145], v[2:3]
	scratch_load_b128 v[132:135], off, off offset:376
	s_waitcnt vmcnt(4)
	v_fma_f64 v[2:3], v[154:155], v[146:147], v[2:3]
	scratch_load_b128 v[144:147], off, off offset:392
	s_waitcnt lgkmcnt(0)
	v_fma_f64 v[2:3], v[156:157], v[158:159], v[2:3]
	ds_load_b128 v[152:155], v1 offset:832
	ds_load_b128 v[156:159], v1 offset:848
	s_waitcnt vmcnt(4)
	v_fma_f64 v[2:3], v[136:137], v[160:161], v[2:3]
	s_waitcnt lgkmcnt(1)
	s_delay_alu instid0(VALU_DEP_1) | instskip(SKIP_4) | instid1(VALU_DEP_1)
	v_fma_f64 v[2:3], v[138:139], v[152:153], v[2:3]
	scratch_load_b128 v[136:139], off, off offset:408
	s_waitcnt vmcnt(4)
	v_fma_f64 v[2:3], v[148:149], v[154:155], v[2:3]
	s_waitcnt lgkmcnt(0)
	v_fma_f64 v[2:3], v[150:151], v[156:157], v[2:3]
	scratch_load_b128 v[148:151], off, off offset:424
	s_waitcnt vmcnt(4)
	v_fma_f64 v[2:3], v[140:141], v[158:159], v[2:3]
	ds_load_b128 v[152:155], v1 offset:864
	ds_load_b128 v[156:159], v1 offset:880
	s_waitcnt lgkmcnt(1)
	v_fma_f64 v[2:3], v[142:143], v[152:153], v[2:3]
	scratch_load_b128 v[140:143], off, off offset:440
	s_waitcnt vmcnt(4)
	v_fma_f64 v[2:3], v[132:133], v[154:155], v[2:3]
	s_waitcnt lgkmcnt(0)
	s_delay_alu instid0(VALU_DEP_1)
	v_fma_f64 v[2:3], v[134:135], v[156:157], v[2:3]
	scratch_load_b128 v[132:135], off, off offset:456
	s_waitcnt vmcnt(4)
	v_fma_f64 v[2:3], v[144:145], v[158:159], v[2:3]
	ds_load_b128 v[152:155], v1 offset:896
	ds_load_b128 v[156:159], v1 offset:912
	s_waitcnt lgkmcnt(1)
	v_fma_f64 v[2:3], v[146:147], v[152:153], v[2:3]
	scratch_load_b128 v[144:147], off, off offset:472
	s_waitcnt vmcnt(4)
	v_fma_f64 v[2:3], v[136:137], v[154:155], v[2:3]
	s_waitcnt lgkmcnt(0)
	s_delay_alu instid0(VALU_DEP_1)
	v_fma_f64 v[2:3], v[138:139], v[156:157], v[2:3]
	scratch_load_b64 v[156:157], off, off offset:488
	ds_load_b128 v[136:139], v1 offset:928
	ds_load_b128 v[152:155], v1 offset:944
	s_waitcnt vmcnt(4)
	v_fma_f64 v[2:3], v[148:149], v[158:159], v[2:3]
	s_waitcnt lgkmcnt(1)
	s_delay_alu instid0(VALU_DEP_1) | instskip(SKIP_1) | instid1(VALU_DEP_1)
	v_fma_f64 v[2:3], v[150:151], v[136:137], v[2:3]
	s_waitcnt vmcnt(3)
	v_fma_f64 v[2:3], v[140:141], v[138:139], v[2:3]
	s_waitcnt lgkmcnt(0)
	s_delay_alu instid0(VALU_DEP_1) | instskip(SKIP_1) | instid1(VALU_DEP_1)
	v_fma_f64 v[2:3], v[142:143], v[152:153], v[2:3]
	s_waitcnt vmcnt(2)
	v_fma_f64 v[132:133], v[132:133], v[154:155], v[2:3]
	ds_load_b128 v[136:139], v1 offset:960
	ds_load_b128 v[1:4], v1 offset:976
	s_waitcnt lgkmcnt(1)
	v_fma_f64 v[132:133], v[134:135], v[136:137], v[132:133]
	s_waitcnt vmcnt(1)
	s_delay_alu instid0(VALU_DEP_1) | instskip(SKIP_1) | instid1(VALU_DEP_1)
	v_fma_f64 v[132:133], v[144:145], v[138:139], v[132:133]
	s_waitcnt lgkmcnt(0)
	v_fma_f64 v[1:2], v[146:147], v[1:2], v[132:133]
	s_waitcnt vmcnt(0)
	s_delay_alu instid0(VALU_DEP_1) | instskip(NEXT) | instid1(VALU_DEP_1)
	v_fma_f64 v[1:2], v[156:157], v[3:4], v[1:2]
	v_add_f64 v[1:2], v[130:131], -v[1:2]
	scratch_store_b64 off, v[1:2], off offset:200
	v_cmpx_lt_u32_e32 24, v0
	s_cbranch_execz .LBB125_333
; %bb.332:
	scratch_load_b64 v[1:2], off, off offset:192
	v_mov_b32_e32 v3, 0
	s_delay_alu instid0(VALU_DEP_1)
	v_mov_b32_e32 v4, v3
	scratch_store_b64 off, v[3:4], off offset:192
	s_waitcnt vmcnt(0)
	ds_store_b64 v5, v[1:2]
.LBB125_333:
	s_or_b32 exec_lo, exec_lo, s0
	s_waitcnt lgkmcnt(0)
	s_waitcnt_vscnt null, 0x0
	s_barrier
	buffer_gl0_inv
	s_clause 0x4
	scratch_load_b128 v[130:133], off, off offset:192
	scratch_load_b128 v[134:137], off, off offset:208
	;; [unrolled: 1-line block ×5, first 2 shown]
	v_mov_b32_e32 v1, 0
	ds_load_2addr_b64 v[150:153], v1 offset0:87 offset1:88
	ds_load_2addr_b64 v[154:157], v1 offset0:89 offset1:90
	scratch_load_b128 v[158:161], off, off offset:272
	s_mov_b32 s0, exec_lo
	s_waitcnt vmcnt(5) lgkmcnt(1)
	v_fma_f64 v[2:3], v[132:133], v[150:151], 0
	s_waitcnt vmcnt(4)
	s_delay_alu instid0(VALU_DEP_1) | instskip(SKIP_4) | instid1(VALU_DEP_1)
	v_fma_f64 v[2:3], v[134:135], v[152:153], v[2:3]
	scratch_load_b128 v[132:135], off, off offset:288
	s_waitcnt lgkmcnt(0)
	v_fma_f64 v[2:3], v[136:137], v[154:155], v[2:3]
	s_waitcnt vmcnt(4)
	v_fma_f64 v[2:3], v[138:139], v[156:157], v[2:3]
	ds_load_2addr_b64 v[136:139], v1 offset0:91 offset1:92
	ds_load_2addr_b64 v[150:153], v1 offset0:93 offset1:94
	scratch_load_b128 v[154:157], off, off offset:304
	s_waitcnt lgkmcnt(1)
	v_fma_f64 v[2:3], v[140:141], v[136:137], v[2:3]
	s_waitcnt vmcnt(4)
	s_delay_alu instid0(VALU_DEP_1) | instskip(SKIP_4) | instid1(VALU_DEP_1)
	v_fma_f64 v[2:3], v[142:143], v[138:139], v[2:3]
	scratch_load_b128 v[136:139], off, off offset:320
	s_waitcnt lgkmcnt(0)
	v_fma_f64 v[2:3], v[144:145], v[150:151], v[2:3]
	s_waitcnt vmcnt(4)
	v_fma_f64 v[2:3], v[146:147], v[152:153], v[2:3]
	ds_load_2addr_b64 v[140:143], v1 offset0:95 offset1:96
	ds_load_2addr_b64 v[144:147], v1 offset0:97 offset1:98
	s_waitcnt lgkmcnt(1)
	v_fma_f64 v[2:3], v[148:149], v[140:141], v[2:3]
	scratch_load_b128 v[148:151], off, off offset:336
	s_waitcnt vmcnt(4)
	v_fma_f64 v[2:3], v[158:159], v[142:143], v[2:3]
	scratch_load_b128 v[140:143], off, off offset:352
	s_waitcnt lgkmcnt(0)
	v_fma_f64 v[2:3], v[160:161], v[144:145], v[2:3]
	s_waitcnt vmcnt(4)
	s_delay_alu instid0(VALU_DEP_1)
	v_fma_f64 v[2:3], v[132:133], v[146:147], v[2:3]
	ds_load_2addr_b64 v[144:147], v1 offset0:99 offset1:100
	ds_load_2addr_b64 v[158:161], v1 offset0:101 offset1:102
	s_waitcnt lgkmcnt(1)
	v_fma_f64 v[2:3], v[134:135], v[144:145], v[2:3]
	scratch_load_b128 v[132:135], off, off offset:368
	s_waitcnt vmcnt(4)
	v_fma_f64 v[2:3], v[154:155], v[146:147], v[2:3]
	scratch_load_b128 v[144:147], off, off offset:384
	s_waitcnt lgkmcnt(0)
	v_fma_f64 v[2:3], v[156:157], v[158:159], v[2:3]
	ds_load_2addr_b64 v[152:155], v1 offset0:103 offset1:104
	ds_load_2addr_b64 v[156:159], v1 offset0:105 offset1:106
	s_waitcnt vmcnt(4)
	v_fma_f64 v[2:3], v[136:137], v[160:161], v[2:3]
	s_waitcnt lgkmcnt(1)
	s_delay_alu instid0(VALU_DEP_1) | instskip(SKIP_4) | instid1(VALU_DEP_1)
	v_fma_f64 v[2:3], v[138:139], v[152:153], v[2:3]
	scratch_load_b128 v[136:139], off, off offset:400
	s_waitcnt vmcnt(4)
	v_fma_f64 v[2:3], v[148:149], v[154:155], v[2:3]
	s_waitcnt lgkmcnt(0)
	v_fma_f64 v[2:3], v[150:151], v[156:157], v[2:3]
	scratch_load_b128 v[148:151], off, off offset:416
	s_waitcnt vmcnt(4)
	v_fma_f64 v[2:3], v[140:141], v[158:159], v[2:3]
	ds_load_2addr_b64 v[152:155], v1 offset0:107 offset1:108
	ds_load_2addr_b64 v[156:159], v1 offset0:109 offset1:110
	s_waitcnt lgkmcnt(1)
	v_fma_f64 v[2:3], v[142:143], v[152:153], v[2:3]
	scratch_load_b128 v[140:143], off, off offset:432
	s_waitcnt vmcnt(4)
	v_fma_f64 v[2:3], v[132:133], v[154:155], v[2:3]
	s_waitcnt lgkmcnt(0)
	s_delay_alu instid0(VALU_DEP_1)
	v_fma_f64 v[2:3], v[134:135], v[156:157], v[2:3]
	scratch_load_b128 v[132:135], off, off offset:448
	s_waitcnt vmcnt(4)
	v_fma_f64 v[2:3], v[144:145], v[158:159], v[2:3]
	ds_load_2addr_b64 v[152:155], v1 offset0:111 offset1:112
	ds_load_2addr_b64 v[156:159], v1 offset0:113 offset1:114
	s_waitcnt lgkmcnt(1)
	v_fma_f64 v[2:3], v[146:147], v[152:153], v[2:3]
	scratch_load_b128 v[144:147], off, off offset:464
	s_waitcnt vmcnt(4)
	v_fma_f64 v[2:3], v[136:137], v[154:155], v[2:3]
	s_waitcnt lgkmcnt(0)
	s_delay_alu instid0(VALU_DEP_1)
	v_fma_f64 v[2:3], v[138:139], v[156:157], v[2:3]
	scratch_load_b128 v[136:139], off, off offset:480
	s_waitcnt vmcnt(4)
	v_fma_f64 v[2:3], v[148:149], v[158:159], v[2:3]
	ds_load_2addr_b64 v[152:155], v1 offset0:115 offset1:116
	ds_load_2addr_b64 v[156:159], v1 offset0:117 offset1:118
	s_waitcnt lgkmcnt(1)
	v_fma_f64 v[2:3], v[150:151], v[152:153], v[2:3]
	s_waitcnt vmcnt(3)
	s_delay_alu instid0(VALU_DEP_1) | instskip(SKIP_1) | instid1(VALU_DEP_1)
	v_fma_f64 v[2:3], v[140:141], v[154:155], v[2:3]
	s_waitcnt lgkmcnt(0)
	v_fma_f64 v[2:3], v[142:143], v[156:157], v[2:3]
	ds_load_2addr_b64 v[140:143], v1 offset0:119 offset1:120
	ds_load_2addr_b64 v[148:151], v1 offset0:121 offset1:122
	s_waitcnt vmcnt(2)
	v_fma_f64 v[2:3], v[132:133], v[158:159], v[2:3]
	ds_load_b64 v[132:133], v1 offset:984
	s_waitcnt lgkmcnt(2)
	v_fma_f64 v[2:3], v[134:135], v[140:141], v[2:3]
	s_waitcnt vmcnt(1)
	s_delay_alu instid0(VALU_DEP_1) | instskip(SKIP_1) | instid1(VALU_DEP_1)
	v_fma_f64 v[2:3], v[144:145], v[142:143], v[2:3]
	s_waitcnt lgkmcnt(1)
	v_fma_f64 v[2:3], v[146:147], v[148:149], v[2:3]
	s_waitcnt vmcnt(0)
	s_delay_alu instid0(VALU_DEP_1) | instskip(SKIP_1) | instid1(VALU_DEP_1)
	v_fma_f64 v[2:3], v[136:137], v[150:151], v[2:3]
	s_waitcnt lgkmcnt(0)
	v_fma_f64 v[2:3], v[138:139], v[132:133], v[2:3]
	s_delay_alu instid0(VALU_DEP_1)
	v_add_f64 v[2:3], v[130:131], -v[2:3]
	scratch_store_b64 off, v[2:3], off offset:192
	v_cmpx_lt_u32_e32 23, v0
	s_cbranch_execz .LBB125_335
; %bb.334:
	scratch_load_b64 v[3:4], off, off offset:184
	v_mov_b32_e32 v2, v1
	scratch_store_b64 off, v[1:2], off offset:184
	s_waitcnt vmcnt(0)
	ds_store_b64 v5, v[3:4]
.LBB125_335:
	s_or_b32 exec_lo, exec_lo, s0
	s_waitcnt lgkmcnt(0)
	s_waitcnt_vscnt null, 0x0
	s_barrier
	buffer_gl0_inv
	s_clause 0x4
	scratch_load_b128 v[130:133], off, off offset:184
	scratch_load_b128 v[134:137], off, off offset:200
	;; [unrolled: 1-line block ×5, first 2 shown]
	ds_load_b128 v[150:153], v1 offset:688
	ds_load_b128 v[154:157], v1 offset:704
	scratch_load_b128 v[158:161], off, off offset:264
	s_mov_b32 s0, exec_lo
	s_waitcnt vmcnt(5) lgkmcnt(1)
	v_fma_f64 v[2:3], v[132:133], v[150:151], 0
	s_waitcnt vmcnt(4)
	s_delay_alu instid0(VALU_DEP_1) | instskip(SKIP_4) | instid1(VALU_DEP_1)
	v_fma_f64 v[2:3], v[134:135], v[152:153], v[2:3]
	scratch_load_b128 v[132:135], off, off offset:280
	s_waitcnt lgkmcnt(0)
	v_fma_f64 v[2:3], v[136:137], v[154:155], v[2:3]
	s_waitcnt vmcnt(4)
	v_fma_f64 v[2:3], v[138:139], v[156:157], v[2:3]
	ds_load_b128 v[136:139], v1 offset:720
	ds_load_b128 v[150:153], v1 offset:736
	scratch_load_b128 v[154:157], off, off offset:296
	s_waitcnt lgkmcnt(1)
	v_fma_f64 v[2:3], v[140:141], v[136:137], v[2:3]
	s_waitcnt vmcnt(4)
	s_delay_alu instid0(VALU_DEP_1) | instskip(SKIP_4) | instid1(VALU_DEP_1)
	v_fma_f64 v[2:3], v[142:143], v[138:139], v[2:3]
	scratch_load_b128 v[136:139], off, off offset:312
	s_waitcnt lgkmcnt(0)
	v_fma_f64 v[2:3], v[144:145], v[150:151], v[2:3]
	s_waitcnt vmcnt(4)
	v_fma_f64 v[2:3], v[146:147], v[152:153], v[2:3]
	ds_load_b128 v[140:143], v1 offset:752
	ds_load_b128 v[144:147], v1 offset:768
	s_waitcnt lgkmcnt(1)
	v_fma_f64 v[2:3], v[148:149], v[140:141], v[2:3]
	scratch_load_b128 v[148:151], off, off offset:328
	s_waitcnt vmcnt(4)
	v_fma_f64 v[2:3], v[158:159], v[142:143], v[2:3]
	scratch_load_b128 v[140:143], off, off offset:344
	s_waitcnt lgkmcnt(0)
	v_fma_f64 v[2:3], v[160:161], v[144:145], v[2:3]
	s_waitcnt vmcnt(4)
	s_delay_alu instid0(VALU_DEP_1)
	v_fma_f64 v[2:3], v[132:133], v[146:147], v[2:3]
	ds_load_b128 v[144:147], v1 offset:784
	ds_load_b128 v[158:161], v1 offset:800
	s_waitcnt lgkmcnt(1)
	v_fma_f64 v[2:3], v[134:135], v[144:145], v[2:3]
	scratch_load_b128 v[132:135], off, off offset:360
	s_waitcnt vmcnt(4)
	v_fma_f64 v[2:3], v[154:155], v[146:147], v[2:3]
	scratch_load_b128 v[144:147], off, off offset:376
	s_waitcnt lgkmcnt(0)
	v_fma_f64 v[2:3], v[156:157], v[158:159], v[2:3]
	ds_load_b128 v[152:155], v1 offset:816
	ds_load_b128 v[156:159], v1 offset:832
	s_waitcnt vmcnt(4)
	v_fma_f64 v[2:3], v[136:137], v[160:161], v[2:3]
	s_waitcnt lgkmcnt(1)
	s_delay_alu instid0(VALU_DEP_1) | instskip(SKIP_4) | instid1(VALU_DEP_1)
	v_fma_f64 v[2:3], v[138:139], v[152:153], v[2:3]
	scratch_load_b128 v[136:139], off, off offset:392
	s_waitcnt vmcnt(4)
	v_fma_f64 v[2:3], v[148:149], v[154:155], v[2:3]
	s_waitcnt lgkmcnt(0)
	v_fma_f64 v[2:3], v[150:151], v[156:157], v[2:3]
	scratch_load_b128 v[148:151], off, off offset:408
	s_waitcnt vmcnt(4)
	v_fma_f64 v[2:3], v[140:141], v[158:159], v[2:3]
	ds_load_b128 v[152:155], v1 offset:848
	ds_load_b128 v[156:159], v1 offset:864
	s_waitcnt lgkmcnt(1)
	v_fma_f64 v[2:3], v[142:143], v[152:153], v[2:3]
	scratch_load_b128 v[140:143], off, off offset:424
	s_waitcnt vmcnt(4)
	v_fma_f64 v[2:3], v[132:133], v[154:155], v[2:3]
	s_waitcnt lgkmcnt(0)
	s_delay_alu instid0(VALU_DEP_1)
	v_fma_f64 v[2:3], v[134:135], v[156:157], v[2:3]
	scratch_load_b128 v[132:135], off, off offset:440
	s_waitcnt vmcnt(4)
	v_fma_f64 v[2:3], v[144:145], v[158:159], v[2:3]
	ds_load_b128 v[152:155], v1 offset:880
	ds_load_b128 v[156:159], v1 offset:896
	s_waitcnt lgkmcnt(1)
	v_fma_f64 v[2:3], v[146:147], v[152:153], v[2:3]
	scratch_load_b128 v[144:147], off, off offset:456
	s_waitcnt vmcnt(4)
	v_fma_f64 v[2:3], v[136:137], v[154:155], v[2:3]
	s_waitcnt lgkmcnt(0)
	s_delay_alu instid0(VALU_DEP_1)
	v_fma_f64 v[2:3], v[138:139], v[156:157], v[2:3]
	scratch_load_b128 v[136:139], off, off offset:472
	s_waitcnt vmcnt(4)
	v_fma_f64 v[2:3], v[148:149], v[158:159], v[2:3]
	ds_load_b128 v[152:155], v1 offset:912
	ds_load_b128 v[156:159], v1 offset:928
	s_waitcnt lgkmcnt(1)
	v_fma_f64 v[2:3], v[150:151], v[152:153], v[2:3]
	scratch_load_b64 v[152:153], off, off offset:488
	s_waitcnt vmcnt(4)
	v_fma_f64 v[2:3], v[140:141], v[154:155], v[2:3]
	s_waitcnt lgkmcnt(0)
	s_delay_alu instid0(VALU_DEP_1)
	v_fma_f64 v[2:3], v[142:143], v[156:157], v[2:3]
	ds_load_b128 v[140:143], v1 offset:944
	ds_load_b128 v[148:151], v1 offset:960
	s_waitcnt vmcnt(3)
	v_fma_f64 v[2:3], v[132:133], v[158:159], v[2:3]
	s_waitcnt lgkmcnt(1)
	s_delay_alu instid0(VALU_DEP_1) | instskip(SKIP_1) | instid1(VALU_DEP_1)
	v_fma_f64 v[2:3], v[134:135], v[140:141], v[2:3]
	s_waitcnt vmcnt(2)
	v_fma_f64 v[2:3], v[144:145], v[142:143], v[2:3]
	s_waitcnt lgkmcnt(0)
	s_delay_alu instid0(VALU_DEP_1) | instskip(SKIP_1) | instid1(VALU_DEP_1)
	v_fma_f64 v[2:3], v[146:147], v[148:149], v[2:3]
	s_waitcnt vmcnt(1)
	v_fma_f64 v[132:133], v[136:137], v[150:151], v[2:3]
	ds_load_b128 v[1:4], v1 offset:976
	s_waitcnt lgkmcnt(0)
	v_fma_f64 v[1:2], v[138:139], v[1:2], v[132:133]
	s_waitcnt vmcnt(0)
	s_delay_alu instid0(VALU_DEP_1) | instskip(NEXT) | instid1(VALU_DEP_1)
	v_fma_f64 v[1:2], v[152:153], v[3:4], v[1:2]
	v_add_f64 v[1:2], v[130:131], -v[1:2]
	scratch_store_b64 off, v[1:2], off offset:184
	v_cmpx_lt_u32_e32 22, v0
	s_cbranch_execz .LBB125_337
; %bb.336:
	scratch_load_b64 v[1:2], off, off offset:176
	v_mov_b32_e32 v3, 0
	s_delay_alu instid0(VALU_DEP_1)
	v_mov_b32_e32 v4, v3
	scratch_store_b64 off, v[3:4], off offset:176
	s_waitcnt vmcnt(0)
	ds_store_b64 v5, v[1:2]
.LBB125_337:
	s_or_b32 exec_lo, exec_lo, s0
	s_waitcnt lgkmcnt(0)
	s_waitcnt_vscnt null, 0x0
	s_barrier
	buffer_gl0_inv
	s_clause 0x4
	scratch_load_b128 v[130:133], off, off offset:176
	scratch_load_b128 v[134:137], off, off offset:192
	scratch_load_b128 v[138:141], off, off offset:208
	scratch_load_b128 v[142:145], off, off offset:224
	scratch_load_b128 v[146:149], off, off offset:240
	v_mov_b32_e32 v1, 0
	ds_load_2addr_b64 v[150:153], v1 offset0:85 offset1:86
	ds_load_2addr_b64 v[154:157], v1 offset0:87 offset1:88
	scratch_load_b128 v[158:161], off, off offset:256
	s_mov_b32 s0, exec_lo
	s_waitcnt vmcnt(5) lgkmcnt(1)
	v_fma_f64 v[2:3], v[132:133], v[150:151], 0
	s_waitcnt vmcnt(4)
	s_delay_alu instid0(VALU_DEP_1) | instskip(SKIP_4) | instid1(VALU_DEP_1)
	v_fma_f64 v[2:3], v[134:135], v[152:153], v[2:3]
	scratch_load_b128 v[132:135], off, off offset:272
	s_waitcnt lgkmcnt(0)
	v_fma_f64 v[2:3], v[136:137], v[154:155], v[2:3]
	s_waitcnt vmcnt(4)
	v_fma_f64 v[2:3], v[138:139], v[156:157], v[2:3]
	ds_load_2addr_b64 v[136:139], v1 offset0:89 offset1:90
	ds_load_2addr_b64 v[150:153], v1 offset0:91 offset1:92
	scratch_load_b128 v[154:157], off, off offset:288
	s_waitcnt lgkmcnt(1)
	v_fma_f64 v[2:3], v[140:141], v[136:137], v[2:3]
	s_waitcnt vmcnt(4)
	s_delay_alu instid0(VALU_DEP_1) | instskip(SKIP_4) | instid1(VALU_DEP_1)
	v_fma_f64 v[2:3], v[142:143], v[138:139], v[2:3]
	scratch_load_b128 v[136:139], off, off offset:304
	s_waitcnt lgkmcnt(0)
	v_fma_f64 v[2:3], v[144:145], v[150:151], v[2:3]
	s_waitcnt vmcnt(4)
	v_fma_f64 v[2:3], v[146:147], v[152:153], v[2:3]
	ds_load_2addr_b64 v[140:143], v1 offset0:93 offset1:94
	ds_load_2addr_b64 v[144:147], v1 offset0:95 offset1:96
	s_waitcnt lgkmcnt(1)
	v_fma_f64 v[2:3], v[148:149], v[140:141], v[2:3]
	scratch_load_b128 v[148:151], off, off offset:320
	s_waitcnt vmcnt(4)
	v_fma_f64 v[2:3], v[158:159], v[142:143], v[2:3]
	scratch_load_b128 v[140:143], off, off offset:336
	s_waitcnt lgkmcnt(0)
	v_fma_f64 v[2:3], v[160:161], v[144:145], v[2:3]
	s_waitcnt vmcnt(4)
	s_delay_alu instid0(VALU_DEP_1)
	v_fma_f64 v[2:3], v[132:133], v[146:147], v[2:3]
	ds_load_2addr_b64 v[144:147], v1 offset0:97 offset1:98
	ds_load_2addr_b64 v[158:161], v1 offset0:99 offset1:100
	s_waitcnt lgkmcnt(1)
	v_fma_f64 v[2:3], v[134:135], v[144:145], v[2:3]
	scratch_load_b128 v[132:135], off, off offset:352
	s_waitcnt vmcnt(4)
	v_fma_f64 v[2:3], v[154:155], v[146:147], v[2:3]
	scratch_load_b128 v[144:147], off, off offset:368
	s_waitcnt lgkmcnt(0)
	v_fma_f64 v[2:3], v[156:157], v[158:159], v[2:3]
	ds_load_2addr_b64 v[152:155], v1 offset0:101 offset1:102
	ds_load_2addr_b64 v[156:159], v1 offset0:103 offset1:104
	s_waitcnt vmcnt(4)
	v_fma_f64 v[2:3], v[136:137], v[160:161], v[2:3]
	s_waitcnt lgkmcnt(1)
	s_delay_alu instid0(VALU_DEP_1) | instskip(SKIP_4) | instid1(VALU_DEP_1)
	v_fma_f64 v[2:3], v[138:139], v[152:153], v[2:3]
	scratch_load_b128 v[136:139], off, off offset:384
	s_waitcnt vmcnt(4)
	v_fma_f64 v[2:3], v[148:149], v[154:155], v[2:3]
	s_waitcnt lgkmcnt(0)
	v_fma_f64 v[2:3], v[150:151], v[156:157], v[2:3]
	scratch_load_b128 v[148:151], off, off offset:400
	s_waitcnt vmcnt(4)
	v_fma_f64 v[2:3], v[140:141], v[158:159], v[2:3]
	ds_load_2addr_b64 v[152:155], v1 offset0:105 offset1:106
	ds_load_2addr_b64 v[156:159], v1 offset0:107 offset1:108
	s_waitcnt lgkmcnt(1)
	v_fma_f64 v[2:3], v[142:143], v[152:153], v[2:3]
	scratch_load_b128 v[140:143], off, off offset:416
	s_waitcnt vmcnt(4)
	v_fma_f64 v[2:3], v[132:133], v[154:155], v[2:3]
	s_waitcnt lgkmcnt(0)
	s_delay_alu instid0(VALU_DEP_1)
	v_fma_f64 v[2:3], v[134:135], v[156:157], v[2:3]
	scratch_load_b128 v[132:135], off, off offset:432
	s_waitcnt vmcnt(4)
	v_fma_f64 v[2:3], v[144:145], v[158:159], v[2:3]
	ds_load_2addr_b64 v[152:155], v1 offset0:109 offset1:110
	ds_load_2addr_b64 v[156:159], v1 offset0:111 offset1:112
	s_waitcnt lgkmcnt(1)
	v_fma_f64 v[2:3], v[146:147], v[152:153], v[2:3]
	scratch_load_b128 v[144:147], off, off offset:448
	s_waitcnt vmcnt(4)
	v_fma_f64 v[2:3], v[136:137], v[154:155], v[2:3]
	s_waitcnt lgkmcnt(0)
	s_delay_alu instid0(VALU_DEP_1)
	;; [unrolled: 13-line block ×3, first 2 shown]
	v_fma_f64 v[2:3], v[142:143], v[156:157], v[2:3]
	ds_load_2addr_b64 v[140:143], v1 offset0:117 offset1:118
	ds_load_2addr_b64 v[152:155], v1 offset0:119 offset1:120
	s_waitcnt vmcnt(3)
	v_fma_f64 v[2:3], v[132:133], v[158:159], v[2:3]
	s_waitcnt lgkmcnt(1)
	s_delay_alu instid0(VALU_DEP_1) | instskip(SKIP_1) | instid1(VALU_DEP_1)
	v_fma_f64 v[2:3], v[134:135], v[140:141], v[2:3]
	s_waitcnt vmcnt(2)
	v_fma_f64 v[2:3], v[144:145], v[142:143], v[2:3]
	s_waitcnt lgkmcnt(0)
	s_delay_alu instid0(VALU_DEP_1) | instskip(SKIP_1) | instid1(VALU_DEP_1)
	v_fma_f64 v[2:3], v[146:147], v[152:153], v[2:3]
	s_waitcnt vmcnt(1)
	v_fma_f64 v[2:3], v[136:137], v[154:155], v[2:3]
	ds_load_2addr_b64 v[132:135], v1 offset0:121 offset1:122
	ds_load_b64 v[136:137], v1 offset:984
	s_waitcnt lgkmcnt(1)
	v_fma_f64 v[2:3], v[138:139], v[132:133], v[2:3]
	s_waitcnt vmcnt(0)
	s_delay_alu instid0(VALU_DEP_1) | instskip(SKIP_1) | instid1(VALU_DEP_1)
	v_fma_f64 v[2:3], v[148:149], v[134:135], v[2:3]
	s_waitcnt lgkmcnt(0)
	v_fma_f64 v[2:3], v[150:151], v[136:137], v[2:3]
	s_delay_alu instid0(VALU_DEP_1)
	v_add_f64 v[2:3], v[130:131], -v[2:3]
	scratch_store_b64 off, v[2:3], off offset:176
	v_cmpx_lt_u32_e32 21, v0
	s_cbranch_execz .LBB125_339
; %bb.338:
	scratch_load_b64 v[3:4], off, off offset:168
	v_mov_b32_e32 v2, v1
	scratch_store_b64 off, v[1:2], off offset:168
	s_waitcnt vmcnt(0)
	ds_store_b64 v5, v[3:4]
.LBB125_339:
	s_or_b32 exec_lo, exec_lo, s0
	s_waitcnt lgkmcnt(0)
	s_waitcnt_vscnt null, 0x0
	s_barrier
	buffer_gl0_inv
	s_clause 0x4
	scratch_load_b128 v[130:133], off, off offset:168
	scratch_load_b128 v[134:137], off, off offset:184
	;; [unrolled: 1-line block ×5, first 2 shown]
	ds_load_b128 v[150:153], v1 offset:672
	ds_load_b128 v[154:157], v1 offset:688
	scratch_load_b128 v[158:161], off, off offset:248
	s_mov_b32 s0, exec_lo
	s_waitcnt vmcnt(5) lgkmcnt(1)
	v_fma_f64 v[2:3], v[132:133], v[150:151], 0
	s_waitcnt vmcnt(4)
	s_delay_alu instid0(VALU_DEP_1) | instskip(SKIP_4) | instid1(VALU_DEP_1)
	v_fma_f64 v[2:3], v[134:135], v[152:153], v[2:3]
	scratch_load_b128 v[132:135], off, off offset:264
	s_waitcnt lgkmcnt(0)
	v_fma_f64 v[2:3], v[136:137], v[154:155], v[2:3]
	s_waitcnt vmcnt(4)
	v_fma_f64 v[2:3], v[138:139], v[156:157], v[2:3]
	ds_load_b128 v[136:139], v1 offset:704
	ds_load_b128 v[150:153], v1 offset:720
	scratch_load_b128 v[154:157], off, off offset:280
	s_waitcnt lgkmcnt(1)
	v_fma_f64 v[2:3], v[140:141], v[136:137], v[2:3]
	s_waitcnt vmcnt(4)
	s_delay_alu instid0(VALU_DEP_1) | instskip(SKIP_4) | instid1(VALU_DEP_1)
	v_fma_f64 v[2:3], v[142:143], v[138:139], v[2:3]
	scratch_load_b128 v[136:139], off, off offset:296
	s_waitcnt lgkmcnt(0)
	v_fma_f64 v[2:3], v[144:145], v[150:151], v[2:3]
	s_waitcnt vmcnt(4)
	v_fma_f64 v[2:3], v[146:147], v[152:153], v[2:3]
	ds_load_b128 v[140:143], v1 offset:736
	ds_load_b128 v[144:147], v1 offset:752
	s_waitcnt lgkmcnt(1)
	v_fma_f64 v[2:3], v[148:149], v[140:141], v[2:3]
	scratch_load_b128 v[148:151], off, off offset:312
	s_waitcnt vmcnt(4)
	v_fma_f64 v[2:3], v[158:159], v[142:143], v[2:3]
	scratch_load_b128 v[140:143], off, off offset:328
	s_waitcnt lgkmcnt(0)
	v_fma_f64 v[2:3], v[160:161], v[144:145], v[2:3]
	s_waitcnt vmcnt(4)
	s_delay_alu instid0(VALU_DEP_1)
	v_fma_f64 v[2:3], v[132:133], v[146:147], v[2:3]
	ds_load_b128 v[144:147], v1 offset:768
	ds_load_b128 v[158:161], v1 offset:784
	s_waitcnt lgkmcnt(1)
	v_fma_f64 v[2:3], v[134:135], v[144:145], v[2:3]
	scratch_load_b128 v[132:135], off, off offset:344
	s_waitcnt vmcnt(4)
	v_fma_f64 v[2:3], v[154:155], v[146:147], v[2:3]
	scratch_load_b128 v[144:147], off, off offset:360
	s_waitcnt lgkmcnt(0)
	v_fma_f64 v[2:3], v[156:157], v[158:159], v[2:3]
	ds_load_b128 v[152:155], v1 offset:800
	ds_load_b128 v[156:159], v1 offset:816
	s_waitcnt vmcnt(4)
	v_fma_f64 v[2:3], v[136:137], v[160:161], v[2:3]
	s_waitcnt lgkmcnt(1)
	s_delay_alu instid0(VALU_DEP_1) | instskip(SKIP_4) | instid1(VALU_DEP_1)
	v_fma_f64 v[2:3], v[138:139], v[152:153], v[2:3]
	scratch_load_b128 v[136:139], off, off offset:376
	s_waitcnt vmcnt(4)
	v_fma_f64 v[2:3], v[148:149], v[154:155], v[2:3]
	s_waitcnt lgkmcnt(0)
	v_fma_f64 v[2:3], v[150:151], v[156:157], v[2:3]
	scratch_load_b128 v[148:151], off, off offset:392
	s_waitcnt vmcnt(4)
	v_fma_f64 v[2:3], v[140:141], v[158:159], v[2:3]
	ds_load_b128 v[152:155], v1 offset:832
	ds_load_b128 v[156:159], v1 offset:848
	s_waitcnt lgkmcnt(1)
	v_fma_f64 v[2:3], v[142:143], v[152:153], v[2:3]
	scratch_load_b128 v[140:143], off, off offset:408
	s_waitcnt vmcnt(4)
	v_fma_f64 v[2:3], v[132:133], v[154:155], v[2:3]
	s_waitcnt lgkmcnt(0)
	s_delay_alu instid0(VALU_DEP_1)
	v_fma_f64 v[2:3], v[134:135], v[156:157], v[2:3]
	scratch_load_b128 v[132:135], off, off offset:424
	s_waitcnt vmcnt(4)
	v_fma_f64 v[2:3], v[144:145], v[158:159], v[2:3]
	ds_load_b128 v[152:155], v1 offset:864
	ds_load_b128 v[156:159], v1 offset:880
	s_waitcnt lgkmcnt(1)
	v_fma_f64 v[2:3], v[146:147], v[152:153], v[2:3]
	scratch_load_b128 v[144:147], off, off offset:440
	s_waitcnt vmcnt(4)
	v_fma_f64 v[2:3], v[136:137], v[154:155], v[2:3]
	s_waitcnt lgkmcnt(0)
	s_delay_alu instid0(VALU_DEP_1)
	;; [unrolled: 13-line block ×3, first 2 shown]
	v_fma_f64 v[2:3], v[142:143], v[156:157], v[2:3]
	scratch_load_b64 v[156:157], off, off offset:488
	ds_load_b128 v[140:143], v1 offset:928
	ds_load_b128 v[152:155], v1 offset:944
	s_waitcnt vmcnt(4)
	v_fma_f64 v[2:3], v[132:133], v[158:159], v[2:3]
	s_waitcnt lgkmcnt(1)
	s_delay_alu instid0(VALU_DEP_1) | instskip(SKIP_1) | instid1(VALU_DEP_1)
	v_fma_f64 v[2:3], v[134:135], v[140:141], v[2:3]
	s_waitcnt vmcnt(3)
	v_fma_f64 v[2:3], v[144:145], v[142:143], v[2:3]
	s_waitcnt lgkmcnt(0)
	s_delay_alu instid0(VALU_DEP_1) | instskip(SKIP_1) | instid1(VALU_DEP_1)
	v_fma_f64 v[2:3], v[146:147], v[152:153], v[2:3]
	s_waitcnt vmcnt(2)
	v_fma_f64 v[136:137], v[136:137], v[154:155], v[2:3]
	ds_load_b128 v[132:135], v1 offset:960
	ds_load_b128 v[1:4], v1 offset:976
	s_waitcnt lgkmcnt(1)
	v_fma_f64 v[132:133], v[138:139], v[132:133], v[136:137]
	s_waitcnt vmcnt(1)
	s_delay_alu instid0(VALU_DEP_1) | instskip(SKIP_1) | instid1(VALU_DEP_1)
	v_fma_f64 v[132:133], v[148:149], v[134:135], v[132:133]
	s_waitcnt lgkmcnt(0)
	v_fma_f64 v[1:2], v[150:151], v[1:2], v[132:133]
	s_waitcnt vmcnt(0)
	s_delay_alu instid0(VALU_DEP_1) | instskip(NEXT) | instid1(VALU_DEP_1)
	v_fma_f64 v[1:2], v[156:157], v[3:4], v[1:2]
	v_add_f64 v[1:2], v[130:131], -v[1:2]
	scratch_store_b64 off, v[1:2], off offset:168
	v_cmpx_lt_u32_e32 20, v0
	s_cbranch_execz .LBB125_341
; %bb.340:
	scratch_load_b64 v[1:2], off, off offset:160
	v_mov_b32_e32 v3, 0
	s_delay_alu instid0(VALU_DEP_1)
	v_mov_b32_e32 v4, v3
	scratch_store_b64 off, v[3:4], off offset:160
	s_waitcnt vmcnt(0)
	ds_store_b64 v5, v[1:2]
.LBB125_341:
	s_or_b32 exec_lo, exec_lo, s0
	s_waitcnt lgkmcnt(0)
	s_waitcnt_vscnt null, 0x0
	s_barrier
	buffer_gl0_inv
	s_clause 0x4
	scratch_load_b128 v[130:133], off, off offset:160
	scratch_load_b128 v[134:137], off, off offset:176
	scratch_load_b128 v[138:141], off, off offset:192
	scratch_load_b128 v[142:145], off, off offset:208
	scratch_load_b128 v[146:149], off, off offset:224
	v_mov_b32_e32 v1, 0
	ds_load_2addr_b64 v[150:153], v1 offset0:83 offset1:84
	ds_load_2addr_b64 v[154:157], v1 offset0:85 offset1:86
	scratch_load_b128 v[158:161], off, off offset:240
	s_mov_b32 s0, exec_lo
	s_waitcnt vmcnt(5) lgkmcnt(1)
	v_fma_f64 v[2:3], v[132:133], v[150:151], 0
	s_waitcnt vmcnt(4)
	s_delay_alu instid0(VALU_DEP_1) | instskip(SKIP_4) | instid1(VALU_DEP_1)
	v_fma_f64 v[2:3], v[134:135], v[152:153], v[2:3]
	scratch_load_b128 v[132:135], off, off offset:256
	s_waitcnt lgkmcnt(0)
	v_fma_f64 v[2:3], v[136:137], v[154:155], v[2:3]
	s_waitcnt vmcnt(4)
	v_fma_f64 v[2:3], v[138:139], v[156:157], v[2:3]
	ds_load_2addr_b64 v[136:139], v1 offset0:87 offset1:88
	ds_load_2addr_b64 v[150:153], v1 offset0:89 offset1:90
	scratch_load_b128 v[154:157], off, off offset:272
	s_waitcnt lgkmcnt(1)
	v_fma_f64 v[2:3], v[140:141], v[136:137], v[2:3]
	s_waitcnt vmcnt(4)
	s_delay_alu instid0(VALU_DEP_1) | instskip(SKIP_4) | instid1(VALU_DEP_1)
	v_fma_f64 v[2:3], v[142:143], v[138:139], v[2:3]
	scratch_load_b128 v[136:139], off, off offset:288
	s_waitcnt lgkmcnt(0)
	v_fma_f64 v[2:3], v[144:145], v[150:151], v[2:3]
	s_waitcnt vmcnt(4)
	v_fma_f64 v[2:3], v[146:147], v[152:153], v[2:3]
	ds_load_2addr_b64 v[140:143], v1 offset0:91 offset1:92
	ds_load_2addr_b64 v[144:147], v1 offset0:93 offset1:94
	s_waitcnt lgkmcnt(1)
	v_fma_f64 v[2:3], v[148:149], v[140:141], v[2:3]
	scratch_load_b128 v[148:151], off, off offset:304
	s_waitcnt vmcnt(4)
	v_fma_f64 v[2:3], v[158:159], v[142:143], v[2:3]
	scratch_load_b128 v[140:143], off, off offset:320
	s_waitcnt lgkmcnt(0)
	v_fma_f64 v[2:3], v[160:161], v[144:145], v[2:3]
	s_waitcnt vmcnt(4)
	s_delay_alu instid0(VALU_DEP_1)
	v_fma_f64 v[2:3], v[132:133], v[146:147], v[2:3]
	ds_load_2addr_b64 v[144:147], v1 offset0:95 offset1:96
	ds_load_2addr_b64 v[158:161], v1 offset0:97 offset1:98
	s_waitcnt lgkmcnt(1)
	v_fma_f64 v[2:3], v[134:135], v[144:145], v[2:3]
	scratch_load_b128 v[132:135], off, off offset:336
	s_waitcnt vmcnt(4)
	v_fma_f64 v[2:3], v[154:155], v[146:147], v[2:3]
	scratch_load_b128 v[144:147], off, off offset:352
	s_waitcnt lgkmcnt(0)
	v_fma_f64 v[2:3], v[156:157], v[158:159], v[2:3]
	ds_load_2addr_b64 v[152:155], v1 offset0:99 offset1:100
	ds_load_2addr_b64 v[156:159], v1 offset0:101 offset1:102
	s_waitcnt vmcnt(4)
	v_fma_f64 v[2:3], v[136:137], v[160:161], v[2:3]
	s_waitcnt lgkmcnt(1)
	s_delay_alu instid0(VALU_DEP_1) | instskip(SKIP_4) | instid1(VALU_DEP_1)
	v_fma_f64 v[2:3], v[138:139], v[152:153], v[2:3]
	scratch_load_b128 v[136:139], off, off offset:368
	s_waitcnt vmcnt(4)
	v_fma_f64 v[2:3], v[148:149], v[154:155], v[2:3]
	s_waitcnt lgkmcnt(0)
	v_fma_f64 v[2:3], v[150:151], v[156:157], v[2:3]
	scratch_load_b128 v[148:151], off, off offset:384
	s_waitcnt vmcnt(4)
	v_fma_f64 v[2:3], v[140:141], v[158:159], v[2:3]
	ds_load_2addr_b64 v[152:155], v1 offset0:103 offset1:104
	ds_load_2addr_b64 v[156:159], v1 offset0:105 offset1:106
	s_waitcnt lgkmcnt(1)
	v_fma_f64 v[2:3], v[142:143], v[152:153], v[2:3]
	scratch_load_b128 v[140:143], off, off offset:400
	s_waitcnt vmcnt(4)
	v_fma_f64 v[2:3], v[132:133], v[154:155], v[2:3]
	s_waitcnt lgkmcnt(0)
	s_delay_alu instid0(VALU_DEP_1)
	v_fma_f64 v[2:3], v[134:135], v[156:157], v[2:3]
	scratch_load_b128 v[132:135], off, off offset:416
	s_waitcnt vmcnt(4)
	v_fma_f64 v[2:3], v[144:145], v[158:159], v[2:3]
	ds_load_2addr_b64 v[152:155], v1 offset0:107 offset1:108
	ds_load_2addr_b64 v[156:159], v1 offset0:109 offset1:110
	s_waitcnt lgkmcnt(1)
	v_fma_f64 v[2:3], v[146:147], v[152:153], v[2:3]
	scratch_load_b128 v[144:147], off, off offset:432
	s_waitcnt vmcnt(4)
	v_fma_f64 v[2:3], v[136:137], v[154:155], v[2:3]
	s_waitcnt lgkmcnt(0)
	s_delay_alu instid0(VALU_DEP_1)
	;; [unrolled: 13-line block ×3, first 2 shown]
	v_fma_f64 v[2:3], v[142:143], v[156:157], v[2:3]
	scratch_load_b128 v[140:143], off, off offset:480
	s_waitcnt vmcnt(4)
	v_fma_f64 v[2:3], v[132:133], v[158:159], v[2:3]
	ds_load_2addr_b64 v[152:155], v1 offset0:115 offset1:116
	ds_load_2addr_b64 v[156:159], v1 offset0:117 offset1:118
	s_waitcnt lgkmcnt(1)
	v_fma_f64 v[2:3], v[134:135], v[152:153], v[2:3]
	s_waitcnt vmcnt(3)
	s_delay_alu instid0(VALU_DEP_1) | instskip(SKIP_1) | instid1(VALU_DEP_1)
	v_fma_f64 v[2:3], v[144:145], v[154:155], v[2:3]
	s_waitcnt lgkmcnt(0)
	v_fma_f64 v[2:3], v[146:147], v[156:157], v[2:3]
	ds_load_2addr_b64 v[132:135], v1 offset0:119 offset1:120
	ds_load_2addr_b64 v[144:147], v1 offset0:121 offset1:122
	s_waitcnt vmcnt(2)
	v_fma_f64 v[2:3], v[136:137], v[158:159], v[2:3]
	s_waitcnt lgkmcnt(1)
	s_delay_alu instid0(VALU_DEP_1) | instskip(SKIP_4) | instid1(VALU_DEP_1)
	v_fma_f64 v[2:3], v[138:139], v[132:133], v[2:3]
	ds_load_b64 v[132:133], v1 offset:984
	s_waitcnt vmcnt(1)
	v_fma_f64 v[2:3], v[148:149], v[134:135], v[2:3]
	s_waitcnt lgkmcnt(1)
	v_fma_f64 v[2:3], v[150:151], v[144:145], v[2:3]
	s_waitcnt vmcnt(0)
	s_delay_alu instid0(VALU_DEP_1) | instskip(SKIP_1) | instid1(VALU_DEP_1)
	v_fma_f64 v[2:3], v[140:141], v[146:147], v[2:3]
	s_waitcnt lgkmcnt(0)
	v_fma_f64 v[2:3], v[142:143], v[132:133], v[2:3]
	s_delay_alu instid0(VALU_DEP_1)
	v_add_f64 v[2:3], v[130:131], -v[2:3]
	scratch_store_b64 off, v[2:3], off offset:160
	v_cmpx_lt_u32_e32 19, v0
	s_cbranch_execz .LBB125_343
; %bb.342:
	scratch_load_b64 v[3:4], off, off offset:152
	v_mov_b32_e32 v2, v1
	scratch_store_b64 off, v[1:2], off offset:152
	s_waitcnt vmcnt(0)
	ds_store_b64 v5, v[3:4]
.LBB125_343:
	s_or_b32 exec_lo, exec_lo, s0
	s_waitcnt lgkmcnt(0)
	s_waitcnt_vscnt null, 0x0
	s_barrier
	buffer_gl0_inv
	s_clause 0x4
	scratch_load_b128 v[130:133], off, off offset:152
	scratch_load_b128 v[134:137], off, off offset:168
	;; [unrolled: 1-line block ×5, first 2 shown]
	ds_load_b128 v[150:153], v1 offset:656
	ds_load_b128 v[154:157], v1 offset:672
	scratch_load_b128 v[158:161], off, off offset:232
	s_mov_b32 s0, exec_lo
	s_waitcnt vmcnt(5) lgkmcnt(1)
	v_fma_f64 v[2:3], v[132:133], v[150:151], 0
	s_waitcnt vmcnt(4)
	s_delay_alu instid0(VALU_DEP_1) | instskip(SKIP_4) | instid1(VALU_DEP_1)
	v_fma_f64 v[2:3], v[134:135], v[152:153], v[2:3]
	scratch_load_b128 v[132:135], off, off offset:248
	s_waitcnt lgkmcnt(0)
	v_fma_f64 v[2:3], v[136:137], v[154:155], v[2:3]
	s_waitcnt vmcnt(4)
	v_fma_f64 v[2:3], v[138:139], v[156:157], v[2:3]
	ds_load_b128 v[136:139], v1 offset:688
	ds_load_b128 v[150:153], v1 offset:704
	scratch_load_b128 v[154:157], off, off offset:264
	s_waitcnt lgkmcnt(1)
	v_fma_f64 v[2:3], v[140:141], v[136:137], v[2:3]
	s_waitcnt vmcnt(4)
	s_delay_alu instid0(VALU_DEP_1) | instskip(SKIP_4) | instid1(VALU_DEP_1)
	v_fma_f64 v[2:3], v[142:143], v[138:139], v[2:3]
	scratch_load_b128 v[136:139], off, off offset:280
	s_waitcnt lgkmcnt(0)
	v_fma_f64 v[2:3], v[144:145], v[150:151], v[2:3]
	s_waitcnt vmcnt(4)
	v_fma_f64 v[2:3], v[146:147], v[152:153], v[2:3]
	ds_load_b128 v[140:143], v1 offset:720
	ds_load_b128 v[144:147], v1 offset:736
	s_waitcnt lgkmcnt(1)
	v_fma_f64 v[2:3], v[148:149], v[140:141], v[2:3]
	scratch_load_b128 v[148:151], off, off offset:296
	s_waitcnt vmcnt(4)
	v_fma_f64 v[2:3], v[158:159], v[142:143], v[2:3]
	scratch_load_b128 v[140:143], off, off offset:312
	s_waitcnt lgkmcnt(0)
	v_fma_f64 v[2:3], v[160:161], v[144:145], v[2:3]
	s_waitcnt vmcnt(4)
	s_delay_alu instid0(VALU_DEP_1)
	v_fma_f64 v[2:3], v[132:133], v[146:147], v[2:3]
	ds_load_b128 v[144:147], v1 offset:752
	ds_load_b128 v[158:161], v1 offset:768
	s_waitcnt lgkmcnt(1)
	v_fma_f64 v[2:3], v[134:135], v[144:145], v[2:3]
	scratch_load_b128 v[132:135], off, off offset:328
	s_waitcnt vmcnt(4)
	v_fma_f64 v[2:3], v[154:155], v[146:147], v[2:3]
	scratch_load_b128 v[144:147], off, off offset:344
	s_waitcnt lgkmcnt(0)
	v_fma_f64 v[2:3], v[156:157], v[158:159], v[2:3]
	ds_load_b128 v[152:155], v1 offset:784
	ds_load_b128 v[156:159], v1 offset:800
	s_waitcnt vmcnt(4)
	v_fma_f64 v[2:3], v[136:137], v[160:161], v[2:3]
	s_waitcnt lgkmcnt(1)
	s_delay_alu instid0(VALU_DEP_1) | instskip(SKIP_4) | instid1(VALU_DEP_1)
	v_fma_f64 v[2:3], v[138:139], v[152:153], v[2:3]
	scratch_load_b128 v[136:139], off, off offset:360
	s_waitcnt vmcnt(4)
	v_fma_f64 v[2:3], v[148:149], v[154:155], v[2:3]
	s_waitcnt lgkmcnt(0)
	v_fma_f64 v[2:3], v[150:151], v[156:157], v[2:3]
	scratch_load_b128 v[148:151], off, off offset:376
	s_waitcnt vmcnt(4)
	v_fma_f64 v[2:3], v[140:141], v[158:159], v[2:3]
	ds_load_b128 v[152:155], v1 offset:816
	ds_load_b128 v[156:159], v1 offset:832
	s_waitcnt lgkmcnt(1)
	v_fma_f64 v[2:3], v[142:143], v[152:153], v[2:3]
	scratch_load_b128 v[140:143], off, off offset:392
	s_waitcnt vmcnt(4)
	v_fma_f64 v[2:3], v[132:133], v[154:155], v[2:3]
	s_waitcnt lgkmcnt(0)
	s_delay_alu instid0(VALU_DEP_1)
	v_fma_f64 v[2:3], v[134:135], v[156:157], v[2:3]
	scratch_load_b128 v[132:135], off, off offset:408
	s_waitcnt vmcnt(4)
	v_fma_f64 v[2:3], v[144:145], v[158:159], v[2:3]
	ds_load_b128 v[152:155], v1 offset:848
	ds_load_b128 v[156:159], v1 offset:864
	s_waitcnt lgkmcnt(1)
	v_fma_f64 v[2:3], v[146:147], v[152:153], v[2:3]
	scratch_load_b128 v[144:147], off, off offset:424
	s_waitcnt vmcnt(4)
	v_fma_f64 v[2:3], v[136:137], v[154:155], v[2:3]
	s_waitcnt lgkmcnt(0)
	s_delay_alu instid0(VALU_DEP_1)
	;; [unrolled: 13-line block ×3, first 2 shown]
	v_fma_f64 v[2:3], v[142:143], v[156:157], v[2:3]
	scratch_load_b128 v[140:143], off, off offset:472
	s_waitcnt vmcnt(4)
	v_fma_f64 v[2:3], v[132:133], v[158:159], v[2:3]
	ds_load_b128 v[152:155], v1 offset:912
	ds_load_b128 v[156:159], v1 offset:928
	s_waitcnt lgkmcnt(1)
	v_fma_f64 v[2:3], v[134:135], v[152:153], v[2:3]
	scratch_load_b64 v[152:153], off, off offset:488
	s_waitcnt vmcnt(4)
	v_fma_f64 v[2:3], v[144:145], v[154:155], v[2:3]
	s_waitcnt lgkmcnt(0)
	s_delay_alu instid0(VALU_DEP_1)
	v_fma_f64 v[2:3], v[146:147], v[156:157], v[2:3]
	ds_load_b128 v[132:135], v1 offset:944
	ds_load_b128 v[144:147], v1 offset:960
	s_waitcnt vmcnt(3)
	v_fma_f64 v[2:3], v[136:137], v[158:159], v[2:3]
	s_waitcnt lgkmcnt(1)
	s_delay_alu instid0(VALU_DEP_1) | instskip(SKIP_1) | instid1(VALU_DEP_1)
	v_fma_f64 v[2:3], v[138:139], v[132:133], v[2:3]
	s_waitcnt vmcnt(2)
	v_fma_f64 v[2:3], v[148:149], v[134:135], v[2:3]
	s_waitcnt lgkmcnt(0)
	s_delay_alu instid0(VALU_DEP_1) | instskip(SKIP_1) | instid1(VALU_DEP_1)
	v_fma_f64 v[2:3], v[150:151], v[144:145], v[2:3]
	s_waitcnt vmcnt(1)
	v_fma_f64 v[132:133], v[140:141], v[146:147], v[2:3]
	ds_load_b128 v[1:4], v1 offset:976
	s_waitcnt lgkmcnt(0)
	v_fma_f64 v[1:2], v[142:143], v[1:2], v[132:133]
	s_waitcnt vmcnt(0)
	s_delay_alu instid0(VALU_DEP_1) | instskip(NEXT) | instid1(VALU_DEP_1)
	v_fma_f64 v[1:2], v[152:153], v[3:4], v[1:2]
	v_add_f64 v[1:2], v[130:131], -v[1:2]
	scratch_store_b64 off, v[1:2], off offset:152
	v_cmpx_lt_u32_e32 18, v0
	s_cbranch_execz .LBB125_345
; %bb.344:
	scratch_load_b64 v[1:2], off, off offset:144
	v_mov_b32_e32 v3, 0
	s_delay_alu instid0(VALU_DEP_1)
	v_mov_b32_e32 v4, v3
	scratch_store_b64 off, v[3:4], off offset:144
	s_waitcnt vmcnt(0)
	ds_store_b64 v5, v[1:2]
.LBB125_345:
	s_or_b32 exec_lo, exec_lo, s0
	s_waitcnt lgkmcnt(0)
	s_waitcnt_vscnt null, 0x0
	s_barrier
	buffer_gl0_inv
	s_clause 0x4
	scratch_load_b128 v[130:133], off, off offset:144
	scratch_load_b128 v[134:137], off, off offset:160
	;; [unrolled: 1-line block ×5, first 2 shown]
	v_mov_b32_e32 v1, 0
	ds_load_2addr_b64 v[150:153], v1 offset0:81 offset1:82
	ds_load_2addr_b64 v[154:157], v1 offset0:83 offset1:84
	scratch_load_b128 v[158:161], off, off offset:224
	s_mov_b32 s0, exec_lo
	s_waitcnt vmcnt(5) lgkmcnt(1)
	v_fma_f64 v[2:3], v[132:133], v[150:151], 0
	s_waitcnt vmcnt(4)
	s_delay_alu instid0(VALU_DEP_1) | instskip(SKIP_4) | instid1(VALU_DEP_1)
	v_fma_f64 v[2:3], v[134:135], v[152:153], v[2:3]
	scratch_load_b128 v[132:135], off, off offset:240
	s_waitcnt lgkmcnt(0)
	v_fma_f64 v[2:3], v[136:137], v[154:155], v[2:3]
	s_waitcnt vmcnt(4)
	v_fma_f64 v[2:3], v[138:139], v[156:157], v[2:3]
	ds_load_2addr_b64 v[136:139], v1 offset0:85 offset1:86
	ds_load_2addr_b64 v[150:153], v1 offset0:87 offset1:88
	scratch_load_b128 v[154:157], off, off offset:256
	s_waitcnt lgkmcnt(1)
	v_fma_f64 v[2:3], v[140:141], v[136:137], v[2:3]
	s_waitcnt vmcnt(4)
	s_delay_alu instid0(VALU_DEP_1) | instskip(SKIP_4) | instid1(VALU_DEP_1)
	v_fma_f64 v[2:3], v[142:143], v[138:139], v[2:3]
	scratch_load_b128 v[136:139], off, off offset:272
	s_waitcnt lgkmcnt(0)
	v_fma_f64 v[2:3], v[144:145], v[150:151], v[2:3]
	s_waitcnt vmcnt(4)
	v_fma_f64 v[2:3], v[146:147], v[152:153], v[2:3]
	ds_load_2addr_b64 v[140:143], v1 offset0:89 offset1:90
	ds_load_2addr_b64 v[144:147], v1 offset0:91 offset1:92
	s_waitcnt lgkmcnt(1)
	v_fma_f64 v[2:3], v[148:149], v[140:141], v[2:3]
	scratch_load_b128 v[148:151], off, off offset:288
	s_waitcnt vmcnt(4)
	v_fma_f64 v[2:3], v[158:159], v[142:143], v[2:3]
	scratch_load_b128 v[140:143], off, off offset:304
	s_waitcnt lgkmcnt(0)
	v_fma_f64 v[2:3], v[160:161], v[144:145], v[2:3]
	s_waitcnt vmcnt(4)
	s_delay_alu instid0(VALU_DEP_1)
	v_fma_f64 v[2:3], v[132:133], v[146:147], v[2:3]
	ds_load_2addr_b64 v[144:147], v1 offset0:93 offset1:94
	ds_load_2addr_b64 v[158:161], v1 offset0:95 offset1:96
	s_waitcnt lgkmcnt(1)
	v_fma_f64 v[2:3], v[134:135], v[144:145], v[2:3]
	scratch_load_b128 v[132:135], off, off offset:320
	s_waitcnt vmcnt(4)
	v_fma_f64 v[2:3], v[154:155], v[146:147], v[2:3]
	scratch_load_b128 v[144:147], off, off offset:336
	s_waitcnt lgkmcnt(0)
	v_fma_f64 v[2:3], v[156:157], v[158:159], v[2:3]
	ds_load_2addr_b64 v[152:155], v1 offset0:97 offset1:98
	ds_load_2addr_b64 v[156:159], v1 offset0:99 offset1:100
	s_waitcnt vmcnt(4)
	v_fma_f64 v[2:3], v[136:137], v[160:161], v[2:3]
	s_waitcnt lgkmcnt(1)
	s_delay_alu instid0(VALU_DEP_1) | instskip(SKIP_4) | instid1(VALU_DEP_1)
	v_fma_f64 v[2:3], v[138:139], v[152:153], v[2:3]
	scratch_load_b128 v[136:139], off, off offset:352
	s_waitcnt vmcnt(4)
	v_fma_f64 v[2:3], v[148:149], v[154:155], v[2:3]
	s_waitcnt lgkmcnt(0)
	v_fma_f64 v[2:3], v[150:151], v[156:157], v[2:3]
	scratch_load_b128 v[148:151], off, off offset:368
	s_waitcnt vmcnt(4)
	v_fma_f64 v[2:3], v[140:141], v[158:159], v[2:3]
	ds_load_2addr_b64 v[152:155], v1 offset0:101 offset1:102
	ds_load_2addr_b64 v[156:159], v1 offset0:103 offset1:104
	s_waitcnt lgkmcnt(1)
	v_fma_f64 v[2:3], v[142:143], v[152:153], v[2:3]
	scratch_load_b128 v[140:143], off, off offset:384
	s_waitcnt vmcnt(4)
	v_fma_f64 v[2:3], v[132:133], v[154:155], v[2:3]
	s_waitcnt lgkmcnt(0)
	s_delay_alu instid0(VALU_DEP_1)
	v_fma_f64 v[2:3], v[134:135], v[156:157], v[2:3]
	scratch_load_b128 v[132:135], off, off offset:400
	s_waitcnt vmcnt(4)
	v_fma_f64 v[2:3], v[144:145], v[158:159], v[2:3]
	ds_load_2addr_b64 v[152:155], v1 offset0:105 offset1:106
	ds_load_2addr_b64 v[156:159], v1 offset0:107 offset1:108
	s_waitcnt lgkmcnt(1)
	v_fma_f64 v[2:3], v[146:147], v[152:153], v[2:3]
	scratch_load_b128 v[144:147], off, off offset:416
	s_waitcnt vmcnt(4)
	v_fma_f64 v[2:3], v[136:137], v[154:155], v[2:3]
	s_waitcnt lgkmcnt(0)
	s_delay_alu instid0(VALU_DEP_1)
	;; [unrolled: 13-line block ×4, first 2 shown]
	v_fma_f64 v[2:3], v[146:147], v[156:157], v[2:3]
	ds_load_2addr_b64 v[144:147], v1 offset0:117 offset1:118
	ds_load_2addr_b64 v[152:155], v1 offset0:119 offset1:120
	s_waitcnt vmcnt(3)
	v_fma_f64 v[2:3], v[136:137], v[158:159], v[2:3]
	s_waitcnt lgkmcnt(1)
	s_delay_alu instid0(VALU_DEP_1) | instskip(SKIP_1) | instid1(VALU_DEP_1)
	v_fma_f64 v[2:3], v[138:139], v[144:145], v[2:3]
	s_waitcnt vmcnt(2)
	v_fma_f64 v[2:3], v[148:149], v[146:147], v[2:3]
	s_waitcnt lgkmcnt(0)
	s_delay_alu instid0(VALU_DEP_1) | instskip(SKIP_1) | instid1(VALU_DEP_1)
	v_fma_f64 v[2:3], v[150:151], v[152:153], v[2:3]
	s_waitcnt vmcnt(1)
	v_fma_f64 v[2:3], v[140:141], v[154:155], v[2:3]
	ds_load_2addr_b64 v[136:139], v1 offset0:121 offset1:122
	ds_load_b64 v[140:141], v1 offset:984
	s_waitcnt lgkmcnt(1)
	v_fma_f64 v[2:3], v[142:143], v[136:137], v[2:3]
	s_waitcnt vmcnt(0)
	s_delay_alu instid0(VALU_DEP_1) | instskip(SKIP_1) | instid1(VALU_DEP_1)
	v_fma_f64 v[2:3], v[132:133], v[138:139], v[2:3]
	s_waitcnt lgkmcnt(0)
	v_fma_f64 v[2:3], v[134:135], v[140:141], v[2:3]
	s_delay_alu instid0(VALU_DEP_1)
	v_add_f64 v[2:3], v[130:131], -v[2:3]
	scratch_store_b64 off, v[2:3], off offset:144
	v_cmpx_lt_u32_e32 17, v0
	s_cbranch_execz .LBB125_347
; %bb.346:
	scratch_load_b64 v[3:4], off, off offset:136
	v_mov_b32_e32 v2, v1
	scratch_store_b64 off, v[1:2], off offset:136
	s_waitcnt vmcnt(0)
	ds_store_b64 v5, v[3:4]
.LBB125_347:
	s_or_b32 exec_lo, exec_lo, s0
	s_waitcnt lgkmcnt(0)
	s_waitcnt_vscnt null, 0x0
	s_barrier
	buffer_gl0_inv
	s_clause 0x4
	scratch_load_b128 v[130:133], off, off offset:136
	scratch_load_b128 v[134:137], off, off offset:152
	;; [unrolled: 1-line block ×5, first 2 shown]
	ds_load_b128 v[150:153], v1 offset:640
	ds_load_b128 v[154:157], v1 offset:656
	scratch_load_b128 v[158:161], off, off offset:216
	s_mov_b32 s0, exec_lo
	s_waitcnt vmcnt(5) lgkmcnt(1)
	v_fma_f64 v[2:3], v[132:133], v[150:151], 0
	s_waitcnt vmcnt(4)
	s_delay_alu instid0(VALU_DEP_1) | instskip(SKIP_4) | instid1(VALU_DEP_1)
	v_fma_f64 v[2:3], v[134:135], v[152:153], v[2:3]
	scratch_load_b128 v[132:135], off, off offset:232
	s_waitcnt lgkmcnt(0)
	v_fma_f64 v[2:3], v[136:137], v[154:155], v[2:3]
	s_waitcnt vmcnt(4)
	v_fma_f64 v[2:3], v[138:139], v[156:157], v[2:3]
	ds_load_b128 v[136:139], v1 offset:672
	ds_load_b128 v[150:153], v1 offset:688
	scratch_load_b128 v[154:157], off, off offset:248
	s_waitcnt lgkmcnt(1)
	v_fma_f64 v[2:3], v[140:141], v[136:137], v[2:3]
	s_waitcnt vmcnt(4)
	s_delay_alu instid0(VALU_DEP_1) | instskip(SKIP_4) | instid1(VALU_DEP_1)
	v_fma_f64 v[2:3], v[142:143], v[138:139], v[2:3]
	scratch_load_b128 v[136:139], off, off offset:264
	s_waitcnt lgkmcnt(0)
	v_fma_f64 v[2:3], v[144:145], v[150:151], v[2:3]
	s_waitcnt vmcnt(4)
	v_fma_f64 v[2:3], v[146:147], v[152:153], v[2:3]
	ds_load_b128 v[140:143], v1 offset:704
	ds_load_b128 v[144:147], v1 offset:720
	s_waitcnt lgkmcnt(1)
	v_fma_f64 v[2:3], v[148:149], v[140:141], v[2:3]
	scratch_load_b128 v[148:151], off, off offset:280
	s_waitcnt vmcnt(4)
	v_fma_f64 v[2:3], v[158:159], v[142:143], v[2:3]
	scratch_load_b128 v[140:143], off, off offset:296
	s_waitcnt lgkmcnt(0)
	v_fma_f64 v[2:3], v[160:161], v[144:145], v[2:3]
	s_waitcnt vmcnt(4)
	s_delay_alu instid0(VALU_DEP_1)
	v_fma_f64 v[2:3], v[132:133], v[146:147], v[2:3]
	ds_load_b128 v[144:147], v1 offset:736
	ds_load_b128 v[158:161], v1 offset:752
	s_waitcnt lgkmcnt(1)
	v_fma_f64 v[2:3], v[134:135], v[144:145], v[2:3]
	scratch_load_b128 v[132:135], off, off offset:312
	s_waitcnt vmcnt(4)
	v_fma_f64 v[2:3], v[154:155], v[146:147], v[2:3]
	scratch_load_b128 v[144:147], off, off offset:328
	s_waitcnt lgkmcnt(0)
	v_fma_f64 v[2:3], v[156:157], v[158:159], v[2:3]
	ds_load_b128 v[152:155], v1 offset:768
	ds_load_b128 v[156:159], v1 offset:784
	s_waitcnt vmcnt(4)
	v_fma_f64 v[2:3], v[136:137], v[160:161], v[2:3]
	s_waitcnt lgkmcnt(1)
	s_delay_alu instid0(VALU_DEP_1) | instskip(SKIP_4) | instid1(VALU_DEP_1)
	v_fma_f64 v[2:3], v[138:139], v[152:153], v[2:3]
	scratch_load_b128 v[136:139], off, off offset:344
	s_waitcnt vmcnt(4)
	v_fma_f64 v[2:3], v[148:149], v[154:155], v[2:3]
	s_waitcnt lgkmcnt(0)
	v_fma_f64 v[2:3], v[150:151], v[156:157], v[2:3]
	scratch_load_b128 v[148:151], off, off offset:360
	s_waitcnt vmcnt(4)
	v_fma_f64 v[2:3], v[140:141], v[158:159], v[2:3]
	ds_load_b128 v[152:155], v1 offset:800
	ds_load_b128 v[156:159], v1 offset:816
	s_waitcnt lgkmcnt(1)
	v_fma_f64 v[2:3], v[142:143], v[152:153], v[2:3]
	scratch_load_b128 v[140:143], off, off offset:376
	s_waitcnt vmcnt(4)
	v_fma_f64 v[2:3], v[132:133], v[154:155], v[2:3]
	s_waitcnt lgkmcnt(0)
	s_delay_alu instid0(VALU_DEP_1)
	v_fma_f64 v[2:3], v[134:135], v[156:157], v[2:3]
	scratch_load_b128 v[132:135], off, off offset:392
	s_waitcnt vmcnt(4)
	v_fma_f64 v[2:3], v[144:145], v[158:159], v[2:3]
	ds_load_b128 v[152:155], v1 offset:832
	ds_load_b128 v[156:159], v1 offset:848
	s_waitcnt lgkmcnt(1)
	v_fma_f64 v[2:3], v[146:147], v[152:153], v[2:3]
	scratch_load_b128 v[144:147], off, off offset:408
	s_waitcnt vmcnt(4)
	v_fma_f64 v[2:3], v[136:137], v[154:155], v[2:3]
	s_waitcnt lgkmcnt(0)
	s_delay_alu instid0(VALU_DEP_1)
	;; [unrolled: 13-line block ×4, first 2 shown]
	v_fma_f64 v[2:3], v[146:147], v[156:157], v[2:3]
	scratch_load_b64 v[156:157], off, off offset:488
	ds_load_b128 v[144:147], v1 offset:928
	ds_load_b128 v[152:155], v1 offset:944
	s_waitcnt vmcnt(4)
	v_fma_f64 v[2:3], v[136:137], v[158:159], v[2:3]
	s_waitcnt lgkmcnt(1)
	s_delay_alu instid0(VALU_DEP_1) | instskip(SKIP_1) | instid1(VALU_DEP_1)
	v_fma_f64 v[2:3], v[138:139], v[144:145], v[2:3]
	s_waitcnt vmcnt(3)
	v_fma_f64 v[2:3], v[148:149], v[146:147], v[2:3]
	s_waitcnt lgkmcnt(0)
	s_delay_alu instid0(VALU_DEP_1) | instskip(SKIP_1) | instid1(VALU_DEP_1)
	v_fma_f64 v[2:3], v[150:151], v[152:153], v[2:3]
	s_waitcnt vmcnt(2)
	v_fma_f64 v[140:141], v[140:141], v[154:155], v[2:3]
	ds_load_b128 v[136:139], v1 offset:960
	ds_load_b128 v[1:4], v1 offset:976
	s_waitcnt lgkmcnt(1)
	v_fma_f64 v[136:137], v[142:143], v[136:137], v[140:141]
	s_waitcnt vmcnt(1)
	s_delay_alu instid0(VALU_DEP_1) | instskip(SKIP_1) | instid1(VALU_DEP_1)
	v_fma_f64 v[132:133], v[132:133], v[138:139], v[136:137]
	s_waitcnt lgkmcnt(0)
	v_fma_f64 v[1:2], v[134:135], v[1:2], v[132:133]
	s_waitcnt vmcnt(0)
	s_delay_alu instid0(VALU_DEP_1) | instskip(NEXT) | instid1(VALU_DEP_1)
	v_fma_f64 v[1:2], v[156:157], v[3:4], v[1:2]
	v_add_f64 v[1:2], v[130:131], -v[1:2]
	scratch_store_b64 off, v[1:2], off offset:136
	v_cmpx_lt_u32_e32 16, v0
	s_cbranch_execz .LBB125_349
; %bb.348:
	scratch_load_b64 v[1:2], off, off offset:128
	v_mov_b32_e32 v3, 0
	s_delay_alu instid0(VALU_DEP_1)
	v_mov_b32_e32 v4, v3
	scratch_store_b64 off, v[3:4], off offset:128
	s_waitcnt vmcnt(0)
	ds_store_b64 v5, v[1:2]
.LBB125_349:
	s_or_b32 exec_lo, exec_lo, s0
	s_waitcnt lgkmcnt(0)
	s_waitcnt_vscnt null, 0x0
	s_barrier
	buffer_gl0_inv
	s_clause 0x4
	scratch_load_b128 v[1:4], off, off offset:128
	scratch_load_b128 v[131:134], off, off offset:144
	;; [unrolled: 1-line block ×5, first 2 shown]
	v_mov_b32_e32 v130, 0
	ds_load_2addr_b64 v[147:150], v130 offset0:79 offset1:80
	ds_load_2addr_b64 v[151:154], v130 offset0:81 offset1:82
	scratch_load_b128 v[155:158], off, off offset:208
	s_mov_b32 s0, exec_lo
	s_waitcnt vmcnt(5) lgkmcnt(1)
	v_fma_f64 v[3:4], v[3:4], v[147:148], 0
	s_waitcnt vmcnt(4)
	s_delay_alu instid0(VALU_DEP_1) | instskip(SKIP_1) | instid1(VALU_DEP_1)
	v_fma_f64 v[3:4], v[131:132], v[149:150], v[3:4]
	s_waitcnt lgkmcnt(0)
	v_fma_f64 v[3:4], v[133:134], v[151:152], v[3:4]
	scratch_load_b128 v[131:134], off, off offset:224
	s_waitcnt vmcnt(4)
	v_fma_f64 v[3:4], v[135:136], v[153:154], v[3:4]
	ds_load_2addr_b64 v[147:150], v130 offset0:83 offset1:84
	ds_load_2addr_b64 v[151:154], v130 offset0:85 offset1:86
	s_waitcnt lgkmcnt(1)
	v_fma_f64 v[3:4], v[137:138], v[147:148], v[3:4]
	scratch_load_b128 v[135:138], off, off offset:240
	s_waitcnt vmcnt(4)
	v_fma_f64 v[3:4], v[139:140], v[149:150], v[3:4]
	s_waitcnt lgkmcnt(0)
	s_delay_alu instid0(VALU_DEP_1)
	v_fma_f64 v[3:4], v[141:142], v[151:152], v[3:4]
	scratch_load_b128 v[139:142], off, off offset:256
	s_waitcnt vmcnt(4)
	v_fma_f64 v[3:4], v[143:144], v[153:154], v[3:4]
	ds_load_2addr_b64 v[147:150], v130 offset0:87 offset1:88
	ds_load_2addr_b64 v[151:154], v130 offset0:89 offset1:90
	s_waitcnt lgkmcnt(1)
	v_fma_f64 v[3:4], v[145:146], v[147:148], v[3:4]
	scratch_load_b128 v[143:146], off, off offset:272
	s_waitcnt vmcnt(4)
	v_fma_f64 v[3:4], v[155:156], v[149:150], v[3:4]
	scratch_load_b128 v[147:150], off, off offset:288
	s_waitcnt lgkmcnt(0)
	v_fma_f64 v[3:4], v[157:158], v[151:152], v[3:4]
	s_waitcnt vmcnt(4)
	s_delay_alu instid0(VALU_DEP_1)
	v_fma_f64 v[3:4], v[131:132], v[153:154], v[3:4]
	ds_load_2addr_b64 v[151:154], v130 offset0:91 offset1:92
	ds_load_2addr_b64 v[155:158], v130 offset0:93 offset1:94
	s_waitcnt lgkmcnt(1)
	v_fma_f64 v[3:4], v[133:134], v[151:152], v[3:4]
	scratch_load_b128 v[131:134], off, off offset:304
	s_waitcnt vmcnt(4)
	v_fma_f64 v[3:4], v[135:136], v[153:154], v[3:4]
	s_waitcnt lgkmcnt(0)
	s_delay_alu instid0(VALU_DEP_1)
	v_fma_f64 v[3:4], v[137:138], v[155:156], v[3:4]
	scratch_load_b128 v[135:138], off, off offset:320
	s_waitcnt vmcnt(4)
	v_fma_f64 v[3:4], v[139:140], v[157:158], v[3:4]
	ds_load_2addr_b64 v[151:154], v130 offset0:95 offset1:96
	ds_load_2addr_b64 v[155:158], v130 offset0:97 offset1:98
	s_waitcnt lgkmcnt(1)
	v_fma_f64 v[3:4], v[141:142], v[151:152], v[3:4]
	scratch_load_b128 v[139:142], off, off offset:336
	s_waitcnt vmcnt(4)
	v_fma_f64 v[3:4], v[143:144], v[153:154], v[3:4]
	s_waitcnt lgkmcnt(0)
	s_delay_alu instid0(VALU_DEP_1)
	v_fma_f64 v[3:4], v[145:146], v[155:156], v[3:4]
	scratch_load_b128 v[143:146], off, off offset:352
	s_waitcnt vmcnt(4)
	v_fma_f64 v[3:4], v[147:148], v[157:158], v[3:4]
	ds_load_2addr_b64 v[151:154], v130 offset0:99 offset1:100
	ds_load_2addr_b64 v[155:158], v130 offset0:101 offset1:102
	s_waitcnt lgkmcnt(1)
	v_fma_f64 v[3:4], v[149:150], v[151:152], v[3:4]
	scratch_load_b128 v[147:150], off, off offset:368
	s_waitcnt vmcnt(4)
	v_fma_f64 v[3:4], v[131:132], v[153:154], v[3:4]
	s_waitcnt lgkmcnt(0)
	s_delay_alu instid0(VALU_DEP_1)
	v_fma_f64 v[3:4], v[133:134], v[155:156], v[3:4]
	scratch_load_b128 v[131:134], off, off offset:384
	s_waitcnt vmcnt(4)
	v_fma_f64 v[3:4], v[135:136], v[157:158], v[3:4]
	ds_load_2addr_b64 v[151:154], v130 offset0:103 offset1:104
	ds_load_2addr_b64 v[155:158], v130 offset0:105 offset1:106
	s_waitcnt lgkmcnt(1)
	v_fma_f64 v[3:4], v[137:138], v[151:152], v[3:4]
	scratch_load_b128 v[135:138], off, off offset:400
	s_waitcnt vmcnt(4)
	v_fma_f64 v[3:4], v[139:140], v[153:154], v[3:4]
	s_waitcnt lgkmcnt(0)
	s_delay_alu instid0(VALU_DEP_1)
	v_fma_f64 v[3:4], v[141:142], v[155:156], v[3:4]
	scratch_load_b128 v[139:142], off, off offset:416
	s_waitcnt vmcnt(4)
	v_fma_f64 v[3:4], v[143:144], v[157:158], v[3:4]
	ds_load_2addr_b64 v[151:154], v130 offset0:107 offset1:108
	ds_load_2addr_b64 v[155:158], v130 offset0:109 offset1:110
	s_waitcnt lgkmcnt(1)
	v_fma_f64 v[3:4], v[145:146], v[151:152], v[3:4]
	scratch_load_b128 v[143:146], off, off offset:432
	s_waitcnt vmcnt(4)
	v_fma_f64 v[3:4], v[147:148], v[153:154], v[3:4]
	s_waitcnt lgkmcnt(0)
	s_delay_alu instid0(VALU_DEP_1)
	v_fma_f64 v[3:4], v[149:150], v[155:156], v[3:4]
	scratch_load_b128 v[147:150], off, off offset:448
	s_waitcnt vmcnt(4)
	v_fma_f64 v[3:4], v[131:132], v[157:158], v[3:4]
	ds_load_2addr_b64 v[151:154], v130 offset0:111 offset1:112
	ds_load_2addr_b64 v[155:158], v130 offset0:113 offset1:114
	s_waitcnt lgkmcnt(1)
	v_fma_f64 v[3:4], v[133:134], v[151:152], v[3:4]
	scratch_load_b128 v[131:134], off, off offset:464
	s_waitcnt vmcnt(4)
	v_fma_f64 v[3:4], v[135:136], v[153:154], v[3:4]
	s_waitcnt lgkmcnt(0)
	s_delay_alu instid0(VALU_DEP_1)
	v_fma_f64 v[3:4], v[137:138], v[155:156], v[3:4]
	scratch_load_b128 v[135:138], off, off offset:480
	s_waitcnt vmcnt(4)
	v_fma_f64 v[3:4], v[139:140], v[157:158], v[3:4]
	ds_load_2addr_b64 v[151:154], v130 offset0:115 offset1:116
	ds_load_2addr_b64 v[155:158], v130 offset0:117 offset1:118
	s_waitcnt lgkmcnt(1)
	v_fma_f64 v[3:4], v[141:142], v[151:152], v[3:4]
	s_waitcnt vmcnt(3)
	s_delay_alu instid0(VALU_DEP_1) | instskip(SKIP_1) | instid1(VALU_DEP_1)
	v_fma_f64 v[3:4], v[143:144], v[153:154], v[3:4]
	s_waitcnt lgkmcnt(0)
	v_fma_f64 v[3:4], v[145:146], v[155:156], v[3:4]
	ds_load_2addr_b64 v[139:142], v130 offset0:119 offset1:120
	ds_load_2addr_b64 v[143:146], v130 offset0:121 offset1:122
	s_waitcnt vmcnt(2)
	v_fma_f64 v[3:4], v[147:148], v[157:158], v[3:4]
	s_waitcnt lgkmcnt(1)
	s_delay_alu instid0(VALU_DEP_1) | instskip(SKIP_1) | instid1(VALU_DEP_1)
	v_fma_f64 v[3:4], v[149:150], v[139:140], v[3:4]
	s_waitcnt vmcnt(1)
	v_fma_f64 v[3:4], v[131:132], v[141:142], v[3:4]
	ds_load_b64 v[131:132], v130 offset:984
	s_waitcnt lgkmcnt(1)
	v_fma_f64 v[3:4], v[133:134], v[143:144], v[3:4]
	s_waitcnt vmcnt(0)
	s_delay_alu instid0(VALU_DEP_1) | instskip(SKIP_1) | instid1(VALU_DEP_1)
	v_fma_f64 v[3:4], v[135:136], v[145:146], v[3:4]
	s_waitcnt lgkmcnt(0)
	v_fma_f64 v[3:4], v[137:138], v[131:132], v[3:4]
	s_delay_alu instid0(VALU_DEP_1)
	v_add_f64 v[1:2], v[1:2], -v[3:4]
	scratch_store_b64 off, v[1:2], off offset:128
	v_cmpx_lt_u32_e32 15, v0
	s_cbranch_execz .LBB125_351
; %bb.350:
	scratch_load_b64 v[1:2], off, off offset:120
	v_mov_b32_e32 v131, v130
	scratch_store_b64 off, v[130:131], off offset:120
	s_waitcnt vmcnt(0)
	ds_store_b64 v5, v[1:2]
.LBB125_351:
	s_or_b32 exec_lo, exec_lo, s0
	s_waitcnt lgkmcnt(0)
	s_waitcnt_vscnt null, 0x0
	s_barrier
	buffer_gl0_inv
	s_clause 0x4
	scratch_load_b128 v[1:4], off, off offset:120
	scratch_load_b128 v[131:134], off, off offset:136
	scratch_load_b128 v[135:138], off, off offset:152
	scratch_load_b128 v[139:142], off, off offset:168
	scratch_load_b128 v[143:146], off, off offset:184
	ds_load_b128 v[147:150], v130 offset:624
	ds_load_b128 v[151:154], v130 offset:640
	scratch_load_b128 v[155:158], off, off offset:200
	s_mov_b32 s0, exec_lo
	s_waitcnt vmcnt(5) lgkmcnt(1)
	v_fma_f64 v[3:4], v[3:4], v[147:148], 0
	s_waitcnt vmcnt(4)
	s_delay_alu instid0(VALU_DEP_1) | instskip(SKIP_1) | instid1(VALU_DEP_1)
	v_fma_f64 v[3:4], v[131:132], v[149:150], v[3:4]
	s_waitcnt lgkmcnt(0)
	v_fma_f64 v[3:4], v[133:134], v[151:152], v[3:4]
	scratch_load_b128 v[131:134], off, off offset:216
	s_waitcnt vmcnt(4)
	v_fma_f64 v[3:4], v[135:136], v[153:154], v[3:4]
	ds_load_b128 v[147:150], v130 offset:656
	ds_load_b128 v[151:154], v130 offset:672
	s_waitcnt lgkmcnt(1)
	v_fma_f64 v[3:4], v[137:138], v[147:148], v[3:4]
	scratch_load_b128 v[135:138], off, off offset:232
	s_waitcnt vmcnt(4)
	v_fma_f64 v[3:4], v[139:140], v[149:150], v[3:4]
	s_waitcnt lgkmcnt(0)
	s_delay_alu instid0(VALU_DEP_1)
	v_fma_f64 v[3:4], v[141:142], v[151:152], v[3:4]
	scratch_load_b128 v[139:142], off, off offset:248
	s_waitcnt vmcnt(4)
	v_fma_f64 v[3:4], v[143:144], v[153:154], v[3:4]
	ds_load_b128 v[147:150], v130 offset:688
	ds_load_b128 v[151:154], v130 offset:704
	s_waitcnt lgkmcnt(1)
	v_fma_f64 v[3:4], v[145:146], v[147:148], v[3:4]
	scratch_load_b128 v[143:146], off, off offset:264
	s_waitcnt vmcnt(4)
	v_fma_f64 v[3:4], v[155:156], v[149:150], v[3:4]
	scratch_load_b128 v[147:150], off, off offset:280
	s_waitcnt lgkmcnt(0)
	v_fma_f64 v[3:4], v[157:158], v[151:152], v[3:4]
	s_waitcnt vmcnt(4)
	s_delay_alu instid0(VALU_DEP_1)
	v_fma_f64 v[3:4], v[131:132], v[153:154], v[3:4]
	ds_load_b128 v[151:154], v130 offset:720
	ds_load_b128 v[155:158], v130 offset:736
	s_waitcnt lgkmcnt(1)
	v_fma_f64 v[3:4], v[133:134], v[151:152], v[3:4]
	scratch_load_b128 v[131:134], off, off offset:296
	s_waitcnt vmcnt(4)
	v_fma_f64 v[3:4], v[135:136], v[153:154], v[3:4]
	s_waitcnt lgkmcnt(0)
	s_delay_alu instid0(VALU_DEP_1)
	v_fma_f64 v[3:4], v[137:138], v[155:156], v[3:4]
	scratch_load_b128 v[135:138], off, off offset:312
	s_waitcnt vmcnt(4)
	v_fma_f64 v[3:4], v[139:140], v[157:158], v[3:4]
	ds_load_b128 v[151:154], v130 offset:752
	ds_load_b128 v[155:158], v130 offset:768
	s_waitcnt lgkmcnt(1)
	v_fma_f64 v[3:4], v[141:142], v[151:152], v[3:4]
	scratch_load_b128 v[139:142], off, off offset:328
	s_waitcnt vmcnt(4)
	v_fma_f64 v[3:4], v[143:144], v[153:154], v[3:4]
	s_waitcnt lgkmcnt(0)
	s_delay_alu instid0(VALU_DEP_1)
	v_fma_f64 v[3:4], v[145:146], v[155:156], v[3:4]
	scratch_load_b128 v[143:146], off, off offset:344
	s_waitcnt vmcnt(4)
	;; [unrolled: 13-line block ×6, first 2 shown]
	v_fma_f64 v[3:4], v[139:140], v[157:158], v[3:4]
	ds_load_b128 v[151:154], v130 offset:912
	ds_load_b128 v[155:158], v130 offset:928
	s_waitcnt lgkmcnt(1)
	v_fma_f64 v[3:4], v[141:142], v[151:152], v[3:4]
	scratch_load_b64 v[151:152], off, off offset:488
	s_waitcnt vmcnt(4)
	v_fma_f64 v[3:4], v[143:144], v[153:154], v[3:4]
	s_waitcnt lgkmcnt(0)
	s_delay_alu instid0(VALU_DEP_1)
	v_fma_f64 v[3:4], v[145:146], v[155:156], v[3:4]
	ds_load_b128 v[139:142], v130 offset:944
	ds_load_b128 v[143:146], v130 offset:960
	s_waitcnt vmcnt(3)
	v_fma_f64 v[3:4], v[147:148], v[157:158], v[3:4]
	s_waitcnt lgkmcnt(1)
	s_delay_alu instid0(VALU_DEP_1) | instskip(SKIP_1) | instid1(VALU_DEP_1)
	v_fma_f64 v[3:4], v[149:150], v[139:140], v[3:4]
	s_waitcnt vmcnt(2)
	v_fma_f64 v[3:4], v[131:132], v[141:142], v[3:4]
	s_waitcnt lgkmcnt(0)
	s_delay_alu instid0(VALU_DEP_1) | instskip(SKIP_4) | instid1(VALU_DEP_1)
	v_fma_f64 v[3:4], v[133:134], v[143:144], v[3:4]
	ds_load_b128 v[130:133], v130 offset:976
	s_waitcnt vmcnt(1)
	v_fma_f64 v[3:4], v[135:136], v[145:146], v[3:4]
	s_waitcnt lgkmcnt(0)
	v_fma_f64 v[3:4], v[137:138], v[130:131], v[3:4]
	s_waitcnt vmcnt(0)
	s_delay_alu instid0(VALU_DEP_1) | instskip(NEXT) | instid1(VALU_DEP_1)
	v_fma_f64 v[3:4], v[151:152], v[132:133], v[3:4]
	v_add_f64 v[1:2], v[1:2], -v[3:4]
	scratch_store_b64 off, v[1:2], off offset:120
	v_cmpx_lt_u32_e32 14, v0
	s_cbranch_execz .LBB125_353
; %bb.352:
	scratch_load_b64 v[1:2], off, off offset:112
	v_mov_b32_e32 v3, 0
	s_delay_alu instid0(VALU_DEP_1)
	v_mov_b32_e32 v4, v3
	scratch_store_b64 off, v[3:4], off offset:112
	s_waitcnt vmcnt(0)
	ds_store_b64 v5, v[1:2]
.LBB125_353:
	s_or_b32 exec_lo, exec_lo, s0
	s_waitcnt lgkmcnt(0)
	s_waitcnt_vscnt null, 0x0
	s_barrier
	buffer_gl0_inv
	s_clause 0x4
	scratch_load_b128 v[1:4], off, off offset:112
	scratch_load_b128 v[131:134], off, off offset:128
	;; [unrolled: 1-line block ×5, first 2 shown]
	v_mov_b32_e32 v130, 0
	ds_load_2addr_b64 v[147:150], v130 offset0:77 offset1:78
	ds_load_2addr_b64 v[151:154], v130 offset0:79 offset1:80
	scratch_load_b128 v[155:158], off, off offset:192
	s_mov_b32 s0, exec_lo
	s_waitcnt vmcnt(5) lgkmcnt(1)
	v_fma_f64 v[3:4], v[3:4], v[147:148], 0
	s_waitcnt vmcnt(4)
	s_delay_alu instid0(VALU_DEP_1) | instskip(SKIP_1) | instid1(VALU_DEP_1)
	v_fma_f64 v[3:4], v[131:132], v[149:150], v[3:4]
	s_waitcnt lgkmcnt(0)
	v_fma_f64 v[3:4], v[133:134], v[151:152], v[3:4]
	scratch_load_b128 v[131:134], off, off offset:208
	s_waitcnt vmcnt(4)
	v_fma_f64 v[3:4], v[135:136], v[153:154], v[3:4]
	ds_load_2addr_b64 v[147:150], v130 offset0:81 offset1:82
	ds_load_2addr_b64 v[151:154], v130 offset0:83 offset1:84
	s_waitcnt lgkmcnt(1)
	v_fma_f64 v[3:4], v[137:138], v[147:148], v[3:4]
	scratch_load_b128 v[135:138], off, off offset:224
	s_waitcnt vmcnt(4)
	v_fma_f64 v[3:4], v[139:140], v[149:150], v[3:4]
	s_waitcnt lgkmcnt(0)
	s_delay_alu instid0(VALU_DEP_1)
	v_fma_f64 v[3:4], v[141:142], v[151:152], v[3:4]
	scratch_load_b128 v[139:142], off, off offset:240
	s_waitcnt vmcnt(4)
	v_fma_f64 v[3:4], v[143:144], v[153:154], v[3:4]
	ds_load_2addr_b64 v[147:150], v130 offset0:85 offset1:86
	ds_load_2addr_b64 v[151:154], v130 offset0:87 offset1:88
	s_waitcnt lgkmcnt(1)
	v_fma_f64 v[3:4], v[145:146], v[147:148], v[3:4]
	scratch_load_b128 v[143:146], off, off offset:256
	s_waitcnt vmcnt(4)
	v_fma_f64 v[3:4], v[155:156], v[149:150], v[3:4]
	scratch_load_b128 v[147:150], off, off offset:272
	s_waitcnt lgkmcnt(0)
	v_fma_f64 v[3:4], v[157:158], v[151:152], v[3:4]
	s_waitcnt vmcnt(4)
	s_delay_alu instid0(VALU_DEP_1)
	v_fma_f64 v[3:4], v[131:132], v[153:154], v[3:4]
	ds_load_2addr_b64 v[151:154], v130 offset0:89 offset1:90
	ds_load_2addr_b64 v[155:158], v130 offset0:91 offset1:92
	s_waitcnt lgkmcnt(1)
	v_fma_f64 v[3:4], v[133:134], v[151:152], v[3:4]
	scratch_load_b128 v[131:134], off, off offset:288
	s_waitcnt vmcnt(4)
	v_fma_f64 v[3:4], v[135:136], v[153:154], v[3:4]
	s_waitcnt lgkmcnt(0)
	s_delay_alu instid0(VALU_DEP_1)
	v_fma_f64 v[3:4], v[137:138], v[155:156], v[3:4]
	scratch_load_b128 v[135:138], off, off offset:304
	s_waitcnt vmcnt(4)
	v_fma_f64 v[3:4], v[139:140], v[157:158], v[3:4]
	ds_load_2addr_b64 v[151:154], v130 offset0:93 offset1:94
	ds_load_2addr_b64 v[155:158], v130 offset0:95 offset1:96
	s_waitcnt lgkmcnt(1)
	v_fma_f64 v[3:4], v[141:142], v[151:152], v[3:4]
	scratch_load_b128 v[139:142], off, off offset:320
	s_waitcnt vmcnt(4)
	v_fma_f64 v[3:4], v[143:144], v[153:154], v[3:4]
	s_waitcnt lgkmcnt(0)
	s_delay_alu instid0(VALU_DEP_1)
	v_fma_f64 v[3:4], v[145:146], v[155:156], v[3:4]
	scratch_load_b128 v[143:146], off, off offset:336
	s_waitcnt vmcnt(4)
	;; [unrolled: 13-line block ×6, first 2 shown]
	v_fma_f64 v[3:4], v[139:140], v[157:158], v[3:4]
	ds_load_2addr_b64 v[151:154], v130 offset0:113 offset1:114
	ds_load_2addr_b64 v[155:158], v130 offset0:115 offset1:116
	s_waitcnt lgkmcnt(1)
	v_fma_f64 v[3:4], v[141:142], v[151:152], v[3:4]
	scratch_load_b128 v[139:142], off, off offset:480
	s_waitcnt vmcnt(4)
	v_fma_f64 v[3:4], v[143:144], v[153:154], v[3:4]
	s_waitcnt lgkmcnt(0)
	s_delay_alu instid0(VALU_DEP_1)
	v_fma_f64 v[3:4], v[145:146], v[155:156], v[3:4]
	ds_load_2addr_b64 v[143:146], v130 offset0:117 offset1:118
	ds_load_2addr_b64 v[151:154], v130 offset0:119 offset1:120
	s_waitcnt vmcnt(3)
	v_fma_f64 v[3:4], v[147:148], v[157:158], v[3:4]
	s_waitcnt lgkmcnt(1)
	s_delay_alu instid0(VALU_DEP_1) | instskip(SKIP_1) | instid1(VALU_DEP_1)
	v_fma_f64 v[3:4], v[149:150], v[143:144], v[3:4]
	s_waitcnt vmcnt(2)
	v_fma_f64 v[3:4], v[131:132], v[145:146], v[3:4]
	s_waitcnt lgkmcnt(0)
	s_delay_alu instid0(VALU_DEP_1) | instskip(SKIP_1) | instid1(VALU_DEP_1)
	v_fma_f64 v[3:4], v[133:134], v[151:152], v[3:4]
	s_waitcnt vmcnt(1)
	v_fma_f64 v[3:4], v[135:136], v[153:154], v[3:4]
	ds_load_2addr_b64 v[131:134], v130 offset0:121 offset1:122
	ds_load_b64 v[135:136], v130 offset:984
	s_waitcnt lgkmcnt(1)
	v_fma_f64 v[3:4], v[137:138], v[131:132], v[3:4]
	s_waitcnt vmcnt(0)
	s_delay_alu instid0(VALU_DEP_1) | instskip(SKIP_1) | instid1(VALU_DEP_1)
	v_fma_f64 v[3:4], v[139:140], v[133:134], v[3:4]
	s_waitcnt lgkmcnt(0)
	v_fma_f64 v[3:4], v[141:142], v[135:136], v[3:4]
	s_delay_alu instid0(VALU_DEP_1)
	v_add_f64 v[1:2], v[1:2], -v[3:4]
	scratch_store_b64 off, v[1:2], off offset:112
	v_cmpx_lt_u32_e32 13, v0
	s_cbranch_execz .LBB125_355
; %bb.354:
	scratch_load_b64 v[1:2], off, off offset:104
	v_mov_b32_e32 v131, v130
	scratch_store_b64 off, v[130:131], off offset:104
	s_waitcnt vmcnt(0)
	ds_store_b64 v5, v[1:2]
.LBB125_355:
	s_or_b32 exec_lo, exec_lo, s0
	s_waitcnt lgkmcnt(0)
	s_waitcnt_vscnt null, 0x0
	s_barrier
	buffer_gl0_inv
	s_clause 0x4
	scratch_load_b128 v[1:4], off, off offset:104
	scratch_load_b128 v[131:134], off, off offset:120
	scratch_load_b128 v[135:138], off, off offset:136
	scratch_load_b128 v[139:142], off, off offset:152
	scratch_load_b128 v[143:146], off, off offset:168
	ds_load_b128 v[147:150], v130 offset:608
	ds_load_b128 v[151:154], v130 offset:624
	scratch_load_b128 v[155:158], off, off offset:184
	s_mov_b32 s0, exec_lo
	s_waitcnt vmcnt(5) lgkmcnt(1)
	v_fma_f64 v[3:4], v[3:4], v[147:148], 0
	s_waitcnt vmcnt(4)
	s_delay_alu instid0(VALU_DEP_1) | instskip(SKIP_1) | instid1(VALU_DEP_1)
	v_fma_f64 v[3:4], v[131:132], v[149:150], v[3:4]
	s_waitcnt lgkmcnt(0)
	v_fma_f64 v[3:4], v[133:134], v[151:152], v[3:4]
	scratch_load_b128 v[131:134], off, off offset:200
	s_waitcnt vmcnt(4)
	v_fma_f64 v[3:4], v[135:136], v[153:154], v[3:4]
	ds_load_b128 v[147:150], v130 offset:640
	ds_load_b128 v[151:154], v130 offset:656
	s_waitcnt lgkmcnt(1)
	v_fma_f64 v[3:4], v[137:138], v[147:148], v[3:4]
	scratch_load_b128 v[135:138], off, off offset:216
	s_waitcnt vmcnt(4)
	v_fma_f64 v[3:4], v[139:140], v[149:150], v[3:4]
	s_waitcnt lgkmcnt(0)
	s_delay_alu instid0(VALU_DEP_1)
	v_fma_f64 v[3:4], v[141:142], v[151:152], v[3:4]
	scratch_load_b128 v[139:142], off, off offset:232
	s_waitcnt vmcnt(4)
	v_fma_f64 v[3:4], v[143:144], v[153:154], v[3:4]
	ds_load_b128 v[147:150], v130 offset:672
	ds_load_b128 v[151:154], v130 offset:688
	s_waitcnt lgkmcnt(1)
	v_fma_f64 v[3:4], v[145:146], v[147:148], v[3:4]
	scratch_load_b128 v[143:146], off, off offset:248
	s_waitcnt vmcnt(4)
	v_fma_f64 v[3:4], v[155:156], v[149:150], v[3:4]
	scratch_load_b128 v[147:150], off, off offset:264
	s_waitcnt lgkmcnt(0)
	v_fma_f64 v[3:4], v[157:158], v[151:152], v[3:4]
	s_waitcnt vmcnt(4)
	s_delay_alu instid0(VALU_DEP_1)
	v_fma_f64 v[3:4], v[131:132], v[153:154], v[3:4]
	ds_load_b128 v[151:154], v130 offset:704
	ds_load_b128 v[155:158], v130 offset:720
	s_waitcnt lgkmcnt(1)
	v_fma_f64 v[3:4], v[133:134], v[151:152], v[3:4]
	scratch_load_b128 v[131:134], off, off offset:280
	s_waitcnt vmcnt(4)
	v_fma_f64 v[3:4], v[135:136], v[153:154], v[3:4]
	s_waitcnt lgkmcnt(0)
	s_delay_alu instid0(VALU_DEP_1)
	v_fma_f64 v[3:4], v[137:138], v[155:156], v[3:4]
	scratch_load_b128 v[135:138], off, off offset:296
	s_waitcnt vmcnt(4)
	v_fma_f64 v[3:4], v[139:140], v[157:158], v[3:4]
	ds_load_b128 v[151:154], v130 offset:736
	ds_load_b128 v[155:158], v130 offset:752
	s_waitcnt lgkmcnt(1)
	v_fma_f64 v[3:4], v[141:142], v[151:152], v[3:4]
	scratch_load_b128 v[139:142], off, off offset:312
	s_waitcnt vmcnt(4)
	v_fma_f64 v[3:4], v[143:144], v[153:154], v[3:4]
	s_waitcnt lgkmcnt(0)
	s_delay_alu instid0(VALU_DEP_1)
	v_fma_f64 v[3:4], v[145:146], v[155:156], v[3:4]
	scratch_load_b128 v[143:146], off, off offset:328
	s_waitcnt vmcnt(4)
	;; [unrolled: 13-line block ×6, first 2 shown]
	v_fma_f64 v[3:4], v[139:140], v[157:158], v[3:4]
	ds_load_b128 v[151:154], v130 offset:896
	ds_load_b128 v[155:158], v130 offset:912
	s_waitcnt lgkmcnt(1)
	v_fma_f64 v[3:4], v[141:142], v[151:152], v[3:4]
	scratch_load_b128 v[139:142], off, off offset:472
	s_waitcnt vmcnt(4)
	v_fma_f64 v[3:4], v[143:144], v[153:154], v[3:4]
	s_waitcnt lgkmcnt(0)
	s_delay_alu instid0(VALU_DEP_1)
	v_fma_f64 v[3:4], v[145:146], v[155:156], v[3:4]
	scratch_load_b64 v[155:156], off, off offset:488
	ds_load_b128 v[143:146], v130 offset:928
	ds_load_b128 v[151:154], v130 offset:944
	s_waitcnt vmcnt(4)
	v_fma_f64 v[3:4], v[147:148], v[157:158], v[3:4]
	s_waitcnt lgkmcnt(1)
	s_delay_alu instid0(VALU_DEP_1) | instskip(SKIP_1) | instid1(VALU_DEP_1)
	v_fma_f64 v[3:4], v[149:150], v[143:144], v[3:4]
	s_waitcnt vmcnt(3)
	v_fma_f64 v[3:4], v[131:132], v[145:146], v[3:4]
	s_waitcnt lgkmcnt(0)
	s_delay_alu instid0(VALU_DEP_1)
	v_fma_f64 v[3:4], v[133:134], v[151:152], v[3:4]
	ds_load_b128 v[131:134], v130 offset:960
	ds_load_b128 v[143:146], v130 offset:976
	s_waitcnt vmcnt(2)
	v_fma_f64 v[3:4], v[135:136], v[153:154], v[3:4]
	s_waitcnt lgkmcnt(1)
	s_delay_alu instid0(VALU_DEP_1) | instskip(SKIP_1) | instid1(VALU_DEP_1)
	v_fma_f64 v[3:4], v[137:138], v[131:132], v[3:4]
	s_waitcnt vmcnt(1)
	v_fma_f64 v[3:4], v[139:140], v[133:134], v[3:4]
	s_waitcnt lgkmcnt(0)
	s_delay_alu instid0(VALU_DEP_1) | instskip(SKIP_1) | instid1(VALU_DEP_1)
	v_fma_f64 v[3:4], v[141:142], v[143:144], v[3:4]
	s_waitcnt vmcnt(0)
	v_fma_f64 v[3:4], v[155:156], v[145:146], v[3:4]
	s_delay_alu instid0(VALU_DEP_1)
	v_add_f64 v[1:2], v[1:2], -v[3:4]
	scratch_store_b64 off, v[1:2], off offset:104
	v_cmpx_lt_u32_e32 12, v0
	s_cbranch_execz .LBB125_357
; %bb.356:
	scratch_load_b64 v[1:2], off, off offset:96
	v_mov_b32_e32 v3, 0
	s_delay_alu instid0(VALU_DEP_1)
	v_mov_b32_e32 v4, v3
	scratch_store_b64 off, v[3:4], off offset:96
	s_waitcnt vmcnt(0)
	ds_store_b64 v5, v[1:2]
.LBB125_357:
	s_or_b32 exec_lo, exec_lo, s0
	s_waitcnt lgkmcnt(0)
	s_waitcnt_vscnt null, 0x0
	s_barrier
	buffer_gl0_inv
	s_clause 0x4
	scratch_load_b128 v[1:4], off, off offset:96
	scratch_load_b128 v[131:134], off, off offset:112
	;; [unrolled: 1-line block ×5, first 2 shown]
	v_mov_b32_e32 v130, 0
	ds_load_2addr_b64 v[147:150], v130 offset0:75 offset1:76
	ds_load_2addr_b64 v[151:154], v130 offset0:77 offset1:78
	scratch_load_b128 v[155:158], off, off offset:176
	s_mov_b32 s0, exec_lo
	s_waitcnt vmcnt(5) lgkmcnt(1)
	v_fma_f64 v[3:4], v[3:4], v[147:148], 0
	s_waitcnt vmcnt(4)
	s_delay_alu instid0(VALU_DEP_1) | instskip(SKIP_1) | instid1(VALU_DEP_1)
	v_fma_f64 v[3:4], v[131:132], v[149:150], v[3:4]
	s_waitcnt lgkmcnt(0)
	v_fma_f64 v[3:4], v[133:134], v[151:152], v[3:4]
	scratch_load_b128 v[131:134], off, off offset:192
	s_waitcnt vmcnt(4)
	v_fma_f64 v[3:4], v[135:136], v[153:154], v[3:4]
	ds_load_2addr_b64 v[147:150], v130 offset0:79 offset1:80
	ds_load_2addr_b64 v[151:154], v130 offset0:81 offset1:82
	s_waitcnt lgkmcnt(1)
	v_fma_f64 v[3:4], v[137:138], v[147:148], v[3:4]
	scratch_load_b128 v[135:138], off, off offset:208
	s_waitcnt vmcnt(4)
	v_fma_f64 v[3:4], v[139:140], v[149:150], v[3:4]
	s_waitcnt lgkmcnt(0)
	s_delay_alu instid0(VALU_DEP_1)
	v_fma_f64 v[3:4], v[141:142], v[151:152], v[3:4]
	scratch_load_b128 v[139:142], off, off offset:224
	s_waitcnt vmcnt(4)
	v_fma_f64 v[3:4], v[143:144], v[153:154], v[3:4]
	ds_load_2addr_b64 v[147:150], v130 offset0:83 offset1:84
	ds_load_2addr_b64 v[151:154], v130 offset0:85 offset1:86
	s_waitcnt lgkmcnt(1)
	v_fma_f64 v[3:4], v[145:146], v[147:148], v[3:4]
	scratch_load_b128 v[143:146], off, off offset:240
	s_waitcnt vmcnt(4)
	v_fma_f64 v[3:4], v[155:156], v[149:150], v[3:4]
	scratch_load_b128 v[147:150], off, off offset:256
	s_waitcnt lgkmcnt(0)
	v_fma_f64 v[3:4], v[157:158], v[151:152], v[3:4]
	s_waitcnt vmcnt(4)
	s_delay_alu instid0(VALU_DEP_1)
	v_fma_f64 v[3:4], v[131:132], v[153:154], v[3:4]
	ds_load_2addr_b64 v[151:154], v130 offset0:87 offset1:88
	ds_load_2addr_b64 v[155:158], v130 offset0:89 offset1:90
	s_waitcnt lgkmcnt(1)
	v_fma_f64 v[3:4], v[133:134], v[151:152], v[3:4]
	scratch_load_b128 v[131:134], off, off offset:272
	s_waitcnt vmcnt(4)
	v_fma_f64 v[3:4], v[135:136], v[153:154], v[3:4]
	s_waitcnt lgkmcnt(0)
	s_delay_alu instid0(VALU_DEP_1)
	v_fma_f64 v[3:4], v[137:138], v[155:156], v[3:4]
	scratch_load_b128 v[135:138], off, off offset:288
	s_waitcnt vmcnt(4)
	v_fma_f64 v[3:4], v[139:140], v[157:158], v[3:4]
	ds_load_2addr_b64 v[151:154], v130 offset0:91 offset1:92
	ds_load_2addr_b64 v[155:158], v130 offset0:93 offset1:94
	s_waitcnt lgkmcnt(1)
	v_fma_f64 v[3:4], v[141:142], v[151:152], v[3:4]
	scratch_load_b128 v[139:142], off, off offset:304
	s_waitcnt vmcnt(4)
	v_fma_f64 v[3:4], v[143:144], v[153:154], v[3:4]
	s_waitcnt lgkmcnt(0)
	s_delay_alu instid0(VALU_DEP_1)
	v_fma_f64 v[3:4], v[145:146], v[155:156], v[3:4]
	scratch_load_b128 v[143:146], off, off offset:320
	s_waitcnt vmcnt(4)
	;; [unrolled: 13-line block ×7, first 2 shown]
	v_fma_f64 v[3:4], v[147:148], v[157:158], v[3:4]
	ds_load_2addr_b64 v[151:154], v130 offset0:115 offset1:116
	ds_load_2addr_b64 v[155:158], v130 offset0:117 offset1:118
	s_waitcnt lgkmcnt(1)
	v_fma_f64 v[3:4], v[149:150], v[151:152], v[3:4]
	s_waitcnt vmcnt(3)
	s_delay_alu instid0(VALU_DEP_1) | instskip(SKIP_1) | instid1(VALU_DEP_1)
	v_fma_f64 v[3:4], v[131:132], v[153:154], v[3:4]
	s_waitcnt lgkmcnt(0)
	v_fma_f64 v[3:4], v[133:134], v[155:156], v[3:4]
	ds_load_2addr_b64 v[131:134], v130 offset0:119 offset1:120
	ds_load_2addr_b64 v[147:150], v130 offset0:121 offset1:122
	s_waitcnt vmcnt(2)
	v_fma_f64 v[3:4], v[135:136], v[157:158], v[3:4]
	s_waitcnt lgkmcnt(1)
	s_delay_alu instid0(VALU_DEP_1) | instskip(SKIP_4) | instid1(VALU_DEP_1)
	v_fma_f64 v[3:4], v[137:138], v[131:132], v[3:4]
	ds_load_b64 v[131:132], v130 offset:984
	s_waitcnt vmcnt(1)
	v_fma_f64 v[3:4], v[139:140], v[133:134], v[3:4]
	s_waitcnt lgkmcnt(1)
	v_fma_f64 v[3:4], v[141:142], v[147:148], v[3:4]
	s_waitcnt vmcnt(0)
	s_delay_alu instid0(VALU_DEP_1) | instskip(SKIP_1) | instid1(VALU_DEP_1)
	v_fma_f64 v[3:4], v[143:144], v[149:150], v[3:4]
	s_waitcnt lgkmcnt(0)
	v_fma_f64 v[3:4], v[145:146], v[131:132], v[3:4]
	s_delay_alu instid0(VALU_DEP_1)
	v_add_f64 v[1:2], v[1:2], -v[3:4]
	scratch_store_b64 off, v[1:2], off offset:96
	v_cmpx_lt_u32_e32 11, v0
	s_cbranch_execz .LBB125_359
; %bb.358:
	scratch_load_b64 v[1:2], off, off offset:88
	v_mov_b32_e32 v131, v130
	scratch_store_b64 off, v[130:131], off offset:88
	s_waitcnt vmcnt(0)
	ds_store_b64 v5, v[1:2]
.LBB125_359:
	s_or_b32 exec_lo, exec_lo, s0
	s_waitcnt lgkmcnt(0)
	s_waitcnt_vscnt null, 0x0
	s_barrier
	buffer_gl0_inv
	s_clause 0x4
	scratch_load_b128 v[1:4], off, off offset:88
	scratch_load_b128 v[131:134], off, off offset:104
	;; [unrolled: 1-line block ×5, first 2 shown]
	ds_load_b128 v[147:150], v130 offset:592
	ds_load_b128 v[151:154], v130 offset:608
	scratch_load_b128 v[155:158], off, off offset:168
	s_mov_b32 s0, exec_lo
	s_waitcnt vmcnt(5) lgkmcnt(1)
	v_fma_f64 v[3:4], v[3:4], v[147:148], 0
	s_waitcnt vmcnt(4)
	s_delay_alu instid0(VALU_DEP_1) | instskip(SKIP_1) | instid1(VALU_DEP_1)
	v_fma_f64 v[3:4], v[131:132], v[149:150], v[3:4]
	s_waitcnt lgkmcnt(0)
	v_fma_f64 v[3:4], v[133:134], v[151:152], v[3:4]
	scratch_load_b128 v[131:134], off, off offset:184
	s_waitcnt vmcnt(4)
	v_fma_f64 v[3:4], v[135:136], v[153:154], v[3:4]
	ds_load_b128 v[147:150], v130 offset:624
	ds_load_b128 v[151:154], v130 offset:640
	s_waitcnt lgkmcnt(1)
	v_fma_f64 v[3:4], v[137:138], v[147:148], v[3:4]
	scratch_load_b128 v[135:138], off, off offset:200
	s_waitcnt vmcnt(4)
	v_fma_f64 v[3:4], v[139:140], v[149:150], v[3:4]
	s_waitcnt lgkmcnt(0)
	s_delay_alu instid0(VALU_DEP_1)
	v_fma_f64 v[3:4], v[141:142], v[151:152], v[3:4]
	scratch_load_b128 v[139:142], off, off offset:216
	s_waitcnt vmcnt(4)
	v_fma_f64 v[3:4], v[143:144], v[153:154], v[3:4]
	ds_load_b128 v[147:150], v130 offset:656
	ds_load_b128 v[151:154], v130 offset:672
	s_waitcnt lgkmcnt(1)
	v_fma_f64 v[3:4], v[145:146], v[147:148], v[3:4]
	scratch_load_b128 v[143:146], off, off offset:232
	s_waitcnt vmcnt(4)
	v_fma_f64 v[3:4], v[155:156], v[149:150], v[3:4]
	scratch_load_b128 v[147:150], off, off offset:248
	s_waitcnt lgkmcnt(0)
	v_fma_f64 v[3:4], v[157:158], v[151:152], v[3:4]
	s_waitcnt vmcnt(4)
	s_delay_alu instid0(VALU_DEP_1)
	v_fma_f64 v[3:4], v[131:132], v[153:154], v[3:4]
	ds_load_b128 v[151:154], v130 offset:688
	ds_load_b128 v[155:158], v130 offset:704
	s_waitcnt lgkmcnt(1)
	v_fma_f64 v[3:4], v[133:134], v[151:152], v[3:4]
	scratch_load_b128 v[131:134], off, off offset:264
	s_waitcnt vmcnt(4)
	v_fma_f64 v[3:4], v[135:136], v[153:154], v[3:4]
	s_waitcnt lgkmcnt(0)
	s_delay_alu instid0(VALU_DEP_1)
	v_fma_f64 v[3:4], v[137:138], v[155:156], v[3:4]
	scratch_load_b128 v[135:138], off, off offset:280
	s_waitcnt vmcnt(4)
	v_fma_f64 v[3:4], v[139:140], v[157:158], v[3:4]
	ds_load_b128 v[151:154], v130 offset:720
	ds_load_b128 v[155:158], v130 offset:736
	s_waitcnt lgkmcnt(1)
	v_fma_f64 v[3:4], v[141:142], v[151:152], v[3:4]
	scratch_load_b128 v[139:142], off, off offset:296
	s_waitcnt vmcnt(4)
	v_fma_f64 v[3:4], v[143:144], v[153:154], v[3:4]
	s_waitcnt lgkmcnt(0)
	s_delay_alu instid0(VALU_DEP_1)
	v_fma_f64 v[3:4], v[145:146], v[155:156], v[3:4]
	scratch_load_b128 v[143:146], off, off offset:312
	s_waitcnt vmcnt(4)
	;; [unrolled: 13-line block ×7, first 2 shown]
	v_fma_f64 v[3:4], v[147:148], v[157:158], v[3:4]
	ds_load_b128 v[151:154], v130 offset:912
	ds_load_b128 v[155:158], v130 offset:928
	s_waitcnt lgkmcnt(1)
	v_fma_f64 v[3:4], v[149:150], v[151:152], v[3:4]
	scratch_load_b64 v[151:152], off, off offset:488
	s_waitcnt vmcnt(4)
	v_fma_f64 v[3:4], v[131:132], v[153:154], v[3:4]
	s_waitcnt lgkmcnt(0)
	s_delay_alu instid0(VALU_DEP_1)
	v_fma_f64 v[3:4], v[133:134], v[155:156], v[3:4]
	ds_load_b128 v[131:134], v130 offset:944
	ds_load_b128 v[147:150], v130 offset:960
	s_waitcnt vmcnt(3)
	v_fma_f64 v[3:4], v[135:136], v[157:158], v[3:4]
	s_waitcnt lgkmcnt(1)
	s_delay_alu instid0(VALU_DEP_1) | instskip(SKIP_1) | instid1(VALU_DEP_1)
	v_fma_f64 v[3:4], v[137:138], v[131:132], v[3:4]
	s_waitcnt vmcnt(2)
	v_fma_f64 v[3:4], v[139:140], v[133:134], v[3:4]
	ds_load_b128 v[130:133], v130 offset:976
	s_waitcnt lgkmcnt(1)
	v_fma_f64 v[3:4], v[141:142], v[147:148], v[3:4]
	s_waitcnt vmcnt(1)
	s_delay_alu instid0(VALU_DEP_1) | instskip(SKIP_1) | instid1(VALU_DEP_1)
	v_fma_f64 v[3:4], v[143:144], v[149:150], v[3:4]
	s_waitcnt lgkmcnt(0)
	v_fma_f64 v[3:4], v[145:146], v[130:131], v[3:4]
	s_waitcnt vmcnt(0)
	s_delay_alu instid0(VALU_DEP_1) | instskip(NEXT) | instid1(VALU_DEP_1)
	v_fma_f64 v[3:4], v[151:152], v[132:133], v[3:4]
	v_add_f64 v[1:2], v[1:2], -v[3:4]
	scratch_store_b64 off, v[1:2], off offset:88
	v_cmpx_lt_u32_e32 10, v0
	s_cbranch_execz .LBB125_361
; %bb.360:
	scratch_load_b64 v[1:2], off, off offset:80
	v_mov_b32_e32 v3, 0
	s_delay_alu instid0(VALU_DEP_1)
	v_mov_b32_e32 v4, v3
	scratch_store_b64 off, v[3:4], off offset:80
	s_waitcnt vmcnt(0)
	ds_store_b64 v5, v[1:2]
.LBB125_361:
	s_or_b32 exec_lo, exec_lo, s0
	s_waitcnt lgkmcnt(0)
	s_waitcnt_vscnt null, 0x0
	s_barrier
	buffer_gl0_inv
	s_clause 0x4
	scratch_load_b128 v[1:4], off, off offset:80
	scratch_load_b128 v[131:134], off, off offset:96
	;; [unrolled: 1-line block ×5, first 2 shown]
	v_mov_b32_e32 v130, 0
	ds_load_2addr_b64 v[147:150], v130 offset0:73 offset1:74
	ds_load_2addr_b64 v[151:154], v130 offset0:75 offset1:76
	scratch_load_b128 v[155:158], off, off offset:160
	s_mov_b32 s0, exec_lo
	s_waitcnt vmcnt(5) lgkmcnt(1)
	v_fma_f64 v[3:4], v[3:4], v[147:148], 0
	s_waitcnt vmcnt(4)
	s_delay_alu instid0(VALU_DEP_1) | instskip(SKIP_1) | instid1(VALU_DEP_1)
	v_fma_f64 v[3:4], v[131:132], v[149:150], v[3:4]
	s_waitcnt lgkmcnt(0)
	v_fma_f64 v[3:4], v[133:134], v[151:152], v[3:4]
	scratch_load_b128 v[131:134], off, off offset:176
	s_waitcnt vmcnt(4)
	v_fma_f64 v[3:4], v[135:136], v[153:154], v[3:4]
	ds_load_2addr_b64 v[147:150], v130 offset0:77 offset1:78
	ds_load_2addr_b64 v[151:154], v130 offset0:79 offset1:80
	s_waitcnt lgkmcnt(1)
	v_fma_f64 v[3:4], v[137:138], v[147:148], v[3:4]
	scratch_load_b128 v[135:138], off, off offset:192
	s_waitcnt vmcnt(4)
	v_fma_f64 v[3:4], v[139:140], v[149:150], v[3:4]
	s_waitcnt lgkmcnt(0)
	s_delay_alu instid0(VALU_DEP_1)
	v_fma_f64 v[3:4], v[141:142], v[151:152], v[3:4]
	scratch_load_b128 v[139:142], off, off offset:208
	s_waitcnt vmcnt(4)
	v_fma_f64 v[3:4], v[143:144], v[153:154], v[3:4]
	ds_load_2addr_b64 v[147:150], v130 offset0:81 offset1:82
	ds_load_2addr_b64 v[151:154], v130 offset0:83 offset1:84
	s_waitcnt lgkmcnt(1)
	v_fma_f64 v[3:4], v[145:146], v[147:148], v[3:4]
	scratch_load_b128 v[143:146], off, off offset:224
	s_waitcnt vmcnt(4)
	v_fma_f64 v[3:4], v[155:156], v[149:150], v[3:4]
	scratch_load_b128 v[147:150], off, off offset:240
	s_waitcnt lgkmcnt(0)
	v_fma_f64 v[3:4], v[157:158], v[151:152], v[3:4]
	s_waitcnt vmcnt(4)
	s_delay_alu instid0(VALU_DEP_1)
	v_fma_f64 v[3:4], v[131:132], v[153:154], v[3:4]
	ds_load_2addr_b64 v[151:154], v130 offset0:85 offset1:86
	ds_load_2addr_b64 v[155:158], v130 offset0:87 offset1:88
	s_waitcnt lgkmcnt(1)
	v_fma_f64 v[3:4], v[133:134], v[151:152], v[3:4]
	scratch_load_b128 v[131:134], off, off offset:256
	s_waitcnt vmcnt(4)
	v_fma_f64 v[3:4], v[135:136], v[153:154], v[3:4]
	s_waitcnt lgkmcnt(0)
	s_delay_alu instid0(VALU_DEP_1)
	v_fma_f64 v[3:4], v[137:138], v[155:156], v[3:4]
	scratch_load_b128 v[135:138], off, off offset:272
	s_waitcnt vmcnt(4)
	v_fma_f64 v[3:4], v[139:140], v[157:158], v[3:4]
	ds_load_2addr_b64 v[151:154], v130 offset0:89 offset1:90
	ds_load_2addr_b64 v[155:158], v130 offset0:91 offset1:92
	s_waitcnt lgkmcnt(1)
	v_fma_f64 v[3:4], v[141:142], v[151:152], v[3:4]
	scratch_load_b128 v[139:142], off, off offset:288
	s_waitcnt vmcnt(4)
	v_fma_f64 v[3:4], v[143:144], v[153:154], v[3:4]
	s_waitcnt lgkmcnt(0)
	s_delay_alu instid0(VALU_DEP_1)
	v_fma_f64 v[3:4], v[145:146], v[155:156], v[3:4]
	scratch_load_b128 v[143:146], off, off offset:304
	s_waitcnt vmcnt(4)
	;; [unrolled: 13-line block ×7, first 2 shown]
	v_fma_f64 v[3:4], v[147:148], v[157:158], v[3:4]
	ds_load_2addr_b64 v[151:154], v130 offset0:113 offset1:114
	ds_load_2addr_b64 v[155:158], v130 offset0:115 offset1:116
	s_waitcnt lgkmcnt(1)
	v_fma_f64 v[3:4], v[149:150], v[151:152], v[3:4]
	scratch_load_b128 v[147:150], off, off offset:480
	s_waitcnt vmcnt(4)
	v_fma_f64 v[3:4], v[131:132], v[153:154], v[3:4]
	s_waitcnt lgkmcnt(0)
	s_delay_alu instid0(VALU_DEP_1)
	v_fma_f64 v[3:4], v[133:134], v[155:156], v[3:4]
	ds_load_2addr_b64 v[131:134], v130 offset0:117 offset1:118
	ds_load_2addr_b64 v[151:154], v130 offset0:119 offset1:120
	s_waitcnt vmcnt(3)
	v_fma_f64 v[3:4], v[135:136], v[157:158], v[3:4]
	s_waitcnt lgkmcnt(1)
	s_delay_alu instid0(VALU_DEP_1) | instskip(SKIP_1) | instid1(VALU_DEP_1)
	v_fma_f64 v[3:4], v[137:138], v[131:132], v[3:4]
	s_waitcnt vmcnt(2)
	v_fma_f64 v[3:4], v[139:140], v[133:134], v[3:4]
	ds_load_2addr_b64 v[131:134], v130 offset0:121 offset1:122
	ds_load_b64 v[135:136], v130 offset:984
	s_waitcnt lgkmcnt(2)
	v_fma_f64 v[3:4], v[141:142], v[151:152], v[3:4]
	s_waitcnt vmcnt(1)
	s_delay_alu instid0(VALU_DEP_1) | instskip(SKIP_1) | instid1(VALU_DEP_1)
	v_fma_f64 v[3:4], v[143:144], v[153:154], v[3:4]
	s_waitcnt lgkmcnt(1)
	v_fma_f64 v[3:4], v[145:146], v[131:132], v[3:4]
	s_waitcnt vmcnt(0)
	s_delay_alu instid0(VALU_DEP_1) | instskip(SKIP_1) | instid1(VALU_DEP_1)
	v_fma_f64 v[3:4], v[147:148], v[133:134], v[3:4]
	s_waitcnt lgkmcnt(0)
	v_fma_f64 v[3:4], v[149:150], v[135:136], v[3:4]
	s_delay_alu instid0(VALU_DEP_1)
	v_add_f64 v[1:2], v[1:2], -v[3:4]
	scratch_store_b64 off, v[1:2], off offset:80
	v_cmpx_lt_u32_e32 9, v0
	s_cbranch_execz .LBB125_363
; %bb.362:
	scratch_load_b64 v[1:2], off, off offset:72
	v_mov_b32_e32 v131, v130
	scratch_store_b64 off, v[130:131], off offset:72
	s_waitcnt vmcnt(0)
	ds_store_b64 v5, v[1:2]
.LBB125_363:
	s_or_b32 exec_lo, exec_lo, s0
	s_waitcnt lgkmcnt(0)
	s_waitcnt_vscnt null, 0x0
	s_barrier
	buffer_gl0_inv
	s_clause 0x4
	scratch_load_b128 v[1:4], off, off offset:72
	scratch_load_b128 v[131:134], off, off offset:88
	;; [unrolled: 1-line block ×5, first 2 shown]
	ds_load_b128 v[147:150], v130 offset:576
	ds_load_b128 v[151:154], v130 offset:592
	scratch_load_b128 v[155:158], off, off offset:152
	s_mov_b32 s0, exec_lo
	s_waitcnt vmcnt(5) lgkmcnt(1)
	v_fma_f64 v[3:4], v[3:4], v[147:148], 0
	s_waitcnt vmcnt(4)
	s_delay_alu instid0(VALU_DEP_1) | instskip(SKIP_1) | instid1(VALU_DEP_1)
	v_fma_f64 v[3:4], v[131:132], v[149:150], v[3:4]
	s_waitcnt lgkmcnt(0)
	v_fma_f64 v[3:4], v[133:134], v[151:152], v[3:4]
	scratch_load_b128 v[131:134], off, off offset:168
	s_waitcnt vmcnt(4)
	v_fma_f64 v[3:4], v[135:136], v[153:154], v[3:4]
	ds_load_b128 v[147:150], v130 offset:608
	ds_load_b128 v[151:154], v130 offset:624
	s_waitcnt lgkmcnt(1)
	v_fma_f64 v[3:4], v[137:138], v[147:148], v[3:4]
	scratch_load_b128 v[135:138], off, off offset:184
	s_waitcnt vmcnt(4)
	v_fma_f64 v[3:4], v[139:140], v[149:150], v[3:4]
	s_waitcnt lgkmcnt(0)
	s_delay_alu instid0(VALU_DEP_1)
	v_fma_f64 v[3:4], v[141:142], v[151:152], v[3:4]
	scratch_load_b128 v[139:142], off, off offset:200
	s_waitcnt vmcnt(4)
	v_fma_f64 v[3:4], v[143:144], v[153:154], v[3:4]
	ds_load_b128 v[147:150], v130 offset:640
	ds_load_b128 v[151:154], v130 offset:656
	s_waitcnt lgkmcnt(1)
	v_fma_f64 v[3:4], v[145:146], v[147:148], v[3:4]
	scratch_load_b128 v[143:146], off, off offset:216
	s_waitcnt vmcnt(4)
	v_fma_f64 v[3:4], v[155:156], v[149:150], v[3:4]
	scratch_load_b128 v[147:150], off, off offset:232
	s_waitcnt lgkmcnt(0)
	v_fma_f64 v[3:4], v[157:158], v[151:152], v[3:4]
	s_waitcnt vmcnt(4)
	s_delay_alu instid0(VALU_DEP_1)
	v_fma_f64 v[3:4], v[131:132], v[153:154], v[3:4]
	ds_load_b128 v[151:154], v130 offset:672
	ds_load_b128 v[155:158], v130 offset:688
	s_waitcnt lgkmcnt(1)
	v_fma_f64 v[3:4], v[133:134], v[151:152], v[3:4]
	scratch_load_b128 v[131:134], off, off offset:248
	s_waitcnt vmcnt(4)
	v_fma_f64 v[3:4], v[135:136], v[153:154], v[3:4]
	s_waitcnt lgkmcnt(0)
	s_delay_alu instid0(VALU_DEP_1)
	v_fma_f64 v[3:4], v[137:138], v[155:156], v[3:4]
	scratch_load_b128 v[135:138], off, off offset:264
	s_waitcnt vmcnt(4)
	v_fma_f64 v[3:4], v[139:140], v[157:158], v[3:4]
	ds_load_b128 v[151:154], v130 offset:704
	ds_load_b128 v[155:158], v130 offset:720
	s_waitcnt lgkmcnt(1)
	v_fma_f64 v[3:4], v[141:142], v[151:152], v[3:4]
	scratch_load_b128 v[139:142], off, off offset:280
	s_waitcnt vmcnt(4)
	v_fma_f64 v[3:4], v[143:144], v[153:154], v[3:4]
	s_waitcnt lgkmcnt(0)
	s_delay_alu instid0(VALU_DEP_1)
	v_fma_f64 v[3:4], v[145:146], v[155:156], v[3:4]
	scratch_load_b128 v[143:146], off, off offset:296
	s_waitcnt vmcnt(4)
	;; [unrolled: 13-line block ×7, first 2 shown]
	v_fma_f64 v[3:4], v[147:148], v[157:158], v[3:4]
	ds_load_b128 v[151:154], v130 offset:896
	ds_load_b128 v[155:158], v130 offset:912
	s_waitcnt lgkmcnt(1)
	v_fma_f64 v[3:4], v[149:150], v[151:152], v[3:4]
	scratch_load_b128 v[147:150], off, off offset:472
	s_waitcnt vmcnt(4)
	v_fma_f64 v[3:4], v[131:132], v[153:154], v[3:4]
	s_waitcnt lgkmcnt(0)
	s_delay_alu instid0(VALU_DEP_1)
	v_fma_f64 v[3:4], v[133:134], v[155:156], v[3:4]
	scratch_load_b64 v[155:156], off, off offset:488
	ds_load_b128 v[131:134], v130 offset:928
	ds_load_b128 v[151:154], v130 offset:944
	s_waitcnt vmcnt(4)
	v_fma_f64 v[3:4], v[135:136], v[157:158], v[3:4]
	s_waitcnt lgkmcnt(1)
	s_delay_alu instid0(VALU_DEP_1) | instskip(SKIP_1) | instid1(VALU_DEP_1)
	v_fma_f64 v[3:4], v[137:138], v[131:132], v[3:4]
	s_waitcnt vmcnt(3)
	v_fma_f64 v[3:4], v[139:140], v[133:134], v[3:4]
	ds_load_b128 v[131:134], v130 offset:960
	ds_load_b128 v[135:138], v130 offset:976
	s_waitcnt lgkmcnt(2)
	v_fma_f64 v[3:4], v[141:142], v[151:152], v[3:4]
	s_waitcnt vmcnt(2)
	s_delay_alu instid0(VALU_DEP_1) | instskip(SKIP_1) | instid1(VALU_DEP_1)
	v_fma_f64 v[3:4], v[143:144], v[153:154], v[3:4]
	s_waitcnt lgkmcnt(1)
	v_fma_f64 v[3:4], v[145:146], v[131:132], v[3:4]
	s_waitcnt vmcnt(1)
	s_delay_alu instid0(VALU_DEP_1) | instskip(SKIP_1) | instid1(VALU_DEP_1)
	v_fma_f64 v[3:4], v[147:148], v[133:134], v[3:4]
	s_waitcnt lgkmcnt(0)
	v_fma_f64 v[3:4], v[149:150], v[135:136], v[3:4]
	s_waitcnt vmcnt(0)
	s_delay_alu instid0(VALU_DEP_1) | instskip(NEXT) | instid1(VALU_DEP_1)
	v_fma_f64 v[3:4], v[155:156], v[137:138], v[3:4]
	v_add_f64 v[1:2], v[1:2], -v[3:4]
	scratch_store_b64 off, v[1:2], off offset:72
	v_cmpx_lt_u32_e32 8, v0
	s_cbranch_execz .LBB125_365
; %bb.364:
	scratch_load_b64 v[1:2], off, off offset:64
	v_mov_b32_e32 v3, 0
	s_delay_alu instid0(VALU_DEP_1)
	v_mov_b32_e32 v4, v3
	scratch_store_b64 off, v[3:4], off offset:64
	s_waitcnt vmcnt(0)
	ds_store_b64 v5, v[1:2]
.LBB125_365:
	s_or_b32 exec_lo, exec_lo, s0
	s_waitcnt lgkmcnt(0)
	s_waitcnt_vscnt null, 0x0
	s_barrier
	buffer_gl0_inv
	s_clause 0x4
	scratch_load_b128 v[1:4], off, off offset:64
	scratch_load_b128 v[131:134], off, off offset:80
	;; [unrolled: 1-line block ×5, first 2 shown]
	v_mov_b32_e32 v130, 0
	ds_load_2addr_b64 v[147:150], v130 offset0:71 offset1:72
	ds_load_2addr_b64 v[151:154], v130 offset0:73 offset1:74
	scratch_load_b128 v[155:158], off, off offset:144
	s_mov_b32 s0, exec_lo
	s_waitcnt vmcnt(5) lgkmcnt(1)
	v_fma_f64 v[3:4], v[3:4], v[147:148], 0
	s_waitcnt vmcnt(4)
	s_delay_alu instid0(VALU_DEP_1) | instskip(SKIP_1) | instid1(VALU_DEP_1)
	v_fma_f64 v[3:4], v[131:132], v[149:150], v[3:4]
	s_waitcnt lgkmcnt(0)
	v_fma_f64 v[3:4], v[133:134], v[151:152], v[3:4]
	scratch_load_b128 v[131:134], off, off offset:160
	s_waitcnt vmcnt(4)
	v_fma_f64 v[3:4], v[135:136], v[153:154], v[3:4]
	ds_load_2addr_b64 v[147:150], v130 offset0:75 offset1:76
	ds_load_2addr_b64 v[151:154], v130 offset0:77 offset1:78
	s_waitcnt lgkmcnt(1)
	v_fma_f64 v[3:4], v[137:138], v[147:148], v[3:4]
	scratch_load_b128 v[135:138], off, off offset:176
	s_waitcnt vmcnt(4)
	v_fma_f64 v[3:4], v[139:140], v[149:150], v[3:4]
	s_waitcnt lgkmcnt(0)
	s_delay_alu instid0(VALU_DEP_1)
	v_fma_f64 v[3:4], v[141:142], v[151:152], v[3:4]
	scratch_load_b128 v[139:142], off, off offset:192
	s_waitcnt vmcnt(4)
	v_fma_f64 v[3:4], v[143:144], v[153:154], v[3:4]
	ds_load_2addr_b64 v[147:150], v130 offset0:79 offset1:80
	ds_load_2addr_b64 v[151:154], v130 offset0:81 offset1:82
	s_waitcnt lgkmcnt(1)
	v_fma_f64 v[3:4], v[145:146], v[147:148], v[3:4]
	scratch_load_b128 v[143:146], off, off offset:208
	s_waitcnt vmcnt(4)
	v_fma_f64 v[3:4], v[155:156], v[149:150], v[3:4]
	scratch_load_b128 v[147:150], off, off offset:224
	s_waitcnt lgkmcnt(0)
	v_fma_f64 v[3:4], v[157:158], v[151:152], v[3:4]
	s_waitcnt vmcnt(4)
	s_delay_alu instid0(VALU_DEP_1)
	v_fma_f64 v[3:4], v[131:132], v[153:154], v[3:4]
	ds_load_2addr_b64 v[151:154], v130 offset0:83 offset1:84
	ds_load_2addr_b64 v[155:158], v130 offset0:85 offset1:86
	s_waitcnt lgkmcnt(1)
	v_fma_f64 v[3:4], v[133:134], v[151:152], v[3:4]
	scratch_load_b128 v[131:134], off, off offset:240
	s_waitcnt vmcnt(4)
	v_fma_f64 v[3:4], v[135:136], v[153:154], v[3:4]
	s_waitcnt lgkmcnt(0)
	s_delay_alu instid0(VALU_DEP_1)
	v_fma_f64 v[3:4], v[137:138], v[155:156], v[3:4]
	scratch_load_b128 v[135:138], off, off offset:256
	s_waitcnt vmcnt(4)
	v_fma_f64 v[3:4], v[139:140], v[157:158], v[3:4]
	ds_load_2addr_b64 v[151:154], v130 offset0:87 offset1:88
	ds_load_2addr_b64 v[155:158], v130 offset0:89 offset1:90
	s_waitcnt lgkmcnt(1)
	v_fma_f64 v[3:4], v[141:142], v[151:152], v[3:4]
	scratch_load_b128 v[139:142], off, off offset:272
	s_waitcnt vmcnt(4)
	v_fma_f64 v[3:4], v[143:144], v[153:154], v[3:4]
	s_waitcnt lgkmcnt(0)
	s_delay_alu instid0(VALU_DEP_1)
	v_fma_f64 v[3:4], v[145:146], v[155:156], v[3:4]
	scratch_load_b128 v[143:146], off, off offset:288
	s_waitcnt vmcnt(4)
	;; [unrolled: 13-line block ×8, first 2 shown]
	v_fma_f64 v[3:4], v[135:136], v[157:158], v[3:4]
	ds_load_2addr_b64 v[151:154], v130 offset0:115 offset1:116
	ds_load_2addr_b64 v[155:158], v130 offset0:117 offset1:118
	s_waitcnt lgkmcnt(1)
	v_fma_f64 v[3:4], v[137:138], v[151:152], v[3:4]
	s_waitcnt vmcnt(3)
	s_delay_alu instid0(VALU_DEP_1) | instskip(SKIP_1) | instid1(VALU_DEP_1)
	v_fma_f64 v[3:4], v[139:140], v[153:154], v[3:4]
	s_waitcnt lgkmcnt(0)
	v_fma_f64 v[3:4], v[141:142], v[155:156], v[3:4]
	ds_load_2addr_b64 v[135:138], v130 offset0:119 offset1:120
	ds_load_2addr_b64 v[139:142], v130 offset0:121 offset1:122
	s_waitcnt vmcnt(2)
	v_fma_f64 v[3:4], v[143:144], v[157:158], v[3:4]
	s_waitcnt lgkmcnt(1)
	s_delay_alu instid0(VALU_DEP_1) | instskip(SKIP_1) | instid1(VALU_DEP_1)
	v_fma_f64 v[3:4], v[145:146], v[135:136], v[3:4]
	s_waitcnt vmcnt(1)
	v_fma_f64 v[3:4], v[147:148], v[137:138], v[3:4]
	s_waitcnt lgkmcnt(0)
	s_delay_alu instid0(VALU_DEP_1) | instskip(SKIP_1) | instid1(VALU_DEP_1)
	v_fma_f64 v[3:4], v[149:150], v[139:140], v[3:4]
	s_waitcnt vmcnt(0)
	v_fma_f64 v[3:4], v[131:132], v[141:142], v[3:4]
	ds_load_b64 v[131:132], v130 offset:984
	s_waitcnt lgkmcnt(0)
	v_fma_f64 v[3:4], v[133:134], v[131:132], v[3:4]
	s_delay_alu instid0(VALU_DEP_1)
	v_add_f64 v[1:2], v[1:2], -v[3:4]
	scratch_store_b64 off, v[1:2], off offset:64
	v_cmpx_lt_u32_e32 7, v0
	s_cbranch_execz .LBB125_367
; %bb.366:
	scratch_load_b64 v[1:2], off, off offset:56
	v_mov_b32_e32 v131, v130
	scratch_store_b64 off, v[130:131], off offset:56
	s_waitcnt vmcnt(0)
	ds_store_b64 v5, v[1:2]
.LBB125_367:
	s_or_b32 exec_lo, exec_lo, s0
	s_waitcnt lgkmcnt(0)
	s_waitcnt_vscnt null, 0x0
	s_barrier
	buffer_gl0_inv
	s_clause 0x4
	scratch_load_b128 v[1:4], off, off offset:56
	scratch_load_b128 v[131:134], off, off offset:72
	;; [unrolled: 1-line block ×5, first 2 shown]
	ds_load_b128 v[147:150], v130 offset:560
	ds_load_b128 v[151:154], v130 offset:576
	scratch_load_b128 v[155:158], off, off offset:136
	s_mov_b32 s0, exec_lo
	s_waitcnt vmcnt(5) lgkmcnt(1)
	v_fma_f64 v[3:4], v[3:4], v[147:148], 0
	s_waitcnt vmcnt(4)
	s_delay_alu instid0(VALU_DEP_1) | instskip(SKIP_1) | instid1(VALU_DEP_1)
	v_fma_f64 v[3:4], v[131:132], v[149:150], v[3:4]
	s_waitcnt lgkmcnt(0)
	v_fma_f64 v[3:4], v[133:134], v[151:152], v[3:4]
	scratch_load_b128 v[131:134], off, off offset:152
	s_waitcnt vmcnt(4)
	v_fma_f64 v[3:4], v[135:136], v[153:154], v[3:4]
	ds_load_b128 v[147:150], v130 offset:592
	ds_load_b128 v[151:154], v130 offset:608
	s_waitcnt lgkmcnt(1)
	v_fma_f64 v[3:4], v[137:138], v[147:148], v[3:4]
	scratch_load_b128 v[135:138], off, off offset:168
	s_waitcnt vmcnt(4)
	v_fma_f64 v[3:4], v[139:140], v[149:150], v[3:4]
	s_waitcnt lgkmcnt(0)
	s_delay_alu instid0(VALU_DEP_1)
	v_fma_f64 v[3:4], v[141:142], v[151:152], v[3:4]
	scratch_load_b128 v[139:142], off, off offset:184
	s_waitcnt vmcnt(4)
	v_fma_f64 v[3:4], v[143:144], v[153:154], v[3:4]
	ds_load_b128 v[147:150], v130 offset:624
	ds_load_b128 v[151:154], v130 offset:640
	s_waitcnt lgkmcnt(1)
	v_fma_f64 v[3:4], v[145:146], v[147:148], v[3:4]
	scratch_load_b128 v[143:146], off, off offset:200
	s_waitcnt vmcnt(4)
	v_fma_f64 v[3:4], v[155:156], v[149:150], v[3:4]
	scratch_load_b128 v[147:150], off, off offset:216
	s_waitcnt lgkmcnt(0)
	v_fma_f64 v[3:4], v[157:158], v[151:152], v[3:4]
	s_waitcnt vmcnt(4)
	s_delay_alu instid0(VALU_DEP_1)
	v_fma_f64 v[3:4], v[131:132], v[153:154], v[3:4]
	ds_load_b128 v[151:154], v130 offset:656
	ds_load_b128 v[155:158], v130 offset:672
	s_waitcnt lgkmcnt(1)
	v_fma_f64 v[3:4], v[133:134], v[151:152], v[3:4]
	scratch_load_b128 v[131:134], off, off offset:232
	s_waitcnt vmcnt(4)
	v_fma_f64 v[3:4], v[135:136], v[153:154], v[3:4]
	s_waitcnt lgkmcnt(0)
	s_delay_alu instid0(VALU_DEP_1)
	v_fma_f64 v[3:4], v[137:138], v[155:156], v[3:4]
	scratch_load_b128 v[135:138], off, off offset:248
	s_waitcnt vmcnt(4)
	v_fma_f64 v[3:4], v[139:140], v[157:158], v[3:4]
	ds_load_b128 v[151:154], v130 offset:688
	ds_load_b128 v[155:158], v130 offset:704
	s_waitcnt lgkmcnt(1)
	v_fma_f64 v[3:4], v[141:142], v[151:152], v[3:4]
	scratch_load_b128 v[139:142], off, off offset:264
	s_waitcnt vmcnt(4)
	v_fma_f64 v[3:4], v[143:144], v[153:154], v[3:4]
	s_waitcnt lgkmcnt(0)
	s_delay_alu instid0(VALU_DEP_1)
	v_fma_f64 v[3:4], v[145:146], v[155:156], v[3:4]
	scratch_load_b128 v[143:146], off, off offset:280
	s_waitcnt vmcnt(4)
	;; [unrolled: 13-line block ×8, first 2 shown]
	v_fma_f64 v[3:4], v[135:136], v[157:158], v[3:4]
	ds_load_b128 v[151:154], v130 offset:912
	ds_load_b128 v[155:158], v130 offset:928
	s_waitcnt lgkmcnt(1)
	v_fma_f64 v[3:4], v[137:138], v[151:152], v[3:4]
	scratch_load_b64 v[151:152], off, off offset:488
	s_waitcnt vmcnt(4)
	v_fma_f64 v[3:4], v[139:140], v[153:154], v[3:4]
	s_waitcnt lgkmcnt(0)
	s_delay_alu instid0(VALU_DEP_1)
	v_fma_f64 v[3:4], v[141:142], v[155:156], v[3:4]
	ds_load_b128 v[135:138], v130 offset:944
	ds_load_b128 v[139:142], v130 offset:960
	s_waitcnt vmcnt(3)
	v_fma_f64 v[3:4], v[143:144], v[157:158], v[3:4]
	s_waitcnt lgkmcnt(1)
	s_delay_alu instid0(VALU_DEP_1) | instskip(SKIP_1) | instid1(VALU_DEP_1)
	v_fma_f64 v[3:4], v[145:146], v[135:136], v[3:4]
	s_waitcnt vmcnt(2)
	v_fma_f64 v[3:4], v[147:148], v[137:138], v[3:4]
	ds_load_b128 v[135:138], v130 offset:976
	s_waitcnt lgkmcnt(1)
	v_fma_f64 v[3:4], v[149:150], v[139:140], v[3:4]
	s_waitcnt vmcnt(1)
	s_delay_alu instid0(VALU_DEP_1) | instskip(SKIP_1) | instid1(VALU_DEP_1)
	v_fma_f64 v[3:4], v[131:132], v[141:142], v[3:4]
	s_waitcnt lgkmcnt(0)
	v_fma_f64 v[3:4], v[133:134], v[135:136], v[3:4]
	s_waitcnt vmcnt(0)
	s_delay_alu instid0(VALU_DEP_1) | instskip(NEXT) | instid1(VALU_DEP_1)
	v_fma_f64 v[3:4], v[151:152], v[137:138], v[3:4]
	v_add_f64 v[1:2], v[1:2], -v[3:4]
	scratch_store_b64 off, v[1:2], off offset:56
	v_cmpx_lt_u32_e32 6, v0
	s_cbranch_execz .LBB125_369
; %bb.368:
	scratch_load_b64 v[1:2], off, off offset:48
	v_mov_b32_e32 v3, 0
	s_delay_alu instid0(VALU_DEP_1)
	v_mov_b32_e32 v4, v3
	scratch_store_b64 off, v[3:4], off offset:48
	s_waitcnt vmcnt(0)
	ds_store_b64 v5, v[1:2]
.LBB125_369:
	s_or_b32 exec_lo, exec_lo, s0
	s_waitcnt lgkmcnt(0)
	s_waitcnt_vscnt null, 0x0
	s_barrier
	buffer_gl0_inv
	s_clause 0x4
	scratch_load_b128 v[1:4], off, off offset:48
	scratch_load_b128 v[131:134], off, off offset:64
	scratch_load_b128 v[135:138], off, off offset:80
	scratch_load_b128 v[139:142], off, off offset:96
	scratch_load_b128 v[143:146], off, off offset:112
	v_mov_b32_e32 v130, 0
	ds_load_2addr_b64 v[147:150], v130 offset0:69 offset1:70
	ds_load_2addr_b64 v[151:154], v130 offset0:71 offset1:72
	scratch_load_b128 v[155:158], off, off offset:128
	s_mov_b32 s0, exec_lo
	s_waitcnt vmcnt(5) lgkmcnt(1)
	v_fma_f64 v[3:4], v[3:4], v[147:148], 0
	s_waitcnt vmcnt(4)
	s_delay_alu instid0(VALU_DEP_1) | instskip(SKIP_1) | instid1(VALU_DEP_1)
	v_fma_f64 v[3:4], v[131:132], v[149:150], v[3:4]
	s_waitcnt lgkmcnt(0)
	v_fma_f64 v[3:4], v[133:134], v[151:152], v[3:4]
	scratch_load_b128 v[131:134], off, off offset:144
	s_waitcnt vmcnt(4)
	v_fma_f64 v[3:4], v[135:136], v[153:154], v[3:4]
	ds_load_2addr_b64 v[147:150], v130 offset0:73 offset1:74
	ds_load_2addr_b64 v[151:154], v130 offset0:75 offset1:76
	s_waitcnt lgkmcnt(1)
	v_fma_f64 v[3:4], v[137:138], v[147:148], v[3:4]
	scratch_load_b128 v[135:138], off, off offset:160
	s_waitcnt vmcnt(4)
	v_fma_f64 v[3:4], v[139:140], v[149:150], v[3:4]
	s_waitcnt lgkmcnt(0)
	s_delay_alu instid0(VALU_DEP_1)
	v_fma_f64 v[3:4], v[141:142], v[151:152], v[3:4]
	scratch_load_b128 v[139:142], off, off offset:176
	s_waitcnt vmcnt(4)
	v_fma_f64 v[3:4], v[143:144], v[153:154], v[3:4]
	ds_load_2addr_b64 v[147:150], v130 offset0:77 offset1:78
	ds_load_2addr_b64 v[151:154], v130 offset0:79 offset1:80
	s_waitcnt lgkmcnt(1)
	v_fma_f64 v[3:4], v[145:146], v[147:148], v[3:4]
	scratch_load_b128 v[143:146], off, off offset:192
	s_waitcnt vmcnt(4)
	v_fma_f64 v[3:4], v[155:156], v[149:150], v[3:4]
	scratch_load_b128 v[147:150], off, off offset:208
	s_waitcnt lgkmcnt(0)
	v_fma_f64 v[3:4], v[157:158], v[151:152], v[3:4]
	s_waitcnt vmcnt(4)
	s_delay_alu instid0(VALU_DEP_1)
	v_fma_f64 v[3:4], v[131:132], v[153:154], v[3:4]
	ds_load_2addr_b64 v[151:154], v130 offset0:81 offset1:82
	ds_load_2addr_b64 v[155:158], v130 offset0:83 offset1:84
	s_waitcnt lgkmcnt(1)
	v_fma_f64 v[3:4], v[133:134], v[151:152], v[3:4]
	scratch_load_b128 v[131:134], off, off offset:224
	s_waitcnt vmcnt(4)
	v_fma_f64 v[3:4], v[135:136], v[153:154], v[3:4]
	s_waitcnt lgkmcnt(0)
	s_delay_alu instid0(VALU_DEP_1)
	v_fma_f64 v[3:4], v[137:138], v[155:156], v[3:4]
	scratch_load_b128 v[135:138], off, off offset:240
	s_waitcnt vmcnt(4)
	v_fma_f64 v[3:4], v[139:140], v[157:158], v[3:4]
	ds_load_2addr_b64 v[151:154], v130 offset0:85 offset1:86
	ds_load_2addr_b64 v[155:158], v130 offset0:87 offset1:88
	s_waitcnt lgkmcnt(1)
	v_fma_f64 v[3:4], v[141:142], v[151:152], v[3:4]
	scratch_load_b128 v[139:142], off, off offset:256
	s_waitcnt vmcnt(4)
	v_fma_f64 v[3:4], v[143:144], v[153:154], v[3:4]
	s_waitcnt lgkmcnt(0)
	s_delay_alu instid0(VALU_DEP_1)
	v_fma_f64 v[3:4], v[145:146], v[155:156], v[3:4]
	scratch_load_b128 v[143:146], off, off offset:272
	s_waitcnt vmcnt(4)
	;; [unrolled: 13-line block ×8, first 2 shown]
	v_fma_f64 v[3:4], v[135:136], v[157:158], v[3:4]
	ds_load_2addr_b64 v[151:154], v130 offset0:113 offset1:114
	ds_load_2addr_b64 v[155:158], v130 offset0:115 offset1:116
	s_waitcnt lgkmcnt(1)
	v_fma_f64 v[3:4], v[137:138], v[151:152], v[3:4]
	scratch_load_b128 v[135:138], off, off offset:480
	s_waitcnt vmcnt(4)
	v_fma_f64 v[3:4], v[139:140], v[153:154], v[3:4]
	s_waitcnt lgkmcnt(0)
	s_delay_alu instid0(VALU_DEP_1)
	v_fma_f64 v[3:4], v[141:142], v[155:156], v[3:4]
	ds_load_2addr_b64 v[139:142], v130 offset0:117 offset1:118
	ds_load_2addr_b64 v[151:154], v130 offset0:119 offset1:120
	s_waitcnt vmcnt(3)
	v_fma_f64 v[3:4], v[143:144], v[157:158], v[3:4]
	s_waitcnt lgkmcnt(1)
	s_delay_alu instid0(VALU_DEP_1) | instskip(SKIP_1) | instid1(VALU_DEP_1)
	v_fma_f64 v[3:4], v[145:146], v[139:140], v[3:4]
	s_waitcnt vmcnt(2)
	v_fma_f64 v[3:4], v[147:148], v[141:142], v[3:4]
	s_waitcnt lgkmcnt(0)
	s_delay_alu instid0(VALU_DEP_1) | instskip(SKIP_1) | instid1(VALU_DEP_1)
	v_fma_f64 v[3:4], v[149:150], v[151:152], v[3:4]
	s_waitcnt vmcnt(1)
	v_fma_f64 v[3:4], v[131:132], v[153:154], v[3:4]
	ds_load_2addr_b64 v[139:142], v130 offset0:121 offset1:122
	ds_load_b64 v[131:132], v130 offset:984
	s_waitcnt lgkmcnt(1)
	v_fma_f64 v[3:4], v[133:134], v[139:140], v[3:4]
	s_waitcnt vmcnt(0)
	s_delay_alu instid0(VALU_DEP_1) | instskip(SKIP_1) | instid1(VALU_DEP_1)
	v_fma_f64 v[3:4], v[135:136], v[141:142], v[3:4]
	s_waitcnt lgkmcnt(0)
	v_fma_f64 v[3:4], v[137:138], v[131:132], v[3:4]
	s_delay_alu instid0(VALU_DEP_1)
	v_add_f64 v[1:2], v[1:2], -v[3:4]
	scratch_store_b64 off, v[1:2], off offset:48
	v_cmpx_lt_u32_e32 5, v0
	s_cbranch_execz .LBB125_371
; %bb.370:
	scratch_load_b64 v[1:2], off, off offset:40
	v_mov_b32_e32 v131, v130
	scratch_store_b64 off, v[130:131], off offset:40
	s_waitcnt vmcnt(0)
	ds_store_b64 v5, v[1:2]
.LBB125_371:
	s_or_b32 exec_lo, exec_lo, s0
	s_waitcnt lgkmcnt(0)
	s_waitcnt_vscnt null, 0x0
	s_barrier
	buffer_gl0_inv
	s_clause 0x4
	scratch_load_b128 v[1:4], off, off offset:40
	scratch_load_b128 v[131:134], off, off offset:56
	scratch_load_b128 v[135:138], off, off offset:72
	scratch_load_b128 v[139:142], off, off offset:88
	scratch_load_b128 v[143:146], off, off offset:104
	ds_load_b128 v[147:150], v130 offset:544
	ds_load_b128 v[151:154], v130 offset:560
	scratch_load_b128 v[155:158], off, off offset:120
	s_mov_b32 s0, exec_lo
	s_waitcnt vmcnt(5) lgkmcnt(1)
	v_fma_f64 v[3:4], v[3:4], v[147:148], 0
	s_waitcnt vmcnt(4)
	s_delay_alu instid0(VALU_DEP_1) | instskip(SKIP_1) | instid1(VALU_DEP_1)
	v_fma_f64 v[3:4], v[131:132], v[149:150], v[3:4]
	s_waitcnt lgkmcnt(0)
	v_fma_f64 v[3:4], v[133:134], v[151:152], v[3:4]
	scratch_load_b128 v[131:134], off, off offset:136
	s_waitcnt vmcnt(4)
	v_fma_f64 v[3:4], v[135:136], v[153:154], v[3:4]
	ds_load_b128 v[147:150], v130 offset:576
	ds_load_b128 v[151:154], v130 offset:592
	s_waitcnt lgkmcnt(1)
	v_fma_f64 v[3:4], v[137:138], v[147:148], v[3:4]
	scratch_load_b128 v[135:138], off, off offset:152
	s_waitcnt vmcnt(4)
	v_fma_f64 v[3:4], v[139:140], v[149:150], v[3:4]
	s_waitcnt lgkmcnt(0)
	s_delay_alu instid0(VALU_DEP_1)
	v_fma_f64 v[3:4], v[141:142], v[151:152], v[3:4]
	scratch_load_b128 v[139:142], off, off offset:168
	s_waitcnt vmcnt(4)
	v_fma_f64 v[3:4], v[143:144], v[153:154], v[3:4]
	ds_load_b128 v[147:150], v130 offset:608
	ds_load_b128 v[151:154], v130 offset:624
	s_waitcnt lgkmcnt(1)
	v_fma_f64 v[3:4], v[145:146], v[147:148], v[3:4]
	scratch_load_b128 v[143:146], off, off offset:184
	s_waitcnt vmcnt(4)
	v_fma_f64 v[3:4], v[155:156], v[149:150], v[3:4]
	scratch_load_b128 v[147:150], off, off offset:200
	s_waitcnt lgkmcnt(0)
	v_fma_f64 v[3:4], v[157:158], v[151:152], v[3:4]
	s_waitcnt vmcnt(4)
	s_delay_alu instid0(VALU_DEP_1)
	v_fma_f64 v[3:4], v[131:132], v[153:154], v[3:4]
	ds_load_b128 v[151:154], v130 offset:640
	ds_load_b128 v[155:158], v130 offset:656
	s_waitcnt lgkmcnt(1)
	v_fma_f64 v[3:4], v[133:134], v[151:152], v[3:4]
	scratch_load_b128 v[131:134], off, off offset:216
	s_waitcnt vmcnt(4)
	v_fma_f64 v[3:4], v[135:136], v[153:154], v[3:4]
	s_waitcnt lgkmcnt(0)
	s_delay_alu instid0(VALU_DEP_1)
	v_fma_f64 v[3:4], v[137:138], v[155:156], v[3:4]
	scratch_load_b128 v[135:138], off, off offset:232
	s_waitcnt vmcnt(4)
	v_fma_f64 v[3:4], v[139:140], v[157:158], v[3:4]
	ds_load_b128 v[151:154], v130 offset:672
	ds_load_b128 v[155:158], v130 offset:688
	s_waitcnt lgkmcnt(1)
	v_fma_f64 v[3:4], v[141:142], v[151:152], v[3:4]
	scratch_load_b128 v[139:142], off, off offset:248
	s_waitcnt vmcnt(4)
	v_fma_f64 v[3:4], v[143:144], v[153:154], v[3:4]
	s_waitcnt lgkmcnt(0)
	s_delay_alu instid0(VALU_DEP_1)
	v_fma_f64 v[3:4], v[145:146], v[155:156], v[3:4]
	scratch_load_b128 v[143:146], off, off offset:264
	s_waitcnt vmcnt(4)
	;; [unrolled: 13-line block ×8, first 2 shown]
	v_fma_f64 v[3:4], v[135:136], v[157:158], v[3:4]
	ds_load_b128 v[151:154], v130 offset:896
	ds_load_b128 v[155:158], v130 offset:912
	s_waitcnt lgkmcnt(1)
	v_fma_f64 v[3:4], v[137:138], v[151:152], v[3:4]
	scratch_load_b128 v[135:138], off, off offset:472
	s_waitcnt vmcnt(4)
	v_fma_f64 v[3:4], v[139:140], v[153:154], v[3:4]
	s_waitcnt lgkmcnt(0)
	s_delay_alu instid0(VALU_DEP_1)
	v_fma_f64 v[3:4], v[141:142], v[155:156], v[3:4]
	scratch_load_b64 v[155:156], off, off offset:488
	ds_load_b128 v[139:142], v130 offset:928
	ds_load_b128 v[151:154], v130 offset:944
	s_waitcnt vmcnt(4)
	v_fma_f64 v[3:4], v[143:144], v[157:158], v[3:4]
	s_waitcnt lgkmcnt(1)
	s_delay_alu instid0(VALU_DEP_1) | instskip(SKIP_1) | instid1(VALU_DEP_1)
	v_fma_f64 v[3:4], v[145:146], v[139:140], v[3:4]
	s_waitcnt vmcnt(3)
	v_fma_f64 v[3:4], v[147:148], v[141:142], v[3:4]
	ds_load_b128 v[139:142], v130 offset:960
	ds_load_b128 v[143:146], v130 offset:976
	s_waitcnt lgkmcnt(2)
	v_fma_f64 v[3:4], v[149:150], v[151:152], v[3:4]
	s_waitcnt vmcnt(2)
	s_delay_alu instid0(VALU_DEP_1) | instskip(SKIP_1) | instid1(VALU_DEP_1)
	v_fma_f64 v[3:4], v[131:132], v[153:154], v[3:4]
	s_waitcnt lgkmcnt(1)
	v_fma_f64 v[3:4], v[133:134], v[139:140], v[3:4]
	s_waitcnt vmcnt(1)
	s_delay_alu instid0(VALU_DEP_1) | instskip(SKIP_1) | instid1(VALU_DEP_1)
	v_fma_f64 v[3:4], v[135:136], v[141:142], v[3:4]
	s_waitcnt lgkmcnt(0)
	v_fma_f64 v[3:4], v[137:138], v[143:144], v[3:4]
	s_waitcnt vmcnt(0)
	s_delay_alu instid0(VALU_DEP_1) | instskip(NEXT) | instid1(VALU_DEP_1)
	v_fma_f64 v[3:4], v[155:156], v[145:146], v[3:4]
	v_add_f64 v[1:2], v[1:2], -v[3:4]
	scratch_store_b64 off, v[1:2], off offset:40
	v_cmpx_lt_u32_e32 4, v0
	s_cbranch_execz .LBB125_373
; %bb.372:
	scratch_load_b64 v[1:2], off, off offset:32
	v_mov_b32_e32 v3, 0
	s_delay_alu instid0(VALU_DEP_1)
	v_mov_b32_e32 v4, v3
	scratch_store_b64 off, v[3:4], off offset:32
	s_waitcnt vmcnt(0)
	ds_store_b64 v5, v[1:2]
.LBB125_373:
	s_or_b32 exec_lo, exec_lo, s0
	s_waitcnt lgkmcnt(0)
	s_waitcnt_vscnt null, 0x0
	s_barrier
	buffer_gl0_inv
	s_clause 0x4
	scratch_load_b128 v[1:4], off, off offset:32
	scratch_load_b128 v[131:134], off, off offset:48
	;; [unrolled: 1-line block ×5, first 2 shown]
	v_mov_b32_e32 v130, 0
	ds_load_2addr_b64 v[147:150], v130 offset0:67 offset1:68
	ds_load_2addr_b64 v[151:154], v130 offset0:69 offset1:70
	scratch_load_b128 v[155:158], off, off offset:112
	s_mov_b32 s0, exec_lo
	s_waitcnt vmcnt(5) lgkmcnt(1)
	v_fma_f64 v[3:4], v[3:4], v[147:148], 0
	s_waitcnt vmcnt(4)
	s_delay_alu instid0(VALU_DEP_1) | instskip(SKIP_1) | instid1(VALU_DEP_1)
	v_fma_f64 v[3:4], v[131:132], v[149:150], v[3:4]
	s_waitcnt lgkmcnt(0)
	v_fma_f64 v[3:4], v[133:134], v[151:152], v[3:4]
	scratch_load_b128 v[131:134], off, off offset:128
	s_waitcnt vmcnt(4)
	v_fma_f64 v[3:4], v[135:136], v[153:154], v[3:4]
	ds_load_2addr_b64 v[147:150], v130 offset0:71 offset1:72
	ds_load_2addr_b64 v[151:154], v130 offset0:73 offset1:74
	s_waitcnt lgkmcnt(1)
	v_fma_f64 v[3:4], v[137:138], v[147:148], v[3:4]
	scratch_load_b128 v[135:138], off, off offset:144
	s_waitcnt vmcnt(4)
	v_fma_f64 v[3:4], v[139:140], v[149:150], v[3:4]
	s_waitcnt lgkmcnt(0)
	s_delay_alu instid0(VALU_DEP_1)
	v_fma_f64 v[3:4], v[141:142], v[151:152], v[3:4]
	scratch_load_b128 v[139:142], off, off offset:160
	s_waitcnt vmcnt(4)
	v_fma_f64 v[3:4], v[143:144], v[153:154], v[3:4]
	ds_load_2addr_b64 v[147:150], v130 offset0:75 offset1:76
	ds_load_2addr_b64 v[151:154], v130 offset0:77 offset1:78
	s_waitcnt lgkmcnt(1)
	v_fma_f64 v[3:4], v[145:146], v[147:148], v[3:4]
	scratch_load_b128 v[143:146], off, off offset:176
	s_waitcnt vmcnt(4)
	v_fma_f64 v[3:4], v[155:156], v[149:150], v[3:4]
	scratch_load_b128 v[147:150], off, off offset:192
	s_waitcnt lgkmcnt(0)
	v_fma_f64 v[3:4], v[157:158], v[151:152], v[3:4]
	s_waitcnt vmcnt(4)
	s_delay_alu instid0(VALU_DEP_1)
	v_fma_f64 v[3:4], v[131:132], v[153:154], v[3:4]
	ds_load_2addr_b64 v[151:154], v130 offset0:79 offset1:80
	ds_load_2addr_b64 v[155:158], v130 offset0:81 offset1:82
	s_waitcnt lgkmcnt(1)
	v_fma_f64 v[3:4], v[133:134], v[151:152], v[3:4]
	scratch_load_b128 v[131:134], off, off offset:208
	s_waitcnt vmcnt(4)
	v_fma_f64 v[3:4], v[135:136], v[153:154], v[3:4]
	s_waitcnt lgkmcnt(0)
	s_delay_alu instid0(VALU_DEP_1)
	v_fma_f64 v[3:4], v[137:138], v[155:156], v[3:4]
	scratch_load_b128 v[135:138], off, off offset:224
	s_waitcnt vmcnt(4)
	v_fma_f64 v[3:4], v[139:140], v[157:158], v[3:4]
	ds_load_2addr_b64 v[151:154], v130 offset0:83 offset1:84
	ds_load_2addr_b64 v[155:158], v130 offset0:85 offset1:86
	s_waitcnt lgkmcnt(1)
	v_fma_f64 v[3:4], v[141:142], v[151:152], v[3:4]
	scratch_load_b128 v[139:142], off, off offset:240
	s_waitcnt vmcnt(4)
	v_fma_f64 v[3:4], v[143:144], v[153:154], v[3:4]
	s_waitcnt lgkmcnt(0)
	s_delay_alu instid0(VALU_DEP_1)
	v_fma_f64 v[3:4], v[145:146], v[155:156], v[3:4]
	scratch_load_b128 v[143:146], off, off offset:256
	s_waitcnt vmcnt(4)
	;; [unrolled: 13-line block ×9, first 2 shown]
	v_fma_f64 v[3:4], v[143:144], v[157:158], v[3:4]
	ds_load_2addr_b64 v[151:154], v130 offset0:115 offset1:116
	ds_load_2addr_b64 v[155:158], v130 offset0:117 offset1:118
	s_waitcnt lgkmcnt(1)
	v_fma_f64 v[3:4], v[145:146], v[151:152], v[3:4]
	s_waitcnt vmcnt(3)
	s_delay_alu instid0(VALU_DEP_1) | instskip(SKIP_1) | instid1(VALU_DEP_1)
	v_fma_f64 v[3:4], v[147:148], v[153:154], v[3:4]
	s_waitcnt lgkmcnt(0)
	v_fma_f64 v[3:4], v[149:150], v[155:156], v[3:4]
	ds_load_2addr_b64 v[143:146], v130 offset0:119 offset1:120
	ds_load_2addr_b64 v[147:150], v130 offset0:121 offset1:122
	s_waitcnt vmcnt(2)
	v_fma_f64 v[3:4], v[131:132], v[157:158], v[3:4]
	ds_load_b64 v[131:132], v130 offset:984
	s_waitcnt lgkmcnt(2)
	v_fma_f64 v[3:4], v[133:134], v[143:144], v[3:4]
	s_waitcnt vmcnt(1)
	s_delay_alu instid0(VALU_DEP_1) | instskip(SKIP_1) | instid1(VALU_DEP_1)
	v_fma_f64 v[3:4], v[135:136], v[145:146], v[3:4]
	s_waitcnt lgkmcnt(1)
	v_fma_f64 v[3:4], v[137:138], v[147:148], v[3:4]
	s_waitcnt vmcnt(0)
	s_delay_alu instid0(VALU_DEP_1) | instskip(SKIP_1) | instid1(VALU_DEP_1)
	v_fma_f64 v[3:4], v[139:140], v[149:150], v[3:4]
	s_waitcnt lgkmcnt(0)
	v_fma_f64 v[3:4], v[141:142], v[131:132], v[3:4]
	s_delay_alu instid0(VALU_DEP_1)
	v_add_f64 v[1:2], v[1:2], -v[3:4]
	scratch_store_b64 off, v[1:2], off offset:32
	v_cmpx_lt_u32_e32 3, v0
	s_cbranch_execz .LBB125_375
; %bb.374:
	scratch_load_b64 v[1:2], off, off offset:24
	v_mov_b32_e32 v131, v130
	scratch_store_b64 off, v[130:131], off offset:24
	s_waitcnt vmcnt(0)
	ds_store_b64 v5, v[1:2]
.LBB125_375:
	s_or_b32 exec_lo, exec_lo, s0
	s_waitcnt lgkmcnt(0)
	s_waitcnt_vscnt null, 0x0
	s_barrier
	buffer_gl0_inv
	s_clause 0x4
	scratch_load_b128 v[1:4], off, off offset:24
	scratch_load_b128 v[131:134], off, off offset:40
	;; [unrolled: 1-line block ×5, first 2 shown]
	ds_load_b128 v[147:150], v130 offset:528
	ds_load_b128 v[151:154], v130 offset:544
	scratch_load_b128 v[155:158], off, off offset:104
	s_mov_b32 s0, exec_lo
	s_waitcnt vmcnt(5) lgkmcnt(1)
	v_fma_f64 v[3:4], v[3:4], v[147:148], 0
	s_waitcnt vmcnt(4)
	s_delay_alu instid0(VALU_DEP_1) | instskip(SKIP_1) | instid1(VALU_DEP_1)
	v_fma_f64 v[3:4], v[131:132], v[149:150], v[3:4]
	s_waitcnt lgkmcnt(0)
	v_fma_f64 v[3:4], v[133:134], v[151:152], v[3:4]
	scratch_load_b128 v[131:134], off, off offset:120
	s_waitcnt vmcnt(4)
	v_fma_f64 v[3:4], v[135:136], v[153:154], v[3:4]
	ds_load_b128 v[147:150], v130 offset:560
	ds_load_b128 v[151:154], v130 offset:576
	s_waitcnt lgkmcnt(1)
	v_fma_f64 v[3:4], v[137:138], v[147:148], v[3:4]
	scratch_load_b128 v[135:138], off, off offset:136
	s_waitcnt vmcnt(4)
	v_fma_f64 v[3:4], v[139:140], v[149:150], v[3:4]
	s_waitcnt lgkmcnt(0)
	s_delay_alu instid0(VALU_DEP_1)
	v_fma_f64 v[3:4], v[141:142], v[151:152], v[3:4]
	scratch_load_b128 v[139:142], off, off offset:152
	s_waitcnt vmcnt(4)
	v_fma_f64 v[3:4], v[143:144], v[153:154], v[3:4]
	ds_load_b128 v[147:150], v130 offset:592
	ds_load_b128 v[151:154], v130 offset:608
	s_waitcnt lgkmcnt(1)
	v_fma_f64 v[3:4], v[145:146], v[147:148], v[3:4]
	scratch_load_b128 v[143:146], off, off offset:168
	s_waitcnt vmcnt(4)
	v_fma_f64 v[3:4], v[155:156], v[149:150], v[3:4]
	scratch_load_b128 v[147:150], off, off offset:184
	s_waitcnt lgkmcnt(0)
	v_fma_f64 v[3:4], v[157:158], v[151:152], v[3:4]
	s_waitcnt vmcnt(4)
	s_delay_alu instid0(VALU_DEP_1)
	v_fma_f64 v[3:4], v[131:132], v[153:154], v[3:4]
	ds_load_b128 v[151:154], v130 offset:624
	ds_load_b128 v[155:158], v130 offset:640
	s_waitcnt lgkmcnt(1)
	v_fma_f64 v[3:4], v[133:134], v[151:152], v[3:4]
	scratch_load_b128 v[131:134], off, off offset:200
	s_waitcnt vmcnt(4)
	v_fma_f64 v[3:4], v[135:136], v[153:154], v[3:4]
	s_waitcnt lgkmcnt(0)
	s_delay_alu instid0(VALU_DEP_1)
	v_fma_f64 v[3:4], v[137:138], v[155:156], v[3:4]
	scratch_load_b128 v[135:138], off, off offset:216
	s_waitcnt vmcnt(4)
	v_fma_f64 v[3:4], v[139:140], v[157:158], v[3:4]
	ds_load_b128 v[151:154], v130 offset:656
	ds_load_b128 v[155:158], v130 offset:672
	s_waitcnt lgkmcnt(1)
	v_fma_f64 v[3:4], v[141:142], v[151:152], v[3:4]
	scratch_load_b128 v[139:142], off, off offset:232
	s_waitcnt vmcnt(4)
	v_fma_f64 v[3:4], v[143:144], v[153:154], v[3:4]
	s_waitcnt lgkmcnt(0)
	s_delay_alu instid0(VALU_DEP_1)
	v_fma_f64 v[3:4], v[145:146], v[155:156], v[3:4]
	scratch_load_b128 v[143:146], off, off offset:248
	s_waitcnt vmcnt(4)
	;; [unrolled: 13-line block ×9, first 2 shown]
	v_fma_f64 v[3:4], v[143:144], v[157:158], v[3:4]
	ds_load_b128 v[151:154], v130 offset:912
	ds_load_b128 v[155:158], v130 offset:928
	s_waitcnt lgkmcnt(1)
	v_fma_f64 v[3:4], v[145:146], v[151:152], v[3:4]
	scratch_load_b64 v[151:152], off, off offset:488
	s_waitcnt vmcnt(4)
	v_fma_f64 v[3:4], v[147:148], v[153:154], v[3:4]
	s_waitcnt lgkmcnt(0)
	s_delay_alu instid0(VALU_DEP_1)
	v_fma_f64 v[3:4], v[149:150], v[155:156], v[3:4]
	ds_load_b128 v[143:146], v130 offset:944
	ds_load_b128 v[147:150], v130 offset:960
	s_waitcnt vmcnt(3)
	v_fma_f64 v[3:4], v[131:132], v[157:158], v[3:4]
	s_waitcnt lgkmcnt(1)
	s_delay_alu instid0(VALU_DEP_1) | instskip(SKIP_4) | instid1(VALU_DEP_1)
	v_fma_f64 v[3:4], v[133:134], v[143:144], v[3:4]
	ds_load_b128 v[130:133], v130 offset:976
	s_waitcnt vmcnt(2)
	v_fma_f64 v[3:4], v[135:136], v[145:146], v[3:4]
	s_waitcnt lgkmcnt(1)
	v_fma_f64 v[3:4], v[137:138], v[147:148], v[3:4]
	s_waitcnt vmcnt(1)
	s_delay_alu instid0(VALU_DEP_1) | instskip(SKIP_1) | instid1(VALU_DEP_1)
	v_fma_f64 v[3:4], v[139:140], v[149:150], v[3:4]
	s_waitcnt lgkmcnt(0)
	v_fma_f64 v[3:4], v[141:142], v[130:131], v[3:4]
	s_waitcnt vmcnt(0)
	s_delay_alu instid0(VALU_DEP_1) | instskip(NEXT) | instid1(VALU_DEP_1)
	v_fma_f64 v[3:4], v[151:152], v[132:133], v[3:4]
	v_add_f64 v[1:2], v[1:2], -v[3:4]
	scratch_store_b64 off, v[1:2], off offset:24
	v_cmpx_lt_u32_e32 2, v0
	s_cbranch_execz .LBB125_377
; %bb.376:
	scratch_load_b64 v[1:2], off, off offset:16
	v_mov_b32_e32 v3, 0
	s_delay_alu instid0(VALU_DEP_1)
	v_mov_b32_e32 v4, v3
	scratch_store_b64 off, v[3:4], off offset:16
	s_waitcnt vmcnt(0)
	ds_store_b64 v5, v[1:2]
.LBB125_377:
	s_or_b32 exec_lo, exec_lo, s0
	s_waitcnt lgkmcnt(0)
	s_waitcnt_vscnt null, 0x0
	s_barrier
	buffer_gl0_inv
	s_clause 0x4
	scratch_load_b128 v[1:4], off, off offset:16
	scratch_load_b128 v[131:134], off, off offset:32
	;; [unrolled: 1-line block ×5, first 2 shown]
	v_mov_b32_e32 v130, 0
	ds_load_2addr_b64 v[147:150], v130 offset0:65 offset1:66
	ds_load_2addr_b64 v[151:154], v130 offset0:67 offset1:68
	scratch_load_b128 v[155:158], off, off offset:96
	s_mov_b32 s0, exec_lo
	s_waitcnt vmcnt(5) lgkmcnt(1)
	v_fma_f64 v[3:4], v[3:4], v[147:148], 0
	s_waitcnt vmcnt(4)
	s_delay_alu instid0(VALU_DEP_1) | instskip(SKIP_1) | instid1(VALU_DEP_1)
	v_fma_f64 v[3:4], v[131:132], v[149:150], v[3:4]
	s_waitcnt lgkmcnt(0)
	v_fma_f64 v[3:4], v[133:134], v[151:152], v[3:4]
	scratch_load_b128 v[131:134], off, off offset:112
	s_waitcnt vmcnt(4)
	v_fma_f64 v[3:4], v[135:136], v[153:154], v[3:4]
	ds_load_2addr_b64 v[147:150], v130 offset0:69 offset1:70
	ds_load_2addr_b64 v[151:154], v130 offset0:71 offset1:72
	s_waitcnt lgkmcnt(1)
	v_fma_f64 v[3:4], v[137:138], v[147:148], v[3:4]
	scratch_load_b128 v[135:138], off, off offset:128
	s_waitcnt vmcnt(4)
	v_fma_f64 v[3:4], v[139:140], v[149:150], v[3:4]
	s_waitcnt lgkmcnt(0)
	s_delay_alu instid0(VALU_DEP_1)
	v_fma_f64 v[3:4], v[141:142], v[151:152], v[3:4]
	scratch_load_b128 v[139:142], off, off offset:144
	s_waitcnt vmcnt(4)
	v_fma_f64 v[3:4], v[143:144], v[153:154], v[3:4]
	ds_load_2addr_b64 v[147:150], v130 offset0:73 offset1:74
	ds_load_2addr_b64 v[151:154], v130 offset0:75 offset1:76
	s_waitcnt lgkmcnt(1)
	v_fma_f64 v[3:4], v[145:146], v[147:148], v[3:4]
	scratch_load_b128 v[143:146], off, off offset:160
	s_waitcnt vmcnt(4)
	v_fma_f64 v[3:4], v[155:156], v[149:150], v[3:4]
	scratch_load_b128 v[147:150], off, off offset:176
	s_waitcnt lgkmcnt(0)
	v_fma_f64 v[3:4], v[157:158], v[151:152], v[3:4]
	s_waitcnt vmcnt(4)
	s_delay_alu instid0(VALU_DEP_1)
	v_fma_f64 v[3:4], v[131:132], v[153:154], v[3:4]
	ds_load_2addr_b64 v[151:154], v130 offset0:77 offset1:78
	ds_load_2addr_b64 v[155:158], v130 offset0:79 offset1:80
	s_waitcnt lgkmcnt(1)
	v_fma_f64 v[3:4], v[133:134], v[151:152], v[3:4]
	scratch_load_b128 v[131:134], off, off offset:192
	s_waitcnt vmcnt(4)
	v_fma_f64 v[3:4], v[135:136], v[153:154], v[3:4]
	s_waitcnt lgkmcnt(0)
	s_delay_alu instid0(VALU_DEP_1)
	v_fma_f64 v[3:4], v[137:138], v[155:156], v[3:4]
	scratch_load_b128 v[135:138], off, off offset:208
	s_waitcnt vmcnt(4)
	v_fma_f64 v[3:4], v[139:140], v[157:158], v[3:4]
	ds_load_2addr_b64 v[151:154], v130 offset0:81 offset1:82
	ds_load_2addr_b64 v[155:158], v130 offset0:83 offset1:84
	s_waitcnt lgkmcnt(1)
	v_fma_f64 v[3:4], v[141:142], v[151:152], v[3:4]
	scratch_load_b128 v[139:142], off, off offset:224
	s_waitcnt vmcnt(4)
	v_fma_f64 v[3:4], v[143:144], v[153:154], v[3:4]
	s_waitcnt lgkmcnt(0)
	s_delay_alu instid0(VALU_DEP_1)
	v_fma_f64 v[3:4], v[145:146], v[155:156], v[3:4]
	scratch_load_b128 v[143:146], off, off offset:240
	s_waitcnt vmcnt(4)
	;; [unrolled: 13-line block ×9, first 2 shown]
	v_fma_f64 v[3:4], v[143:144], v[157:158], v[3:4]
	ds_load_2addr_b64 v[151:154], v130 offset0:113 offset1:114
	ds_load_2addr_b64 v[155:158], v130 offset0:115 offset1:116
	s_waitcnt lgkmcnt(1)
	v_fma_f64 v[3:4], v[145:146], v[151:152], v[3:4]
	scratch_load_b128 v[143:146], off, off offset:480
	s_waitcnt vmcnt(4)
	v_fma_f64 v[3:4], v[147:148], v[153:154], v[3:4]
	s_waitcnt lgkmcnt(0)
	s_delay_alu instid0(VALU_DEP_1)
	v_fma_f64 v[3:4], v[149:150], v[155:156], v[3:4]
	ds_load_2addr_b64 v[147:150], v130 offset0:117 offset1:118
	ds_load_2addr_b64 v[151:154], v130 offset0:119 offset1:120
	s_waitcnt vmcnt(3)
	v_fma_f64 v[3:4], v[131:132], v[157:158], v[3:4]
	s_waitcnt lgkmcnt(1)
	s_delay_alu instid0(VALU_DEP_1) | instskip(SKIP_1) | instid1(VALU_DEP_1)
	v_fma_f64 v[3:4], v[133:134], v[147:148], v[3:4]
	s_waitcnt vmcnt(2)
	v_fma_f64 v[3:4], v[135:136], v[149:150], v[3:4]
	ds_load_2addr_b64 v[131:134], v130 offset0:121 offset1:122
	ds_load_b64 v[135:136], v130 offset:984
	s_waitcnt lgkmcnt(2)
	v_fma_f64 v[3:4], v[137:138], v[151:152], v[3:4]
	s_waitcnt vmcnt(1)
	s_delay_alu instid0(VALU_DEP_1) | instskip(SKIP_1) | instid1(VALU_DEP_1)
	v_fma_f64 v[3:4], v[139:140], v[153:154], v[3:4]
	s_waitcnt lgkmcnt(1)
	v_fma_f64 v[3:4], v[141:142], v[131:132], v[3:4]
	s_waitcnt vmcnt(0)
	s_delay_alu instid0(VALU_DEP_1) | instskip(SKIP_1) | instid1(VALU_DEP_1)
	v_fma_f64 v[3:4], v[143:144], v[133:134], v[3:4]
	s_waitcnt lgkmcnt(0)
	v_fma_f64 v[3:4], v[145:146], v[135:136], v[3:4]
	s_delay_alu instid0(VALU_DEP_1)
	v_add_f64 v[1:2], v[1:2], -v[3:4]
	scratch_store_b64 off, v[1:2], off offset:16
	v_cmpx_lt_u32_e32 1, v0
	s_cbranch_execz .LBB125_379
; %bb.378:
	scratch_load_b64 v[1:2], off, off offset:8
	v_mov_b32_e32 v131, v130
	scratch_store_b64 off, v[130:131], off offset:8
	s_waitcnt vmcnt(0)
	ds_store_b64 v5, v[1:2]
.LBB125_379:
	s_or_b32 exec_lo, exec_lo, s0
	s_waitcnt lgkmcnt(0)
	s_waitcnt_vscnt null, 0x0
	s_barrier
	buffer_gl0_inv
	s_clause 0x4
	scratch_load_b128 v[1:4], off, off offset:8
	scratch_load_b128 v[131:134], off, off offset:24
	;; [unrolled: 1-line block ×5, first 2 shown]
	ds_load_b128 v[147:150], v130 offset:512
	ds_load_b128 v[151:154], v130 offset:528
	scratch_load_b128 v[155:158], off, off offset:88
	s_mov_b32 s0, exec_lo
	s_waitcnt vmcnt(5) lgkmcnt(1)
	v_fma_f64 v[3:4], v[3:4], v[147:148], 0
	s_waitcnt vmcnt(4)
	s_delay_alu instid0(VALU_DEP_1) | instskip(SKIP_1) | instid1(VALU_DEP_1)
	v_fma_f64 v[3:4], v[131:132], v[149:150], v[3:4]
	s_waitcnt lgkmcnt(0)
	v_fma_f64 v[3:4], v[133:134], v[151:152], v[3:4]
	scratch_load_b128 v[131:134], off, off offset:104
	s_waitcnt vmcnt(4)
	v_fma_f64 v[3:4], v[135:136], v[153:154], v[3:4]
	ds_load_b128 v[147:150], v130 offset:544
	ds_load_b128 v[151:154], v130 offset:560
	s_waitcnt lgkmcnt(1)
	v_fma_f64 v[3:4], v[137:138], v[147:148], v[3:4]
	scratch_load_b128 v[135:138], off, off offset:120
	s_waitcnt vmcnt(4)
	v_fma_f64 v[3:4], v[139:140], v[149:150], v[3:4]
	s_waitcnt lgkmcnt(0)
	s_delay_alu instid0(VALU_DEP_1)
	v_fma_f64 v[3:4], v[141:142], v[151:152], v[3:4]
	scratch_load_b128 v[139:142], off, off offset:136
	s_waitcnt vmcnt(4)
	v_fma_f64 v[3:4], v[143:144], v[153:154], v[3:4]
	ds_load_b128 v[147:150], v130 offset:576
	ds_load_b128 v[151:154], v130 offset:592
	s_waitcnt lgkmcnt(1)
	v_fma_f64 v[3:4], v[145:146], v[147:148], v[3:4]
	scratch_load_b128 v[143:146], off, off offset:152
	s_waitcnt vmcnt(4)
	v_fma_f64 v[3:4], v[155:156], v[149:150], v[3:4]
	scratch_load_b128 v[147:150], off, off offset:168
	s_waitcnt lgkmcnt(0)
	v_fma_f64 v[3:4], v[157:158], v[151:152], v[3:4]
	s_waitcnt vmcnt(4)
	s_delay_alu instid0(VALU_DEP_1)
	v_fma_f64 v[3:4], v[131:132], v[153:154], v[3:4]
	ds_load_b128 v[151:154], v130 offset:608
	ds_load_b128 v[155:158], v130 offset:624
	s_waitcnt lgkmcnt(1)
	v_fma_f64 v[3:4], v[133:134], v[151:152], v[3:4]
	scratch_load_b128 v[131:134], off, off offset:184
	s_waitcnt vmcnt(4)
	v_fma_f64 v[3:4], v[135:136], v[153:154], v[3:4]
	s_waitcnt lgkmcnt(0)
	s_delay_alu instid0(VALU_DEP_1)
	v_fma_f64 v[3:4], v[137:138], v[155:156], v[3:4]
	scratch_load_b128 v[135:138], off, off offset:200
	s_waitcnt vmcnt(4)
	v_fma_f64 v[3:4], v[139:140], v[157:158], v[3:4]
	ds_load_b128 v[151:154], v130 offset:640
	ds_load_b128 v[155:158], v130 offset:656
	s_waitcnt lgkmcnt(1)
	v_fma_f64 v[3:4], v[141:142], v[151:152], v[3:4]
	scratch_load_b128 v[139:142], off, off offset:216
	s_waitcnt vmcnt(4)
	v_fma_f64 v[3:4], v[143:144], v[153:154], v[3:4]
	s_waitcnt lgkmcnt(0)
	s_delay_alu instid0(VALU_DEP_1)
	v_fma_f64 v[3:4], v[145:146], v[155:156], v[3:4]
	scratch_load_b128 v[143:146], off, off offset:232
	s_waitcnt vmcnt(4)
	;; [unrolled: 13-line block ×9, first 2 shown]
	v_fma_f64 v[3:4], v[143:144], v[157:158], v[3:4]
	ds_load_b128 v[151:154], v130 offset:896
	ds_load_b128 v[155:158], v130 offset:912
	s_waitcnt lgkmcnt(1)
	v_fma_f64 v[3:4], v[145:146], v[151:152], v[3:4]
	scratch_load_b128 v[143:146], off, off offset:472
	s_waitcnt vmcnt(4)
	v_fma_f64 v[3:4], v[147:148], v[153:154], v[3:4]
	s_waitcnt lgkmcnt(0)
	s_delay_alu instid0(VALU_DEP_1)
	v_fma_f64 v[3:4], v[149:150], v[155:156], v[3:4]
	scratch_load_b64 v[155:156], off, off offset:488
	ds_load_b128 v[147:150], v130 offset:928
	ds_load_b128 v[151:154], v130 offset:944
	s_waitcnt vmcnt(4)
	v_fma_f64 v[3:4], v[131:132], v[157:158], v[3:4]
	s_waitcnt lgkmcnt(1)
	s_delay_alu instid0(VALU_DEP_1) | instskip(SKIP_1) | instid1(VALU_DEP_1)
	v_fma_f64 v[3:4], v[133:134], v[147:148], v[3:4]
	s_waitcnt vmcnt(3)
	v_fma_f64 v[3:4], v[135:136], v[149:150], v[3:4]
	s_waitcnt lgkmcnt(0)
	s_delay_alu instid0(VALU_DEP_1)
	v_fma_f64 v[3:4], v[137:138], v[151:152], v[3:4]
	ds_load_b128 v[131:134], v130 offset:960
	ds_load_b128 v[135:138], v130 offset:976
	s_waitcnt vmcnt(2)
	v_fma_f64 v[3:4], v[139:140], v[153:154], v[3:4]
	s_waitcnt lgkmcnt(1)
	s_delay_alu instid0(VALU_DEP_1) | instskip(SKIP_1) | instid1(VALU_DEP_1)
	v_fma_f64 v[3:4], v[141:142], v[131:132], v[3:4]
	s_waitcnt vmcnt(1)
	v_fma_f64 v[3:4], v[143:144], v[133:134], v[3:4]
	s_waitcnt lgkmcnt(0)
	s_delay_alu instid0(VALU_DEP_1) | instskip(SKIP_1) | instid1(VALU_DEP_1)
	v_fma_f64 v[3:4], v[145:146], v[135:136], v[3:4]
	s_waitcnt vmcnt(0)
	v_fma_f64 v[3:4], v[155:156], v[137:138], v[3:4]
	s_delay_alu instid0(VALU_DEP_1)
	v_add_f64 v[1:2], v[1:2], -v[3:4]
	scratch_store_b64 off, v[1:2], off offset:8
	v_cmpx_ne_u32_e32 0, v0
	s_cbranch_execz .LBB125_381
; %bb.380:
	scratch_load_b64 v[0:1], off, off
	v_mov_b32_e32 v2, 0
	s_delay_alu instid0(VALU_DEP_1)
	v_mov_b32_e32 v3, v2
	scratch_store_b64 off, v[2:3], off
	s_waitcnt vmcnt(0)
	ds_store_b64 v5, v[0:1]
.LBB125_381:
	s_or_b32 exec_lo, exec_lo, s0
	s_waitcnt lgkmcnt(0)
	s_waitcnt_vscnt null, 0x0
	s_barrier
	buffer_gl0_inv
	s_clause 0x4
	scratch_load_b128 v[0:3], off, off
	scratch_load_b128 v[131:134], off, off offset:16
	scratch_load_b128 v[135:138], off, off offset:32
	;; [unrolled: 1-line block ×4, first 2 shown]
	v_mov_b32_e32 v130, 0
	ds_load_2addr_b64 v[147:150], v130 offset0:63 offset1:64
	ds_load_2addr_b64 v[151:154], v130 offset0:65 offset1:66
	s_and_b32 vcc_lo, exec_lo, s12
	s_waitcnt vmcnt(4) lgkmcnt(1)
	v_fma_f64 v[147:148], v[2:3], v[147:148], 0
	scratch_load_b128 v[2:5], off, off offset:80
	s_waitcnt vmcnt(4)
	v_fma_f64 v[131:132], v[131:132], v[149:150], v[147:148]
	s_waitcnt lgkmcnt(0)
	s_delay_alu instid0(VALU_DEP_1)
	v_fma_f64 v[147:148], v[133:134], v[151:152], v[131:132]
	scratch_load_b128 v[131:134], off, off offset:96
	s_waitcnt vmcnt(4)
	v_fma_f64 v[135:136], v[135:136], v[153:154], v[147:148]
	ds_load_2addr_b64 v[147:150], v130 offset0:67 offset1:68
	ds_load_2addr_b64 v[151:154], v130 offset0:69 offset1:70
	s_waitcnt lgkmcnt(1)
	v_fma_f64 v[147:148], v[137:138], v[147:148], v[135:136]
	scratch_load_b128 v[135:138], off, off offset:112
	s_waitcnt vmcnt(4)
	v_fma_f64 v[139:140], v[139:140], v[149:150], v[147:148]
	s_waitcnt lgkmcnt(0)
	s_delay_alu instid0(VALU_DEP_1)
	v_fma_f64 v[147:148], v[141:142], v[151:152], v[139:140]
	scratch_load_b128 v[139:142], off, off offset:128
	s_waitcnt vmcnt(4)
	v_fma_f64 v[143:144], v[143:144], v[153:154], v[147:148]
	ds_load_2addr_b64 v[147:150], v130 offset0:71 offset1:72
	ds_load_2addr_b64 v[151:154], v130 offset0:73 offset1:74
	s_waitcnt lgkmcnt(1)
	;; [unrolled: 13-line block ×13, first 2 shown]
	v_fma_f64 v[131:132], v[133:134], v[147:148], v[131:132]
	s_waitcnt vmcnt(3)
	s_delay_alu instid0(VALU_DEP_1) | instskip(SKIP_1) | instid1(VALU_DEP_1)
	v_fma_f64 v[131:132], v[135:136], v[149:150], v[131:132]
	s_waitcnt lgkmcnt(0)
	v_fma_f64 v[131:132], v[137:138], v[151:152], v[131:132]
	s_waitcnt vmcnt(2)
	s_delay_alu instid0(VALU_DEP_1)
	v_fma_f64 v[139:140], v[139:140], v[153:154], v[131:132]
	ds_load_2addr_b64 v[131:134], v130 offset0:119 offset1:120
	ds_load_2addr_b64 v[135:138], v130 offset0:121 offset1:122
	s_waitcnt lgkmcnt(1)
	v_fma_f64 v[131:132], v[141:142], v[131:132], v[139:140]
	s_waitcnt vmcnt(1)
	s_delay_alu instid0(VALU_DEP_1) | instskip(SKIP_4) | instid1(VALU_DEP_1)
	v_fma_f64 v[131:132], v[143:144], v[133:134], v[131:132]
	ds_load_b64 v[133:134], v130 offset:984
	s_waitcnt lgkmcnt(1)
	v_fma_f64 v[131:132], v[145:146], v[135:136], v[131:132]
	s_waitcnt vmcnt(0)
	v_fma_f64 v[131:132], v[2:3], v[137:138], v[131:132]
	s_waitcnt lgkmcnt(0)
	s_delay_alu instid0(VALU_DEP_1) | instskip(NEXT) | instid1(VALU_DEP_1)
	v_fma_f64 v[4:5], v[4:5], v[133:134], v[131:132]
	v_add_f64 v[0:1], v[0:1], -v[4:5]
	scratch_store_b64 off, v[0:1], off
	s_cbranch_vccz .LBB125_505
; %bb.382:
	v_dual_mov_b32 v0, s2 :: v_dual_mov_b32 v1, s3
	s_mov_b32 s0, exec_lo
	flat_load_b32 v0, v[0:1] offset:240
	s_waitcnt vmcnt(0) lgkmcnt(0)
	v_cmpx_ne_u32_e32 61, v0
	s_cbranch_execz .LBB125_384
; %bb.383:
	v_lshl_add_u32 v4, v0, 3, 0
	scratch_load_b64 v[0:1], v4, off offset:-8
	s_waitcnt vmcnt(0)
	scratch_store_b64 off, v[0:1], off offset:480
	scratch_store_b64 v4, v[2:3], off offset:-8
.LBB125_384:
	s_or_b32 exec_lo, exec_lo, s0
	v_dual_mov_b32 v0, s2 :: v_dual_mov_b32 v1, s3
	s_mov_b32 s0, exec_lo
	flat_load_b32 v0, v[0:1] offset:236
	s_waitcnt vmcnt(0) lgkmcnt(0)
	v_cmpx_ne_u32_e32 60, v0
	s_cbranch_execz .LBB125_386
; %bb.385:
	v_lshl_add_u32 v4, v0, 3, 0
	scratch_load_b64 v[0:1], v4, off offset:-8
	scratch_load_b64 v[2:3], off, off offset:472
	s_waitcnt vmcnt(1)
	scratch_store_b64 off, v[0:1], off offset:472
	s_waitcnt vmcnt(0)
	scratch_store_b64 v4, v[2:3], off offset:-8
.LBB125_386:
	s_or_b32 exec_lo, exec_lo, s0
	v_dual_mov_b32 v0, s2 :: v_dual_mov_b32 v1, s3
	s_mov_b32 s0, exec_lo
	flat_load_b32 v0, v[0:1] offset:232
	s_waitcnt vmcnt(0) lgkmcnt(0)
	v_cmpx_ne_u32_e32 59, v0
	s_cbranch_execz .LBB125_388
; %bb.387:
	v_lshl_add_u32 v4, v0, 3, 0
	scratch_load_b64 v[0:1], v4, off offset:-8
	scratch_load_b64 v[2:3], off, off offset:464
	s_waitcnt vmcnt(1)
	scratch_store_b64 off, v[0:1], off offset:464
	s_waitcnt vmcnt(0)
	scratch_store_b64 v4, v[2:3], off offset:-8
.LBB125_388:
	;; [unrolled: 16-line block ×59, first 2 shown]
	s_or_b32 exec_lo, exec_lo, s0
	v_dual_mov_b32 v0, s2 :: v_dual_mov_b32 v1, s3
	s_mov_b32 s0, exec_lo
	flat_load_b32 v2, v[0:1]
	scratch_load_b64 v[0:1], off, off
	s_waitcnt vmcnt(1) lgkmcnt(0)
	v_cmpx_ne_u32_e32 1, v2
	s_cbranch_execz .LBB125_504
; %bb.503:
	v_lshl_add_u32 v4, v2, 3, 0
	scratch_load_b64 v[2:3], v4, off offset:-8
	s_waitcnt vmcnt(0)
	scratch_store_b64 off, v[2:3], off
	scratch_store_b64 v4, v[0:1], off offset:-8
	scratch_load_b64 v[0:1], off, off
.LBB125_504:
	s_or_b32 exec_lo, exec_lo, s0
.LBB125_505:
	s_clause 0x9
	scratch_load_b128 v[2:5], off, off offset:8
	scratch_load_b128 v[130:133], off, off offset:24
	;; [unrolled: 1-line block ×10, first 2 shown]
	s_waitcnt vmcnt(10)
	global_store_b64 v[36:37], v[0:1], off
	s_clause 0x2
	scratch_load_b128 v[166:169], off, off offset:184
	scratch_load_b128 v[170:173], off, off offset:232
	;; [unrolled: 1-line block ×3, first 2 shown]
	s_waitcnt vmcnt(12)
	global_store_b64 v[30:31], v[2:3], off
	scratch_load_b128 v[0:3], off, off offset:168
	global_store_b64 v[26:27], v[4:5], off
	s_waitcnt vmcnt(12)
	global_store_b64 v[28:29], v[130:131], off
	scratch_load_b128 v[26:29], off, off offset:200
	global_store_b64 v[22:23], v[132:133], off
	s_waitcnt vmcnt(12)
	s_clause 0x1
	global_store_b64 v[16:17], v[134:135], off
	global_store_b64 v[24:25], v[136:137], off
	s_waitcnt vmcnt(11)
	s_clause 0x1
	global_store_b64 v[20:21], v[138:139], off
	;; [unrolled: 4-line block ×8, first 2 shown]
	global_store_b64 v[32:33], v[164:165], off
	s_clause 0xf
	scratch_load_b128 v[130:133], off, off offset:216
	scratch_load_b128 v[22:25], off, off offset:248
	scratch_load_b128 v[134:137], off, off offset:264
	scratch_load_b128 v[138:141], off, off offset:280
	scratch_load_b128 v[16:19], off, off offset:312
	scratch_load_b128 v[8:11], off, off offset:328
	scratch_load_b128 v[142:145], off, off offset:344
	scratch_load_b128 v[56:59], off, off offset:360
	scratch_load_b128 v[146:149], off, off offset:376
	scratch_load_b128 v[150:153], off, off offset:392
	scratch_load_b128 v[154:157], off, off offset:408
	scratch_load_b128 v[36:39], off, off offset:424
	scratch_load_b128 v[158:161], off, off offset:440
	scratch_load_b128 v[40:43], off, off offset:456
	scratch_load_b128 v[30:33], off, off offset:472
	scratch_load_b64 v[4:5], off, off offset:488
	s_waitcnt vmcnt(17)
	s_clause 0x3
	global_store_b64 v[14:15], v[0:1], off
	global_store_b64 v[34:35], v[2:3], off
	;; [unrolled: 1-line block ×4, first 2 shown]
	s_waitcnt vmcnt(16)
	s_clause 0x1
	global_store_b64 v[52:53], v[26:27], off
	global_store_b64 v[60:61], v[28:29], off
	s_waitcnt vmcnt(15)
	s_clause 0x3
	global_store_b64 v[62:63], v[130:131], off
	global_store_b64 v[64:65], v[132:133], off
	;; [unrolled: 1-line block ×4, first 2 shown]
	s_waitcnt vmcnt(14)
	s_clause 0x1
	global_store_b64 v[70:71], v[22:23], off
	global_store_b64 v[72:73], v[24:25], off
	s_waitcnt vmcnt(13)
	s_clause 0x1
	global_store_b64 v[74:75], v[134:135], off
	global_store_b64 v[76:77], v[136:137], off
	;; [unrolled: 4-line block ×3, first 2 shown]
	global_store_b64 v[82:83], v[174:175], off
	global_store_b64 v[84:85], v[176:177], off
	s_waitcnt vmcnt(11)
	s_clause 0x1
	global_store_b64 v[86:87], v[16:17], off
	global_store_b64 v[88:89], v[18:19], off
	s_waitcnt vmcnt(10)
	s_clause 0x1
	;; [unrolled: 4-line block ×11, first 2 shown]
	global_store_b64 v[126:127], v[30:31], off
	global_store_b64 v[128:129], v[32:33], off
	s_waitcnt vmcnt(0)
	global_store_b64 v[6:7], v[4:5], off
	s_endpgm
	.section	.rodata,"a",@progbits
	.p2align	6, 0x0
	.amdhsa_kernel _ZN9rocsolver6v33100L18getri_kernel_smallILi62EdPKPdEEvT1_iilPiilS6_bb
		.amdhsa_group_segment_fixed_size 1000
		.amdhsa_private_segment_fixed_size 512
		.amdhsa_kernarg_size 60
		.amdhsa_user_sgpr_count 15
		.amdhsa_user_sgpr_dispatch_ptr 0
		.amdhsa_user_sgpr_queue_ptr 0
		.amdhsa_user_sgpr_kernarg_segment_ptr 1
		.amdhsa_user_sgpr_dispatch_id 0
		.amdhsa_user_sgpr_private_segment_size 0
		.amdhsa_wavefront_size32 1
		.amdhsa_uses_dynamic_stack 0
		.amdhsa_enable_private_segment 1
		.amdhsa_system_sgpr_workgroup_id_x 1
		.amdhsa_system_sgpr_workgroup_id_y 0
		.amdhsa_system_sgpr_workgroup_id_z 0
		.amdhsa_system_sgpr_workgroup_info 0
		.amdhsa_system_vgpr_workitem_id 0
		.amdhsa_next_free_vgpr 180
		.amdhsa_next_free_sgpr 17
		.amdhsa_reserve_vcc 1
		.amdhsa_float_round_mode_32 0
		.amdhsa_float_round_mode_16_64 0
		.amdhsa_float_denorm_mode_32 3
		.amdhsa_float_denorm_mode_16_64 3
		.amdhsa_dx10_clamp 1
		.amdhsa_ieee_mode 1
		.amdhsa_fp16_overflow 0
		.amdhsa_workgroup_processor_mode 1
		.amdhsa_memory_ordered 1
		.amdhsa_forward_progress 0
		.amdhsa_shared_vgpr_count 0
		.amdhsa_exception_fp_ieee_invalid_op 0
		.amdhsa_exception_fp_denorm_src 0
		.amdhsa_exception_fp_ieee_div_zero 0
		.amdhsa_exception_fp_ieee_overflow 0
		.amdhsa_exception_fp_ieee_underflow 0
		.amdhsa_exception_fp_ieee_inexact 0
		.amdhsa_exception_int_div_zero 0
	.end_amdhsa_kernel
	.section	.text._ZN9rocsolver6v33100L18getri_kernel_smallILi62EdPKPdEEvT1_iilPiilS6_bb,"axG",@progbits,_ZN9rocsolver6v33100L18getri_kernel_smallILi62EdPKPdEEvT1_iilPiilS6_bb,comdat
.Lfunc_end125:
	.size	_ZN9rocsolver6v33100L18getri_kernel_smallILi62EdPKPdEEvT1_iilPiilS6_bb, .Lfunc_end125-_ZN9rocsolver6v33100L18getri_kernel_smallILi62EdPKPdEEvT1_iilPiilS6_bb
                                        ; -- End function
	.section	.AMDGPU.csdata,"",@progbits
; Kernel info:
; codeLenInByte = 67584
; NumSgprs: 19
; NumVgprs: 180
; ScratchSize: 512
; MemoryBound: 0
; FloatMode: 240
; IeeeMode: 1
; LDSByteSize: 1000 bytes/workgroup (compile time only)
; SGPRBlocks: 2
; VGPRBlocks: 22
; NumSGPRsForWavesPerEU: 19
; NumVGPRsForWavesPerEU: 180
; Occupancy: 8
; WaveLimiterHint : 1
; COMPUTE_PGM_RSRC2:SCRATCH_EN: 1
; COMPUTE_PGM_RSRC2:USER_SGPR: 15
; COMPUTE_PGM_RSRC2:TRAP_HANDLER: 0
; COMPUTE_PGM_RSRC2:TGID_X_EN: 1
; COMPUTE_PGM_RSRC2:TGID_Y_EN: 0
; COMPUTE_PGM_RSRC2:TGID_Z_EN: 0
; COMPUTE_PGM_RSRC2:TIDIG_COMP_CNT: 0
	.section	.text._ZN9rocsolver6v33100L18getri_kernel_smallILi63EdPKPdEEvT1_iilPiilS6_bb,"axG",@progbits,_ZN9rocsolver6v33100L18getri_kernel_smallILi63EdPKPdEEvT1_iilPiilS6_bb,comdat
	.globl	_ZN9rocsolver6v33100L18getri_kernel_smallILi63EdPKPdEEvT1_iilPiilS6_bb ; -- Begin function _ZN9rocsolver6v33100L18getri_kernel_smallILi63EdPKPdEEvT1_iilPiilS6_bb
	.p2align	8
	.type	_ZN9rocsolver6v33100L18getri_kernel_smallILi63EdPKPdEEvT1_iilPiilS6_bb,@function
_ZN9rocsolver6v33100L18getri_kernel_smallILi63EdPKPdEEvT1_iilPiilS6_bb: ; @_ZN9rocsolver6v33100L18getri_kernel_smallILi63EdPKPdEEvT1_iilPiilS6_bb
; %bb.0:
	s_mov_b32 s2, exec_lo
	v_cmpx_gt_u32_e32 63, v0
	s_cbranch_execz .LBB126_262
; %bb.1:
	s_clause 0x1
	s_load_b32 s13, s[0:1], 0x38
	s_load_b64 s[2:3], s[0:1], 0x0
	s_mov_b32 s8, s15
	s_load_b128 s[4:7], s[0:1], 0x28
	s_waitcnt lgkmcnt(0)
	s_bitcmp1_b32 s13, 8
	s_cselect_b32 s12, -1, 0
	s_ashr_i32 s9, s15, 31
	s_delay_alu instid0(SALU_CYCLE_1) | instskip(NEXT) | instid1(SALU_CYCLE_1)
	s_lshl_b64 s[10:11], s[8:9], 3
	s_add_u32 s2, s2, s10
	s_addc_u32 s3, s3, s11
	s_load_b64 s[10:11], s[2:3], 0x0
	s_bfe_u32 s2, s13, 0x10008
	s_delay_alu instid0(SALU_CYCLE_1)
	s_cmp_eq_u32 s2, 0
                                        ; implicit-def: $sgpr2_sgpr3
	s_cbranch_scc1 .LBB126_3
; %bb.2:
	s_clause 0x1
	s_load_b32 s2, s[0:1], 0x20
	s_load_b64 s[14:15], s[0:1], 0x18
	s_mul_i32 s3, s8, s5
	s_mul_hi_u32 s5, s8, s4
	s_mul_i32 s16, s9, s4
	s_add_i32 s3, s5, s3
	s_mul_i32 s4, s8, s4
	s_add_i32 s5, s3, s16
	s_delay_alu instid0(SALU_CYCLE_1)
	s_lshl_b64 s[4:5], s[4:5], 2
	s_waitcnt lgkmcnt(0)
	s_ashr_i32 s3, s2, 31
	s_add_u32 s4, s14, s4
	s_addc_u32 s5, s15, s5
	s_lshl_b64 s[2:3], s[2:3], 2
	s_delay_alu instid0(SALU_CYCLE_1)
	s_add_u32 s2, s4, s2
	s_addc_u32 s3, s5, s3
.LBB126_3:
	s_load_b64 s[0:1], s[0:1], 0x8
	v_lshlrev_b32_e32 v3, 3, v0
	s_waitcnt lgkmcnt(0)
	v_add3_u32 v1, s1, s1, v0
	s_ashr_i32 s5, s0, 31
	s_mov_b32 s4, s0
	s_mov_b32 s14, s1
	s_lshl_b64 s[4:5], s[4:5], 3
	v_add_nc_u32_e32 v4, s1, v1
	v_ashrrev_i32_e32 v2, 31, v1
	s_add_u32 s4, s10, s4
	s_addc_u32 s5, s11, s5
	v_add_co_u32 v34, s0, s4, v3
	v_add_nc_u32_e32 v6, s1, v4
	s_ashr_i32 s15, s1, 31
	v_add_co_ci_u32_e64 v35, null, s5, 0, s0
	v_ashrrev_i32_e32 v5, 31, v4
	s_delay_alu instid0(VALU_DEP_3)
	v_add_nc_u32_e32 v8, s1, v6
	v_lshlrev_b64 v[1:2], 3, v[1:2]
	s_lshl_b64 s[10:11], s[14:15], 3
	v_ashrrev_i32_e32 v7, 31, v6
	v_add_co_u32 v28, vcc_lo, v34, s10
	v_add_nc_u32_e32 v10, s1, v8
	v_add_co_ci_u32_e32 v29, vcc_lo, s11, v35, vcc_lo
	v_lshlrev_b64 v[4:5], 3, v[4:5]
	v_add_co_u32 v38, vcc_lo, s4, v1
	s_delay_alu instid0(VALU_DEP_4) | instskip(SKIP_3) | instid1(VALU_DEP_4)
	v_add_nc_u32_e32 v12, s1, v10
	v_add_co_ci_u32_e32 v39, vcc_lo, s5, v2, vcc_lo
	v_lshlrev_b64 v[1:2], 3, v[6:7]
	v_ashrrev_i32_e32 v9, 31, v8
	v_add_nc_u32_e32 v14, s1, v12
	s_clause 0x1
	global_load_b64 v[40:41], v3, s[4:5]
	global_load_b64 v[42:43], v[28:29], off
	v_add_co_u32 v26, vcc_lo, s4, v4
	v_ashrrev_i32_e32 v11, 31, v10
	v_add_nc_u32_e32 v6, s1, v14
	v_add_co_ci_u32_e32 v27, vcc_lo, s5, v5, vcc_lo
	v_lshlrev_b64 v[4:5], 3, v[8:9]
	v_add_co_u32 v32, vcc_lo, s4, v1
	v_add_co_ci_u32_e32 v33, vcc_lo, s5, v2, vcc_lo
	v_lshlrev_b64 v[1:2], 3, v[10:11]
	v_ashrrev_i32_e32 v13, 31, v12
	v_add_nc_u32_e32 v8, s1, v6
	v_add_co_u32 v16, vcc_lo, s4, v4
	v_ashrrev_i32_e32 v15, 31, v14
	v_add_co_ci_u32_e32 v17, vcc_lo, s5, v5, vcc_lo
	v_lshlrev_b64 v[9:10], 3, v[12:13]
	v_add_co_u32 v30, vcc_lo, s4, v1
	v_add_nc_u32_e32 v22, s1, v8
	v_add_co_ci_u32_e32 v31, vcc_lo, s5, v2, vcc_lo
	v_lshlrev_b64 v[1:2], 3, v[14:15]
	v_ashrrev_i32_e32 v7, 31, v6
	v_add_co_u32 v18, vcc_lo, s4, v9
	v_ashrrev_i32_e32 v9, 31, v8
	v_add_nc_u32_e32 v4, s1, v22
	v_add_co_ci_u32_e32 v19, vcc_lo, s5, v10, vcc_lo
	v_lshlrev_b64 v[5:6], 3, v[6:7]
	v_add_co_u32 v20, vcc_lo, s4, v1
	v_ashrrev_i32_e32 v23, 31, v22
	v_add_co_ci_u32_e32 v21, vcc_lo, s5, v2, vcc_lo
	v_lshlrev_b64 v[1:2], 3, v[8:9]
	v_add_nc_u32_e32 v24, s1, v4
	v_add_co_u32 v10, vcc_lo, s4, v5
	v_lshlrev_b64 v[7:8], 3, v[22:23]
	v_ashrrev_i32_e32 v5, 31, v4
	v_add_co_ci_u32_e32 v11, vcc_lo, s5, v6, vcc_lo
	v_add_co_u32 v22, vcc_lo, s4, v1
	v_ashrrev_i32_e32 v25, 31, v24
	v_add_co_ci_u32_e32 v23, vcc_lo, s5, v2, vcc_lo
	v_lshlrev_b64 v[1:2], 3, v[4:5]
	s_clause 0x2
	global_load_b64 v[60:61], v[38:39], off
	global_load_b64 v[62:63], v[26:27], off
	;; [unrolled: 1-line block ×3, first 2 shown]
	v_add_co_u32 v12, vcc_lo, s4, v7
	global_load_b64 v[66:67], v[16:17], off
	v_add_co_ci_u32_e32 v13, vcc_lo, s5, v8, vcc_lo
	v_lshlrev_b64 v[8:9], 3, v[24:25]
	v_add_co_u32 v14, vcc_lo, s4, v1
	v_add_co_ci_u32_e32 v15, vcc_lo, s5, v2, vcc_lo
	s_clause 0x2
	global_load_b64 v[68:69], v[30:31], off
	global_load_b64 v[70:71], v[18:19], off
	;; [unrolled: 1-line block ×3, first 2 shown]
	v_add_co_u32 v8, vcc_lo, s4, v8
	v_add_co_ci_u32_e32 v9, vcc_lo, s5, v9, vcc_lo
	s_clause 0x3
	global_load_b64 v[74:75], v[10:11], off
	global_load_b64 v[76:77], v[22:23], off
	global_load_b64 v[78:79], v[12:13], off
	global_load_b64 v[80:81], v[14:15], off
	v_add_nc_u32_e32 v36, s1, v24
	global_load_b64 v[82:83], v[8:9], off
	s_bitcmp0_b32 s13, 0
	v_add_nc_u32_e32 v44, s1, v36
	v_ashrrev_i32_e32 v37, 31, v36
	s_delay_alu instid0(VALU_DEP_2) | instskip(SKIP_1) | instid1(VALU_DEP_3)
	v_add_nc_u32_e32 v46, s1, v44
	v_ashrrev_i32_e32 v45, 31, v44
	v_lshlrev_b64 v[36:37], 3, v[36:37]
	s_delay_alu instid0(VALU_DEP_3) | instskip(NEXT) | instid1(VALU_DEP_3)
	v_add_nc_u32_e32 v6, s1, v46
	v_lshlrev_b64 v[44:45], 3, v[44:45]
	v_ashrrev_i32_e32 v47, 31, v46
	s_delay_alu instid0(VALU_DEP_4) | instskip(NEXT) | instid1(VALU_DEP_4)
	v_add_co_u32 v58, vcc_lo, s4, v36
	v_add_nc_u32_e32 v48, s1, v6
	v_ashrrev_i32_e32 v7, 31, v6
	v_add_co_ci_u32_e32 v59, vcc_lo, s5, v37, vcc_lo
	v_lshlrev_b64 v[36:37], 3, v[46:47]
	s_delay_alu instid0(VALU_DEP_4) | instskip(SKIP_2) | instid1(VALU_DEP_3)
	v_add_nc_u32_e32 v4, s1, v48
	v_add_co_u32 v50, vcc_lo, s4, v44
	v_add_co_ci_u32_e32 v51, vcc_lo, s5, v45, vcc_lo
	v_add_nc_u32_e32 v24, s1, v4
	v_lshlrev_b64 v[44:45], 3, v[6:7]
	v_ashrrev_i32_e32 v49, 31, v48
	v_ashrrev_i32_e32 v5, 31, v4
	s_delay_alu instid0(VALU_DEP_4) | instskip(SKIP_1) | instid1(VALU_DEP_4)
	v_add_nc_u32_e32 v1, s1, v24
	v_ashrrev_i32_e32 v25, 31, v24
	v_lshlrev_b64 v[46:47], 3, v[48:49]
	s_delay_alu instid0(VALU_DEP_4) | instskip(NEXT) | instid1(VALU_DEP_4)
	v_lshlrev_b64 v[4:5], 3, v[4:5]
	v_add_nc_u32_e32 v52, s1, v1
	v_ashrrev_i32_e32 v2, 31, v1
	v_lshlrev_b64 v[24:25], 3, v[24:25]
	s_delay_alu instid0(VALU_DEP_3) | instskip(NEXT) | instid1(VALU_DEP_3)
	v_add_nc_u32_e32 v100, s1, v52
	v_lshlrev_b64 v[1:2], 3, v[1:2]
	s_delay_alu instid0(VALU_DEP_2) | instskip(SKIP_1) | instid1(VALU_DEP_2)
	v_add_nc_u32_e32 v102, s1, v100
	v_ashrrev_i32_e32 v101, 31, v100
	v_add_nc_u32_e32 v104, s1, v102
	v_ashrrev_i32_e32 v103, 31, v102
	s_delay_alu instid0(VALU_DEP_2) | instskip(SKIP_1) | instid1(VALU_DEP_2)
	v_add_nc_u32_e32 v108, s1, v104
	v_ashrrev_i32_e32 v105, 31, v104
	v_add_nc_u32_e32 v110, s1, v108
	v_ashrrev_i32_e32 v109, 31, v108
	;; [unrolled: 5-line block ×19, first 2 shown]
	s_delay_alu instid0(VALU_DEP_2) | instskip(SKIP_2) | instid1(VALU_DEP_2)
	v_add_nc_u32_e32 v53, s1, v178
	v_ashrrev_i32_e32 v179, 31, v178
	s_mov_b32 s1, -1
	v_ashrrev_i32_e32 v54, 31, v53
	s_waitcnt vmcnt(12)
	scratch_store_b128 off, v[40:43], off
	v_lshlrev_b64 v[6:7], 3, v[53:54]
	v_add_co_u32 v54, vcc_lo, s4, v36
	v_add_co_ci_u32_e32 v55, vcc_lo, s5, v37, vcc_lo
	v_ashrrev_i32_e32 v53, 31, v52
	s_delay_alu instid0(VALU_DEP_4)
	v_add_co_u32 v6, vcc_lo, s4, v6
	v_add_co_ci_u32_e32 v7, vcc_lo, s5, v7, vcc_lo
	v_add_co_u32 v36, vcc_lo, s4, v44
	v_add_co_ci_u32_e32 v37, vcc_lo, s5, v45, vcc_lo
	global_load_b64 v[180:181], v[6:7], off
	v_add_co_u32 v56, vcc_lo, s4, v46
	v_add_co_ci_u32_e32 v57, vcc_lo, s5, v47, vcc_lo
	v_add_co_u32 v40, vcc_lo, s4, v4
	v_add_co_ci_u32_e32 v41, vcc_lo, s5, v5, vcc_lo
	;; [unrolled: 2-line block ×3, first 2 shown]
	v_lshlrev_b64 v[4:5], 3, v[52:53]
	v_add_co_u32 v24, vcc_lo, s4, v1
	v_add_co_ci_u32_e32 v25, vcc_lo, s5, v2, vcc_lo
	v_lshlrev_b64 v[1:2], 3, v[100:101]
	s_delay_alu instid0(VALU_DEP_4) | instskip(SKIP_2) | instid1(VALU_DEP_4)
	v_add_co_u32 v44, vcc_lo, s4, v4
	v_add_co_ci_u32_e32 v45, vcc_lo, s5, v5, vcc_lo
	v_lshlrev_b64 v[4:5], 3, v[102:103]
	v_add_co_u32 v42, vcc_lo, s4, v1
	s_clause 0x3
	global_load_b64 v[84:85], v[58:59], off
	global_load_b64 v[86:87], v[50:51], off
	;; [unrolled: 1-line block ×4, first 2 shown]
	v_add_co_ci_u32_e32 v43, vcc_lo, s5, v2, vcc_lo
	v_lshlrev_b64 v[1:2], 3, v[104:105]
	v_add_co_u32 v48, vcc_lo, s4, v4
	v_add_co_ci_u32_e32 v49, vcc_lo, s5, v5, vcc_lo
	v_lshlrev_b64 v[4:5], 3, v[110:111]
	s_delay_alu instid0(VALU_DEP_4)
	v_add_co_u32 v52, vcc_lo, s4, v1
	v_add_co_ci_u32_e32 v53, vcc_lo, s5, v2, vcc_lo
	v_lshlrev_b64 v[1:2], 3, v[108:109]
	s_waitcnt vmcnt(15)
	scratch_store_b128 off, v[60:63], off offset:16
	s_waitcnt vmcnt(13)
	scratch_store_b128 off, v[64:67], off offset:32
	s_clause 0x3
	global_load_b64 v[92:93], v[56:57], off
	global_load_b64 v[94:95], v[40:41], off
	;; [unrolled: 1-line block ×4, first 2 shown]
	s_waitcnt vmcnt(15)
	scratch_store_b128 off, v[68:71], off offset:48
	s_waitcnt vmcnt(13)
	scratch_store_b128 off, v[72:75], off offset:64
	v_add_co_u32 v60, vcc_lo, s4, v1
	v_add_co_ci_u32_e32 v61, vcc_lo, s5, v2, vcc_lo
	v_lshlrev_b64 v[1:2], 3, v[112:113]
	v_add_co_u32 v62, vcc_lo, s4, v4
	v_add_co_ci_u32_e32 v63, vcc_lo, s5, v5, vcc_lo
	v_lshlrev_b64 v[4:5], 3, v[114:115]
	s_delay_alu instid0(VALU_DEP_4)
	v_add_co_u32 v64, vcc_lo, s4, v1
	v_add_co_ci_u32_e32 v65, vcc_lo, s5, v2, vcc_lo
	s_clause 0x3
	global_load_b64 v[100:101], v[44:45], off
	global_load_b64 v[102:103], v[42:43], off
	;; [unrolled: 1-line block ×4, first 2 shown]
	v_add_co_u32 v66, vcc_lo, s4, v4
	v_add_co_ci_u32_e32 v67, vcc_lo, s5, v5, vcc_lo
	s_waitcnt vmcnt(15)
	scratch_store_b128 off, v[76:79], off offset:80
	s_waitcnt vmcnt(13)
	scratch_store_b128 off, v[80:83], off offset:96
	s_clause 0x3
	global_load_b64 v[108:109], v[60:61], off
	global_load_b64 v[110:111], v[62:63], off
	;; [unrolled: 1-line block ×4, first 2 shown]
	v_lshlrev_b64 v[1:2], 3, v[116:117]
	v_lshlrev_b64 v[4:5], 3, v[118:119]
	s_waitcnt vmcnt(14)
	scratch_store_b128 off, v[84:87], off offset:112
	s_waitcnt vmcnt(12)
	scratch_store_b128 off, v[88:91], off offset:128
	v_add_co_u32 v68, vcc_lo, s4, v1
	v_add_co_ci_u32_e32 v69, vcc_lo, s5, v2, vcc_lo
	v_lshlrev_b64 v[1:2], 3, v[120:121]
	v_add_co_u32 v70, vcc_lo, s4, v4
	v_add_co_ci_u32_e32 v71, vcc_lo, s5, v5, vcc_lo
	v_lshlrev_b64 v[4:5], 3, v[122:123]
	s_delay_alu instid0(VALU_DEP_4) | instskip(SKIP_2) | instid1(VALU_DEP_4)
	v_add_co_u32 v72, vcc_lo, s4, v1
	v_add_co_ci_u32_e32 v73, vcc_lo, s5, v2, vcc_lo
	v_lshlrev_b64 v[1:2], 3, v[124:125]
	v_add_co_u32 v74, vcc_lo, s4, v4
	v_add_co_ci_u32_e32 v75, vcc_lo, s5, v5, vcc_lo
	v_lshlrev_b64 v[4:5], 3, v[126:127]
	s_delay_alu instid0(VALU_DEP_4) | instskip(SKIP_2) | instid1(VALU_DEP_4)
	;; [unrolled: 7-line block ×3, first 2 shown]
	v_add_co_u32 v80, vcc_lo, s4, v1
	v_add_co_ci_u32_e32 v81, vcc_lo, s5, v2, vcc_lo
	v_lshlrev_b64 v[1:2], 3, v[132:133]
	v_add_co_u32 v82, vcc_lo, s4, v4
	v_add_co_ci_u32_e32 v83, vcc_lo, s5, v5, vcc_lo
	v_lshlrev_b64 v[4:5], 3, v[134:135]
	s_delay_alu instid0(VALU_DEP_4)
	v_add_co_u32 v84, vcc_lo, s4, v1
	s_clause 0x2
	global_load_b64 v[116:117], v[68:69], off
	global_load_b64 v[118:119], v[70:71], off
	;; [unrolled: 1-line block ×3, first 2 shown]
	v_add_co_ci_u32_e32 v85, vcc_lo, s5, v2, vcc_lo
	v_lshlrev_b64 v[1:2], 3, v[136:137]
	global_load_b64 v[122:123], v[74:75], off
	v_add_co_u32 v86, vcc_lo, s4, v4
	v_add_co_ci_u32_e32 v87, vcc_lo, s5, v5, vcc_lo
	v_lshlrev_b64 v[4:5], 3, v[138:139]
	v_add_co_u32 v88, vcc_lo, s4, v1
	v_add_co_ci_u32_e32 v89, vcc_lo, s5, v2, vcc_lo
	v_lshlrev_b64 v[1:2], 3, v[140:141]
	s_delay_alu instid0(VALU_DEP_4)
	v_add_co_u32 v90, vcc_lo, s4, v4
	v_add_co_ci_u32_e32 v91, vcc_lo, s5, v5, vcc_lo
	v_lshlrev_b64 v[4:5], 3, v[142:143]
	s_waitcnt vmcnt(14)
	scratch_store_b128 off, v[92:95], off offset:144
	s_waitcnt vmcnt(12)
	scratch_store_b128 off, v[96:99], off offset:160
	v_add_co_u32 v92, vcc_lo, s4, v1
	s_clause 0x3
	global_load_b64 v[124:125], v[76:77], off
	global_load_b64 v[126:127], v[78:79], off
	;; [unrolled: 1-line block ×4, first 2 shown]
	v_add_co_ci_u32_e32 v93, vcc_lo, s5, v2, vcc_lo
	v_lshlrev_b64 v[1:2], 3, v[144:145]
	v_add_co_u32 v94, vcc_lo, s4, v4
	v_add_co_ci_u32_e32 v95, vcc_lo, s5, v5, vcc_lo
	v_lshlrev_b64 v[4:5], 3, v[146:147]
	s_delay_alu instid0(VALU_DEP_4)
	v_add_co_u32 v96, vcc_lo, s4, v1
	v_add_co_ci_u32_e32 v97, vcc_lo, s5, v2, vcc_lo
	s_waitcnt vmcnt(14)
	scratch_store_b128 off, v[100:103], off offset:176
	s_waitcnt vmcnt(12)
	scratch_store_b128 off, v[104:107], off offset:192
	v_add_co_u32 v98, vcc_lo, s4, v4
	v_add_co_ci_u32_e32 v99, vcc_lo, s5, v5, vcc_lo
	s_clause 0x3
	global_load_b64 v[132:133], v[84:85], off
	global_load_b64 v[134:135], v[86:87], off
	;; [unrolled: 1-line block ×4, first 2 shown]
	s_waitcnt vmcnt(14)
	scratch_store_b128 off, v[108:111], off offset:208
	s_waitcnt vmcnt(12)
	scratch_store_b128 off, v[112:115], off offset:224
	s_clause 0x3
	global_load_b64 v[140:141], v[92:93], off
	global_load_b64 v[142:143], v[94:95], off
	;; [unrolled: 1-line block ×4, first 2 shown]
	v_lshlrev_b64 v[1:2], 3, v[148:149]
	v_lshlrev_b64 v[4:5], 3, v[150:151]
	s_waitcnt vmcnt(14)
	scratch_store_b128 off, v[116:119], off offset:240
	s_waitcnt vmcnt(12)
	scratch_store_b128 off, v[120:123], off offset:256
	v_add_co_u32 v100, vcc_lo, s4, v1
	v_add_co_ci_u32_e32 v101, vcc_lo, s5, v2, vcc_lo
	v_lshlrev_b64 v[1:2], 3, v[152:153]
	v_add_co_u32 v102, vcc_lo, s4, v4
	v_add_co_ci_u32_e32 v103, vcc_lo, s5, v5, vcc_lo
	v_lshlrev_b64 v[4:5], 3, v[154:155]
	s_delay_alu instid0(VALU_DEP_4) | instskip(SKIP_2) | instid1(VALU_DEP_4)
	v_add_co_u32 v104, vcc_lo, s4, v1
	v_add_co_ci_u32_e32 v105, vcc_lo, s5, v2, vcc_lo
	v_lshlrev_b64 v[1:2], 3, v[156:157]
	v_add_co_u32 v106, vcc_lo, s4, v4
	v_add_co_ci_u32_e32 v107, vcc_lo, s5, v5, vcc_lo
	v_lshlrev_b64 v[4:5], 3, v[158:159]
	s_delay_alu instid0(VALU_DEP_4) | instskip(SKIP_2) | instid1(VALU_DEP_4)
	;; [unrolled: 7-line block ×5, first 2 shown]
	v_add_co_u32 v120, vcc_lo, s4, v1
	v_add_co_ci_u32_e32 v121, vcc_lo, s5, v2, vcc_lo
	v_lshlrev_b64 v[1:2], 3, v[172:173]
	v_add_co_u32 v122, vcc_lo, s4, v4
	v_add_co_ci_u32_e32 v123, vcc_lo, s5, v5, vcc_lo
	v_lshlrev_b64 v[4:5], 3, v[174:175]
	s_clause 0x2
	global_load_b64 v[148:149], v[100:101], off
	global_load_b64 v[150:151], v[102:103], off
	;; [unrolled: 1-line block ×3, first 2 shown]
	s_waitcnt vmcnt(13)
	scratch_store_b128 off, v[124:127], off offset:272
	s_waitcnt vmcnt(11)
	scratch_store_b128 off, v[128:131], off offset:288
	v_add_co_u32 v124, vcc_lo, s4, v1
	v_add_co_ci_u32_e32 v125, vcc_lo, s5, v2, vcc_lo
	v_lshlrev_b64 v[1:2], 3, v[176:177]
	v_add_co_u32 v128, vcc_lo, s4, v4
	v_add_co_ci_u32_e32 v129, vcc_lo, s5, v5, vcc_lo
	v_lshlrev_b64 v[4:5], 3, v[178:179]
	s_delay_alu instid0(VALU_DEP_4)
	v_add_co_u32 v130, vcc_lo, s4, v1
	v_add_co_ci_u32_e32 v131, vcc_lo, s5, v2, vcc_lo
	s_clause 0x3
	global_load_b64 v[154:155], v[106:107], off
	global_load_b64 v[156:157], v[108:109], off
	;; [unrolled: 1-line block ×4, first 2 shown]
	v_add_co_u32 v126, vcc_lo, s4, v4
	s_waitcnt vmcnt(13)
	scratch_store_b128 off, v[132:135], off offset:304
	s_waitcnt vmcnt(11)
	scratch_store_b128 off, v[136:139], off offset:320
	s_clause 0x3
	global_load_b64 v[162:163], v[114:115], off
	global_load_b64 v[132:133], v[116:117], off
	global_load_b64 v[134:135], v[118:119], off
	global_load_b64 v[136:137], v[120:121], off
	v_add_co_ci_u32_e32 v127, vcc_lo, s5, v5, vcc_lo
	s_waitcnt vmcnt(13)
	scratch_store_b128 off, v[140:143], off offset:336
	s_waitcnt vmcnt(11)
	scratch_store_b128 off, v[144:147], off offset:352
	s_clause 0x4
	global_load_b64 v[138:139], v[122:123], off
	global_load_b64 v[140:141], v[124:125], off
	;; [unrolled: 1-line block ×5, first 2 shown]
	s_waitcnt vmcnt(14)
	scratch_store_b128 off, v[148:151], off offset:368
	s_waitcnt vmcnt(12)
	scratch_store_b128 off, v[152:155], off offset:384
	;; [unrolled: 2-line block ×7, first 2 shown]
	s_waitcnt vmcnt(0)
	s_clause 0x1
	scratch_store_b128 off, v[144:147], off offset:480
	scratch_store_b64 off, v[180:181], off offset:496
	s_cbranch_scc1 .LBB126_260
; %bb.4:
	v_cmp_eq_u32_e64 s0, 0, v0
	s_delay_alu instid0(VALU_DEP_1)
	s_and_saveexec_b32 s1, s0
	s_cbranch_execz .LBB126_6
; %bb.5:
	v_mov_b32_e32 v1, 0
	ds_store_b32 v1, v1 offset:504
.LBB126_6:
	s_or_b32 exec_lo, exec_lo, s1
	s_waitcnt lgkmcnt(0)
	s_waitcnt_vscnt null, 0x0
	s_barrier
	buffer_gl0_inv
	scratch_load_b64 v[1:2], v3, off
	s_mov_b32 s4, exec_lo
	s_waitcnt vmcnt(0)
	v_cmpx_eq_f64_e32 0, v[1:2]
	s_cbranch_execz .LBB126_10
; %bb.7:
	v_mov_b32_e32 v1, 0
	s_mov_b32 s5, 0
	ds_load_b32 v2, v1 offset:504
	s_waitcnt lgkmcnt(0)
	v_readfirstlane_b32 s1, v2
	v_add_nc_u32_e32 v2, 1, v0
	s_delay_alu instid0(VALU_DEP_2) | instskip(NEXT) | instid1(VALU_DEP_1)
	s_cmp_eq_u32 s1, 0
	v_cmp_gt_i32_e32 vcc_lo, s1, v2
	s_cselect_b32 s10, -1, 0
	s_delay_alu instid0(SALU_CYCLE_1) | instskip(NEXT) | instid1(SALU_CYCLE_1)
	s_or_b32 s10, s10, vcc_lo
	s_and_b32 exec_lo, exec_lo, s10
	s_cbranch_execz .LBB126_10
; %bb.8:
	v_mov_b32_e32 v4, s1
.LBB126_9:                              ; =>This Inner Loop Header: Depth=1
	ds_cmpstore_rtn_b32 v4, v1, v2, v4 offset:504
	s_waitcnt lgkmcnt(0)
	v_cmp_ne_u32_e32 vcc_lo, 0, v4
	v_cmp_le_i32_e64 s1, v4, v2
	s_delay_alu instid0(VALU_DEP_1) | instskip(NEXT) | instid1(SALU_CYCLE_1)
	s_and_b32 s1, vcc_lo, s1
	s_and_b32 s1, exec_lo, s1
	s_delay_alu instid0(SALU_CYCLE_1) | instskip(NEXT) | instid1(SALU_CYCLE_1)
	s_or_b32 s5, s1, s5
	s_and_not1_b32 exec_lo, exec_lo, s5
	s_cbranch_execnz .LBB126_9
.LBB126_10:
	s_or_b32 exec_lo, exec_lo, s4
	v_mov_b32_e32 v1, 0
	s_barrier
	buffer_gl0_inv
	ds_load_b32 v2, v1 offset:504
	s_and_saveexec_b32 s1, s0
	s_cbranch_execz .LBB126_12
; %bb.11:
	s_lshl_b64 s[4:5], s[8:9], 2
	s_delay_alu instid0(SALU_CYCLE_1)
	s_add_u32 s4, s6, s4
	s_addc_u32 s5, s7, s5
	s_waitcnt lgkmcnt(0)
	global_store_b32 v1, v2, s[4:5]
.LBB126_12:
	s_or_b32 exec_lo, exec_lo, s1
	s_waitcnt lgkmcnt(0)
	v_cmp_ne_u32_e32 vcc_lo, 0, v2
	s_mov_b32 s1, 0
	s_cbranch_vccnz .LBB126_260
; %bb.13:
	v_add_nc_u32_e32 v4, 0, v3
	v_or_b32_e32 v5, 0x200, v3
	scratch_load_b64 v[1:2], v4, off
	s_waitcnt vmcnt(0)
	v_div_scale_f64 v[132:133], null, v[1:2], v[1:2], 1.0
	v_div_scale_f64 v[138:139], vcc_lo, 1.0, v[1:2], 1.0
	s_delay_alu instid0(VALU_DEP_2) | instskip(SKIP_2) | instid1(VALU_DEP_1)
	v_rcp_f64_e32 v[134:135], v[132:133]
	s_waitcnt_depctr 0xfff
	v_fma_f64 v[136:137], -v[132:133], v[134:135], 1.0
	v_fma_f64 v[134:135], v[134:135], v[136:137], v[134:135]
	s_delay_alu instid0(VALU_DEP_1) | instskip(NEXT) | instid1(VALU_DEP_1)
	v_fma_f64 v[136:137], -v[132:133], v[134:135], 1.0
	v_fma_f64 v[134:135], v[134:135], v[136:137], v[134:135]
	s_delay_alu instid0(VALU_DEP_1) | instskip(NEXT) | instid1(VALU_DEP_1)
	v_mul_f64 v[136:137], v[138:139], v[134:135]
	v_fma_f64 v[132:133], -v[132:133], v[136:137], v[138:139]
	s_delay_alu instid0(VALU_DEP_1) | instskip(NEXT) | instid1(VALU_DEP_1)
	v_div_fmas_f64 v[132:133], v[132:133], v[134:135], v[136:137]
	v_div_fixup_f64 v[1:2], v[132:133], v[1:2], 1.0
	scratch_store_b64 v4, v[1:2], off
	scratch_load_b64 v[132:133], off, off offset:8
	v_xor_b32_e32 v2, 0x80000000, v2
	s_waitcnt vmcnt(0)
	ds_store_2addr_stride64_b64 v3, v[1:2], v[132:133] offset1:1
	s_waitcnt lgkmcnt(0)
	s_waitcnt_vscnt null, 0x0
	s_barrier
	buffer_gl0_inv
	s_and_saveexec_b32 s1, s0
	s_cbranch_execz .LBB126_15
; %bb.14:
	scratch_load_b64 v[1:2], v4, off
	ds_load_b64 v[132:133], v5
	s_waitcnt vmcnt(0) lgkmcnt(0)
	v_fma_f64 v[1:2], v[1:2], v[132:133], 0
	v_mov_b32_e32 v132, 0
	ds_load_b64 v[132:133], v132 offset:8
	s_waitcnt lgkmcnt(0)
	v_mul_f64 v[1:2], v[1:2], v[132:133]
	scratch_store_b64 off, v[1:2], off offset:8
.LBB126_15:
	s_or_b32 exec_lo, exec_lo, s1
	s_waitcnt_vscnt null, 0x0
	s_barrier
	buffer_gl0_inv
	scratch_load_b64 v[1:2], off, off offset:16
	s_mov_b32 s1, exec_lo
	s_waitcnt vmcnt(0)
	ds_store_b64 v5, v[1:2]
	s_waitcnt lgkmcnt(0)
	s_barrier
	buffer_gl0_inv
	v_cmpx_gt_u32_e32 2, v0
	s_cbranch_execz .LBB126_19
; %bb.16:
	scratch_load_b64 v[1:2], v4, off
	ds_load_b64 v[132:133], v5
	s_waitcnt vmcnt(0) lgkmcnt(0)
	v_fma_f64 v[1:2], v[1:2], v[132:133], 0
	s_and_saveexec_b32 s4, s0
	s_cbranch_execz .LBB126_18
; %bb.17:
	scratch_load_b64 v[132:133], off, off offset:8
	v_mov_b32_e32 v134, 0
	ds_load_b64 v[134:135], v134 offset:520
	s_waitcnt vmcnt(0) lgkmcnt(0)
	v_fma_f64 v[1:2], v[132:133], v[134:135], v[1:2]
.LBB126_18:
	s_or_b32 exec_lo, exec_lo, s4
	v_mov_b32_e32 v132, 0
	ds_load_b64 v[132:133], v132 offset:16
	s_waitcnt lgkmcnt(0)
	v_mul_f64 v[1:2], v[1:2], v[132:133]
	scratch_store_b64 off, v[1:2], off offset:16
.LBB126_19:
	s_or_b32 exec_lo, exec_lo, s1
	s_waitcnt_vscnt null, 0x0
	s_barrier
	buffer_gl0_inv
	scratch_load_b64 v[1:2], off, off offset:24
	v_add_nc_u32_e32 v132, -1, v0
	s_mov_b32 s0, exec_lo
	s_waitcnt vmcnt(0)
	ds_store_b64 v5, v[1:2]
	s_waitcnt lgkmcnt(0)
	s_barrier
	buffer_gl0_inv
	v_cmpx_gt_u32_e32 3, v0
	s_cbranch_execz .LBB126_23
; %bb.20:
	v_mov_b32_e32 v1, 0
	v_dual_mov_b32 v2, 0 :: v_dual_add_nc_u32 v133, -1, v0
	v_or_b32_e32 v134, 0x200, v3
	v_add_nc_u32_e32 v135, 0, v3
	s_mov_b32 s1, 0
.LBB126_21:                             ; =>This Inner Loop Header: Depth=1
	scratch_load_b64 v[136:137], v135, off
	ds_load_b64 v[138:139], v134
	v_add_nc_u32_e32 v133, 1, v133
	v_add_nc_u32_e32 v134, 8, v134
	v_add_nc_u32_e32 v135, 8, v135
	s_delay_alu instid0(VALU_DEP_3)
	v_cmp_lt_u32_e32 vcc_lo, 1, v133
	s_or_b32 s1, vcc_lo, s1
	s_waitcnt vmcnt(0) lgkmcnt(0)
	v_fma_f64 v[1:2], v[136:137], v[138:139], v[1:2]
	s_and_not1_b32 exec_lo, exec_lo, s1
	s_cbranch_execnz .LBB126_21
; %bb.22:
	s_or_b32 exec_lo, exec_lo, s1
	v_mov_b32_e32 v133, 0
	ds_load_b64 v[133:134], v133 offset:24
	s_waitcnt lgkmcnt(0)
	v_mul_f64 v[1:2], v[1:2], v[133:134]
	scratch_store_b64 off, v[1:2], off offset:24
.LBB126_23:
	s_or_b32 exec_lo, exec_lo, s0
	s_waitcnt_vscnt null, 0x0
	s_barrier
	buffer_gl0_inv
	scratch_load_b64 v[1:2], off, off offset:32
	s_mov_b32 s0, exec_lo
	s_waitcnt vmcnt(0)
	ds_store_b64 v5, v[1:2]
	s_waitcnt lgkmcnt(0)
	s_barrier
	buffer_gl0_inv
	v_cmpx_gt_u32_e32 4, v0
	s_cbranch_execz .LBB126_27
; %bb.24:
	v_mov_b32_e32 v1, 0
	v_dual_mov_b32 v2, 0 :: v_dual_add_nc_u32 v133, -1, v0
	v_or_b32_e32 v134, 0x200, v3
	v_add_nc_u32_e32 v135, 0, v3
	s_mov_b32 s1, 0
.LBB126_25:                             ; =>This Inner Loop Header: Depth=1
	scratch_load_b64 v[136:137], v135, off
	ds_load_b64 v[138:139], v134
	v_add_nc_u32_e32 v133, 1, v133
	v_add_nc_u32_e32 v134, 8, v134
	v_add_nc_u32_e32 v135, 8, v135
	s_delay_alu instid0(VALU_DEP_3)
	v_cmp_lt_u32_e32 vcc_lo, 2, v133
	s_or_b32 s1, vcc_lo, s1
	s_waitcnt vmcnt(0) lgkmcnt(0)
	v_fma_f64 v[1:2], v[136:137], v[138:139], v[1:2]
	s_and_not1_b32 exec_lo, exec_lo, s1
	s_cbranch_execnz .LBB126_25
; %bb.26:
	s_or_b32 exec_lo, exec_lo, s1
	v_mov_b32_e32 v133, 0
	ds_load_b64 v[133:134], v133 offset:32
	s_waitcnt lgkmcnt(0)
	v_mul_f64 v[1:2], v[1:2], v[133:134]
	scratch_store_b64 off, v[1:2], off offset:32
.LBB126_27:
	s_or_b32 exec_lo, exec_lo, s0
	s_waitcnt_vscnt null, 0x0
	s_barrier
	buffer_gl0_inv
	scratch_load_b64 v[1:2], off, off offset:40
	;; [unrolled: 40-line block ×20, first 2 shown]
	s_mov_b32 s0, exec_lo
	s_waitcnt vmcnt(0)
	ds_store_b64 v5, v[1:2]
	s_waitcnt lgkmcnt(0)
	s_barrier
	buffer_gl0_inv
	v_cmpx_gt_u32_e32 23, v0
	s_cbranch_execz .LBB126_103
; %bb.100:
	v_mov_b32_e32 v1, 0
	v_dual_mov_b32 v2, 0 :: v_dual_add_nc_u32 v133, -1, v0
	v_or_b32_e32 v134, 0x200, v3
	v_add_nc_u32_e32 v135, 0, v3
	s_mov_b32 s1, 0
.LBB126_101:                            ; =>This Inner Loop Header: Depth=1
	scratch_load_b64 v[136:137], v135, off
	ds_load_b64 v[138:139], v134
	v_add_nc_u32_e32 v133, 1, v133
	v_add_nc_u32_e32 v134, 8, v134
	v_add_nc_u32_e32 v135, 8, v135
	s_delay_alu instid0(VALU_DEP_3)
	v_cmp_lt_u32_e32 vcc_lo, 21, v133
	s_or_b32 s1, vcc_lo, s1
	s_waitcnt vmcnt(0) lgkmcnt(0)
	v_fma_f64 v[1:2], v[136:137], v[138:139], v[1:2]
	s_and_not1_b32 exec_lo, exec_lo, s1
	s_cbranch_execnz .LBB126_101
; %bb.102:
	s_or_b32 exec_lo, exec_lo, s1
	v_mov_b32_e32 v133, 0
	ds_load_b64 v[133:134], v133 offset:184
	s_waitcnt lgkmcnt(0)
	v_mul_f64 v[1:2], v[1:2], v[133:134]
	scratch_store_b64 off, v[1:2], off offset:184
.LBB126_103:
	s_or_b32 exec_lo, exec_lo, s0
	s_waitcnt_vscnt null, 0x0
	s_barrier
	buffer_gl0_inv
	scratch_load_b64 v[1:2], off, off offset:192
	s_mov_b32 s0, exec_lo
	s_waitcnt vmcnt(0)
	ds_store_b64 v5, v[1:2]
	s_waitcnt lgkmcnt(0)
	s_barrier
	buffer_gl0_inv
	v_cmpx_gt_u32_e32 24, v0
	s_cbranch_execz .LBB126_107
; %bb.104:
	v_mov_b32_e32 v1, 0
	v_dual_mov_b32 v2, 0 :: v_dual_add_nc_u32 v133, -1, v0
	v_or_b32_e32 v134, 0x200, v3
	v_add_nc_u32_e32 v135, 0, v3
	s_mov_b32 s1, 0
.LBB126_105:                            ; =>This Inner Loop Header: Depth=1
	scratch_load_b64 v[136:137], v135, off
	ds_load_b64 v[138:139], v134
	v_add_nc_u32_e32 v133, 1, v133
	v_add_nc_u32_e32 v134, 8, v134
	v_add_nc_u32_e32 v135, 8, v135
	s_delay_alu instid0(VALU_DEP_3)
	v_cmp_lt_u32_e32 vcc_lo, 22, v133
	s_or_b32 s1, vcc_lo, s1
	s_waitcnt vmcnt(0) lgkmcnt(0)
	v_fma_f64 v[1:2], v[136:137], v[138:139], v[1:2]
	s_and_not1_b32 exec_lo, exec_lo, s1
	s_cbranch_execnz .LBB126_105
; %bb.106:
	s_or_b32 exec_lo, exec_lo, s1
	v_mov_b32_e32 v133, 0
	ds_load_b64 v[133:134], v133 offset:192
	s_waitcnt lgkmcnt(0)
	v_mul_f64 v[1:2], v[1:2], v[133:134]
	scratch_store_b64 off, v[1:2], off offset:192
.LBB126_107:
	s_or_b32 exec_lo, exec_lo, s0
	s_waitcnt_vscnt null, 0x0
	s_barrier
	buffer_gl0_inv
	scratch_load_b64 v[1:2], off, off offset:200
	;; [unrolled: 40-line block ×39, first 2 shown]
	s_mov_b32 s0, exec_lo
	s_waitcnt vmcnt(0)
	ds_store_b64 v5, v[1:2]
	s_waitcnt lgkmcnt(0)
	s_barrier
	buffer_gl0_inv
	v_cmpx_ne_u32_e32 62, v0
	s_cbranch_execz .LBB126_259
; %bb.256:
	v_mov_b32_e32 v1, 0
	v_mov_b32_e32 v2, 0
	s_mov_b32 s1, 0
.LBB126_257:                            ; =>This Inner Loop Header: Depth=1
	scratch_load_b64 v[133:134], v4, off
	ds_load_b64 v[135:136], v5
	v_add_nc_u32_e32 v132, 1, v132
	v_add_nc_u32_e32 v5, 8, v5
	;; [unrolled: 1-line block ×3, first 2 shown]
	s_delay_alu instid0(VALU_DEP_3)
	v_cmp_lt_u32_e32 vcc_lo, 60, v132
	s_or_b32 s1, vcc_lo, s1
	s_waitcnt vmcnt(0) lgkmcnt(0)
	v_fma_f64 v[1:2], v[133:134], v[135:136], v[1:2]
	s_and_not1_b32 exec_lo, exec_lo, s1
	s_cbranch_execnz .LBB126_257
; %bb.258:
	s_or_b32 exec_lo, exec_lo, s1
	v_mov_b32_e32 v3, 0
	ds_load_b64 v[3:4], v3 offset:496
	s_waitcnt lgkmcnt(0)
	v_mul_f64 v[1:2], v[1:2], v[3:4]
	scratch_store_b64 off, v[1:2], off offset:496
.LBB126_259:
	s_or_b32 exec_lo, exec_lo, s0
	s_mov_b32 s1, -1
	s_waitcnt_vscnt null, 0x0
	s_barrier
	buffer_gl0_inv
.LBB126_260:
	s_and_b32 vcc_lo, exec_lo, s1
	s_cbranch_vccz .LBB126_262
; %bb.261:
	s_lshl_b64 s[0:1], s[8:9], 2
	v_mov_b32_e32 v1, 0
	s_add_u32 s0, s6, s0
	s_addc_u32 s1, s7, s1
	global_load_b32 v1, v1, s[0:1]
	s_waitcnt vmcnt(0)
	v_cmp_ne_u32_e32 vcc_lo, 0, v1
	s_cbranch_vccz .LBB126_263
.LBB126_262:
	s_endpgm
.LBB126_263:
	v_lshl_or_b32 v5, v0, 3, 0x200
	s_mov_b32 s0, exec_lo
	v_cmpx_eq_u32_e32 62, v0
	s_cbranch_execz .LBB126_265
; %bb.264:
	scratch_load_b64 v[1:2], off, off offset:488
	v_mov_b32_e32 v3, 0
	s_delay_alu instid0(VALU_DEP_1)
	v_mov_b32_e32 v4, v3
	scratch_store_b64 off, v[3:4], off offset:488
	s_waitcnt vmcnt(0)
	ds_store_b64 v5, v[1:2]
.LBB126_265:
	s_or_b32 exec_lo, exec_lo, s0
	s_waitcnt lgkmcnt(0)
	s_waitcnt_vscnt null, 0x0
	s_barrier
	buffer_gl0_inv
	scratch_load_b128 v[132:135], off, off offset:488
	v_mov_b32_e32 v1, 0
	s_mov_b32 s0, exec_lo
	ds_load_b64 v[2:3], v1 offset:1008
	s_waitcnt vmcnt(0) lgkmcnt(0)
	v_fma_f64 v[2:3], v[134:135], v[2:3], 0
	s_delay_alu instid0(VALU_DEP_1)
	v_add_f64 v[2:3], v[132:133], -v[2:3]
	scratch_store_b64 off, v[2:3], off offset:488
	v_cmpx_lt_u32_e32 60, v0
	s_cbranch_execz .LBB126_267
; %bb.266:
	scratch_load_b64 v[3:4], off, off offset:480
	v_mov_b32_e32 v2, v1
	scratch_store_b64 off, v[1:2], off offset:480
	s_waitcnt vmcnt(0)
	ds_store_b64 v5, v[3:4]
.LBB126_267:
	s_or_b32 exec_lo, exec_lo, s0
	s_waitcnt lgkmcnt(0)
	s_waitcnt_vscnt null, 0x0
	s_barrier
	buffer_gl0_inv
	s_clause 0x1
	scratch_load_b128 v[132:135], off, off offset:480
	scratch_load_b64 v[136:137], off, off offset:496
	ds_load_2addr_b64 v[1:4], v1 offset0:125 offset1:126
	s_mov_b32 s0, exec_lo
	s_waitcnt vmcnt(1) lgkmcnt(0)
	v_fma_f64 v[1:2], v[134:135], v[1:2], 0
	s_waitcnt vmcnt(0)
	s_delay_alu instid0(VALU_DEP_1) | instskip(NEXT) | instid1(VALU_DEP_1)
	v_fma_f64 v[1:2], v[136:137], v[3:4], v[1:2]
	v_add_f64 v[1:2], v[132:133], -v[1:2]
	scratch_store_b64 off, v[1:2], off offset:480
	v_cmpx_lt_u32_e32 59, v0
	s_cbranch_execz .LBB126_269
; %bb.268:
	scratch_load_b64 v[1:2], off, off offset:472
	v_mov_b32_e32 v3, 0
	s_delay_alu instid0(VALU_DEP_1)
	v_mov_b32_e32 v4, v3
	scratch_store_b64 off, v[3:4], off offset:472
	s_waitcnt vmcnt(0)
	ds_store_b64 v5, v[1:2]
.LBB126_269:
	s_or_b32 exec_lo, exec_lo, s0
	s_waitcnt lgkmcnt(0)
	s_waitcnt_vscnt null, 0x0
	s_barrier
	buffer_gl0_inv
	s_clause 0x1
	scratch_load_b128 v[132:135], off, off offset:472
	scratch_load_b128 v[136:139], off, off offset:488
	v_mov_b32_e32 v1, 0
	s_mov_b32 s0, exec_lo
	ds_load_b128 v[140:143], v1 offset:992
	s_waitcnt vmcnt(1) lgkmcnt(0)
	v_fma_f64 v[2:3], v[134:135], v[140:141], 0
	ds_load_b64 v[134:135], v1 offset:1008
	s_waitcnt vmcnt(0)
	v_fma_f64 v[2:3], v[136:137], v[142:143], v[2:3]
	s_waitcnt lgkmcnt(0)
	s_delay_alu instid0(VALU_DEP_1) | instskip(NEXT) | instid1(VALU_DEP_1)
	v_fma_f64 v[2:3], v[138:139], v[134:135], v[2:3]
	v_add_f64 v[2:3], v[132:133], -v[2:3]
	scratch_store_b64 off, v[2:3], off offset:472
	v_cmpx_lt_u32_e32 58, v0
	s_cbranch_execz .LBB126_271
; %bb.270:
	scratch_load_b64 v[3:4], off, off offset:464
	v_mov_b32_e32 v2, v1
	scratch_store_b64 off, v[1:2], off offset:464
	s_waitcnt vmcnt(0)
	ds_store_b64 v5, v[3:4]
.LBB126_271:
	s_or_b32 exec_lo, exec_lo, s0
	s_waitcnt lgkmcnt(0)
	s_waitcnt_vscnt null, 0x0
	s_barrier
	buffer_gl0_inv
	s_clause 0x2
	scratch_load_b128 v[132:135], off, off offset:464
	scratch_load_b128 v[136:139], off, off offset:480
	scratch_load_b64 v[144:145], off, off offset:496
	ds_load_2addr_b64 v[140:143], v1 offset0:123 offset1:124
	s_mov_b32 s0, exec_lo
	s_waitcnt vmcnt(2) lgkmcnt(0)
	v_fma_f64 v[2:3], v[134:135], v[140:141], 0
	s_waitcnt vmcnt(1)
	s_delay_alu instid0(VALU_DEP_1) | instskip(SKIP_4) | instid1(VALU_DEP_1)
	v_fma_f64 v[134:135], v[136:137], v[142:143], v[2:3]
	ds_load_2addr_b64 v[1:4], v1 offset0:125 offset1:126
	s_waitcnt lgkmcnt(0)
	v_fma_f64 v[1:2], v[138:139], v[1:2], v[134:135]
	s_waitcnt vmcnt(0)
	v_fma_f64 v[1:2], v[144:145], v[3:4], v[1:2]
	s_delay_alu instid0(VALU_DEP_1)
	v_add_f64 v[1:2], v[132:133], -v[1:2]
	scratch_store_b64 off, v[1:2], off offset:464
	v_cmpx_lt_u32_e32 57, v0
	s_cbranch_execz .LBB126_273
; %bb.272:
	scratch_load_b64 v[1:2], off, off offset:456
	v_mov_b32_e32 v3, 0
	s_delay_alu instid0(VALU_DEP_1)
	v_mov_b32_e32 v4, v3
	scratch_store_b64 off, v[3:4], off offset:456
	s_waitcnt vmcnt(0)
	ds_store_b64 v5, v[1:2]
.LBB126_273:
	s_or_b32 exec_lo, exec_lo, s0
	s_waitcnt lgkmcnt(0)
	s_waitcnt_vscnt null, 0x0
	s_barrier
	buffer_gl0_inv
	s_clause 0x2
	scratch_load_b128 v[132:135], off, off offset:456
	scratch_load_b128 v[136:139], off, off offset:472
	;; [unrolled: 1-line block ×3, first 2 shown]
	v_mov_b32_e32 v1, 0
	ds_load_b128 v[144:147], v1 offset:976
	ds_load_b128 v[148:151], v1 offset:992
	s_mov_b32 s0, exec_lo
	s_waitcnt vmcnt(2) lgkmcnt(1)
	v_fma_f64 v[2:3], v[134:135], v[144:145], 0
	ds_load_b64 v[134:135], v1 offset:1008
	s_waitcnt vmcnt(1)
	v_fma_f64 v[2:3], v[136:137], v[146:147], v[2:3]
	s_waitcnt lgkmcnt(1)
	s_delay_alu instid0(VALU_DEP_1) | instskip(SKIP_1) | instid1(VALU_DEP_1)
	v_fma_f64 v[2:3], v[138:139], v[148:149], v[2:3]
	s_waitcnt vmcnt(0)
	v_fma_f64 v[2:3], v[140:141], v[150:151], v[2:3]
	s_waitcnt lgkmcnt(0)
	s_delay_alu instid0(VALU_DEP_1) | instskip(NEXT) | instid1(VALU_DEP_1)
	v_fma_f64 v[2:3], v[142:143], v[134:135], v[2:3]
	v_add_f64 v[2:3], v[132:133], -v[2:3]
	scratch_store_b64 off, v[2:3], off offset:456
	v_cmpx_lt_u32_e32 56, v0
	s_cbranch_execz .LBB126_275
; %bb.274:
	scratch_load_b64 v[3:4], off, off offset:448
	v_mov_b32_e32 v2, v1
	scratch_store_b64 off, v[1:2], off offset:448
	s_waitcnt vmcnt(0)
	ds_store_b64 v5, v[3:4]
.LBB126_275:
	s_or_b32 exec_lo, exec_lo, s0
	s_waitcnt lgkmcnt(0)
	s_waitcnt_vscnt null, 0x0
	s_barrier
	buffer_gl0_inv
	s_clause 0x3
	scratch_load_b128 v[132:135], off, off offset:448
	scratch_load_b128 v[136:139], off, off offset:464
	;; [unrolled: 1-line block ×3, first 2 shown]
	scratch_load_b64 v[152:153], off, off offset:496
	ds_load_2addr_b64 v[144:147], v1 offset0:121 offset1:122
	ds_load_2addr_b64 v[148:151], v1 offset0:123 offset1:124
	s_mov_b32 s0, exec_lo
	s_waitcnt vmcnt(3) lgkmcnt(1)
	v_fma_f64 v[2:3], v[134:135], v[144:145], 0
	s_waitcnt vmcnt(2)
	s_delay_alu instid0(VALU_DEP_1) | instskip(SKIP_1) | instid1(VALU_DEP_1)
	v_fma_f64 v[2:3], v[136:137], v[146:147], v[2:3]
	s_waitcnt lgkmcnt(0)
	v_fma_f64 v[2:3], v[138:139], v[148:149], v[2:3]
	s_waitcnt vmcnt(1)
	s_delay_alu instid0(VALU_DEP_1) | instskip(SKIP_4) | instid1(VALU_DEP_1)
	v_fma_f64 v[134:135], v[140:141], v[150:151], v[2:3]
	ds_load_2addr_b64 v[1:4], v1 offset0:125 offset1:126
	s_waitcnt lgkmcnt(0)
	v_fma_f64 v[1:2], v[142:143], v[1:2], v[134:135]
	s_waitcnt vmcnt(0)
	v_fma_f64 v[1:2], v[152:153], v[3:4], v[1:2]
	s_delay_alu instid0(VALU_DEP_1)
	v_add_f64 v[1:2], v[132:133], -v[1:2]
	scratch_store_b64 off, v[1:2], off offset:448
	v_cmpx_lt_u32_e32 55, v0
	s_cbranch_execz .LBB126_277
; %bb.276:
	scratch_load_b64 v[1:2], off, off offset:440
	v_mov_b32_e32 v3, 0
	s_delay_alu instid0(VALU_DEP_1)
	v_mov_b32_e32 v4, v3
	scratch_store_b64 off, v[3:4], off offset:440
	s_waitcnt vmcnt(0)
	ds_store_b64 v5, v[1:2]
.LBB126_277:
	s_or_b32 exec_lo, exec_lo, s0
	s_waitcnt lgkmcnt(0)
	s_waitcnt_vscnt null, 0x0
	s_barrier
	buffer_gl0_inv
	s_clause 0x3
	scratch_load_b128 v[132:135], off, off offset:440
	scratch_load_b128 v[136:139], off, off offset:456
	;; [unrolled: 1-line block ×4, first 2 shown]
	v_mov_b32_e32 v1, 0
	ds_load_b128 v[148:151], v1 offset:960
	ds_load_b128 v[152:155], v1 offset:976
	s_mov_b32 s0, exec_lo
	s_waitcnt vmcnt(3) lgkmcnt(1)
	v_fma_f64 v[2:3], v[134:135], v[148:149], 0
	s_waitcnt vmcnt(2)
	s_delay_alu instid0(VALU_DEP_1) | instskip(SKIP_1) | instid1(VALU_DEP_1)
	v_fma_f64 v[2:3], v[136:137], v[150:151], v[2:3]
	s_waitcnt lgkmcnt(0)
	v_fma_f64 v[2:3], v[138:139], v[152:153], v[2:3]
	ds_load_b128 v[134:137], v1 offset:992
	ds_load_b64 v[138:139], v1 offset:1008
	s_waitcnt vmcnt(1)
	v_fma_f64 v[2:3], v[140:141], v[154:155], v[2:3]
	s_waitcnt lgkmcnt(1)
	s_delay_alu instid0(VALU_DEP_1) | instskip(SKIP_1) | instid1(VALU_DEP_1)
	v_fma_f64 v[2:3], v[142:143], v[134:135], v[2:3]
	s_waitcnt vmcnt(0)
	v_fma_f64 v[2:3], v[144:145], v[136:137], v[2:3]
	s_waitcnt lgkmcnt(0)
	s_delay_alu instid0(VALU_DEP_1) | instskip(NEXT) | instid1(VALU_DEP_1)
	v_fma_f64 v[2:3], v[146:147], v[138:139], v[2:3]
	v_add_f64 v[2:3], v[132:133], -v[2:3]
	scratch_store_b64 off, v[2:3], off offset:440
	v_cmpx_lt_u32_e32 54, v0
	s_cbranch_execz .LBB126_279
; %bb.278:
	scratch_load_b64 v[3:4], off, off offset:432
	v_mov_b32_e32 v2, v1
	scratch_store_b64 off, v[1:2], off offset:432
	s_waitcnt vmcnt(0)
	ds_store_b64 v5, v[3:4]
.LBB126_279:
	s_or_b32 exec_lo, exec_lo, s0
	s_waitcnt lgkmcnt(0)
	s_waitcnt_vscnt null, 0x0
	s_barrier
	buffer_gl0_inv
	s_clause 0x4
	scratch_load_b128 v[132:135], off, off offset:432
	scratch_load_b128 v[136:139], off, off offset:448
	;; [unrolled: 1-line block ×4, first 2 shown]
	scratch_load_b64 v[156:157], off, off offset:496
	ds_load_2addr_b64 v[148:151], v1 offset0:119 offset1:120
	ds_load_2addr_b64 v[152:155], v1 offset0:121 offset1:122
	s_mov_b32 s0, exec_lo
	s_waitcnt vmcnt(4) lgkmcnt(1)
	v_fma_f64 v[2:3], v[134:135], v[148:149], 0
	s_waitcnt vmcnt(3)
	s_delay_alu instid0(VALU_DEP_1) | instskip(SKIP_1) | instid1(VALU_DEP_1)
	v_fma_f64 v[2:3], v[136:137], v[150:151], v[2:3]
	s_waitcnt lgkmcnt(0)
	v_fma_f64 v[2:3], v[138:139], v[152:153], v[2:3]
	s_waitcnt vmcnt(2)
	s_delay_alu instid0(VALU_DEP_1)
	v_fma_f64 v[138:139], v[140:141], v[154:155], v[2:3]
	ds_load_2addr_b64 v[134:137], v1 offset0:123 offset1:124
	ds_load_2addr_b64 v[1:4], v1 offset0:125 offset1:126
	s_waitcnt lgkmcnt(1)
	v_fma_f64 v[134:135], v[142:143], v[134:135], v[138:139]
	s_waitcnt vmcnt(1)
	s_delay_alu instid0(VALU_DEP_1) | instskip(SKIP_1) | instid1(VALU_DEP_1)
	v_fma_f64 v[134:135], v[144:145], v[136:137], v[134:135]
	s_waitcnt lgkmcnt(0)
	v_fma_f64 v[1:2], v[146:147], v[1:2], v[134:135]
	s_waitcnt vmcnt(0)
	s_delay_alu instid0(VALU_DEP_1) | instskip(NEXT) | instid1(VALU_DEP_1)
	v_fma_f64 v[1:2], v[156:157], v[3:4], v[1:2]
	v_add_f64 v[1:2], v[132:133], -v[1:2]
	scratch_store_b64 off, v[1:2], off offset:432
	v_cmpx_lt_u32_e32 53, v0
	s_cbranch_execz .LBB126_281
; %bb.280:
	scratch_load_b64 v[1:2], off, off offset:424
	v_mov_b32_e32 v3, 0
	s_delay_alu instid0(VALU_DEP_1)
	v_mov_b32_e32 v4, v3
	scratch_store_b64 off, v[3:4], off offset:424
	s_waitcnt vmcnt(0)
	ds_store_b64 v5, v[1:2]
.LBB126_281:
	s_or_b32 exec_lo, exec_lo, s0
	s_waitcnt lgkmcnt(0)
	s_waitcnt_vscnt null, 0x0
	s_barrier
	buffer_gl0_inv
	s_clause 0x4
	scratch_load_b128 v[132:135], off, off offset:424
	scratch_load_b128 v[136:139], off, off offset:440
	;; [unrolled: 1-line block ×5, first 2 shown]
	v_mov_b32_e32 v1, 0
	ds_load_b128 v[152:155], v1 offset:944
	ds_load_b128 v[156:159], v1 offset:960
	s_mov_b32 s0, exec_lo
	s_waitcnt vmcnt(4) lgkmcnt(1)
	v_fma_f64 v[2:3], v[134:135], v[152:153], 0
	s_waitcnt vmcnt(3)
	s_delay_alu instid0(VALU_DEP_1) | instskip(SKIP_1) | instid1(VALU_DEP_1)
	v_fma_f64 v[2:3], v[136:137], v[154:155], v[2:3]
	s_waitcnt lgkmcnt(0)
	v_fma_f64 v[2:3], v[138:139], v[156:157], v[2:3]
	s_waitcnt vmcnt(2)
	s_delay_alu instid0(VALU_DEP_1)
	v_fma_f64 v[2:3], v[140:141], v[158:159], v[2:3]
	ds_load_b128 v[134:137], v1 offset:976
	ds_load_b128 v[138:141], v1 offset:992
	s_waitcnt lgkmcnt(1)
	v_fma_f64 v[2:3], v[142:143], v[134:135], v[2:3]
	ds_load_b64 v[134:135], v1 offset:1008
	s_waitcnt vmcnt(1)
	v_fma_f64 v[2:3], v[144:145], v[136:137], v[2:3]
	s_waitcnt lgkmcnt(1)
	s_delay_alu instid0(VALU_DEP_1) | instskip(SKIP_1) | instid1(VALU_DEP_1)
	v_fma_f64 v[2:3], v[146:147], v[138:139], v[2:3]
	s_waitcnt vmcnt(0)
	v_fma_f64 v[2:3], v[148:149], v[140:141], v[2:3]
	s_waitcnt lgkmcnt(0)
	s_delay_alu instid0(VALU_DEP_1) | instskip(NEXT) | instid1(VALU_DEP_1)
	v_fma_f64 v[2:3], v[150:151], v[134:135], v[2:3]
	v_add_f64 v[2:3], v[132:133], -v[2:3]
	scratch_store_b64 off, v[2:3], off offset:424
	v_cmpx_lt_u32_e32 52, v0
	s_cbranch_execz .LBB126_283
; %bb.282:
	scratch_load_b64 v[3:4], off, off offset:416
	v_mov_b32_e32 v2, v1
	scratch_store_b64 off, v[1:2], off offset:416
	s_waitcnt vmcnt(0)
	ds_store_b64 v5, v[3:4]
.LBB126_283:
	s_or_b32 exec_lo, exec_lo, s0
	s_waitcnt lgkmcnt(0)
	s_waitcnt_vscnt null, 0x0
	s_barrier
	buffer_gl0_inv
	s_clause 0x4
	scratch_load_b128 v[132:135], off, off offset:416
	scratch_load_b128 v[136:139], off, off offset:432
	scratch_load_b128 v[140:143], off, off offset:448
	scratch_load_b128 v[144:147], off, off offset:464
	scratch_load_b128 v[148:151], off, off offset:480
	ds_load_2addr_b64 v[152:155], v1 offset0:117 offset1:118
	ds_load_2addr_b64 v[156:159], v1 offset0:119 offset1:120
	s_mov_b32 s0, exec_lo
	s_waitcnt vmcnt(4) lgkmcnt(1)
	v_fma_f64 v[2:3], v[134:135], v[152:153], 0
	scratch_load_b64 v[152:153], off, off offset:496
	s_waitcnt vmcnt(4)
	v_fma_f64 v[2:3], v[136:137], v[154:155], v[2:3]
	s_waitcnt lgkmcnt(0)
	s_delay_alu instid0(VALU_DEP_1) | instskip(SKIP_1) | instid1(VALU_DEP_1)
	v_fma_f64 v[2:3], v[138:139], v[156:157], v[2:3]
	s_waitcnt vmcnt(3)
	v_fma_f64 v[2:3], v[140:141], v[158:159], v[2:3]
	ds_load_2addr_b64 v[134:137], v1 offset0:121 offset1:122
	ds_load_2addr_b64 v[138:141], v1 offset0:123 offset1:124
	s_waitcnt lgkmcnt(1)
	v_fma_f64 v[2:3], v[142:143], v[134:135], v[2:3]
	s_waitcnt vmcnt(2)
	s_delay_alu instid0(VALU_DEP_1) | instskip(SKIP_1) | instid1(VALU_DEP_1)
	v_fma_f64 v[2:3], v[144:145], v[136:137], v[2:3]
	s_waitcnt lgkmcnt(0)
	v_fma_f64 v[2:3], v[146:147], v[138:139], v[2:3]
	s_waitcnt vmcnt(1)
	s_delay_alu instid0(VALU_DEP_1) | instskip(SKIP_4) | instid1(VALU_DEP_1)
	v_fma_f64 v[134:135], v[148:149], v[140:141], v[2:3]
	ds_load_2addr_b64 v[1:4], v1 offset0:125 offset1:126
	s_waitcnt lgkmcnt(0)
	v_fma_f64 v[1:2], v[150:151], v[1:2], v[134:135]
	s_waitcnt vmcnt(0)
	v_fma_f64 v[1:2], v[152:153], v[3:4], v[1:2]
	s_delay_alu instid0(VALU_DEP_1)
	v_add_f64 v[1:2], v[132:133], -v[1:2]
	scratch_store_b64 off, v[1:2], off offset:416
	v_cmpx_lt_u32_e32 51, v0
	s_cbranch_execz .LBB126_285
; %bb.284:
	scratch_load_b64 v[1:2], off, off offset:408
	v_mov_b32_e32 v3, 0
	s_delay_alu instid0(VALU_DEP_1)
	v_mov_b32_e32 v4, v3
	scratch_store_b64 off, v[3:4], off offset:408
	s_waitcnt vmcnt(0)
	ds_store_b64 v5, v[1:2]
.LBB126_285:
	s_or_b32 exec_lo, exec_lo, s0
	s_waitcnt lgkmcnt(0)
	s_waitcnt_vscnt null, 0x0
	s_barrier
	buffer_gl0_inv
	s_clause 0x4
	scratch_load_b128 v[132:135], off, off offset:408
	scratch_load_b128 v[136:139], off, off offset:424
	;; [unrolled: 1-line block ×5, first 2 shown]
	v_mov_b32_e32 v1, 0
	ds_load_b128 v[152:155], v1 offset:928
	ds_load_b128 v[156:159], v1 offset:944
	scratch_load_b128 v[160:163], off, off offset:488
	s_mov_b32 s0, exec_lo
	s_waitcnt vmcnt(5) lgkmcnt(1)
	v_fma_f64 v[2:3], v[134:135], v[152:153], 0
	s_waitcnt vmcnt(4)
	s_delay_alu instid0(VALU_DEP_1) | instskip(SKIP_1) | instid1(VALU_DEP_1)
	v_fma_f64 v[2:3], v[136:137], v[154:155], v[2:3]
	s_waitcnt lgkmcnt(0)
	v_fma_f64 v[2:3], v[138:139], v[156:157], v[2:3]
	s_waitcnt vmcnt(3)
	s_delay_alu instid0(VALU_DEP_1)
	v_fma_f64 v[2:3], v[140:141], v[158:159], v[2:3]
	ds_load_b128 v[134:137], v1 offset:960
	ds_load_b128 v[138:141], v1 offset:976
	s_waitcnt lgkmcnt(1)
	v_fma_f64 v[2:3], v[142:143], v[134:135], v[2:3]
	s_waitcnt vmcnt(2)
	s_delay_alu instid0(VALU_DEP_1) | instskip(SKIP_1) | instid1(VALU_DEP_1)
	v_fma_f64 v[2:3], v[144:145], v[136:137], v[2:3]
	s_waitcnt lgkmcnt(0)
	v_fma_f64 v[2:3], v[146:147], v[138:139], v[2:3]
	ds_load_b128 v[134:137], v1 offset:992
	ds_load_b64 v[138:139], v1 offset:1008
	s_waitcnt vmcnt(1)
	v_fma_f64 v[2:3], v[148:149], v[140:141], v[2:3]
	s_waitcnt lgkmcnt(1)
	s_delay_alu instid0(VALU_DEP_1) | instskip(SKIP_1) | instid1(VALU_DEP_1)
	v_fma_f64 v[2:3], v[150:151], v[134:135], v[2:3]
	s_waitcnt vmcnt(0)
	v_fma_f64 v[2:3], v[160:161], v[136:137], v[2:3]
	s_waitcnt lgkmcnt(0)
	s_delay_alu instid0(VALU_DEP_1) | instskip(NEXT) | instid1(VALU_DEP_1)
	v_fma_f64 v[2:3], v[162:163], v[138:139], v[2:3]
	v_add_f64 v[2:3], v[132:133], -v[2:3]
	scratch_store_b64 off, v[2:3], off offset:408
	v_cmpx_lt_u32_e32 50, v0
	s_cbranch_execz .LBB126_287
; %bb.286:
	scratch_load_b64 v[3:4], off, off offset:400
	v_mov_b32_e32 v2, v1
	scratch_store_b64 off, v[1:2], off offset:400
	s_waitcnt vmcnt(0)
	ds_store_b64 v5, v[3:4]
.LBB126_287:
	s_or_b32 exec_lo, exec_lo, s0
	s_waitcnt lgkmcnt(0)
	s_waitcnt_vscnt null, 0x0
	s_barrier
	buffer_gl0_inv
	s_clause 0x4
	scratch_load_b128 v[132:135], off, off offset:400
	scratch_load_b128 v[136:139], off, off offset:416
	;; [unrolled: 1-line block ×5, first 2 shown]
	ds_load_2addr_b64 v[152:155], v1 offset0:115 offset1:116
	ds_load_2addr_b64 v[156:159], v1 offset0:117 offset1:118
	scratch_load_b128 v[160:163], off, off offset:480
	s_mov_b32 s0, exec_lo
	s_waitcnt vmcnt(5) lgkmcnt(1)
	v_fma_f64 v[2:3], v[134:135], v[152:153], 0
	scratch_load_b64 v[152:153], off, off offset:496
	s_waitcnt vmcnt(5)
	v_fma_f64 v[2:3], v[136:137], v[154:155], v[2:3]
	s_waitcnt lgkmcnt(0)
	s_delay_alu instid0(VALU_DEP_1) | instskip(SKIP_1) | instid1(VALU_DEP_1)
	v_fma_f64 v[2:3], v[138:139], v[156:157], v[2:3]
	s_waitcnt vmcnt(4)
	v_fma_f64 v[2:3], v[140:141], v[158:159], v[2:3]
	ds_load_2addr_b64 v[134:137], v1 offset0:119 offset1:120
	ds_load_2addr_b64 v[138:141], v1 offset0:121 offset1:122
	s_waitcnt lgkmcnt(1)
	v_fma_f64 v[2:3], v[142:143], v[134:135], v[2:3]
	s_waitcnt vmcnt(3)
	s_delay_alu instid0(VALU_DEP_1) | instskip(SKIP_1) | instid1(VALU_DEP_1)
	v_fma_f64 v[2:3], v[144:145], v[136:137], v[2:3]
	s_waitcnt lgkmcnt(0)
	v_fma_f64 v[2:3], v[146:147], v[138:139], v[2:3]
	s_waitcnt vmcnt(2)
	s_delay_alu instid0(VALU_DEP_1)
	v_fma_f64 v[138:139], v[148:149], v[140:141], v[2:3]
	ds_load_2addr_b64 v[134:137], v1 offset0:123 offset1:124
	ds_load_2addr_b64 v[1:4], v1 offset0:125 offset1:126
	s_waitcnt lgkmcnt(1)
	v_fma_f64 v[134:135], v[150:151], v[134:135], v[138:139]
	s_waitcnt vmcnt(1)
	s_delay_alu instid0(VALU_DEP_1) | instskip(SKIP_1) | instid1(VALU_DEP_1)
	v_fma_f64 v[134:135], v[160:161], v[136:137], v[134:135]
	s_waitcnt lgkmcnt(0)
	v_fma_f64 v[1:2], v[162:163], v[1:2], v[134:135]
	s_waitcnt vmcnt(0)
	s_delay_alu instid0(VALU_DEP_1) | instskip(NEXT) | instid1(VALU_DEP_1)
	v_fma_f64 v[1:2], v[152:153], v[3:4], v[1:2]
	v_add_f64 v[1:2], v[132:133], -v[1:2]
	scratch_store_b64 off, v[1:2], off offset:400
	v_cmpx_lt_u32_e32 49, v0
	s_cbranch_execz .LBB126_289
; %bb.288:
	scratch_load_b64 v[1:2], off, off offset:392
	v_mov_b32_e32 v3, 0
	s_delay_alu instid0(VALU_DEP_1)
	v_mov_b32_e32 v4, v3
	scratch_store_b64 off, v[3:4], off offset:392
	s_waitcnt vmcnt(0)
	ds_store_b64 v5, v[1:2]
.LBB126_289:
	s_or_b32 exec_lo, exec_lo, s0
	s_waitcnt lgkmcnt(0)
	s_waitcnt_vscnt null, 0x0
	s_barrier
	buffer_gl0_inv
	s_clause 0x4
	scratch_load_b128 v[132:135], off, off offset:392
	scratch_load_b128 v[136:139], off, off offset:408
	;; [unrolled: 1-line block ×5, first 2 shown]
	v_mov_b32_e32 v1, 0
	ds_load_b128 v[152:155], v1 offset:912
	ds_load_b128 v[156:159], v1 offset:928
	scratch_load_b128 v[160:163], off, off offset:472
	s_mov_b32 s0, exec_lo
	s_waitcnt vmcnt(5) lgkmcnt(1)
	v_fma_f64 v[2:3], v[134:135], v[152:153], 0
	s_waitcnt vmcnt(4)
	s_delay_alu instid0(VALU_DEP_1) | instskip(SKIP_4) | instid1(VALU_DEP_1)
	v_fma_f64 v[2:3], v[136:137], v[154:155], v[2:3]
	scratch_load_b128 v[134:137], off, off offset:488
	s_waitcnt lgkmcnt(0)
	v_fma_f64 v[2:3], v[138:139], v[156:157], v[2:3]
	s_waitcnt vmcnt(4)
	v_fma_f64 v[2:3], v[140:141], v[158:159], v[2:3]
	ds_load_b128 v[138:141], v1 offset:944
	ds_load_b128 v[152:155], v1 offset:960
	s_waitcnt lgkmcnt(1)
	v_fma_f64 v[2:3], v[142:143], v[138:139], v[2:3]
	s_waitcnt vmcnt(3)
	s_delay_alu instid0(VALU_DEP_1)
	v_fma_f64 v[2:3], v[144:145], v[140:141], v[2:3]
	ds_load_b128 v[138:141], v1 offset:976
	ds_load_b128 v[142:145], v1 offset:992
	s_waitcnt lgkmcnt(2)
	v_fma_f64 v[2:3], v[146:147], v[152:153], v[2:3]
	s_waitcnt vmcnt(2)
	s_delay_alu instid0(VALU_DEP_1) | instskip(SKIP_1) | instid1(VALU_DEP_1)
	v_fma_f64 v[2:3], v[148:149], v[154:155], v[2:3]
	s_waitcnt lgkmcnt(1)
	v_fma_f64 v[2:3], v[150:151], v[138:139], v[2:3]
	s_waitcnt vmcnt(1)
	s_delay_alu instid0(VALU_DEP_1) | instskip(SKIP_1) | instid1(VALU_DEP_1)
	v_fma_f64 v[2:3], v[160:161], v[140:141], v[2:3]
	s_waitcnt lgkmcnt(0)
	v_fma_f64 v[2:3], v[162:163], v[142:143], v[2:3]
	s_waitcnt vmcnt(0)
	s_delay_alu instid0(VALU_DEP_1) | instskip(SKIP_3) | instid1(VALU_DEP_1)
	v_fma_f64 v[2:3], v[134:135], v[144:145], v[2:3]
	ds_load_b64 v[134:135], v1 offset:1008
	s_waitcnt lgkmcnt(0)
	v_fma_f64 v[2:3], v[136:137], v[134:135], v[2:3]
	v_add_f64 v[2:3], v[132:133], -v[2:3]
	scratch_store_b64 off, v[2:3], off offset:392
	v_cmpx_lt_u32_e32 48, v0
	s_cbranch_execz .LBB126_291
; %bb.290:
	scratch_load_b64 v[3:4], off, off offset:384
	v_mov_b32_e32 v2, v1
	scratch_store_b64 off, v[1:2], off offset:384
	s_waitcnt vmcnt(0)
	ds_store_b64 v5, v[3:4]
.LBB126_291:
	s_or_b32 exec_lo, exec_lo, s0
	s_waitcnt lgkmcnt(0)
	s_waitcnt_vscnt null, 0x0
	s_barrier
	buffer_gl0_inv
	s_clause 0x4
	scratch_load_b128 v[132:135], off, off offset:384
	scratch_load_b128 v[136:139], off, off offset:400
	;; [unrolled: 1-line block ×5, first 2 shown]
	ds_load_2addr_b64 v[152:155], v1 offset0:113 offset1:114
	ds_load_2addr_b64 v[156:159], v1 offset0:115 offset1:116
	scratch_load_b128 v[160:163], off, off offset:464
	s_mov_b32 s0, exec_lo
	s_waitcnt vmcnt(5) lgkmcnt(1)
	v_fma_f64 v[2:3], v[134:135], v[152:153], 0
	s_waitcnt vmcnt(4)
	s_delay_alu instid0(VALU_DEP_1) | instskip(SKIP_4) | instid1(VALU_DEP_1)
	v_fma_f64 v[2:3], v[136:137], v[154:155], v[2:3]
	scratch_load_b128 v[134:137], off, off offset:480
	s_waitcnt lgkmcnt(0)
	v_fma_f64 v[2:3], v[138:139], v[156:157], v[2:3]
	s_waitcnt vmcnt(4)
	v_fma_f64 v[2:3], v[140:141], v[158:159], v[2:3]
	ds_load_2addr_b64 v[138:141], v1 offset0:117 offset1:118
	ds_load_2addr_b64 v[152:155], v1 offset0:119 offset1:120
	scratch_load_b64 v[156:157], off, off offset:496
	s_waitcnt lgkmcnt(1)
	v_fma_f64 v[2:3], v[142:143], v[138:139], v[2:3]
	s_waitcnt vmcnt(4)
	s_delay_alu instid0(VALU_DEP_1)
	v_fma_f64 v[2:3], v[144:145], v[140:141], v[2:3]
	ds_load_2addr_b64 v[138:141], v1 offset0:121 offset1:122
	ds_load_2addr_b64 v[142:145], v1 offset0:123 offset1:124
	s_waitcnt lgkmcnt(2)
	v_fma_f64 v[2:3], v[146:147], v[152:153], v[2:3]
	s_waitcnt vmcnt(3)
	s_delay_alu instid0(VALU_DEP_1) | instskip(SKIP_1) | instid1(VALU_DEP_1)
	v_fma_f64 v[2:3], v[148:149], v[154:155], v[2:3]
	s_waitcnt lgkmcnt(1)
	v_fma_f64 v[2:3], v[150:151], v[138:139], v[2:3]
	s_waitcnt vmcnt(2)
	s_delay_alu instid0(VALU_DEP_1) | instskip(SKIP_1) | instid1(VALU_DEP_1)
	v_fma_f64 v[2:3], v[160:161], v[140:141], v[2:3]
	s_waitcnt lgkmcnt(0)
	v_fma_f64 v[2:3], v[162:163], v[142:143], v[2:3]
	s_waitcnt vmcnt(1)
	s_delay_alu instid0(VALU_DEP_1) | instskip(SKIP_4) | instid1(VALU_DEP_1)
	v_fma_f64 v[134:135], v[134:135], v[144:145], v[2:3]
	ds_load_2addr_b64 v[1:4], v1 offset0:125 offset1:126
	s_waitcnt lgkmcnt(0)
	v_fma_f64 v[1:2], v[136:137], v[1:2], v[134:135]
	s_waitcnt vmcnt(0)
	v_fma_f64 v[1:2], v[156:157], v[3:4], v[1:2]
	s_delay_alu instid0(VALU_DEP_1)
	v_add_f64 v[1:2], v[132:133], -v[1:2]
	scratch_store_b64 off, v[1:2], off offset:384
	v_cmpx_lt_u32_e32 47, v0
	s_cbranch_execz .LBB126_293
; %bb.292:
	scratch_load_b64 v[1:2], off, off offset:376
	v_mov_b32_e32 v3, 0
	s_delay_alu instid0(VALU_DEP_1)
	v_mov_b32_e32 v4, v3
	scratch_store_b64 off, v[3:4], off offset:376
	s_waitcnt vmcnt(0)
	ds_store_b64 v5, v[1:2]
.LBB126_293:
	s_or_b32 exec_lo, exec_lo, s0
	s_waitcnt lgkmcnt(0)
	s_waitcnt_vscnt null, 0x0
	s_barrier
	buffer_gl0_inv
	s_clause 0x4
	scratch_load_b128 v[132:135], off, off offset:376
	scratch_load_b128 v[136:139], off, off offset:392
	;; [unrolled: 1-line block ×5, first 2 shown]
	v_mov_b32_e32 v1, 0
	ds_load_b128 v[152:155], v1 offset:896
	ds_load_b128 v[156:159], v1 offset:912
	scratch_load_b128 v[160:163], off, off offset:456
	s_mov_b32 s0, exec_lo
	s_waitcnt vmcnt(5) lgkmcnt(1)
	v_fma_f64 v[2:3], v[134:135], v[152:153], 0
	s_waitcnt vmcnt(4)
	s_delay_alu instid0(VALU_DEP_1) | instskip(SKIP_4) | instid1(VALU_DEP_1)
	v_fma_f64 v[2:3], v[136:137], v[154:155], v[2:3]
	scratch_load_b128 v[134:137], off, off offset:472
	s_waitcnt lgkmcnt(0)
	v_fma_f64 v[2:3], v[138:139], v[156:157], v[2:3]
	s_waitcnt vmcnt(4)
	v_fma_f64 v[2:3], v[140:141], v[158:159], v[2:3]
	ds_load_b128 v[138:141], v1 offset:928
	ds_load_b128 v[152:155], v1 offset:944
	scratch_load_b128 v[156:159], off, off offset:488
	s_waitcnt lgkmcnt(1)
	v_fma_f64 v[2:3], v[142:143], v[138:139], v[2:3]
	s_waitcnt vmcnt(4)
	s_delay_alu instid0(VALU_DEP_1)
	v_fma_f64 v[2:3], v[144:145], v[140:141], v[2:3]
	ds_load_b128 v[138:141], v1 offset:960
	ds_load_b128 v[142:145], v1 offset:976
	s_waitcnt lgkmcnt(2)
	v_fma_f64 v[2:3], v[146:147], v[152:153], v[2:3]
	s_waitcnt vmcnt(3)
	s_delay_alu instid0(VALU_DEP_1) | instskip(SKIP_1) | instid1(VALU_DEP_1)
	v_fma_f64 v[2:3], v[148:149], v[154:155], v[2:3]
	s_waitcnt lgkmcnt(1)
	v_fma_f64 v[2:3], v[150:151], v[138:139], v[2:3]
	s_waitcnt vmcnt(2)
	s_delay_alu instid0(VALU_DEP_1) | instskip(SKIP_1) | instid1(VALU_DEP_1)
	v_fma_f64 v[2:3], v[160:161], v[140:141], v[2:3]
	s_waitcnt lgkmcnt(0)
	v_fma_f64 v[2:3], v[162:163], v[142:143], v[2:3]
	s_waitcnt vmcnt(1)
	s_delay_alu instid0(VALU_DEP_1)
	v_fma_f64 v[2:3], v[134:135], v[144:145], v[2:3]
	ds_load_b128 v[138:141], v1 offset:992
	ds_load_b64 v[134:135], v1 offset:1008
	s_waitcnt lgkmcnt(1)
	v_fma_f64 v[2:3], v[136:137], v[138:139], v[2:3]
	s_waitcnt vmcnt(0)
	s_delay_alu instid0(VALU_DEP_1) | instskip(SKIP_1) | instid1(VALU_DEP_1)
	v_fma_f64 v[2:3], v[156:157], v[140:141], v[2:3]
	s_waitcnt lgkmcnt(0)
	v_fma_f64 v[2:3], v[158:159], v[134:135], v[2:3]
	s_delay_alu instid0(VALU_DEP_1)
	v_add_f64 v[2:3], v[132:133], -v[2:3]
	scratch_store_b64 off, v[2:3], off offset:376
	v_cmpx_lt_u32_e32 46, v0
	s_cbranch_execz .LBB126_295
; %bb.294:
	scratch_load_b64 v[3:4], off, off offset:368
	v_mov_b32_e32 v2, v1
	scratch_store_b64 off, v[1:2], off offset:368
	s_waitcnt vmcnt(0)
	ds_store_b64 v5, v[3:4]
.LBB126_295:
	s_or_b32 exec_lo, exec_lo, s0
	s_waitcnt lgkmcnt(0)
	s_waitcnt_vscnt null, 0x0
	s_barrier
	buffer_gl0_inv
	s_clause 0x4
	scratch_load_b128 v[132:135], off, off offset:368
	scratch_load_b128 v[136:139], off, off offset:384
	;; [unrolled: 1-line block ×5, first 2 shown]
	ds_load_2addr_b64 v[152:155], v1 offset0:111 offset1:112
	ds_load_2addr_b64 v[156:159], v1 offset0:113 offset1:114
	scratch_load_b128 v[160:163], off, off offset:448
	s_mov_b32 s0, exec_lo
	s_waitcnt vmcnt(5) lgkmcnt(1)
	v_fma_f64 v[2:3], v[134:135], v[152:153], 0
	s_waitcnt vmcnt(4)
	s_delay_alu instid0(VALU_DEP_1) | instskip(SKIP_4) | instid1(VALU_DEP_1)
	v_fma_f64 v[2:3], v[136:137], v[154:155], v[2:3]
	scratch_load_b128 v[134:137], off, off offset:464
	s_waitcnt lgkmcnt(0)
	v_fma_f64 v[2:3], v[138:139], v[156:157], v[2:3]
	s_waitcnt vmcnt(4)
	v_fma_f64 v[2:3], v[140:141], v[158:159], v[2:3]
	ds_load_2addr_b64 v[138:141], v1 offset0:115 offset1:116
	ds_load_2addr_b64 v[152:155], v1 offset0:117 offset1:118
	scratch_load_b128 v[156:159], off, off offset:480
	s_waitcnt lgkmcnt(1)
	v_fma_f64 v[2:3], v[142:143], v[138:139], v[2:3]
	s_waitcnt vmcnt(4)
	s_delay_alu instid0(VALU_DEP_1) | instskip(SKIP_1) | instid1(VALU_DEP_1)
	v_fma_f64 v[2:3], v[144:145], v[140:141], v[2:3]
	s_waitcnt lgkmcnt(0)
	v_fma_f64 v[2:3], v[146:147], v[152:153], v[2:3]
	scratch_load_b64 v[146:147], off, off offset:496
	ds_load_2addr_b64 v[138:141], v1 offset0:119 offset1:120
	ds_load_2addr_b64 v[142:145], v1 offset0:121 offset1:122
	s_waitcnt vmcnt(4)
	v_fma_f64 v[2:3], v[148:149], v[154:155], v[2:3]
	s_waitcnt lgkmcnt(1)
	s_delay_alu instid0(VALU_DEP_1) | instskip(SKIP_1) | instid1(VALU_DEP_1)
	v_fma_f64 v[2:3], v[150:151], v[138:139], v[2:3]
	s_waitcnt vmcnt(3)
	v_fma_f64 v[2:3], v[160:161], v[140:141], v[2:3]
	s_waitcnt lgkmcnt(0)
	s_delay_alu instid0(VALU_DEP_1) | instskip(SKIP_1) | instid1(VALU_DEP_1)
	v_fma_f64 v[2:3], v[162:163], v[142:143], v[2:3]
	s_waitcnt vmcnt(2)
	v_fma_f64 v[134:135], v[134:135], v[144:145], v[2:3]
	ds_load_2addr_b64 v[138:141], v1 offset0:123 offset1:124
	ds_load_2addr_b64 v[1:4], v1 offset0:125 offset1:126
	s_waitcnt lgkmcnt(1)
	v_fma_f64 v[134:135], v[136:137], v[138:139], v[134:135]
	s_waitcnt vmcnt(1)
	s_delay_alu instid0(VALU_DEP_1) | instskip(SKIP_1) | instid1(VALU_DEP_1)
	v_fma_f64 v[134:135], v[156:157], v[140:141], v[134:135]
	s_waitcnt lgkmcnt(0)
	v_fma_f64 v[1:2], v[158:159], v[1:2], v[134:135]
	s_waitcnt vmcnt(0)
	s_delay_alu instid0(VALU_DEP_1) | instskip(NEXT) | instid1(VALU_DEP_1)
	v_fma_f64 v[1:2], v[146:147], v[3:4], v[1:2]
	v_add_f64 v[1:2], v[132:133], -v[1:2]
	scratch_store_b64 off, v[1:2], off offset:368
	v_cmpx_lt_u32_e32 45, v0
	s_cbranch_execz .LBB126_297
; %bb.296:
	scratch_load_b64 v[1:2], off, off offset:360
	v_mov_b32_e32 v3, 0
	s_delay_alu instid0(VALU_DEP_1)
	v_mov_b32_e32 v4, v3
	scratch_store_b64 off, v[3:4], off offset:360
	s_waitcnt vmcnt(0)
	ds_store_b64 v5, v[1:2]
.LBB126_297:
	s_or_b32 exec_lo, exec_lo, s0
	s_waitcnt lgkmcnt(0)
	s_waitcnt_vscnt null, 0x0
	s_barrier
	buffer_gl0_inv
	s_clause 0x4
	scratch_load_b128 v[132:135], off, off offset:360
	scratch_load_b128 v[136:139], off, off offset:376
	;; [unrolled: 1-line block ×5, first 2 shown]
	v_mov_b32_e32 v1, 0
	ds_load_b128 v[152:155], v1 offset:880
	ds_load_b128 v[156:159], v1 offset:896
	scratch_load_b128 v[160:163], off, off offset:440
	s_mov_b32 s0, exec_lo
	s_waitcnt vmcnt(5) lgkmcnt(1)
	v_fma_f64 v[2:3], v[134:135], v[152:153], 0
	s_waitcnt vmcnt(4)
	s_delay_alu instid0(VALU_DEP_1) | instskip(SKIP_4) | instid1(VALU_DEP_1)
	v_fma_f64 v[2:3], v[136:137], v[154:155], v[2:3]
	scratch_load_b128 v[134:137], off, off offset:456
	s_waitcnt lgkmcnt(0)
	v_fma_f64 v[2:3], v[138:139], v[156:157], v[2:3]
	s_waitcnt vmcnt(4)
	v_fma_f64 v[2:3], v[140:141], v[158:159], v[2:3]
	ds_load_b128 v[138:141], v1 offset:912
	ds_load_b128 v[152:155], v1 offset:928
	scratch_load_b128 v[156:159], off, off offset:472
	s_waitcnt lgkmcnt(1)
	v_fma_f64 v[2:3], v[142:143], v[138:139], v[2:3]
	s_waitcnt vmcnt(4)
	s_delay_alu instid0(VALU_DEP_1) | instskip(SKIP_4) | instid1(VALU_DEP_1)
	v_fma_f64 v[2:3], v[144:145], v[140:141], v[2:3]
	scratch_load_b128 v[138:141], off, off offset:488
	s_waitcnt lgkmcnt(0)
	v_fma_f64 v[2:3], v[146:147], v[152:153], v[2:3]
	s_waitcnt vmcnt(4)
	v_fma_f64 v[2:3], v[148:149], v[154:155], v[2:3]
	ds_load_b128 v[142:145], v1 offset:944
	ds_load_b128 v[146:149], v1 offset:960
	s_waitcnt lgkmcnt(1)
	v_fma_f64 v[2:3], v[150:151], v[142:143], v[2:3]
	s_waitcnt vmcnt(3)
	s_delay_alu instid0(VALU_DEP_1) | instskip(SKIP_1) | instid1(VALU_DEP_1)
	v_fma_f64 v[2:3], v[160:161], v[144:145], v[2:3]
	s_waitcnt lgkmcnt(0)
	v_fma_f64 v[2:3], v[162:163], v[146:147], v[2:3]
	s_waitcnt vmcnt(2)
	s_delay_alu instid0(VALU_DEP_1)
	v_fma_f64 v[2:3], v[134:135], v[148:149], v[2:3]
	ds_load_b128 v[142:145], v1 offset:976
	ds_load_b128 v[146:149], v1 offset:992
	ds_load_b64 v[134:135], v1 offset:1008
	s_waitcnt lgkmcnt(2)
	v_fma_f64 v[2:3], v[136:137], v[142:143], v[2:3]
	s_waitcnt vmcnt(1)
	s_delay_alu instid0(VALU_DEP_1) | instskip(SKIP_1) | instid1(VALU_DEP_1)
	v_fma_f64 v[2:3], v[156:157], v[144:145], v[2:3]
	s_waitcnt lgkmcnt(1)
	v_fma_f64 v[2:3], v[158:159], v[146:147], v[2:3]
	s_waitcnt vmcnt(0)
	s_delay_alu instid0(VALU_DEP_1) | instskip(SKIP_1) | instid1(VALU_DEP_1)
	v_fma_f64 v[2:3], v[138:139], v[148:149], v[2:3]
	s_waitcnt lgkmcnt(0)
	v_fma_f64 v[2:3], v[140:141], v[134:135], v[2:3]
	s_delay_alu instid0(VALU_DEP_1)
	v_add_f64 v[2:3], v[132:133], -v[2:3]
	scratch_store_b64 off, v[2:3], off offset:360
	v_cmpx_lt_u32_e32 44, v0
	s_cbranch_execz .LBB126_299
; %bb.298:
	scratch_load_b64 v[3:4], off, off offset:352
	v_mov_b32_e32 v2, v1
	scratch_store_b64 off, v[1:2], off offset:352
	s_waitcnt vmcnt(0)
	ds_store_b64 v5, v[3:4]
.LBB126_299:
	s_or_b32 exec_lo, exec_lo, s0
	s_waitcnt lgkmcnt(0)
	s_waitcnt_vscnt null, 0x0
	s_barrier
	buffer_gl0_inv
	s_clause 0x4
	scratch_load_b128 v[132:135], off, off offset:352
	scratch_load_b128 v[136:139], off, off offset:368
	;; [unrolled: 1-line block ×5, first 2 shown]
	ds_load_2addr_b64 v[152:155], v1 offset0:109 offset1:110
	ds_load_2addr_b64 v[156:159], v1 offset0:111 offset1:112
	scratch_load_b128 v[160:163], off, off offset:432
	s_mov_b32 s0, exec_lo
	s_waitcnt vmcnt(5) lgkmcnt(1)
	v_fma_f64 v[2:3], v[134:135], v[152:153], 0
	s_waitcnt vmcnt(4)
	s_delay_alu instid0(VALU_DEP_1) | instskip(SKIP_4) | instid1(VALU_DEP_1)
	v_fma_f64 v[2:3], v[136:137], v[154:155], v[2:3]
	scratch_load_b128 v[134:137], off, off offset:448
	s_waitcnt lgkmcnt(0)
	v_fma_f64 v[2:3], v[138:139], v[156:157], v[2:3]
	s_waitcnt vmcnt(4)
	v_fma_f64 v[2:3], v[140:141], v[158:159], v[2:3]
	ds_load_2addr_b64 v[138:141], v1 offset0:113 offset1:114
	ds_load_2addr_b64 v[152:155], v1 offset0:115 offset1:116
	scratch_load_b128 v[156:159], off, off offset:464
	s_waitcnt lgkmcnt(1)
	v_fma_f64 v[2:3], v[142:143], v[138:139], v[2:3]
	s_waitcnt vmcnt(4)
	s_delay_alu instid0(VALU_DEP_1) | instskip(SKIP_4) | instid1(VALU_DEP_1)
	v_fma_f64 v[2:3], v[144:145], v[140:141], v[2:3]
	scratch_load_b128 v[138:141], off, off offset:480
	s_waitcnt lgkmcnt(0)
	v_fma_f64 v[2:3], v[146:147], v[152:153], v[2:3]
	s_waitcnt vmcnt(4)
	v_fma_f64 v[2:3], v[148:149], v[154:155], v[2:3]
	ds_load_2addr_b64 v[142:145], v1 offset0:117 offset1:118
	ds_load_2addr_b64 v[146:149], v1 offset0:119 offset1:120
	s_waitcnt lgkmcnt(1)
	v_fma_f64 v[2:3], v[150:151], v[142:143], v[2:3]
	scratch_load_b64 v[150:151], off, off offset:496
	s_waitcnt vmcnt(4)
	v_fma_f64 v[2:3], v[160:161], v[144:145], v[2:3]
	s_waitcnt lgkmcnt(0)
	s_delay_alu instid0(VALU_DEP_1) | instskip(SKIP_1) | instid1(VALU_DEP_1)
	v_fma_f64 v[2:3], v[162:163], v[146:147], v[2:3]
	s_waitcnt vmcnt(3)
	v_fma_f64 v[2:3], v[134:135], v[148:149], v[2:3]
	ds_load_2addr_b64 v[142:145], v1 offset0:121 offset1:122
	ds_load_2addr_b64 v[146:149], v1 offset0:123 offset1:124
	s_waitcnt lgkmcnt(1)
	v_fma_f64 v[2:3], v[136:137], v[142:143], v[2:3]
	s_waitcnt vmcnt(2)
	s_delay_alu instid0(VALU_DEP_1) | instskip(SKIP_1) | instid1(VALU_DEP_1)
	v_fma_f64 v[2:3], v[156:157], v[144:145], v[2:3]
	s_waitcnt lgkmcnt(0)
	v_fma_f64 v[2:3], v[158:159], v[146:147], v[2:3]
	s_waitcnt vmcnt(1)
	s_delay_alu instid0(VALU_DEP_1) | instskip(SKIP_4) | instid1(VALU_DEP_1)
	v_fma_f64 v[134:135], v[138:139], v[148:149], v[2:3]
	ds_load_2addr_b64 v[1:4], v1 offset0:125 offset1:126
	s_waitcnt lgkmcnt(0)
	v_fma_f64 v[1:2], v[140:141], v[1:2], v[134:135]
	s_waitcnt vmcnt(0)
	v_fma_f64 v[1:2], v[150:151], v[3:4], v[1:2]
	s_delay_alu instid0(VALU_DEP_1)
	v_add_f64 v[1:2], v[132:133], -v[1:2]
	scratch_store_b64 off, v[1:2], off offset:352
	v_cmpx_lt_u32_e32 43, v0
	s_cbranch_execz .LBB126_301
; %bb.300:
	scratch_load_b64 v[1:2], off, off offset:344
	v_mov_b32_e32 v3, 0
	s_delay_alu instid0(VALU_DEP_1)
	v_mov_b32_e32 v4, v3
	scratch_store_b64 off, v[3:4], off offset:344
	s_waitcnt vmcnt(0)
	ds_store_b64 v5, v[1:2]
.LBB126_301:
	s_or_b32 exec_lo, exec_lo, s0
	s_waitcnt lgkmcnt(0)
	s_waitcnt_vscnt null, 0x0
	s_barrier
	buffer_gl0_inv
	s_clause 0x4
	scratch_load_b128 v[132:135], off, off offset:344
	scratch_load_b128 v[136:139], off, off offset:360
	;; [unrolled: 1-line block ×5, first 2 shown]
	v_mov_b32_e32 v1, 0
	ds_load_b128 v[152:155], v1 offset:864
	ds_load_b128 v[156:159], v1 offset:880
	scratch_load_b128 v[160:163], off, off offset:424
	s_mov_b32 s0, exec_lo
	s_waitcnt vmcnt(5) lgkmcnt(1)
	v_fma_f64 v[2:3], v[134:135], v[152:153], 0
	s_waitcnt vmcnt(4)
	s_delay_alu instid0(VALU_DEP_1) | instskip(SKIP_4) | instid1(VALU_DEP_1)
	v_fma_f64 v[2:3], v[136:137], v[154:155], v[2:3]
	scratch_load_b128 v[134:137], off, off offset:440
	s_waitcnt lgkmcnt(0)
	v_fma_f64 v[2:3], v[138:139], v[156:157], v[2:3]
	s_waitcnt vmcnt(4)
	v_fma_f64 v[2:3], v[140:141], v[158:159], v[2:3]
	ds_load_b128 v[138:141], v1 offset:896
	ds_load_b128 v[152:155], v1 offset:912
	scratch_load_b128 v[156:159], off, off offset:456
	s_waitcnt lgkmcnt(1)
	v_fma_f64 v[2:3], v[142:143], v[138:139], v[2:3]
	s_waitcnt vmcnt(4)
	s_delay_alu instid0(VALU_DEP_1) | instskip(SKIP_4) | instid1(VALU_DEP_1)
	v_fma_f64 v[2:3], v[144:145], v[140:141], v[2:3]
	scratch_load_b128 v[138:141], off, off offset:472
	s_waitcnt lgkmcnt(0)
	v_fma_f64 v[2:3], v[146:147], v[152:153], v[2:3]
	s_waitcnt vmcnt(4)
	v_fma_f64 v[2:3], v[148:149], v[154:155], v[2:3]
	ds_load_b128 v[142:145], v1 offset:928
	ds_load_b128 v[146:149], v1 offset:944
	s_waitcnt lgkmcnt(1)
	v_fma_f64 v[2:3], v[150:151], v[142:143], v[2:3]
	scratch_load_b128 v[150:153], off, off offset:488
	s_waitcnt vmcnt(4)
	v_fma_f64 v[2:3], v[160:161], v[144:145], v[2:3]
	s_waitcnt lgkmcnt(0)
	s_delay_alu instid0(VALU_DEP_1) | instskip(SKIP_1) | instid1(VALU_DEP_1)
	v_fma_f64 v[2:3], v[162:163], v[146:147], v[2:3]
	s_waitcnt vmcnt(3)
	v_fma_f64 v[2:3], v[134:135], v[148:149], v[2:3]
	ds_load_b128 v[142:145], v1 offset:960
	ds_load_b128 v[146:149], v1 offset:976
	s_waitcnt lgkmcnt(1)
	v_fma_f64 v[2:3], v[136:137], v[142:143], v[2:3]
	s_waitcnt vmcnt(2)
	s_delay_alu instid0(VALU_DEP_1) | instskip(SKIP_1) | instid1(VALU_DEP_1)
	v_fma_f64 v[2:3], v[156:157], v[144:145], v[2:3]
	s_waitcnt lgkmcnt(0)
	v_fma_f64 v[2:3], v[158:159], v[146:147], v[2:3]
	s_waitcnt vmcnt(1)
	s_delay_alu instid0(VALU_DEP_1)
	v_fma_f64 v[2:3], v[138:139], v[148:149], v[2:3]
	ds_load_b128 v[134:137], v1 offset:992
	ds_load_b64 v[138:139], v1 offset:1008
	s_waitcnt lgkmcnt(1)
	v_fma_f64 v[2:3], v[140:141], v[134:135], v[2:3]
	s_waitcnt vmcnt(0)
	s_delay_alu instid0(VALU_DEP_1) | instskip(SKIP_1) | instid1(VALU_DEP_1)
	v_fma_f64 v[2:3], v[150:151], v[136:137], v[2:3]
	s_waitcnt lgkmcnt(0)
	v_fma_f64 v[2:3], v[152:153], v[138:139], v[2:3]
	s_delay_alu instid0(VALU_DEP_1)
	v_add_f64 v[2:3], v[132:133], -v[2:3]
	scratch_store_b64 off, v[2:3], off offset:344
	v_cmpx_lt_u32_e32 42, v0
	s_cbranch_execz .LBB126_303
; %bb.302:
	scratch_load_b64 v[3:4], off, off offset:336
	v_mov_b32_e32 v2, v1
	scratch_store_b64 off, v[1:2], off offset:336
	s_waitcnt vmcnt(0)
	ds_store_b64 v5, v[3:4]
.LBB126_303:
	s_or_b32 exec_lo, exec_lo, s0
	s_waitcnt lgkmcnt(0)
	s_waitcnt_vscnt null, 0x0
	s_barrier
	buffer_gl0_inv
	s_clause 0x4
	scratch_load_b128 v[132:135], off, off offset:336
	scratch_load_b128 v[136:139], off, off offset:352
	;; [unrolled: 1-line block ×5, first 2 shown]
	ds_load_2addr_b64 v[152:155], v1 offset0:107 offset1:108
	ds_load_2addr_b64 v[156:159], v1 offset0:109 offset1:110
	scratch_load_b128 v[160:163], off, off offset:416
	s_mov_b32 s0, exec_lo
	s_waitcnt vmcnt(5) lgkmcnt(1)
	v_fma_f64 v[2:3], v[134:135], v[152:153], 0
	s_waitcnt vmcnt(4)
	s_delay_alu instid0(VALU_DEP_1) | instskip(SKIP_4) | instid1(VALU_DEP_1)
	v_fma_f64 v[2:3], v[136:137], v[154:155], v[2:3]
	scratch_load_b128 v[134:137], off, off offset:432
	s_waitcnt lgkmcnt(0)
	v_fma_f64 v[2:3], v[138:139], v[156:157], v[2:3]
	s_waitcnt vmcnt(4)
	v_fma_f64 v[2:3], v[140:141], v[158:159], v[2:3]
	ds_load_2addr_b64 v[138:141], v1 offset0:111 offset1:112
	ds_load_2addr_b64 v[152:155], v1 offset0:113 offset1:114
	scratch_load_b128 v[156:159], off, off offset:448
	s_waitcnt lgkmcnt(1)
	v_fma_f64 v[2:3], v[142:143], v[138:139], v[2:3]
	s_waitcnt vmcnt(4)
	s_delay_alu instid0(VALU_DEP_1) | instskip(SKIP_4) | instid1(VALU_DEP_1)
	v_fma_f64 v[2:3], v[144:145], v[140:141], v[2:3]
	scratch_load_b128 v[138:141], off, off offset:464
	s_waitcnt lgkmcnt(0)
	v_fma_f64 v[2:3], v[146:147], v[152:153], v[2:3]
	s_waitcnt vmcnt(4)
	v_fma_f64 v[2:3], v[148:149], v[154:155], v[2:3]
	ds_load_2addr_b64 v[142:145], v1 offset0:115 offset1:116
	ds_load_2addr_b64 v[146:149], v1 offset0:117 offset1:118
	scratch_load_b64 v[154:155], off, off offset:496
	s_waitcnt lgkmcnt(1)
	v_fma_f64 v[2:3], v[150:151], v[142:143], v[2:3]
	scratch_load_b128 v[150:153], off, off offset:480
	s_waitcnt vmcnt(5)
	v_fma_f64 v[2:3], v[160:161], v[144:145], v[2:3]
	s_waitcnt lgkmcnt(0)
	s_delay_alu instid0(VALU_DEP_1) | instskip(SKIP_1) | instid1(VALU_DEP_1)
	v_fma_f64 v[2:3], v[162:163], v[146:147], v[2:3]
	s_waitcnt vmcnt(4)
	v_fma_f64 v[2:3], v[134:135], v[148:149], v[2:3]
	ds_load_2addr_b64 v[142:145], v1 offset0:119 offset1:120
	ds_load_2addr_b64 v[146:149], v1 offset0:121 offset1:122
	s_waitcnt lgkmcnt(1)
	v_fma_f64 v[2:3], v[136:137], v[142:143], v[2:3]
	s_waitcnt vmcnt(3)
	s_delay_alu instid0(VALU_DEP_1) | instskip(SKIP_1) | instid1(VALU_DEP_1)
	v_fma_f64 v[2:3], v[156:157], v[144:145], v[2:3]
	s_waitcnt lgkmcnt(0)
	v_fma_f64 v[2:3], v[158:159], v[146:147], v[2:3]
	s_waitcnt vmcnt(2)
	s_delay_alu instid0(VALU_DEP_1)
	v_fma_f64 v[138:139], v[138:139], v[148:149], v[2:3]
	ds_load_2addr_b64 v[134:137], v1 offset0:123 offset1:124
	ds_load_2addr_b64 v[1:4], v1 offset0:125 offset1:126
	s_waitcnt lgkmcnt(1)
	v_fma_f64 v[134:135], v[140:141], v[134:135], v[138:139]
	s_waitcnt vmcnt(0)
	s_delay_alu instid0(VALU_DEP_1) | instskip(SKIP_1) | instid1(VALU_DEP_1)
	v_fma_f64 v[134:135], v[150:151], v[136:137], v[134:135]
	s_waitcnt lgkmcnt(0)
	v_fma_f64 v[1:2], v[152:153], v[1:2], v[134:135]
	s_delay_alu instid0(VALU_DEP_1) | instskip(NEXT) | instid1(VALU_DEP_1)
	v_fma_f64 v[1:2], v[154:155], v[3:4], v[1:2]
	v_add_f64 v[1:2], v[132:133], -v[1:2]
	scratch_store_b64 off, v[1:2], off offset:336
	v_cmpx_lt_u32_e32 41, v0
	s_cbranch_execz .LBB126_305
; %bb.304:
	scratch_load_b64 v[1:2], off, off offset:328
	v_mov_b32_e32 v3, 0
	s_delay_alu instid0(VALU_DEP_1)
	v_mov_b32_e32 v4, v3
	scratch_store_b64 off, v[3:4], off offset:328
	s_waitcnt vmcnt(0)
	ds_store_b64 v5, v[1:2]
.LBB126_305:
	s_or_b32 exec_lo, exec_lo, s0
	s_waitcnt lgkmcnt(0)
	s_waitcnt_vscnt null, 0x0
	s_barrier
	buffer_gl0_inv
	s_clause 0x4
	scratch_load_b128 v[132:135], off, off offset:328
	scratch_load_b128 v[136:139], off, off offset:344
	;; [unrolled: 1-line block ×5, first 2 shown]
	v_mov_b32_e32 v1, 0
	ds_load_b128 v[152:155], v1 offset:848
	ds_load_b128 v[156:159], v1 offset:864
	scratch_load_b128 v[160:163], off, off offset:408
	s_mov_b32 s0, exec_lo
	s_waitcnt vmcnt(5) lgkmcnt(1)
	v_fma_f64 v[2:3], v[134:135], v[152:153], 0
	s_waitcnt vmcnt(4)
	s_delay_alu instid0(VALU_DEP_1) | instskip(SKIP_4) | instid1(VALU_DEP_1)
	v_fma_f64 v[2:3], v[136:137], v[154:155], v[2:3]
	scratch_load_b128 v[134:137], off, off offset:424
	s_waitcnt lgkmcnt(0)
	v_fma_f64 v[2:3], v[138:139], v[156:157], v[2:3]
	s_waitcnt vmcnt(4)
	v_fma_f64 v[2:3], v[140:141], v[158:159], v[2:3]
	ds_load_b128 v[138:141], v1 offset:880
	ds_load_b128 v[152:155], v1 offset:896
	scratch_load_b128 v[156:159], off, off offset:440
	s_waitcnt lgkmcnt(1)
	v_fma_f64 v[2:3], v[142:143], v[138:139], v[2:3]
	s_waitcnt vmcnt(4)
	s_delay_alu instid0(VALU_DEP_1) | instskip(SKIP_4) | instid1(VALU_DEP_1)
	v_fma_f64 v[2:3], v[144:145], v[140:141], v[2:3]
	scratch_load_b128 v[138:141], off, off offset:456
	s_waitcnt lgkmcnt(0)
	v_fma_f64 v[2:3], v[146:147], v[152:153], v[2:3]
	s_waitcnt vmcnt(4)
	v_fma_f64 v[2:3], v[148:149], v[154:155], v[2:3]
	ds_load_b128 v[142:145], v1 offset:912
	ds_load_b128 v[146:149], v1 offset:928
	s_waitcnt lgkmcnt(1)
	v_fma_f64 v[2:3], v[150:151], v[142:143], v[2:3]
	scratch_load_b128 v[150:153], off, off offset:472
	s_waitcnt vmcnt(4)
	v_fma_f64 v[2:3], v[160:161], v[144:145], v[2:3]
	scratch_load_b128 v[142:145], off, off offset:488
	s_waitcnt lgkmcnt(0)
	v_fma_f64 v[2:3], v[162:163], v[146:147], v[2:3]
	s_waitcnt vmcnt(4)
	s_delay_alu instid0(VALU_DEP_1)
	v_fma_f64 v[2:3], v[134:135], v[148:149], v[2:3]
	ds_load_b128 v[146:149], v1 offset:944
	ds_load_b128 v[160:163], v1 offset:960
	s_waitcnt lgkmcnt(1)
	v_fma_f64 v[2:3], v[136:137], v[146:147], v[2:3]
	s_waitcnt vmcnt(3)
	s_delay_alu instid0(VALU_DEP_1)
	v_fma_f64 v[2:3], v[156:157], v[148:149], v[2:3]
	ds_load_b128 v[134:137], v1 offset:976
	ds_load_b128 v[146:149], v1 offset:992
	s_waitcnt lgkmcnt(2)
	v_fma_f64 v[2:3], v[158:159], v[160:161], v[2:3]
	s_waitcnt vmcnt(2)
	s_delay_alu instid0(VALU_DEP_1) | instskip(SKIP_1) | instid1(VALU_DEP_1)
	v_fma_f64 v[2:3], v[138:139], v[162:163], v[2:3]
	s_waitcnt lgkmcnt(1)
	v_fma_f64 v[2:3], v[140:141], v[134:135], v[2:3]
	ds_load_b64 v[134:135], v1 offset:1008
	s_waitcnt vmcnt(1)
	v_fma_f64 v[2:3], v[150:151], v[136:137], v[2:3]
	s_waitcnt lgkmcnt(1)
	s_delay_alu instid0(VALU_DEP_1) | instskip(SKIP_1) | instid1(VALU_DEP_1)
	v_fma_f64 v[2:3], v[152:153], v[146:147], v[2:3]
	s_waitcnt vmcnt(0)
	v_fma_f64 v[2:3], v[142:143], v[148:149], v[2:3]
	s_waitcnt lgkmcnt(0)
	s_delay_alu instid0(VALU_DEP_1) | instskip(NEXT) | instid1(VALU_DEP_1)
	v_fma_f64 v[2:3], v[144:145], v[134:135], v[2:3]
	v_add_f64 v[2:3], v[132:133], -v[2:3]
	scratch_store_b64 off, v[2:3], off offset:328
	v_cmpx_lt_u32_e32 40, v0
	s_cbranch_execz .LBB126_307
; %bb.306:
	scratch_load_b64 v[3:4], off, off offset:320
	v_mov_b32_e32 v2, v1
	scratch_store_b64 off, v[1:2], off offset:320
	s_waitcnt vmcnt(0)
	ds_store_b64 v5, v[3:4]
.LBB126_307:
	s_or_b32 exec_lo, exec_lo, s0
	s_waitcnt lgkmcnt(0)
	s_waitcnt_vscnt null, 0x0
	s_barrier
	buffer_gl0_inv
	s_clause 0x4
	scratch_load_b128 v[132:135], off, off offset:320
	scratch_load_b128 v[136:139], off, off offset:336
	;; [unrolled: 1-line block ×5, first 2 shown]
	ds_load_2addr_b64 v[152:155], v1 offset0:105 offset1:106
	ds_load_2addr_b64 v[156:159], v1 offset0:107 offset1:108
	scratch_load_b128 v[160:163], off, off offset:400
	s_mov_b32 s0, exec_lo
	s_waitcnt vmcnt(5) lgkmcnt(1)
	v_fma_f64 v[2:3], v[134:135], v[152:153], 0
	s_waitcnt vmcnt(4)
	s_delay_alu instid0(VALU_DEP_1) | instskip(SKIP_4) | instid1(VALU_DEP_1)
	v_fma_f64 v[2:3], v[136:137], v[154:155], v[2:3]
	scratch_load_b128 v[134:137], off, off offset:416
	s_waitcnt lgkmcnt(0)
	v_fma_f64 v[2:3], v[138:139], v[156:157], v[2:3]
	s_waitcnt vmcnt(4)
	v_fma_f64 v[2:3], v[140:141], v[158:159], v[2:3]
	ds_load_2addr_b64 v[138:141], v1 offset0:109 offset1:110
	ds_load_2addr_b64 v[152:155], v1 offset0:111 offset1:112
	scratch_load_b128 v[156:159], off, off offset:432
	s_waitcnt lgkmcnt(1)
	v_fma_f64 v[2:3], v[142:143], v[138:139], v[2:3]
	s_waitcnt vmcnt(4)
	s_delay_alu instid0(VALU_DEP_1) | instskip(SKIP_4) | instid1(VALU_DEP_1)
	v_fma_f64 v[2:3], v[144:145], v[140:141], v[2:3]
	scratch_load_b128 v[138:141], off, off offset:448
	s_waitcnt lgkmcnt(0)
	v_fma_f64 v[2:3], v[146:147], v[152:153], v[2:3]
	s_waitcnt vmcnt(4)
	v_fma_f64 v[2:3], v[148:149], v[154:155], v[2:3]
	ds_load_2addr_b64 v[142:145], v1 offset0:113 offset1:114
	ds_load_2addr_b64 v[146:149], v1 offset0:115 offset1:116
	s_waitcnt lgkmcnt(1)
	v_fma_f64 v[2:3], v[150:151], v[142:143], v[2:3]
	scratch_load_b128 v[150:153], off, off offset:464
	s_waitcnt vmcnt(4)
	v_fma_f64 v[2:3], v[160:161], v[144:145], v[2:3]
	scratch_load_b128 v[142:145], off, off offset:480
	s_waitcnt lgkmcnt(0)
	v_fma_f64 v[2:3], v[162:163], v[146:147], v[2:3]
	s_waitcnt vmcnt(4)
	s_delay_alu instid0(VALU_DEP_1)
	v_fma_f64 v[2:3], v[134:135], v[148:149], v[2:3]
	ds_load_2addr_b64 v[146:149], v1 offset0:117 offset1:118
	ds_load_2addr_b64 v[160:163], v1 offset0:119 offset1:120
	scratch_load_b64 v[154:155], off, off offset:496
	s_waitcnt lgkmcnt(1)
	v_fma_f64 v[2:3], v[136:137], v[146:147], v[2:3]
	s_waitcnt vmcnt(4)
	s_delay_alu instid0(VALU_DEP_1)
	v_fma_f64 v[2:3], v[156:157], v[148:149], v[2:3]
	ds_load_2addr_b64 v[134:137], v1 offset0:121 offset1:122
	ds_load_2addr_b64 v[146:149], v1 offset0:123 offset1:124
	s_waitcnt lgkmcnt(2)
	v_fma_f64 v[2:3], v[158:159], v[160:161], v[2:3]
	s_waitcnt vmcnt(3)
	s_delay_alu instid0(VALU_DEP_1) | instskip(SKIP_1) | instid1(VALU_DEP_1)
	v_fma_f64 v[2:3], v[138:139], v[162:163], v[2:3]
	s_waitcnt lgkmcnt(1)
	v_fma_f64 v[2:3], v[140:141], v[134:135], v[2:3]
	s_waitcnt vmcnt(2)
	s_delay_alu instid0(VALU_DEP_1) | instskip(SKIP_1) | instid1(VALU_DEP_1)
	v_fma_f64 v[2:3], v[150:151], v[136:137], v[2:3]
	s_waitcnt lgkmcnt(0)
	v_fma_f64 v[2:3], v[152:153], v[146:147], v[2:3]
	s_waitcnt vmcnt(1)
	s_delay_alu instid0(VALU_DEP_1) | instskip(SKIP_4) | instid1(VALU_DEP_1)
	v_fma_f64 v[134:135], v[142:143], v[148:149], v[2:3]
	ds_load_2addr_b64 v[1:4], v1 offset0:125 offset1:126
	s_waitcnt lgkmcnt(0)
	v_fma_f64 v[1:2], v[144:145], v[1:2], v[134:135]
	s_waitcnt vmcnt(0)
	v_fma_f64 v[1:2], v[154:155], v[3:4], v[1:2]
	s_delay_alu instid0(VALU_DEP_1)
	v_add_f64 v[1:2], v[132:133], -v[1:2]
	scratch_store_b64 off, v[1:2], off offset:320
	v_cmpx_lt_u32_e32 39, v0
	s_cbranch_execz .LBB126_309
; %bb.308:
	scratch_load_b64 v[1:2], off, off offset:312
	v_mov_b32_e32 v3, 0
	s_delay_alu instid0(VALU_DEP_1)
	v_mov_b32_e32 v4, v3
	scratch_store_b64 off, v[3:4], off offset:312
	s_waitcnt vmcnt(0)
	ds_store_b64 v5, v[1:2]
.LBB126_309:
	s_or_b32 exec_lo, exec_lo, s0
	s_waitcnt lgkmcnt(0)
	s_waitcnt_vscnt null, 0x0
	s_barrier
	buffer_gl0_inv
	s_clause 0x4
	scratch_load_b128 v[132:135], off, off offset:312
	scratch_load_b128 v[136:139], off, off offset:328
	;; [unrolled: 1-line block ×5, first 2 shown]
	v_mov_b32_e32 v1, 0
	ds_load_b128 v[152:155], v1 offset:832
	ds_load_b128 v[156:159], v1 offset:848
	scratch_load_b128 v[160:163], off, off offset:392
	s_mov_b32 s0, exec_lo
	s_waitcnt vmcnt(5) lgkmcnt(1)
	v_fma_f64 v[2:3], v[134:135], v[152:153], 0
	s_waitcnt vmcnt(4)
	s_delay_alu instid0(VALU_DEP_1) | instskip(SKIP_4) | instid1(VALU_DEP_1)
	v_fma_f64 v[2:3], v[136:137], v[154:155], v[2:3]
	scratch_load_b128 v[134:137], off, off offset:408
	s_waitcnt lgkmcnt(0)
	v_fma_f64 v[2:3], v[138:139], v[156:157], v[2:3]
	s_waitcnt vmcnt(4)
	v_fma_f64 v[2:3], v[140:141], v[158:159], v[2:3]
	ds_load_b128 v[138:141], v1 offset:864
	ds_load_b128 v[152:155], v1 offset:880
	scratch_load_b128 v[156:159], off, off offset:424
	s_waitcnt lgkmcnt(1)
	v_fma_f64 v[2:3], v[142:143], v[138:139], v[2:3]
	s_waitcnt vmcnt(4)
	s_delay_alu instid0(VALU_DEP_1) | instskip(SKIP_4) | instid1(VALU_DEP_1)
	v_fma_f64 v[2:3], v[144:145], v[140:141], v[2:3]
	scratch_load_b128 v[138:141], off, off offset:440
	s_waitcnt lgkmcnt(0)
	v_fma_f64 v[2:3], v[146:147], v[152:153], v[2:3]
	s_waitcnt vmcnt(4)
	v_fma_f64 v[2:3], v[148:149], v[154:155], v[2:3]
	ds_load_b128 v[142:145], v1 offset:896
	ds_load_b128 v[146:149], v1 offset:912
	s_waitcnt lgkmcnt(1)
	v_fma_f64 v[2:3], v[150:151], v[142:143], v[2:3]
	scratch_load_b128 v[150:153], off, off offset:456
	s_waitcnt vmcnt(4)
	v_fma_f64 v[2:3], v[160:161], v[144:145], v[2:3]
	scratch_load_b128 v[142:145], off, off offset:472
	s_waitcnt lgkmcnt(0)
	v_fma_f64 v[2:3], v[162:163], v[146:147], v[2:3]
	s_waitcnt vmcnt(4)
	s_delay_alu instid0(VALU_DEP_1)
	v_fma_f64 v[2:3], v[134:135], v[148:149], v[2:3]
	ds_load_b128 v[146:149], v1 offset:928
	ds_load_b128 v[160:163], v1 offset:944
	s_waitcnt lgkmcnt(1)
	v_fma_f64 v[2:3], v[136:137], v[146:147], v[2:3]
	scratch_load_b128 v[134:137], off, off offset:488
	s_waitcnt vmcnt(4)
	v_fma_f64 v[2:3], v[156:157], v[148:149], v[2:3]
	ds_load_b128 v[146:149], v1 offset:960
	ds_load_b128 v[154:157], v1 offset:976
	s_waitcnt lgkmcnt(2)
	v_fma_f64 v[2:3], v[158:159], v[160:161], v[2:3]
	s_waitcnt vmcnt(3)
	s_delay_alu instid0(VALU_DEP_1) | instskip(SKIP_1) | instid1(VALU_DEP_1)
	v_fma_f64 v[2:3], v[138:139], v[162:163], v[2:3]
	s_waitcnt lgkmcnt(1)
	v_fma_f64 v[2:3], v[140:141], v[146:147], v[2:3]
	s_waitcnt vmcnt(2)
	s_delay_alu instid0(VALU_DEP_1) | instskip(SKIP_1) | instid1(VALU_DEP_1)
	v_fma_f64 v[2:3], v[150:151], v[148:149], v[2:3]
	s_waitcnt lgkmcnt(0)
	v_fma_f64 v[2:3], v[152:153], v[154:155], v[2:3]
	s_waitcnt vmcnt(1)
	s_delay_alu instid0(VALU_DEP_1)
	v_fma_f64 v[2:3], v[142:143], v[156:157], v[2:3]
	ds_load_b128 v[138:141], v1 offset:992
	ds_load_b64 v[142:143], v1 offset:1008
	s_waitcnt lgkmcnt(1)
	v_fma_f64 v[2:3], v[144:145], v[138:139], v[2:3]
	s_waitcnt vmcnt(0)
	s_delay_alu instid0(VALU_DEP_1) | instskip(SKIP_1) | instid1(VALU_DEP_1)
	v_fma_f64 v[2:3], v[134:135], v[140:141], v[2:3]
	s_waitcnt lgkmcnt(0)
	v_fma_f64 v[2:3], v[136:137], v[142:143], v[2:3]
	s_delay_alu instid0(VALU_DEP_1)
	v_add_f64 v[2:3], v[132:133], -v[2:3]
	scratch_store_b64 off, v[2:3], off offset:312
	v_cmpx_lt_u32_e32 38, v0
	s_cbranch_execz .LBB126_311
; %bb.310:
	scratch_load_b64 v[3:4], off, off offset:304
	v_mov_b32_e32 v2, v1
	scratch_store_b64 off, v[1:2], off offset:304
	s_waitcnt vmcnt(0)
	ds_store_b64 v5, v[3:4]
.LBB126_311:
	s_or_b32 exec_lo, exec_lo, s0
	s_waitcnt lgkmcnt(0)
	s_waitcnt_vscnt null, 0x0
	s_barrier
	buffer_gl0_inv
	s_clause 0x4
	scratch_load_b128 v[132:135], off, off offset:304
	scratch_load_b128 v[136:139], off, off offset:320
	;; [unrolled: 1-line block ×5, first 2 shown]
	ds_load_2addr_b64 v[152:155], v1 offset0:103 offset1:104
	ds_load_2addr_b64 v[156:159], v1 offset0:105 offset1:106
	scratch_load_b128 v[160:163], off, off offset:384
	s_mov_b32 s0, exec_lo
	s_waitcnt vmcnt(5) lgkmcnt(1)
	v_fma_f64 v[2:3], v[134:135], v[152:153], 0
	s_waitcnt vmcnt(4)
	s_delay_alu instid0(VALU_DEP_1) | instskip(SKIP_4) | instid1(VALU_DEP_1)
	v_fma_f64 v[2:3], v[136:137], v[154:155], v[2:3]
	scratch_load_b128 v[134:137], off, off offset:400
	s_waitcnt lgkmcnt(0)
	v_fma_f64 v[2:3], v[138:139], v[156:157], v[2:3]
	s_waitcnt vmcnt(4)
	v_fma_f64 v[2:3], v[140:141], v[158:159], v[2:3]
	ds_load_2addr_b64 v[138:141], v1 offset0:107 offset1:108
	ds_load_2addr_b64 v[152:155], v1 offset0:109 offset1:110
	scratch_load_b128 v[156:159], off, off offset:416
	s_waitcnt lgkmcnt(1)
	v_fma_f64 v[2:3], v[142:143], v[138:139], v[2:3]
	s_waitcnt vmcnt(4)
	s_delay_alu instid0(VALU_DEP_1) | instskip(SKIP_4) | instid1(VALU_DEP_1)
	v_fma_f64 v[2:3], v[144:145], v[140:141], v[2:3]
	scratch_load_b128 v[138:141], off, off offset:432
	s_waitcnt lgkmcnt(0)
	v_fma_f64 v[2:3], v[146:147], v[152:153], v[2:3]
	s_waitcnt vmcnt(4)
	v_fma_f64 v[2:3], v[148:149], v[154:155], v[2:3]
	ds_load_2addr_b64 v[142:145], v1 offset0:111 offset1:112
	ds_load_2addr_b64 v[146:149], v1 offset0:113 offset1:114
	s_waitcnt lgkmcnt(1)
	v_fma_f64 v[2:3], v[150:151], v[142:143], v[2:3]
	scratch_load_b128 v[150:153], off, off offset:448
	s_waitcnt vmcnt(4)
	v_fma_f64 v[2:3], v[160:161], v[144:145], v[2:3]
	scratch_load_b128 v[142:145], off, off offset:464
	s_waitcnt lgkmcnt(0)
	v_fma_f64 v[2:3], v[162:163], v[146:147], v[2:3]
	s_waitcnt vmcnt(4)
	s_delay_alu instid0(VALU_DEP_1)
	v_fma_f64 v[2:3], v[134:135], v[148:149], v[2:3]
	ds_load_2addr_b64 v[146:149], v1 offset0:115 offset1:116
	ds_load_2addr_b64 v[160:163], v1 offset0:117 offset1:118
	s_waitcnt lgkmcnt(1)
	v_fma_f64 v[2:3], v[136:137], v[146:147], v[2:3]
	scratch_load_b128 v[134:137], off, off offset:480
	s_waitcnt vmcnt(4)
	v_fma_f64 v[2:3], v[156:157], v[148:149], v[2:3]
	s_waitcnt lgkmcnt(0)
	s_delay_alu instid0(VALU_DEP_1)
	v_fma_f64 v[2:3], v[158:159], v[160:161], v[2:3]
	scratch_load_b64 v[158:159], off, off offset:496
	ds_load_2addr_b64 v[146:149], v1 offset0:119 offset1:120
	ds_load_2addr_b64 v[154:157], v1 offset0:121 offset1:122
	s_waitcnt vmcnt(4)
	v_fma_f64 v[2:3], v[138:139], v[162:163], v[2:3]
	s_waitcnt lgkmcnt(1)
	s_delay_alu instid0(VALU_DEP_1) | instskip(SKIP_1) | instid1(VALU_DEP_1)
	v_fma_f64 v[2:3], v[140:141], v[146:147], v[2:3]
	s_waitcnt vmcnt(3)
	v_fma_f64 v[2:3], v[150:151], v[148:149], v[2:3]
	s_waitcnt lgkmcnt(0)
	s_delay_alu instid0(VALU_DEP_1) | instskip(SKIP_1) | instid1(VALU_DEP_1)
	v_fma_f64 v[2:3], v[152:153], v[154:155], v[2:3]
	s_waitcnt vmcnt(2)
	v_fma_f64 v[142:143], v[142:143], v[156:157], v[2:3]
	ds_load_2addr_b64 v[138:141], v1 offset0:123 offset1:124
	ds_load_2addr_b64 v[1:4], v1 offset0:125 offset1:126
	s_waitcnt lgkmcnt(1)
	v_fma_f64 v[138:139], v[144:145], v[138:139], v[142:143]
	s_waitcnt vmcnt(1)
	s_delay_alu instid0(VALU_DEP_1) | instskip(SKIP_1) | instid1(VALU_DEP_1)
	v_fma_f64 v[134:135], v[134:135], v[140:141], v[138:139]
	s_waitcnt lgkmcnt(0)
	v_fma_f64 v[1:2], v[136:137], v[1:2], v[134:135]
	s_waitcnt vmcnt(0)
	s_delay_alu instid0(VALU_DEP_1) | instskip(NEXT) | instid1(VALU_DEP_1)
	v_fma_f64 v[1:2], v[158:159], v[3:4], v[1:2]
	v_add_f64 v[1:2], v[132:133], -v[1:2]
	scratch_store_b64 off, v[1:2], off offset:304
	v_cmpx_lt_u32_e32 37, v0
	s_cbranch_execz .LBB126_313
; %bb.312:
	scratch_load_b64 v[1:2], off, off offset:296
	v_mov_b32_e32 v3, 0
	s_delay_alu instid0(VALU_DEP_1)
	v_mov_b32_e32 v4, v3
	scratch_store_b64 off, v[3:4], off offset:296
	s_waitcnt vmcnt(0)
	ds_store_b64 v5, v[1:2]
.LBB126_313:
	s_or_b32 exec_lo, exec_lo, s0
	s_waitcnt lgkmcnt(0)
	s_waitcnt_vscnt null, 0x0
	s_barrier
	buffer_gl0_inv
	s_clause 0x4
	scratch_load_b128 v[132:135], off, off offset:296
	scratch_load_b128 v[136:139], off, off offset:312
	;; [unrolled: 1-line block ×5, first 2 shown]
	v_mov_b32_e32 v1, 0
	ds_load_b128 v[152:155], v1 offset:816
	ds_load_b128 v[156:159], v1 offset:832
	scratch_load_b128 v[160:163], off, off offset:376
	s_mov_b32 s0, exec_lo
	s_waitcnt vmcnt(5) lgkmcnt(1)
	v_fma_f64 v[2:3], v[134:135], v[152:153], 0
	s_waitcnt vmcnt(4)
	s_delay_alu instid0(VALU_DEP_1) | instskip(SKIP_4) | instid1(VALU_DEP_1)
	v_fma_f64 v[2:3], v[136:137], v[154:155], v[2:3]
	scratch_load_b128 v[134:137], off, off offset:392
	s_waitcnt lgkmcnt(0)
	v_fma_f64 v[2:3], v[138:139], v[156:157], v[2:3]
	s_waitcnt vmcnt(4)
	v_fma_f64 v[2:3], v[140:141], v[158:159], v[2:3]
	ds_load_b128 v[138:141], v1 offset:848
	ds_load_b128 v[152:155], v1 offset:864
	scratch_load_b128 v[156:159], off, off offset:408
	s_waitcnt lgkmcnt(1)
	v_fma_f64 v[2:3], v[142:143], v[138:139], v[2:3]
	s_waitcnt vmcnt(4)
	s_delay_alu instid0(VALU_DEP_1) | instskip(SKIP_4) | instid1(VALU_DEP_1)
	v_fma_f64 v[2:3], v[144:145], v[140:141], v[2:3]
	scratch_load_b128 v[138:141], off, off offset:424
	s_waitcnt lgkmcnt(0)
	v_fma_f64 v[2:3], v[146:147], v[152:153], v[2:3]
	s_waitcnt vmcnt(4)
	v_fma_f64 v[2:3], v[148:149], v[154:155], v[2:3]
	ds_load_b128 v[142:145], v1 offset:880
	ds_load_b128 v[146:149], v1 offset:896
	s_waitcnt lgkmcnt(1)
	v_fma_f64 v[2:3], v[150:151], v[142:143], v[2:3]
	scratch_load_b128 v[150:153], off, off offset:440
	s_waitcnt vmcnt(4)
	v_fma_f64 v[2:3], v[160:161], v[144:145], v[2:3]
	scratch_load_b128 v[142:145], off, off offset:456
	s_waitcnt lgkmcnt(0)
	v_fma_f64 v[2:3], v[162:163], v[146:147], v[2:3]
	s_waitcnt vmcnt(4)
	s_delay_alu instid0(VALU_DEP_1)
	v_fma_f64 v[2:3], v[134:135], v[148:149], v[2:3]
	ds_load_b128 v[146:149], v1 offset:912
	ds_load_b128 v[160:163], v1 offset:928
	s_waitcnt lgkmcnt(1)
	v_fma_f64 v[2:3], v[136:137], v[146:147], v[2:3]
	scratch_load_b128 v[134:137], off, off offset:472
	s_waitcnt vmcnt(4)
	v_fma_f64 v[2:3], v[156:157], v[148:149], v[2:3]
	scratch_load_b128 v[146:149], off, off offset:488
	s_waitcnt lgkmcnt(0)
	v_fma_f64 v[2:3], v[158:159], v[160:161], v[2:3]
	ds_load_b128 v[154:157], v1 offset:944
	ds_load_b128 v[158:161], v1 offset:960
	s_waitcnt vmcnt(4)
	v_fma_f64 v[2:3], v[138:139], v[162:163], v[2:3]
	s_waitcnt lgkmcnt(1)
	s_delay_alu instid0(VALU_DEP_1) | instskip(SKIP_1) | instid1(VALU_DEP_1)
	v_fma_f64 v[2:3], v[140:141], v[154:155], v[2:3]
	s_waitcnt vmcnt(3)
	v_fma_f64 v[2:3], v[150:151], v[156:157], v[2:3]
	s_waitcnt lgkmcnt(0)
	s_delay_alu instid0(VALU_DEP_1)
	v_fma_f64 v[2:3], v[152:153], v[158:159], v[2:3]
	ds_load_b128 v[138:141], v1 offset:976
	ds_load_b128 v[150:153], v1 offset:992
	s_waitcnt vmcnt(2)
	v_fma_f64 v[2:3], v[142:143], v[160:161], v[2:3]
	s_waitcnt lgkmcnt(1)
	s_delay_alu instid0(VALU_DEP_1) | instskip(SKIP_1) | instid1(VALU_DEP_1)
	v_fma_f64 v[2:3], v[144:145], v[138:139], v[2:3]
	s_waitcnt vmcnt(1)
	v_fma_f64 v[2:3], v[134:135], v[140:141], v[2:3]
	ds_load_b64 v[134:135], v1 offset:1008
	s_waitcnt lgkmcnt(1)
	v_fma_f64 v[2:3], v[136:137], v[150:151], v[2:3]
	s_waitcnt vmcnt(0)
	s_delay_alu instid0(VALU_DEP_1) | instskip(SKIP_1) | instid1(VALU_DEP_1)
	v_fma_f64 v[2:3], v[146:147], v[152:153], v[2:3]
	s_waitcnt lgkmcnt(0)
	v_fma_f64 v[2:3], v[148:149], v[134:135], v[2:3]
	s_delay_alu instid0(VALU_DEP_1)
	v_add_f64 v[2:3], v[132:133], -v[2:3]
	scratch_store_b64 off, v[2:3], off offset:296
	v_cmpx_lt_u32_e32 36, v0
	s_cbranch_execz .LBB126_315
; %bb.314:
	scratch_load_b64 v[3:4], off, off offset:288
	v_mov_b32_e32 v2, v1
	scratch_store_b64 off, v[1:2], off offset:288
	s_waitcnt vmcnt(0)
	ds_store_b64 v5, v[3:4]
.LBB126_315:
	s_or_b32 exec_lo, exec_lo, s0
	s_waitcnt lgkmcnt(0)
	s_waitcnt_vscnt null, 0x0
	s_barrier
	buffer_gl0_inv
	s_clause 0x4
	scratch_load_b128 v[132:135], off, off offset:288
	scratch_load_b128 v[136:139], off, off offset:304
	scratch_load_b128 v[140:143], off, off offset:320
	scratch_load_b128 v[144:147], off, off offset:336
	scratch_load_b128 v[148:151], off, off offset:352
	ds_load_2addr_b64 v[152:155], v1 offset0:101 offset1:102
	ds_load_2addr_b64 v[156:159], v1 offset0:103 offset1:104
	scratch_load_b128 v[160:163], off, off offset:368
	s_mov_b32 s0, exec_lo
	s_waitcnt vmcnt(5) lgkmcnt(1)
	v_fma_f64 v[2:3], v[134:135], v[152:153], 0
	s_waitcnt vmcnt(4)
	s_delay_alu instid0(VALU_DEP_1) | instskip(SKIP_4) | instid1(VALU_DEP_1)
	v_fma_f64 v[2:3], v[136:137], v[154:155], v[2:3]
	scratch_load_b128 v[134:137], off, off offset:384
	s_waitcnt lgkmcnt(0)
	v_fma_f64 v[2:3], v[138:139], v[156:157], v[2:3]
	s_waitcnt vmcnt(4)
	v_fma_f64 v[2:3], v[140:141], v[158:159], v[2:3]
	ds_load_2addr_b64 v[138:141], v1 offset0:105 offset1:106
	ds_load_2addr_b64 v[152:155], v1 offset0:107 offset1:108
	scratch_load_b128 v[156:159], off, off offset:400
	s_waitcnt lgkmcnt(1)
	v_fma_f64 v[2:3], v[142:143], v[138:139], v[2:3]
	s_waitcnt vmcnt(4)
	s_delay_alu instid0(VALU_DEP_1) | instskip(SKIP_4) | instid1(VALU_DEP_1)
	v_fma_f64 v[2:3], v[144:145], v[140:141], v[2:3]
	scratch_load_b128 v[138:141], off, off offset:416
	s_waitcnt lgkmcnt(0)
	v_fma_f64 v[2:3], v[146:147], v[152:153], v[2:3]
	s_waitcnt vmcnt(4)
	v_fma_f64 v[2:3], v[148:149], v[154:155], v[2:3]
	ds_load_2addr_b64 v[142:145], v1 offset0:109 offset1:110
	ds_load_2addr_b64 v[146:149], v1 offset0:111 offset1:112
	s_waitcnt lgkmcnt(1)
	v_fma_f64 v[2:3], v[150:151], v[142:143], v[2:3]
	scratch_load_b128 v[150:153], off, off offset:432
	s_waitcnt vmcnt(4)
	v_fma_f64 v[2:3], v[160:161], v[144:145], v[2:3]
	scratch_load_b128 v[142:145], off, off offset:448
	s_waitcnt lgkmcnt(0)
	v_fma_f64 v[2:3], v[162:163], v[146:147], v[2:3]
	s_waitcnt vmcnt(4)
	s_delay_alu instid0(VALU_DEP_1)
	v_fma_f64 v[2:3], v[134:135], v[148:149], v[2:3]
	ds_load_2addr_b64 v[146:149], v1 offset0:113 offset1:114
	ds_load_2addr_b64 v[160:163], v1 offset0:115 offset1:116
	s_waitcnt lgkmcnt(1)
	v_fma_f64 v[2:3], v[136:137], v[146:147], v[2:3]
	scratch_load_b128 v[134:137], off, off offset:464
	s_waitcnt vmcnt(4)
	v_fma_f64 v[2:3], v[156:157], v[148:149], v[2:3]
	scratch_load_b128 v[146:149], off, off offset:480
	s_waitcnt lgkmcnt(0)
	v_fma_f64 v[2:3], v[158:159], v[160:161], v[2:3]
	ds_load_2addr_b64 v[154:157], v1 offset0:117 offset1:118
	ds_load_2addr_b64 v[158:161], v1 offset0:119 offset1:120
	s_waitcnt vmcnt(4)
	v_fma_f64 v[2:3], v[138:139], v[162:163], v[2:3]
	s_waitcnt lgkmcnt(1)
	s_delay_alu instid0(VALU_DEP_1) | instskip(SKIP_4) | instid1(VALU_DEP_1)
	v_fma_f64 v[2:3], v[140:141], v[154:155], v[2:3]
	scratch_load_b64 v[154:155], off, off offset:496
	s_waitcnt vmcnt(4)
	v_fma_f64 v[2:3], v[150:151], v[156:157], v[2:3]
	s_waitcnt lgkmcnt(0)
	v_fma_f64 v[2:3], v[152:153], v[158:159], v[2:3]
	ds_load_2addr_b64 v[138:141], v1 offset0:121 offset1:122
	ds_load_2addr_b64 v[150:153], v1 offset0:123 offset1:124
	s_waitcnt vmcnt(3)
	v_fma_f64 v[2:3], v[142:143], v[160:161], v[2:3]
	s_waitcnt lgkmcnt(1)
	s_delay_alu instid0(VALU_DEP_1) | instskip(SKIP_1) | instid1(VALU_DEP_1)
	v_fma_f64 v[2:3], v[144:145], v[138:139], v[2:3]
	s_waitcnt vmcnt(2)
	v_fma_f64 v[2:3], v[134:135], v[140:141], v[2:3]
	s_waitcnt lgkmcnt(0)
	s_delay_alu instid0(VALU_DEP_1) | instskip(SKIP_1) | instid1(VALU_DEP_1)
	v_fma_f64 v[2:3], v[136:137], v[150:151], v[2:3]
	s_waitcnt vmcnt(1)
	v_fma_f64 v[134:135], v[146:147], v[152:153], v[2:3]
	ds_load_2addr_b64 v[1:4], v1 offset0:125 offset1:126
	s_waitcnt lgkmcnt(0)
	v_fma_f64 v[1:2], v[148:149], v[1:2], v[134:135]
	s_waitcnt vmcnt(0)
	s_delay_alu instid0(VALU_DEP_1) | instskip(NEXT) | instid1(VALU_DEP_1)
	v_fma_f64 v[1:2], v[154:155], v[3:4], v[1:2]
	v_add_f64 v[1:2], v[132:133], -v[1:2]
	scratch_store_b64 off, v[1:2], off offset:288
	v_cmpx_lt_u32_e32 35, v0
	s_cbranch_execz .LBB126_317
; %bb.316:
	scratch_load_b64 v[1:2], off, off offset:280
	v_mov_b32_e32 v3, 0
	s_delay_alu instid0(VALU_DEP_1)
	v_mov_b32_e32 v4, v3
	scratch_store_b64 off, v[3:4], off offset:280
	s_waitcnt vmcnt(0)
	ds_store_b64 v5, v[1:2]
.LBB126_317:
	s_or_b32 exec_lo, exec_lo, s0
	s_waitcnt lgkmcnt(0)
	s_waitcnt_vscnt null, 0x0
	s_barrier
	buffer_gl0_inv
	s_clause 0x4
	scratch_load_b128 v[132:135], off, off offset:280
	scratch_load_b128 v[136:139], off, off offset:296
	scratch_load_b128 v[140:143], off, off offset:312
	scratch_load_b128 v[144:147], off, off offset:328
	scratch_load_b128 v[148:151], off, off offset:344
	v_mov_b32_e32 v1, 0
	ds_load_b128 v[152:155], v1 offset:800
	ds_load_b128 v[156:159], v1 offset:816
	scratch_load_b128 v[160:163], off, off offset:360
	s_mov_b32 s0, exec_lo
	s_waitcnt vmcnt(5) lgkmcnt(1)
	v_fma_f64 v[2:3], v[134:135], v[152:153], 0
	s_waitcnt vmcnt(4)
	s_delay_alu instid0(VALU_DEP_1) | instskip(SKIP_4) | instid1(VALU_DEP_1)
	v_fma_f64 v[2:3], v[136:137], v[154:155], v[2:3]
	scratch_load_b128 v[134:137], off, off offset:376
	s_waitcnt lgkmcnt(0)
	v_fma_f64 v[2:3], v[138:139], v[156:157], v[2:3]
	s_waitcnt vmcnt(4)
	v_fma_f64 v[2:3], v[140:141], v[158:159], v[2:3]
	ds_load_b128 v[138:141], v1 offset:832
	ds_load_b128 v[152:155], v1 offset:848
	scratch_load_b128 v[156:159], off, off offset:392
	s_waitcnt lgkmcnt(1)
	v_fma_f64 v[2:3], v[142:143], v[138:139], v[2:3]
	s_waitcnt vmcnt(4)
	s_delay_alu instid0(VALU_DEP_1) | instskip(SKIP_4) | instid1(VALU_DEP_1)
	v_fma_f64 v[2:3], v[144:145], v[140:141], v[2:3]
	scratch_load_b128 v[138:141], off, off offset:408
	s_waitcnt lgkmcnt(0)
	v_fma_f64 v[2:3], v[146:147], v[152:153], v[2:3]
	s_waitcnt vmcnt(4)
	v_fma_f64 v[2:3], v[148:149], v[154:155], v[2:3]
	ds_load_b128 v[142:145], v1 offset:864
	ds_load_b128 v[146:149], v1 offset:880
	s_waitcnt lgkmcnt(1)
	v_fma_f64 v[2:3], v[150:151], v[142:143], v[2:3]
	scratch_load_b128 v[150:153], off, off offset:424
	s_waitcnt vmcnt(4)
	v_fma_f64 v[2:3], v[160:161], v[144:145], v[2:3]
	scratch_load_b128 v[142:145], off, off offset:440
	s_waitcnt lgkmcnt(0)
	v_fma_f64 v[2:3], v[162:163], v[146:147], v[2:3]
	s_waitcnt vmcnt(4)
	s_delay_alu instid0(VALU_DEP_1)
	v_fma_f64 v[2:3], v[134:135], v[148:149], v[2:3]
	ds_load_b128 v[146:149], v1 offset:896
	ds_load_b128 v[160:163], v1 offset:912
	s_waitcnt lgkmcnt(1)
	v_fma_f64 v[2:3], v[136:137], v[146:147], v[2:3]
	scratch_load_b128 v[134:137], off, off offset:456
	s_waitcnt vmcnt(4)
	v_fma_f64 v[2:3], v[156:157], v[148:149], v[2:3]
	scratch_load_b128 v[146:149], off, off offset:472
	s_waitcnt lgkmcnt(0)
	v_fma_f64 v[2:3], v[158:159], v[160:161], v[2:3]
	ds_load_b128 v[154:157], v1 offset:928
	ds_load_b128 v[158:161], v1 offset:944
	s_waitcnt vmcnt(4)
	v_fma_f64 v[2:3], v[138:139], v[162:163], v[2:3]
	s_waitcnt lgkmcnt(1)
	s_delay_alu instid0(VALU_DEP_1) | instskip(SKIP_4) | instid1(VALU_DEP_1)
	v_fma_f64 v[2:3], v[140:141], v[154:155], v[2:3]
	scratch_load_b128 v[138:141], off, off offset:488
	s_waitcnt vmcnt(4)
	v_fma_f64 v[2:3], v[150:151], v[156:157], v[2:3]
	s_waitcnt lgkmcnt(0)
	v_fma_f64 v[2:3], v[152:153], v[158:159], v[2:3]
	ds_load_b128 v[150:153], v1 offset:960
	ds_load_b128 v[154:157], v1 offset:976
	s_waitcnt vmcnt(3)
	v_fma_f64 v[2:3], v[142:143], v[160:161], v[2:3]
	s_waitcnt lgkmcnt(1)
	s_delay_alu instid0(VALU_DEP_1) | instskip(SKIP_1) | instid1(VALU_DEP_1)
	v_fma_f64 v[2:3], v[144:145], v[150:151], v[2:3]
	s_waitcnt vmcnt(2)
	v_fma_f64 v[2:3], v[134:135], v[152:153], v[2:3]
	s_waitcnt lgkmcnt(0)
	s_delay_alu instid0(VALU_DEP_1)
	v_fma_f64 v[2:3], v[136:137], v[154:155], v[2:3]
	ds_load_b128 v[134:137], v1 offset:992
	ds_load_b64 v[142:143], v1 offset:1008
	s_waitcnt vmcnt(1)
	v_fma_f64 v[2:3], v[146:147], v[156:157], v[2:3]
	s_waitcnt lgkmcnt(1)
	s_delay_alu instid0(VALU_DEP_1) | instskip(SKIP_1) | instid1(VALU_DEP_1)
	v_fma_f64 v[2:3], v[148:149], v[134:135], v[2:3]
	s_waitcnt vmcnt(0)
	v_fma_f64 v[2:3], v[138:139], v[136:137], v[2:3]
	s_waitcnt lgkmcnt(0)
	s_delay_alu instid0(VALU_DEP_1) | instskip(NEXT) | instid1(VALU_DEP_1)
	v_fma_f64 v[2:3], v[140:141], v[142:143], v[2:3]
	v_add_f64 v[2:3], v[132:133], -v[2:3]
	scratch_store_b64 off, v[2:3], off offset:280
	v_cmpx_lt_u32_e32 34, v0
	s_cbranch_execz .LBB126_319
; %bb.318:
	scratch_load_b64 v[3:4], off, off offset:272
	v_mov_b32_e32 v2, v1
	scratch_store_b64 off, v[1:2], off offset:272
	s_waitcnt vmcnt(0)
	ds_store_b64 v5, v[3:4]
.LBB126_319:
	s_or_b32 exec_lo, exec_lo, s0
	s_waitcnt lgkmcnt(0)
	s_waitcnt_vscnt null, 0x0
	s_barrier
	buffer_gl0_inv
	s_clause 0x4
	scratch_load_b128 v[132:135], off, off offset:272
	scratch_load_b128 v[136:139], off, off offset:288
	;; [unrolled: 1-line block ×5, first 2 shown]
	ds_load_2addr_b64 v[152:155], v1 offset0:99 offset1:100
	ds_load_2addr_b64 v[156:159], v1 offset0:101 offset1:102
	scratch_load_b128 v[160:163], off, off offset:352
	s_mov_b32 s0, exec_lo
	s_waitcnt vmcnt(5) lgkmcnt(1)
	v_fma_f64 v[2:3], v[134:135], v[152:153], 0
	s_waitcnt vmcnt(4)
	s_delay_alu instid0(VALU_DEP_1) | instskip(SKIP_4) | instid1(VALU_DEP_1)
	v_fma_f64 v[2:3], v[136:137], v[154:155], v[2:3]
	scratch_load_b128 v[134:137], off, off offset:368
	s_waitcnt lgkmcnt(0)
	v_fma_f64 v[2:3], v[138:139], v[156:157], v[2:3]
	s_waitcnt vmcnt(4)
	v_fma_f64 v[2:3], v[140:141], v[158:159], v[2:3]
	ds_load_2addr_b64 v[138:141], v1 offset0:103 offset1:104
	ds_load_2addr_b64 v[152:155], v1 offset0:105 offset1:106
	scratch_load_b128 v[156:159], off, off offset:384
	s_waitcnt lgkmcnt(1)
	v_fma_f64 v[2:3], v[142:143], v[138:139], v[2:3]
	s_waitcnt vmcnt(4)
	s_delay_alu instid0(VALU_DEP_1) | instskip(SKIP_4) | instid1(VALU_DEP_1)
	v_fma_f64 v[2:3], v[144:145], v[140:141], v[2:3]
	scratch_load_b128 v[138:141], off, off offset:400
	s_waitcnt lgkmcnt(0)
	v_fma_f64 v[2:3], v[146:147], v[152:153], v[2:3]
	s_waitcnt vmcnt(4)
	v_fma_f64 v[2:3], v[148:149], v[154:155], v[2:3]
	ds_load_2addr_b64 v[142:145], v1 offset0:107 offset1:108
	ds_load_2addr_b64 v[146:149], v1 offset0:109 offset1:110
	s_waitcnt lgkmcnt(1)
	v_fma_f64 v[2:3], v[150:151], v[142:143], v[2:3]
	scratch_load_b128 v[150:153], off, off offset:416
	s_waitcnt vmcnt(4)
	v_fma_f64 v[2:3], v[160:161], v[144:145], v[2:3]
	scratch_load_b128 v[142:145], off, off offset:432
	s_waitcnt lgkmcnt(0)
	v_fma_f64 v[2:3], v[162:163], v[146:147], v[2:3]
	s_waitcnt vmcnt(4)
	s_delay_alu instid0(VALU_DEP_1)
	v_fma_f64 v[2:3], v[134:135], v[148:149], v[2:3]
	ds_load_2addr_b64 v[146:149], v1 offset0:111 offset1:112
	ds_load_2addr_b64 v[160:163], v1 offset0:113 offset1:114
	s_waitcnt lgkmcnt(1)
	v_fma_f64 v[2:3], v[136:137], v[146:147], v[2:3]
	scratch_load_b128 v[134:137], off, off offset:448
	s_waitcnt vmcnt(4)
	v_fma_f64 v[2:3], v[156:157], v[148:149], v[2:3]
	scratch_load_b128 v[146:149], off, off offset:464
	s_waitcnt lgkmcnt(0)
	v_fma_f64 v[2:3], v[158:159], v[160:161], v[2:3]
	ds_load_2addr_b64 v[154:157], v1 offset0:115 offset1:116
	ds_load_2addr_b64 v[158:161], v1 offset0:117 offset1:118
	s_waitcnt vmcnt(4)
	v_fma_f64 v[2:3], v[138:139], v[162:163], v[2:3]
	s_waitcnt lgkmcnt(1)
	s_delay_alu instid0(VALU_DEP_1) | instskip(SKIP_4) | instid1(VALU_DEP_1)
	v_fma_f64 v[2:3], v[140:141], v[154:155], v[2:3]
	scratch_load_b128 v[138:141], off, off offset:480
	s_waitcnt vmcnt(4)
	v_fma_f64 v[2:3], v[150:151], v[156:157], v[2:3]
	s_waitcnt lgkmcnt(0)
	v_fma_f64 v[2:3], v[152:153], v[158:159], v[2:3]
	scratch_load_b64 v[158:159], off, off offset:496
	ds_load_2addr_b64 v[150:153], v1 offset0:119 offset1:120
	ds_load_2addr_b64 v[154:157], v1 offset0:121 offset1:122
	s_waitcnt vmcnt(4)
	v_fma_f64 v[2:3], v[142:143], v[160:161], v[2:3]
	s_waitcnt lgkmcnt(1)
	s_delay_alu instid0(VALU_DEP_1) | instskip(SKIP_1) | instid1(VALU_DEP_1)
	v_fma_f64 v[2:3], v[144:145], v[150:151], v[2:3]
	s_waitcnt vmcnt(3)
	v_fma_f64 v[2:3], v[134:135], v[152:153], v[2:3]
	s_waitcnt lgkmcnt(0)
	s_delay_alu instid0(VALU_DEP_1) | instskip(SKIP_1) | instid1(VALU_DEP_1)
	v_fma_f64 v[2:3], v[136:137], v[154:155], v[2:3]
	s_waitcnt vmcnt(2)
	v_fma_f64 v[142:143], v[146:147], v[156:157], v[2:3]
	ds_load_2addr_b64 v[134:137], v1 offset0:123 offset1:124
	ds_load_2addr_b64 v[1:4], v1 offset0:125 offset1:126
	s_waitcnt lgkmcnt(1)
	v_fma_f64 v[134:135], v[148:149], v[134:135], v[142:143]
	s_waitcnt vmcnt(1)
	s_delay_alu instid0(VALU_DEP_1) | instskip(SKIP_1) | instid1(VALU_DEP_1)
	v_fma_f64 v[134:135], v[138:139], v[136:137], v[134:135]
	s_waitcnt lgkmcnt(0)
	v_fma_f64 v[1:2], v[140:141], v[1:2], v[134:135]
	s_waitcnt vmcnt(0)
	s_delay_alu instid0(VALU_DEP_1) | instskip(NEXT) | instid1(VALU_DEP_1)
	v_fma_f64 v[1:2], v[158:159], v[3:4], v[1:2]
	v_add_f64 v[1:2], v[132:133], -v[1:2]
	scratch_store_b64 off, v[1:2], off offset:272
	v_cmpx_lt_u32_e32 33, v0
	s_cbranch_execz .LBB126_321
; %bb.320:
	scratch_load_b64 v[1:2], off, off offset:264
	v_mov_b32_e32 v3, 0
	s_delay_alu instid0(VALU_DEP_1)
	v_mov_b32_e32 v4, v3
	scratch_store_b64 off, v[3:4], off offset:264
	s_waitcnt vmcnt(0)
	ds_store_b64 v5, v[1:2]
.LBB126_321:
	s_or_b32 exec_lo, exec_lo, s0
	s_waitcnt lgkmcnt(0)
	s_waitcnt_vscnt null, 0x0
	s_barrier
	buffer_gl0_inv
	s_clause 0x4
	scratch_load_b128 v[132:135], off, off offset:264
	scratch_load_b128 v[136:139], off, off offset:280
	;; [unrolled: 1-line block ×5, first 2 shown]
	v_mov_b32_e32 v1, 0
	ds_load_b128 v[152:155], v1 offset:784
	ds_load_b128 v[156:159], v1 offset:800
	scratch_load_b128 v[160:163], off, off offset:344
	s_mov_b32 s0, exec_lo
	s_waitcnt vmcnt(5) lgkmcnt(1)
	v_fma_f64 v[2:3], v[134:135], v[152:153], 0
	s_waitcnt vmcnt(4)
	s_delay_alu instid0(VALU_DEP_1) | instskip(SKIP_4) | instid1(VALU_DEP_1)
	v_fma_f64 v[2:3], v[136:137], v[154:155], v[2:3]
	scratch_load_b128 v[134:137], off, off offset:360
	s_waitcnt lgkmcnt(0)
	v_fma_f64 v[2:3], v[138:139], v[156:157], v[2:3]
	s_waitcnt vmcnt(4)
	v_fma_f64 v[2:3], v[140:141], v[158:159], v[2:3]
	ds_load_b128 v[138:141], v1 offset:816
	ds_load_b128 v[152:155], v1 offset:832
	scratch_load_b128 v[156:159], off, off offset:376
	s_waitcnt lgkmcnt(1)
	v_fma_f64 v[2:3], v[142:143], v[138:139], v[2:3]
	s_waitcnt vmcnt(4)
	s_delay_alu instid0(VALU_DEP_1) | instskip(SKIP_4) | instid1(VALU_DEP_1)
	v_fma_f64 v[2:3], v[144:145], v[140:141], v[2:3]
	scratch_load_b128 v[138:141], off, off offset:392
	s_waitcnt lgkmcnt(0)
	v_fma_f64 v[2:3], v[146:147], v[152:153], v[2:3]
	s_waitcnt vmcnt(4)
	v_fma_f64 v[2:3], v[148:149], v[154:155], v[2:3]
	ds_load_b128 v[142:145], v1 offset:848
	ds_load_b128 v[146:149], v1 offset:864
	s_waitcnt lgkmcnt(1)
	v_fma_f64 v[2:3], v[150:151], v[142:143], v[2:3]
	scratch_load_b128 v[150:153], off, off offset:408
	s_waitcnt vmcnt(4)
	v_fma_f64 v[2:3], v[160:161], v[144:145], v[2:3]
	scratch_load_b128 v[142:145], off, off offset:424
	s_waitcnt lgkmcnt(0)
	v_fma_f64 v[2:3], v[162:163], v[146:147], v[2:3]
	s_waitcnt vmcnt(4)
	s_delay_alu instid0(VALU_DEP_1)
	v_fma_f64 v[2:3], v[134:135], v[148:149], v[2:3]
	ds_load_b128 v[146:149], v1 offset:880
	ds_load_b128 v[160:163], v1 offset:896
	s_waitcnt lgkmcnt(1)
	v_fma_f64 v[2:3], v[136:137], v[146:147], v[2:3]
	scratch_load_b128 v[134:137], off, off offset:440
	s_waitcnt vmcnt(4)
	v_fma_f64 v[2:3], v[156:157], v[148:149], v[2:3]
	scratch_load_b128 v[146:149], off, off offset:456
	s_waitcnt lgkmcnt(0)
	v_fma_f64 v[2:3], v[158:159], v[160:161], v[2:3]
	ds_load_b128 v[154:157], v1 offset:912
	ds_load_b128 v[158:161], v1 offset:928
	s_waitcnt vmcnt(4)
	v_fma_f64 v[2:3], v[138:139], v[162:163], v[2:3]
	s_waitcnt lgkmcnt(1)
	s_delay_alu instid0(VALU_DEP_1) | instskip(SKIP_4) | instid1(VALU_DEP_1)
	v_fma_f64 v[2:3], v[140:141], v[154:155], v[2:3]
	scratch_load_b128 v[138:141], off, off offset:472
	s_waitcnt vmcnt(4)
	v_fma_f64 v[2:3], v[150:151], v[156:157], v[2:3]
	s_waitcnt lgkmcnt(0)
	v_fma_f64 v[2:3], v[152:153], v[158:159], v[2:3]
	scratch_load_b128 v[150:153], off, off offset:488
	s_waitcnt vmcnt(4)
	v_fma_f64 v[2:3], v[142:143], v[160:161], v[2:3]
	ds_load_b128 v[154:157], v1 offset:944
	ds_load_b128 v[158:161], v1 offset:960
	s_waitcnt lgkmcnt(1)
	v_fma_f64 v[2:3], v[144:145], v[154:155], v[2:3]
	s_waitcnt vmcnt(3)
	s_delay_alu instid0(VALU_DEP_1) | instskip(SKIP_1) | instid1(VALU_DEP_1)
	v_fma_f64 v[2:3], v[134:135], v[156:157], v[2:3]
	s_waitcnt lgkmcnt(0)
	v_fma_f64 v[2:3], v[136:137], v[158:159], v[2:3]
	ds_load_b128 v[134:137], v1 offset:976
	ds_load_b128 v[142:145], v1 offset:992
	s_waitcnt vmcnt(2)
	v_fma_f64 v[2:3], v[146:147], v[160:161], v[2:3]
	s_waitcnt lgkmcnt(1)
	s_delay_alu instid0(VALU_DEP_1) | instskip(SKIP_4) | instid1(VALU_DEP_1)
	v_fma_f64 v[2:3], v[148:149], v[134:135], v[2:3]
	ds_load_b64 v[134:135], v1 offset:1008
	s_waitcnt vmcnt(1)
	v_fma_f64 v[2:3], v[138:139], v[136:137], v[2:3]
	s_waitcnt lgkmcnt(1)
	v_fma_f64 v[2:3], v[140:141], v[142:143], v[2:3]
	s_waitcnt vmcnt(0)
	s_delay_alu instid0(VALU_DEP_1) | instskip(SKIP_1) | instid1(VALU_DEP_1)
	v_fma_f64 v[2:3], v[150:151], v[144:145], v[2:3]
	s_waitcnt lgkmcnt(0)
	v_fma_f64 v[2:3], v[152:153], v[134:135], v[2:3]
	s_delay_alu instid0(VALU_DEP_1)
	v_add_f64 v[2:3], v[132:133], -v[2:3]
	scratch_store_b64 off, v[2:3], off offset:264
	v_cmpx_lt_u32_e32 32, v0
	s_cbranch_execz .LBB126_323
; %bb.322:
	scratch_load_b64 v[3:4], off, off offset:256
	v_mov_b32_e32 v2, v1
	scratch_store_b64 off, v[1:2], off offset:256
	s_waitcnt vmcnt(0)
	ds_store_b64 v5, v[3:4]
.LBB126_323:
	s_or_b32 exec_lo, exec_lo, s0
	s_waitcnt lgkmcnt(0)
	s_waitcnt_vscnt null, 0x0
	s_barrier
	buffer_gl0_inv
	s_clause 0x4
	scratch_load_b128 v[132:135], off, off offset:256
	scratch_load_b128 v[136:139], off, off offset:272
	;; [unrolled: 1-line block ×5, first 2 shown]
	ds_load_2addr_b64 v[152:155], v1 offset0:97 offset1:98
	ds_load_2addr_b64 v[156:159], v1 offset0:99 offset1:100
	scratch_load_b128 v[160:163], off, off offset:336
	s_mov_b32 s0, exec_lo
	s_waitcnt vmcnt(5) lgkmcnt(1)
	v_fma_f64 v[2:3], v[134:135], v[152:153], 0
	s_waitcnt vmcnt(4)
	s_delay_alu instid0(VALU_DEP_1) | instskip(SKIP_4) | instid1(VALU_DEP_1)
	v_fma_f64 v[2:3], v[136:137], v[154:155], v[2:3]
	scratch_load_b128 v[134:137], off, off offset:352
	s_waitcnt lgkmcnt(0)
	v_fma_f64 v[2:3], v[138:139], v[156:157], v[2:3]
	s_waitcnt vmcnt(4)
	v_fma_f64 v[2:3], v[140:141], v[158:159], v[2:3]
	ds_load_2addr_b64 v[138:141], v1 offset0:101 offset1:102
	ds_load_2addr_b64 v[152:155], v1 offset0:103 offset1:104
	scratch_load_b128 v[156:159], off, off offset:368
	s_waitcnt lgkmcnt(1)
	v_fma_f64 v[2:3], v[142:143], v[138:139], v[2:3]
	s_waitcnt vmcnt(4)
	s_delay_alu instid0(VALU_DEP_1) | instskip(SKIP_4) | instid1(VALU_DEP_1)
	v_fma_f64 v[2:3], v[144:145], v[140:141], v[2:3]
	scratch_load_b128 v[138:141], off, off offset:384
	s_waitcnt lgkmcnt(0)
	v_fma_f64 v[2:3], v[146:147], v[152:153], v[2:3]
	s_waitcnt vmcnt(4)
	v_fma_f64 v[2:3], v[148:149], v[154:155], v[2:3]
	ds_load_2addr_b64 v[142:145], v1 offset0:105 offset1:106
	ds_load_2addr_b64 v[146:149], v1 offset0:107 offset1:108
	s_waitcnt lgkmcnt(1)
	v_fma_f64 v[2:3], v[150:151], v[142:143], v[2:3]
	scratch_load_b128 v[150:153], off, off offset:400
	s_waitcnt vmcnt(4)
	v_fma_f64 v[2:3], v[160:161], v[144:145], v[2:3]
	scratch_load_b128 v[142:145], off, off offset:416
	s_waitcnt lgkmcnt(0)
	v_fma_f64 v[2:3], v[162:163], v[146:147], v[2:3]
	s_waitcnt vmcnt(4)
	s_delay_alu instid0(VALU_DEP_1)
	v_fma_f64 v[2:3], v[134:135], v[148:149], v[2:3]
	ds_load_2addr_b64 v[146:149], v1 offset0:109 offset1:110
	ds_load_2addr_b64 v[160:163], v1 offset0:111 offset1:112
	s_waitcnt lgkmcnt(1)
	v_fma_f64 v[2:3], v[136:137], v[146:147], v[2:3]
	scratch_load_b128 v[134:137], off, off offset:432
	s_waitcnt vmcnt(4)
	v_fma_f64 v[2:3], v[156:157], v[148:149], v[2:3]
	scratch_load_b128 v[146:149], off, off offset:448
	s_waitcnt lgkmcnt(0)
	v_fma_f64 v[2:3], v[158:159], v[160:161], v[2:3]
	ds_load_2addr_b64 v[154:157], v1 offset0:113 offset1:114
	ds_load_2addr_b64 v[158:161], v1 offset0:115 offset1:116
	s_waitcnt vmcnt(4)
	v_fma_f64 v[2:3], v[138:139], v[162:163], v[2:3]
	s_waitcnt lgkmcnt(1)
	s_delay_alu instid0(VALU_DEP_1) | instskip(SKIP_4) | instid1(VALU_DEP_1)
	v_fma_f64 v[2:3], v[140:141], v[154:155], v[2:3]
	scratch_load_b128 v[138:141], off, off offset:464
	s_waitcnt vmcnt(4)
	v_fma_f64 v[2:3], v[150:151], v[156:157], v[2:3]
	s_waitcnt lgkmcnt(0)
	v_fma_f64 v[2:3], v[152:153], v[158:159], v[2:3]
	scratch_load_b128 v[150:153], off, off offset:480
	s_waitcnt vmcnt(4)
	v_fma_f64 v[2:3], v[142:143], v[160:161], v[2:3]
	ds_load_2addr_b64 v[154:157], v1 offset0:117 offset1:118
	ds_load_2addr_b64 v[158:161], v1 offset0:119 offset1:120
	s_waitcnt lgkmcnt(1)
	v_fma_f64 v[2:3], v[144:145], v[154:155], v[2:3]
	scratch_load_b64 v[154:155], off, off offset:496
	s_waitcnt vmcnt(4)
	v_fma_f64 v[2:3], v[134:135], v[156:157], v[2:3]
	s_waitcnt lgkmcnt(0)
	s_delay_alu instid0(VALU_DEP_1)
	v_fma_f64 v[2:3], v[136:137], v[158:159], v[2:3]
	ds_load_2addr_b64 v[134:137], v1 offset0:121 offset1:122
	ds_load_2addr_b64 v[142:145], v1 offset0:123 offset1:124
	s_waitcnt vmcnt(3)
	v_fma_f64 v[2:3], v[146:147], v[160:161], v[2:3]
	s_waitcnt lgkmcnt(1)
	s_delay_alu instid0(VALU_DEP_1) | instskip(SKIP_1) | instid1(VALU_DEP_1)
	v_fma_f64 v[2:3], v[148:149], v[134:135], v[2:3]
	s_waitcnt vmcnt(2)
	v_fma_f64 v[2:3], v[138:139], v[136:137], v[2:3]
	s_waitcnt lgkmcnt(0)
	s_delay_alu instid0(VALU_DEP_1) | instskip(SKIP_1) | instid1(VALU_DEP_1)
	v_fma_f64 v[2:3], v[140:141], v[142:143], v[2:3]
	s_waitcnt vmcnt(1)
	v_fma_f64 v[134:135], v[150:151], v[144:145], v[2:3]
	ds_load_2addr_b64 v[1:4], v1 offset0:125 offset1:126
	s_waitcnt lgkmcnt(0)
	v_fma_f64 v[1:2], v[152:153], v[1:2], v[134:135]
	s_waitcnt vmcnt(0)
	s_delay_alu instid0(VALU_DEP_1) | instskip(NEXT) | instid1(VALU_DEP_1)
	v_fma_f64 v[1:2], v[154:155], v[3:4], v[1:2]
	v_add_f64 v[1:2], v[132:133], -v[1:2]
	scratch_store_b64 off, v[1:2], off offset:256
	v_cmpx_lt_u32_e32 31, v0
	s_cbranch_execz .LBB126_325
; %bb.324:
	scratch_load_b64 v[1:2], off, off offset:248
	v_mov_b32_e32 v3, 0
	s_delay_alu instid0(VALU_DEP_1)
	v_mov_b32_e32 v4, v3
	scratch_store_b64 off, v[3:4], off offset:248
	s_waitcnt vmcnt(0)
	ds_store_b64 v5, v[1:2]
.LBB126_325:
	s_or_b32 exec_lo, exec_lo, s0
	s_waitcnt lgkmcnt(0)
	s_waitcnt_vscnt null, 0x0
	s_barrier
	buffer_gl0_inv
	s_clause 0x4
	scratch_load_b128 v[132:135], off, off offset:248
	scratch_load_b128 v[136:139], off, off offset:264
	;; [unrolled: 1-line block ×5, first 2 shown]
	v_mov_b32_e32 v1, 0
	ds_load_b128 v[152:155], v1 offset:768
	ds_load_b128 v[156:159], v1 offset:784
	scratch_load_b128 v[160:163], off, off offset:328
	s_mov_b32 s0, exec_lo
	s_waitcnt vmcnt(5) lgkmcnt(1)
	v_fma_f64 v[2:3], v[134:135], v[152:153], 0
	s_waitcnt vmcnt(4)
	s_delay_alu instid0(VALU_DEP_1) | instskip(SKIP_4) | instid1(VALU_DEP_1)
	v_fma_f64 v[2:3], v[136:137], v[154:155], v[2:3]
	scratch_load_b128 v[134:137], off, off offset:344
	s_waitcnt lgkmcnt(0)
	v_fma_f64 v[2:3], v[138:139], v[156:157], v[2:3]
	s_waitcnt vmcnt(4)
	v_fma_f64 v[2:3], v[140:141], v[158:159], v[2:3]
	ds_load_b128 v[138:141], v1 offset:800
	ds_load_b128 v[152:155], v1 offset:816
	scratch_load_b128 v[156:159], off, off offset:360
	s_waitcnt lgkmcnt(1)
	v_fma_f64 v[2:3], v[142:143], v[138:139], v[2:3]
	s_waitcnt vmcnt(4)
	s_delay_alu instid0(VALU_DEP_1) | instskip(SKIP_4) | instid1(VALU_DEP_1)
	v_fma_f64 v[2:3], v[144:145], v[140:141], v[2:3]
	scratch_load_b128 v[138:141], off, off offset:376
	s_waitcnt lgkmcnt(0)
	v_fma_f64 v[2:3], v[146:147], v[152:153], v[2:3]
	s_waitcnt vmcnt(4)
	v_fma_f64 v[2:3], v[148:149], v[154:155], v[2:3]
	ds_load_b128 v[142:145], v1 offset:832
	ds_load_b128 v[146:149], v1 offset:848
	s_waitcnt lgkmcnt(1)
	v_fma_f64 v[2:3], v[150:151], v[142:143], v[2:3]
	scratch_load_b128 v[150:153], off, off offset:392
	s_waitcnt vmcnt(4)
	v_fma_f64 v[2:3], v[160:161], v[144:145], v[2:3]
	scratch_load_b128 v[142:145], off, off offset:408
	s_waitcnt lgkmcnt(0)
	v_fma_f64 v[2:3], v[162:163], v[146:147], v[2:3]
	s_waitcnt vmcnt(4)
	s_delay_alu instid0(VALU_DEP_1)
	v_fma_f64 v[2:3], v[134:135], v[148:149], v[2:3]
	ds_load_b128 v[146:149], v1 offset:864
	ds_load_b128 v[160:163], v1 offset:880
	s_waitcnt lgkmcnt(1)
	v_fma_f64 v[2:3], v[136:137], v[146:147], v[2:3]
	scratch_load_b128 v[134:137], off, off offset:424
	s_waitcnt vmcnt(4)
	v_fma_f64 v[2:3], v[156:157], v[148:149], v[2:3]
	scratch_load_b128 v[146:149], off, off offset:440
	s_waitcnt lgkmcnt(0)
	v_fma_f64 v[2:3], v[158:159], v[160:161], v[2:3]
	ds_load_b128 v[154:157], v1 offset:896
	ds_load_b128 v[158:161], v1 offset:912
	s_waitcnt vmcnt(4)
	v_fma_f64 v[2:3], v[138:139], v[162:163], v[2:3]
	s_waitcnt lgkmcnt(1)
	s_delay_alu instid0(VALU_DEP_1) | instskip(SKIP_4) | instid1(VALU_DEP_1)
	v_fma_f64 v[2:3], v[140:141], v[154:155], v[2:3]
	scratch_load_b128 v[138:141], off, off offset:456
	s_waitcnt vmcnt(4)
	v_fma_f64 v[2:3], v[150:151], v[156:157], v[2:3]
	s_waitcnt lgkmcnt(0)
	v_fma_f64 v[2:3], v[152:153], v[158:159], v[2:3]
	scratch_load_b128 v[150:153], off, off offset:472
	s_waitcnt vmcnt(4)
	v_fma_f64 v[2:3], v[142:143], v[160:161], v[2:3]
	ds_load_b128 v[154:157], v1 offset:928
	ds_load_b128 v[158:161], v1 offset:944
	s_waitcnt lgkmcnt(1)
	v_fma_f64 v[2:3], v[144:145], v[154:155], v[2:3]
	scratch_load_b128 v[142:145], off, off offset:488
	s_waitcnt vmcnt(4)
	v_fma_f64 v[2:3], v[134:135], v[156:157], v[2:3]
	s_waitcnt lgkmcnt(0)
	s_delay_alu instid0(VALU_DEP_1)
	v_fma_f64 v[2:3], v[136:137], v[158:159], v[2:3]
	ds_load_b128 v[134:137], v1 offset:960
	ds_load_b128 v[154:157], v1 offset:976
	s_waitcnt vmcnt(3)
	v_fma_f64 v[2:3], v[146:147], v[160:161], v[2:3]
	s_waitcnt lgkmcnt(1)
	s_delay_alu instid0(VALU_DEP_1) | instskip(SKIP_1) | instid1(VALU_DEP_1)
	v_fma_f64 v[2:3], v[148:149], v[134:135], v[2:3]
	s_waitcnt vmcnt(2)
	v_fma_f64 v[2:3], v[138:139], v[136:137], v[2:3]
	ds_load_b128 v[134:137], v1 offset:992
	ds_load_b64 v[138:139], v1 offset:1008
	s_waitcnt lgkmcnt(2)
	v_fma_f64 v[2:3], v[140:141], v[154:155], v[2:3]
	s_waitcnt vmcnt(1)
	s_delay_alu instid0(VALU_DEP_1) | instskip(SKIP_1) | instid1(VALU_DEP_1)
	v_fma_f64 v[2:3], v[150:151], v[156:157], v[2:3]
	s_waitcnt lgkmcnt(1)
	v_fma_f64 v[2:3], v[152:153], v[134:135], v[2:3]
	s_waitcnt vmcnt(0)
	s_delay_alu instid0(VALU_DEP_1) | instskip(SKIP_1) | instid1(VALU_DEP_1)
	v_fma_f64 v[2:3], v[142:143], v[136:137], v[2:3]
	s_waitcnt lgkmcnt(0)
	v_fma_f64 v[2:3], v[144:145], v[138:139], v[2:3]
	s_delay_alu instid0(VALU_DEP_1)
	v_add_f64 v[2:3], v[132:133], -v[2:3]
	scratch_store_b64 off, v[2:3], off offset:248
	v_cmpx_lt_u32_e32 30, v0
	s_cbranch_execz .LBB126_327
; %bb.326:
	scratch_load_b64 v[3:4], off, off offset:240
	v_mov_b32_e32 v2, v1
	scratch_store_b64 off, v[1:2], off offset:240
	s_waitcnt vmcnt(0)
	ds_store_b64 v5, v[3:4]
.LBB126_327:
	s_or_b32 exec_lo, exec_lo, s0
	s_waitcnt lgkmcnt(0)
	s_waitcnt_vscnt null, 0x0
	s_barrier
	buffer_gl0_inv
	s_clause 0x4
	scratch_load_b128 v[132:135], off, off offset:240
	scratch_load_b128 v[136:139], off, off offset:256
	;; [unrolled: 1-line block ×5, first 2 shown]
	ds_load_2addr_b64 v[152:155], v1 offset0:95 offset1:96
	ds_load_2addr_b64 v[156:159], v1 offset0:97 offset1:98
	scratch_load_b128 v[160:163], off, off offset:320
	s_mov_b32 s0, exec_lo
	s_waitcnt vmcnt(5) lgkmcnt(1)
	v_fma_f64 v[2:3], v[134:135], v[152:153], 0
	s_waitcnt vmcnt(4)
	s_delay_alu instid0(VALU_DEP_1) | instskip(SKIP_4) | instid1(VALU_DEP_1)
	v_fma_f64 v[2:3], v[136:137], v[154:155], v[2:3]
	scratch_load_b128 v[134:137], off, off offset:336
	s_waitcnt lgkmcnt(0)
	v_fma_f64 v[2:3], v[138:139], v[156:157], v[2:3]
	s_waitcnt vmcnt(4)
	v_fma_f64 v[2:3], v[140:141], v[158:159], v[2:3]
	ds_load_2addr_b64 v[138:141], v1 offset0:99 offset1:100
	ds_load_2addr_b64 v[152:155], v1 offset0:101 offset1:102
	scratch_load_b128 v[156:159], off, off offset:352
	s_waitcnt lgkmcnt(1)
	v_fma_f64 v[2:3], v[142:143], v[138:139], v[2:3]
	s_waitcnt vmcnt(4)
	s_delay_alu instid0(VALU_DEP_1) | instskip(SKIP_4) | instid1(VALU_DEP_1)
	v_fma_f64 v[2:3], v[144:145], v[140:141], v[2:3]
	scratch_load_b128 v[138:141], off, off offset:368
	s_waitcnt lgkmcnt(0)
	v_fma_f64 v[2:3], v[146:147], v[152:153], v[2:3]
	s_waitcnt vmcnt(4)
	v_fma_f64 v[2:3], v[148:149], v[154:155], v[2:3]
	ds_load_2addr_b64 v[142:145], v1 offset0:103 offset1:104
	ds_load_2addr_b64 v[146:149], v1 offset0:105 offset1:106
	s_waitcnt lgkmcnt(1)
	v_fma_f64 v[2:3], v[150:151], v[142:143], v[2:3]
	scratch_load_b128 v[150:153], off, off offset:384
	s_waitcnt vmcnt(4)
	v_fma_f64 v[2:3], v[160:161], v[144:145], v[2:3]
	scratch_load_b128 v[142:145], off, off offset:400
	s_waitcnt lgkmcnt(0)
	v_fma_f64 v[2:3], v[162:163], v[146:147], v[2:3]
	s_waitcnt vmcnt(4)
	s_delay_alu instid0(VALU_DEP_1)
	v_fma_f64 v[2:3], v[134:135], v[148:149], v[2:3]
	ds_load_2addr_b64 v[146:149], v1 offset0:107 offset1:108
	ds_load_2addr_b64 v[160:163], v1 offset0:109 offset1:110
	s_waitcnt lgkmcnt(1)
	v_fma_f64 v[2:3], v[136:137], v[146:147], v[2:3]
	scratch_load_b128 v[134:137], off, off offset:416
	s_waitcnt vmcnt(4)
	v_fma_f64 v[2:3], v[156:157], v[148:149], v[2:3]
	scratch_load_b128 v[146:149], off, off offset:432
	s_waitcnt lgkmcnt(0)
	v_fma_f64 v[2:3], v[158:159], v[160:161], v[2:3]
	ds_load_2addr_b64 v[154:157], v1 offset0:111 offset1:112
	ds_load_2addr_b64 v[158:161], v1 offset0:113 offset1:114
	s_waitcnt vmcnt(4)
	v_fma_f64 v[2:3], v[138:139], v[162:163], v[2:3]
	s_waitcnt lgkmcnt(1)
	s_delay_alu instid0(VALU_DEP_1) | instskip(SKIP_4) | instid1(VALU_DEP_1)
	v_fma_f64 v[2:3], v[140:141], v[154:155], v[2:3]
	scratch_load_b128 v[138:141], off, off offset:448
	s_waitcnt vmcnt(4)
	v_fma_f64 v[2:3], v[150:151], v[156:157], v[2:3]
	s_waitcnt lgkmcnt(0)
	v_fma_f64 v[2:3], v[152:153], v[158:159], v[2:3]
	scratch_load_b128 v[150:153], off, off offset:464
	s_waitcnt vmcnt(4)
	v_fma_f64 v[2:3], v[142:143], v[160:161], v[2:3]
	ds_load_2addr_b64 v[154:157], v1 offset0:115 offset1:116
	ds_load_2addr_b64 v[158:161], v1 offset0:117 offset1:118
	s_waitcnt lgkmcnt(1)
	v_fma_f64 v[2:3], v[144:145], v[154:155], v[2:3]
	scratch_load_b128 v[142:145], off, off offset:480
	s_waitcnt vmcnt(4)
	v_fma_f64 v[2:3], v[134:135], v[156:157], v[2:3]
	s_waitcnt lgkmcnt(0)
	s_delay_alu instid0(VALU_DEP_1)
	v_fma_f64 v[2:3], v[136:137], v[158:159], v[2:3]
	scratch_load_b64 v[158:159], off, off offset:496
	ds_load_2addr_b64 v[134:137], v1 offset0:119 offset1:120
	ds_load_2addr_b64 v[154:157], v1 offset0:121 offset1:122
	s_waitcnt vmcnt(4)
	v_fma_f64 v[2:3], v[146:147], v[160:161], v[2:3]
	s_waitcnt lgkmcnt(1)
	s_delay_alu instid0(VALU_DEP_1) | instskip(SKIP_1) | instid1(VALU_DEP_1)
	v_fma_f64 v[2:3], v[148:149], v[134:135], v[2:3]
	s_waitcnt vmcnt(3)
	v_fma_f64 v[2:3], v[138:139], v[136:137], v[2:3]
	s_waitcnt lgkmcnt(0)
	s_delay_alu instid0(VALU_DEP_1) | instskip(SKIP_1) | instid1(VALU_DEP_1)
	v_fma_f64 v[2:3], v[140:141], v[154:155], v[2:3]
	s_waitcnt vmcnt(2)
	v_fma_f64 v[138:139], v[150:151], v[156:157], v[2:3]
	ds_load_2addr_b64 v[134:137], v1 offset0:123 offset1:124
	ds_load_2addr_b64 v[1:4], v1 offset0:125 offset1:126
	s_waitcnt lgkmcnt(1)
	v_fma_f64 v[134:135], v[152:153], v[134:135], v[138:139]
	s_waitcnt vmcnt(1)
	s_delay_alu instid0(VALU_DEP_1) | instskip(SKIP_1) | instid1(VALU_DEP_1)
	v_fma_f64 v[134:135], v[142:143], v[136:137], v[134:135]
	s_waitcnt lgkmcnt(0)
	v_fma_f64 v[1:2], v[144:145], v[1:2], v[134:135]
	s_waitcnt vmcnt(0)
	s_delay_alu instid0(VALU_DEP_1) | instskip(NEXT) | instid1(VALU_DEP_1)
	v_fma_f64 v[1:2], v[158:159], v[3:4], v[1:2]
	v_add_f64 v[1:2], v[132:133], -v[1:2]
	scratch_store_b64 off, v[1:2], off offset:240
	v_cmpx_lt_u32_e32 29, v0
	s_cbranch_execz .LBB126_329
; %bb.328:
	scratch_load_b64 v[1:2], off, off offset:232
	v_mov_b32_e32 v3, 0
	s_delay_alu instid0(VALU_DEP_1)
	v_mov_b32_e32 v4, v3
	scratch_store_b64 off, v[3:4], off offset:232
	s_waitcnt vmcnt(0)
	ds_store_b64 v5, v[1:2]
.LBB126_329:
	s_or_b32 exec_lo, exec_lo, s0
	s_waitcnt lgkmcnt(0)
	s_waitcnt_vscnt null, 0x0
	s_barrier
	buffer_gl0_inv
	s_clause 0x4
	scratch_load_b128 v[132:135], off, off offset:232
	scratch_load_b128 v[136:139], off, off offset:248
	;; [unrolled: 1-line block ×5, first 2 shown]
	v_mov_b32_e32 v1, 0
	ds_load_b128 v[152:155], v1 offset:752
	ds_load_b128 v[156:159], v1 offset:768
	scratch_load_b128 v[160:163], off, off offset:312
	s_mov_b32 s0, exec_lo
	s_waitcnt vmcnt(5) lgkmcnt(1)
	v_fma_f64 v[2:3], v[134:135], v[152:153], 0
	s_waitcnt vmcnt(4)
	s_delay_alu instid0(VALU_DEP_1) | instskip(SKIP_4) | instid1(VALU_DEP_1)
	v_fma_f64 v[2:3], v[136:137], v[154:155], v[2:3]
	scratch_load_b128 v[134:137], off, off offset:328
	s_waitcnt lgkmcnt(0)
	v_fma_f64 v[2:3], v[138:139], v[156:157], v[2:3]
	s_waitcnt vmcnt(4)
	v_fma_f64 v[2:3], v[140:141], v[158:159], v[2:3]
	ds_load_b128 v[138:141], v1 offset:784
	ds_load_b128 v[152:155], v1 offset:800
	scratch_load_b128 v[156:159], off, off offset:344
	s_waitcnt lgkmcnt(1)
	v_fma_f64 v[2:3], v[142:143], v[138:139], v[2:3]
	s_waitcnt vmcnt(4)
	s_delay_alu instid0(VALU_DEP_1) | instskip(SKIP_4) | instid1(VALU_DEP_1)
	v_fma_f64 v[2:3], v[144:145], v[140:141], v[2:3]
	scratch_load_b128 v[138:141], off, off offset:360
	s_waitcnt lgkmcnt(0)
	v_fma_f64 v[2:3], v[146:147], v[152:153], v[2:3]
	s_waitcnt vmcnt(4)
	v_fma_f64 v[2:3], v[148:149], v[154:155], v[2:3]
	ds_load_b128 v[142:145], v1 offset:816
	ds_load_b128 v[146:149], v1 offset:832
	s_waitcnt lgkmcnt(1)
	v_fma_f64 v[2:3], v[150:151], v[142:143], v[2:3]
	scratch_load_b128 v[150:153], off, off offset:376
	s_waitcnt vmcnt(4)
	v_fma_f64 v[2:3], v[160:161], v[144:145], v[2:3]
	scratch_load_b128 v[142:145], off, off offset:392
	s_waitcnt lgkmcnt(0)
	v_fma_f64 v[2:3], v[162:163], v[146:147], v[2:3]
	s_waitcnt vmcnt(4)
	s_delay_alu instid0(VALU_DEP_1)
	v_fma_f64 v[2:3], v[134:135], v[148:149], v[2:3]
	ds_load_b128 v[146:149], v1 offset:848
	ds_load_b128 v[160:163], v1 offset:864
	s_waitcnt lgkmcnt(1)
	v_fma_f64 v[2:3], v[136:137], v[146:147], v[2:3]
	scratch_load_b128 v[134:137], off, off offset:408
	s_waitcnt vmcnt(4)
	v_fma_f64 v[2:3], v[156:157], v[148:149], v[2:3]
	scratch_load_b128 v[146:149], off, off offset:424
	s_waitcnt lgkmcnt(0)
	v_fma_f64 v[2:3], v[158:159], v[160:161], v[2:3]
	ds_load_b128 v[154:157], v1 offset:880
	ds_load_b128 v[158:161], v1 offset:896
	s_waitcnt vmcnt(4)
	v_fma_f64 v[2:3], v[138:139], v[162:163], v[2:3]
	s_waitcnt lgkmcnt(1)
	s_delay_alu instid0(VALU_DEP_1) | instskip(SKIP_4) | instid1(VALU_DEP_1)
	v_fma_f64 v[2:3], v[140:141], v[154:155], v[2:3]
	scratch_load_b128 v[138:141], off, off offset:440
	s_waitcnt vmcnt(4)
	v_fma_f64 v[2:3], v[150:151], v[156:157], v[2:3]
	s_waitcnt lgkmcnt(0)
	v_fma_f64 v[2:3], v[152:153], v[158:159], v[2:3]
	scratch_load_b128 v[150:153], off, off offset:456
	s_waitcnt vmcnt(4)
	v_fma_f64 v[2:3], v[142:143], v[160:161], v[2:3]
	ds_load_b128 v[154:157], v1 offset:912
	ds_load_b128 v[158:161], v1 offset:928
	s_waitcnt lgkmcnt(1)
	v_fma_f64 v[2:3], v[144:145], v[154:155], v[2:3]
	scratch_load_b128 v[142:145], off, off offset:472
	s_waitcnt vmcnt(4)
	v_fma_f64 v[2:3], v[134:135], v[156:157], v[2:3]
	s_waitcnt lgkmcnt(0)
	s_delay_alu instid0(VALU_DEP_1)
	v_fma_f64 v[2:3], v[136:137], v[158:159], v[2:3]
	scratch_load_b128 v[134:137], off, off offset:488
	s_waitcnt vmcnt(4)
	v_fma_f64 v[2:3], v[146:147], v[160:161], v[2:3]
	ds_load_b128 v[154:157], v1 offset:944
	ds_load_b128 v[158:161], v1 offset:960
	s_waitcnt lgkmcnt(1)
	v_fma_f64 v[2:3], v[148:149], v[154:155], v[2:3]
	s_waitcnt vmcnt(3)
	s_delay_alu instid0(VALU_DEP_1) | instskip(SKIP_1) | instid1(VALU_DEP_1)
	v_fma_f64 v[2:3], v[138:139], v[156:157], v[2:3]
	s_waitcnt lgkmcnt(0)
	v_fma_f64 v[2:3], v[140:141], v[158:159], v[2:3]
	ds_load_b128 v[138:141], v1 offset:976
	ds_load_b128 v[146:149], v1 offset:992
	s_waitcnt vmcnt(2)
	v_fma_f64 v[2:3], v[150:151], v[160:161], v[2:3]
	s_waitcnt lgkmcnt(1)
	s_delay_alu instid0(VALU_DEP_1) | instskip(SKIP_1) | instid1(VALU_DEP_1)
	v_fma_f64 v[2:3], v[152:153], v[138:139], v[2:3]
	s_waitcnt vmcnt(1)
	v_fma_f64 v[2:3], v[142:143], v[140:141], v[2:3]
	s_waitcnt lgkmcnt(0)
	s_delay_alu instid0(VALU_DEP_1) | instskip(SKIP_1) | instid1(VALU_DEP_1)
	v_fma_f64 v[2:3], v[144:145], v[146:147], v[2:3]
	s_waitcnt vmcnt(0)
	v_fma_f64 v[2:3], v[134:135], v[148:149], v[2:3]
	ds_load_b64 v[134:135], v1 offset:1008
	s_waitcnt lgkmcnt(0)
	v_fma_f64 v[2:3], v[136:137], v[134:135], v[2:3]
	s_delay_alu instid0(VALU_DEP_1)
	v_add_f64 v[2:3], v[132:133], -v[2:3]
	scratch_store_b64 off, v[2:3], off offset:232
	v_cmpx_lt_u32_e32 28, v0
	s_cbranch_execz .LBB126_331
; %bb.330:
	scratch_load_b64 v[3:4], off, off offset:224
	v_mov_b32_e32 v2, v1
	scratch_store_b64 off, v[1:2], off offset:224
	s_waitcnt vmcnt(0)
	ds_store_b64 v5, v[3:4]
.LBB126_331:
	s_or_b32 exec_lo, exec_lo, s0
	s_waitcnt lgkmcnt(0)
	s_waitcnt_vscnt null, 0x0
	s_barrier
	buffer_gl0_inv
	s_clause 0x4
	scratch_load_b128 v[132:135], off, off offset:224
	scratch_load_b128 v[136:139], off, off offset:240
	;; [unrolled: 1-line block ×5, first 2 shown]
	ds_load_2addr_b64 v[152:155], v1 offset0:93 offset1:94
	ds_load_2addr_b64 v[156:159], v1 offset0:95 offset1:96
	scratch_load_b128 v[160:163], off, off offset:304
	s_mov_b32 s0, exec_lo
	s_waitcnt vmcnt(5) lgkmcnt(1)
	v_fma_f64 v[2:3], v[134:135], v[152:153], 0
	s_waitcnt vmcnt(4)
	s_delay_alu instid0(VALU_DEP_1) | instskip(SKIP_4) | instid1(VALU_DEP_1)
	v_fma_f64 v[2:3], v[136:137], v[154:155], v[2:3]
	scratch_load_b128 v[134:137], off, off offset:320
	s_waitcnt lgkmcnt(0)
	v_fma_f64 v[2:3], v[138:139], v[156:157], v[2:3]
	s_waitcnt vmcnt(4)
	v_fma_f64 v[2:3], v[140:141], v[158:159], v[2:3]
	ds_load_2addr_b64 v[138:141], v1 offset0:97 offset1:98
	ds_load_2addr_b64 v[152:155], v1 offset0:99 offset1:100
	scratch_load_b128 v[156:159], off, off offset:336
	s_waitcnt lgkmcnt(1)
	v_fma_f64 v[2:3], v[142:143], v[138:139], v[2:3]
	s_waitcnt vmcnt(4)
	s_delay_alu instid0(VALU_DEP_1) | instskip(SKIP_4) | instid1(VALU_DEP_1)
	v_fma_f64 v[2:3], v[144:145], v[140:141], v[2:3]
	scratch_load_b128 v[138:141], off, off offset:352
	s_waitcnt lgkmcnt(0)
	v_fma_f64 v[2:3], v[146:147], v[152:153], v[2:3]
	s_waitcnt vmcnt(4)
	v_fma_f64 v[2:3], v[148:149], v[154:155], v[2:3]
	ds_load_2addr_b64 v[142:145], v1 offset0:101 offset1:102
	ds_load_2addr_b64 v[146:149], v1 offset0:103 offset1:104
	s_waitcnt lgkmcnt(1)
	v_fma_f64 v[2:3], v[150:151], v[142:143], v[2:3]
	scratch_load_b128 v[150:153], off, off offset:368
	s_waitcnt vmcnt(4)
	v_fma_f64 v[2:3], v[160:161], v[144:145], v[2:3]
	scratch_load_b128 v[142:145], off, off offset:384
	s_waitcnt lgkmcnt(0)
	v_fma_f64 v[2:3], v[162:163], v[146:147], v[2:3]
	s_waitcnt vmcnt(4)
	s_delay_alu instid0(VALU_DEP_1)
	v_fma_f64 v[2:3], v[134:135], v[148:149], v[2:3]
	ds_load_2addr_b64 v[146:149], v1 offset0:105 offset1:106
	ds_load_2addr_b64 v[160:163], v1 offset0:107 offset1:108
	s_waitcnt lgkmcnt(1)
	v_fma_f64 v[2:3], v[136:137], v[146:147], v[2:3]
	scratch_load_b128 v[134:137], off, off offset:400
	s_waitcnt vmcnt(4)
	v_fma_f64 v[2:3], v[156:157], v[148:149], v[2:3]
	scratch_load_b128 v[146:149], off, off offset:416
	s_waitcnt lgkmcnt(0)
	v_fma_f64 v[2:3], v[158:159], v[160:161], v[2:3]
	ds_load_2addr_b64 v[154:157], v1 offset0:109 offset1:110
	ds_load_2addr_b64 v[158:161], v1 offset0:111 offset1:112
	s_waitcnt vmcnt(4)
	v_fma_f64 v[2:3], v[138:139], v[162:163], v[2:3]
	s_waitcnt lgkmcnt(1)
	s_delay_alu instid0(VALU_DEP_1) | instskip(SKIP_4) | instid1(VALU_DEP_1)
	v_fma_f64 v[2:3], v[140:141], v[154:155], v[2:3]
	scratch_load_b128 v[138:141], off, off offset:432
	s_waitcnt vmcnt(4)
	v_fma_f64 v[2:3], v[150:151], v[156:157], v[2:3]
	s_waitcnt lgkmcnt(0)
	v_fma_f64 v[2:3], v[152:153], v[158:159], v[2:3]
	scratch_load_b128 v[150:153], off, off offset:448
	s_waitcnt vmcnt(4)
	v_fma_f64 v[2:3], v[142:143], v[160:161], v[2:3]
	ds_load_2addr_b64 v[154:157], v1 offset0:113 offset1:114
	ds_load_2addr_b64 v[158:161], v1 offset0:115 offset1:116
	s_waitcnt lgkmcnt(1)
	v_fma_f64 v[2:3], v[144:145], v[154:155], v[2:3]
	scratch_load_b128 v[142:145], off, off offset:464
	s_waitcnt vmcnt(4)
	v_fma_f64 v[2:3], v[134:135], v[156:157], v[2:3]
	s_waitcnt lgkmcnt(0)
	s_delay_alu instid0(VALU_DEP_1)
	v_fma_f64 v[2:3], v[136:137], v[158:159], v[2:3]
	scratch_load_b128 v[134:137], off, off offset:480
	s_waitcnt vmcnt(4)
	v_fma_f64 v[2:3], v[146:147], v[160:161], v[2:3]
	ds_load_2addr_b64 v[154:157], v1 offset0:117 offset1:118
	ds_load_2addr_b64 v[158:161], v1 offset0:119 offset1:120
	s_waitcnt lgkmcnt(1)
	v_fma_f64 v[2:3], v[148:149], v[154:155], v[2:3]
	scratch_load_b64 v[154:155], off, off offset:496
	s_waitcnt vmcnt(4)
	v_fma_f64 v[2:3], v[138:139], v[156:157], v[2:3]
	s_waitcnt lgkmcnt(0)
	s_delay_alu instid0(VALU_DEP_1)
	v_fma_f64 v[2:3], v[140:141], v[158:159], v[2:3]
	ds_load_2addr_b64 v[138:141], v1 offset0:121 offset1:122
	ds_load_2addr_b64 v[146:149], v1 offset0:123 offset1:124
	s_waitcnt vmcnt(3)
	v_fma_f64 v[2:3], v[150:151], v[160:161], v[2:3]
	s_waitcnt lgkmcnt(1)
	s_delay_alu instid0(VALU_DEP_1) | instskip(SKIP_1) | instid1(VALU_DEP_1)
	v_fma_f64 v[2:3], v[152:153], v[138:139], v[2:3]
	s_waitcnt vmcnt(2)
	v_fma_f64 v[2:3], v[142:143], v[140:141], v[2:3]
	s_waitcnt lgkmcnt(0)
	s_delay_alu instid0(VALU_DEP_1) | instskip(SKIP_1) | instid1(VALU_DEP_1)
	v_fma_f64 v[2:3], v[144:145], v[146:147], v[2:3]
	s_waitcnt vmcnt(1)
	v_fma_f64 v[134:135], v[134:135], v[148:149], v[2:3]
	ds_load_2addr_b64 v[1:4], v1 offset0:125 offset1:126
	s_waitcnt lgkmcnt(0)
	v_fma_f64 v[1:2], v[136:137], v[1:2], v[134:135]
	s_waitcnt vmcnt(0)
	s_delay_alu instid0(VALU_DEP_1) | instskip(NEXT) | instid1(VALU_DEP_1)
	v_fma_f64 v[1:2], v[154:155], v[3:4], v[1:2]
	v_add_f64 v[1:2], v[132:133], -v[1:2]
	scratch_store_b64 off, v[1:2], off offset:224
	v_cmpx_lt_u32_e32 27, v0
	s_cbranch_execz .LBB126_333
; %bb.332:
	scratch_load_b64 v[1:2], off, off offset:216
	v_mov_b32_e32 v3, 0
	s_delay_alu instid0(VALU_DEP_1)
	v_mov_b32_e32 v4, v3
	scratch_store_b64 off, v[3:4], off offset:216
	s_waitcnt vmcnt(0)
	ds_store_b64 v5, v[1:2]
.LBB126_333:
	s_or_b32 exec_lo, exec_lo, s0
	s_waitcnt lgkmcnt(0)
	s_waitcnt_vscnt null, 0x0
	s_barrier
	buffer_gl0_inv
	s_clause 0x4
	scratch_load_b128 v[132:135], off, off offset:216
	scratch_load_b128 v[136:139], off, off offset:232
	scratch_load_b128 v[140:143], off, off offset:248
	scratch_load_b128 v[144:147], off, off offset:264
	scratch_load_b128 v[148:151], off, off offset:280
	v_mov_b32_e32 v1, 0
	ds_load_b128 v[152:155], v1 offset:736
	ds_load_b128 v[156:159], v1 offset:752
	scratch_load_b128 v[160:163], off, off offset:296
	s_mov_b32 s0, exec_lo
	s_waitcnt vmcnt(5) lgkmcnt(1)
	v_fma_f64 v[2:3], v[134:135], v[152:153], 0
	s_waitcnt vmcnt(4)
	s_delay_alu instid0(VALU_DEP_1) | instskip(SKIP_4) | instid1(VALU_DEP_1)
	v_fma_f64 v[2:3], v[136:137], v[154:155], v[2:3]
	scratch_load_b128 v[134:137], off, off offset:312
	s_waitcnt lgkmcnt(0)
	v_fma_f64 v[2:3], v[138:139], v[156:157], v[2:3]
	s_waitcnt vmcnt(4)
	v_fma_f64 v[2:3], v[140:141], v[158:159], v[2:3]
	ds_load_b128 v[138:141], v1 offset:768
	ds_load_b128 v[152:155], v1 offset:784
	scratch_load_b128 v[156:159], off, off offset:328
	s_waitcnt lgkmcnt(1)
	v_fma_f64 v[2:3], v[142:143], v[138:139], v[2:3]
	s_waitcnt vmcnt(4)
	s_delay_alu instid0(VALU_DEP_1) | instskip(SKIP_4) | instid1(VALU_DEP_1)
	v_fma_f64 v[2:3], v[144:145], v[140:141], v[2:3]
	scratch_load_b128 v[138:141], off, off offset:344
	s_waitcnt lgkmcnt(0)
	v_fma_f64 v[2:3], v[146:147], v[152:153], v[2:3]
	s_waitcnt vmcnt(4)
	v_fma_f64 v[2:3], v[148:149], v[154:155], v[2:3]
	ds_load_b128 v[142:145], v1 offset:800
	ds_load_b128 v[146:149], v1 offset:816
	s_waitcnt lgkmcnt(1)
	v_fma_f64 v[2:3], v[150:151], v[142:143], v[2:3]
	scratch_load_b128 v[150:153], off, off offset:360
	s_waitcnt vmcnt(4)
	v_fma_f64 v[2:3], v[160:161], v[144:145], v[2:3]
	scratch_load_b128 v[142:145], off, off offset:376
	s_waitcnt lgkmcnt(0)
	v_fma_f64 v[2:3], v[162:163], v[146:147], v[2:3]
	s_waitcnt vmcnt(4)
	s_delay_alu instid0(VALU_DEP_1)
	v_fma_f64 v[2:3], v[134:135], v[148:149], v[2:3]
	ds_load_b128 v[146:149], v1 offset:832
	ds_load_b128 v[160:163], v1 offset:848
	s_waitcnt lgkmcnt(1)
	v_fma_f64 v[2:3], v[136:137], v[146:147], v[2:3]
	scratch_load_b128 v[134:137], off, off offset:392
	s_waitcnt vmcnt(4)
	v_fma_f64 v[2:3], v[156:157], v[148:149], v[2:3]
	scratch_load_b128 v[146:149], off, off offset:408
	s_waitcnt lgkmcnt(0)
	v_fma_f64 v[2:3], v[158:159], v[160:161], v[2:3]
	ds_load_b128 v[154:157], v1 offset:864
	ds_load_b128 v[158:161], v1 offset:880
	s_waitcnt vmcnt(4)
	v_fma_f64 v[2:3], v[138:139], v[162:163], v[2:3]
	s_waitcnt lgkmcnt(1)
	s_delay_alu instid0(VALU_DEP_1) | instskip(SKIP_4) | instid1(VALU_DEP_1)
	v_fma_f64 v[2:3], v[140:141], v[154:155], v[2:3]
	scratch_load_b128 v[138:141], off, off offset:424
	s_waitcnt vmcnt(4)
	v_fma_f64 v[2:3], v[150:151], v[156:157], v[2:3]
	s_waitcnt lgkmcnt(0)
	v_fma_f64 v[2:3], v[152:153], v[158:159], v[2:3]
	scratch_load_b128 v[150:153], off, off offset:440
	s_waitcnt vmcnt(4)
	v_fma_f64 v[2:3], v[142:143], v[160:161], v[2:3]
	ds_load_b128 v[154:157], v1 offset:896
	ds_load_b128 v[158:161], v1 offset:912
	s_waitcnt lgkmcnt(1)
	v_fma_f64 v[2:3], v[144:145], v[154:155], v[2:3]
	scratch_load_b128 v[142:145], off, off offset:456
	s_waitcnt vmcnt(4)
	v_fma_f64 v[2:3], v[134:135], v[156:157], v[2:3]
	s_waitcnt lgkmcnt(0)
	s_delay_alu instid0(VALU_DEP_1)
	v_fma_f64 v[2:3], v[136:137], v[158:159], v[2:3]
	scratch_load_b128 v[134:137], off, off offset:472
	s_waitcnt vmcnt(4)
	v_fma_f64 v[2:3], v[146:147], v[160:161], v[2:3]
	ds_load_b128 v[154:157], v1 offset:928
	ds_load_b128 v[158:161], v1 offset:944
	s_waitcnt lgkmcnt(1)
	v_fma_f64 v[2:3], v[148:149], v[154:155], v[2:3]
	scratch_load_b128 v[146:149], off, off offset:488
	s_waitcnt vmcnt(4)
	v_fma_f64 v[2:3], v[138:139], v[156:157], v[2:3]
	s_waitcnt lgkmcnt(0)
	s_delay_alu instid0(VALU_DEP_1)
	v_fma_f64 v[2:3], v[140:141], v[158:159], v[2:3]
	ds_load_b128 v[138:141], v1 offset:960
	ds_load_b128 v[154:157], v1 offset:976
	s_waitcnt vmcnt(3)
	v_fma_f64 v[2:3], v[150:151], v[160:161], v[2:3]
	s_waitcnt lgkmcnt(1)
	s_delay_alu instid0(VALU_DEP_1) | instskip(SKIP_1) | instid1(VALU_DEP_1)
	v_fma_f64 v[2:3], v[152:153], v[138:139], v[2:3]
	s_waitcnt vmcnt(2)
	v_fma_f64 v[2:3], v[142:143], v[140:141], v[2:3]
	s_waitcnt lgkmcnt(0)
	s_delay_alu instid0(VALU_DEP_1) | instskip(SKIP_1) | instid1(VALU_DEP_1)
	v_fma_f64 v[2:3], v[144:145], v[154:155], v[2:3]
	s_waitcnt vmcnt(1)
	v_fma_f64 v[2:3], v[134:135], v[156:157], v[2:3]
	ds_load_b128 v[138:141], v1 offset:992
	ds_load_b64 v[134:135], v1 offset:1008
	s_waitcnt lgkmcnt(1)
	v_fma_f64 v[2:3], v[136:137], v[138:139], v[2:3]
	s_waitcnt vmcnt(0)
	s_delay_alu instid0(VALU_DEP_1) | instskip(SKIP_1) | instid1(VALU_DEP_1)
	v_fma_f64 v[2:3], v[146:147], v[140:141], v[2:3]
	s_waitcnt lgkmcnt(0)
	v_fma_f64 v[2:3], v[148:149], v[134:135], v[2:3]
	s_delay_alu instid0(VALU_DEP_1)
	v_add_f64 v[2:3], v[132:133], -v[2:3]
	scratch_store_b64 off, v[2:3], off offset:216
	v_cmpx_lt_u32_e32 26, v0
	s_cbranch_execz .LBB126_335
; %bb.334:
	scratch_load_b64 v[3:4], off, off offset:208
	v_mov_b32_e32 v2, v1
	scratch_store_b64 off, v[1:2], off offset:208
	s_waitcnt vmcnt(0)
	ds_store_b64 v5, v[3:4]
.LBB126_335:
	s_or_b32 exec_lo, exec_lo, s0
	s_waitcnt lgkmcnt(0)
	s_waitcnt_vscnt null, 0x0
	s_barrier
	buffer_gl0_inv
	s_clause 0x4
	scratch_load_b128 v[132:135], off, off offset:208
	scratch_load_b128 v[136:139], off, off offset:224
	;; [unrolled: 1-line block ×5, first 2 shown]
	ds_load_2addr_b64 v[152:155], v1 offset0:91 offset1:92
	ds_load_2addr_b64 v[156:159], v1 offset0:93 offset1:94
	scratch_load_b128 v[160:163], off, off offset:288
	s_mov_b32 s0, exec_lo
	s_waitcnt vmcnt(5) lgkmcnt(1)
	v_fma_f64 v[2:3], v[134:135], v[152:153], 0
	s_waitcnt vmcnt(4)
	s_delay_alu instid0(VALU_DEP_1) | instskip(SKIP_4) | instid1(VALU_DEP_1)
	v_fma_f64 v[2:3], v[136:137], v[154:155], v[2:3]
	scratch_load_b128 v[134:137], off, off offset:304
	s_waitcnt lgkmcnt(0)
	v_fma_f64 v[2:3], v[138:139], v[156:157], v[2:3]
	s_waitcnt vmcnt(4)
	v_fma_f64 v[2:3], v[140:141], v[158:159], v[2:3]
	ds_load_2addr_b64 v[138:141], v1 offset0:95 offset1:96
	ds_load_2addr_b64 v[152:155], v1 offset0:97 offset1:98
	scratch_load_b128 v[156:159], off, off offset:320
	s_waitcnt lgkmcnt(1)
	v_fma_f64 v[2:3], v[142:143], v[138:139], v[2:3]
	s_waitcnt vmcnt(4)
	s_delay_alu instid0(VALU_DEP_1) | instskip(SKIP_4) | instid1(VALU_DEP_1)
	v_fma_f64 v[2:3], v[144:145], v[140:141], v[2:3]
	scratch_load_b128 v[138:141], off, off offset:336
	s_waitcnt lgkmcnt(0)
	v_fma_f64 v[2:3], v[146:147], v[152:153], v[2:3]
	s_waitcnt vmcnt(4)
	v_fma_f64 v[2:3], v[148:149], v[154:155], v[2:3]
	ds_load_2addr_b64 v[142:145], v1 offset0:99 offset1:100
	ds_load_2addr_b64 v[146:149], v1 offset0:101 offset1:102
	s_waitcnt lgkmcnt(1)
	v_fma_f64 v[2:3], v[150:151], v[142:143], v[2:3]
	scratch_load_b128 v[150:153], off, off offset:352
	s_waitcnt vmcnt(4)
	v_fma_f64 v[2:3], v[160:161], v[144:145], v[2:3]
	scratch_load_b128 v[142:145], off, off offset:368
	s_waitcnt lgkmcnt(0)
	v_fma_f64 v[2:3], v[162:163], v[146:147], v[2:3]
	s_waitcnt vmcnt(4)
	s_delay_alu instid0(VALU_DEP_1)
	v_fma_f64 v[2:3], v[134:135], v[148:149], v[2:3]
	ds_load_2addr_b64 v[146:149], v1 offset0:103 offset1:104
	ds_load_2addr_b64 v[160:163], v1 offset0:105 offset1:106
	s_waitcnt lgkmcnt(1)
	v_fma_f64 v[2:3], v[136:137], v[146:147], v[2:3]
	scratch_load_b128 v[134:137], off, off offset:384
	s_waitcnt vmcnt(4)
	v_fma_f64 v[2:3], v[156:157], v[148:149], v[2:3]
	scratch_load_b128 v[146:149], off, off offset:400
	s_waitcnt lgkmcnt(0)
	v_fma_f64 v[2:3], v[158:159], v[160:161], v[2:3]
	ds_load_2addr_b64 v[154:157], v1 offset0:107 offset1:108
	ds_load_2addr_b64 v[158:161], v1 offset0:109 offset1:110
	s_waitcnt vmcnt(4)
	v_fma_f64 v[2:3], v[138:139], v[162:163], v[2:3]
	s_waitcnt lgkmcnt(1)
	s_delay_alu instid0(VALU_DEP_1) | instskip(SKIP_4) | instid1(VALU_DEP_1)
	v_fma_f64 v[2:3], v[140:141], v[154:155], v[2:3]
	scratch_load_b128 v[138:141], off, off offset:416
	s_waitcnt vmcnt(4)
	v_fma_f64 v[2:3], v[150:151], v[156:157], v[2:3]
	s_waitcnt lgkmcnt(0)
	v_fma_f64 v[2:3], v[152:153], v[158:159], v[2:3]
	scratch_load_b128 v[150:153], off, off offset:432
	s_waitcnt vmcnt(4)
	v_fma_f64 v[2:3], v[142:143], v[160:161], v[2:3]
	ds_load_2addr_b64 v[154:157], v1 offset0:111 offset1:112
	ds_load_2addr_b64 v[158:161], v1 offset0:113 offset1:114
	s_waitcnt lgkmcnt(1)
	v_fma_f64 v[2:3], v[144:145], v[154:155], v[2:3]
	scratch_load_b128 v[142:145], off, off offset:448
	s_waitcnt vmcnt(4)
	v_fma_f64 v[2:3], v[134:135], v[156:157], v[2:3]
	s_waitcnt lgkmcnt(0)
	s_delay_alu instid0(VALU_DEP_1)
	v_fma_f64 v[2:3], v[136:137], v[158:159], v[2:3]
	scratch_load_b128 v[134:137], off, off offset:464
	s_waitcnt vmcnt(4)
	v_fma_f64 v[2:3], v[146:147], v[160:161], v[2:3]
	ds_load_2addr_b64 v[154:157], v1 offset0:115 offset1:116
	ds_load_2addr_b64 v[158:161], v1 offset0:117 offset1:118
	s_waitcnt lgkmcnt(1)
	v_fma_f64 v[2:3], v[148:149], v[154:155], v[2:3]
	scratch_load_b128 v[146:149], off, off offset:480
	s_waitcnt vmcnt(4)
	v_fma_f64 v[2:3], v[138:139], v[156:157], v[2:3]
	s_waitcnt lgkmcnt(0)
	s_delay_alu instid0(VALU_DEP_1)
	v_fma_f64 v[2:3], v[140:141], v[158:159], v[2:3]
	scratch_load_b64 v[158:159], off, off offset:496
	ds_load_2addr_b64 v[138:141], v1 offset0:119 offset1:120
	ds_load_2addr_b64 v[154:157], v1 offset0:121 offset1:122
	s_waitcnt vmcnt(4)
	v_fma_f64 v[2:3], v[150:151], v[160:161], v[2:3]
	s_waitcnt lgkmcnt(1)
	s_delay_alu instid0(VALU_DEP_1) | instskip(SKIP_1) | instid1(VALU_DEP_1)
	v_fma_f64 v[2:3], v[152:153], v[138:139], v[2:3]
	s_waitcnt vmcnt(3)
	v_fma_f64 v[2:3], v[142:143], v[140:141], v[2:3]
	s_waitcnt lgkmcnt(0)
	s_delay_alu instid0(VALU_DEP_1) | instskip(SKIP_1) | instid1(VALU_DEP_1)
	v_fma_f64 v[2:3], v[144:145], v[154:155], v[2:3]
	s_waitcnt vmcnt(2)
	v_fma_f64 v[134:135], v[134:135], v[156:157], v[2:3]
	ds_load_2addr_b64 v[138:141], v1 offset0:123 offset1:124
	ds_load_2addr_b64 v[1:4], v1 offset0:125 offset1:126
	s_waitcnt lgkmcnt(1)
	v_fma_f64 v[134:135], v[136:137], v[138:139], v[134:135]
	s_waitcnt vmcnt(1)
	s_delay_alu instid0(VALU_DEP_1) | instskip(SKIP_1) | instid1(VALU_DEP_1)
	v_fma_f64 v[134:135], v[146:147], v[140:141], v[134:135]
	s_waitcnt lgkmcnt(0)
	v_fma_f64 v[1:2], v[148:149], v[1:2], v[134:135]
	s_waitcnt vmcnt(0)
	s_delay_alu instid0(VALU_DEP_1) | instskip(NEXT) | instid1(VALU_DEP_1)
	v_fma_f64 v[1:2], v[158:159], v[3:4], v[1:2]
	v_add_f64 v[1:2], v[132:133], -v[1:2]
	scratch_store_b64 off, v[1:2], off offset:208
	v_cmpx_lt_u32_e32 25, v0
	s_cbranch_execz .LBB126_337
; %bb.336:
	scratch_load_b64 v[1:2], off, off offset:200
	v_mov_b32_e32 v3, 0
	s_delay_alu instid0(VALU_DEP_1)
	v_mov_b32_e32 v4, v3
	scratch_store_b64 off, v[3:4], off offset:200
	s_waitcnt vmcnt(0)
	ds_store_b64 v5, v[1:2]
.LBB126_337:
	s_or_b32 exec_lo, exec_lo, s0
	s_waitcnt lgkmcnt(0)
	s_waitcnt_vscnt null, 0x0
	s_barrier
	buffer_gl0_inv
	s_clause 0x4
	scratch_load_b128 v[132:135], off, off offset:200
	scratch_load_b128 v[136:139], off, off offset:216
	;; [unrolled: 1-line block ×5, first 2 shown]
	v_mov_b32_e32 v1, 0
	ds_load_b128 v[152:155], v1 offset:720
	ds_load_b128 v[156:159], v1 offset:736
	scratch_load_b128 v[160:163], off, off offset:280
	s_mov_b32 s0, exec_lo
	s_waitcnt vmcnt(5) lgkmcnt(1)
	v_fma_f64 v[2:3], v[134:135], v[152:153], 0
	s_waitcnt vmcnt(4)
	s_delay_alu instid0(VALU_DEP_1) | instskip(SKIP_4) | instid1(VALU_DEP_1)
	v_fma_f64 v[2:3], v[136:137], v[154:155], v[2:3]
	scratch_load_b128 v[134:137], off, off offset:296
	s_waitcnt lgkmcnt(0)
	v_fma_f64 v[2:3], v[138:139], v[156:157], v[2:3]
	s_waitcnt vmcnt(4)
	v_fma_f64 v[2:3], v[140:141], v[158:159], v[2:3]
	ds_load_b128 v[138:141], v1 offset:752
	ds_load_b128 v[152:155], v1 offset:768
	scratch_load_b128 v[156:159], off, off offset:312
	s_waitcnt lgkmcnt(1)
	v_fma_f64 v[2:3], v[142:143], v[138:139], v[2:3]
	s_waitcnt vmcnt(4)
	s_delay_alu instid0(VALU_DEP_1) | instskip(SKIP_4) | instid1(VALU_DEP_1)
	v_fma_f64 v[2:3], v[144:145], v[140:141], v[2:3]
	scratch_load_b128 v[138:141], off, off offset:328
	s_waitcnt lgkmcnt(0)
	v_fma_f64 v[2:3], v[146:147], v[152:153], v[2:3]
	s_waitcnt vmcnt(4)
	v_fma_f64 v[2:3], v[148:149], v[154:155], v[2:3]
	ds_load_b128 v[142:145], v1 offset:784
	ds_load_b128 v[146:149], v1 offset:800
	s_waitcnt lgkmcnt(1)
	v_fma_f64 v[2:3], v[150:151], v[142:143], v[2:3]
	scratch_load_b128 v[150:153], off, off offset:344
	s_waitcnt vmcnt(4)
	v_fma_f64 v[2:3], v[160:161], v[144:145], v[2:3]
	scratch_load_b128 v[142:145], off, off offset:360
	s_waitcnt lgkmcnt(0)
	v_fma_f64 v[2:3], v[162:163], v[146:147], v[2:3]
	s_waitcnt vmcnt(4)
	s_delay_alu instid0(VALU_DEP_1)
	v_fma_f64 v[2:3], v[134:135], v[148:149], v[2:3]
	ds_load_b128 v[146:149], v1 offset:816
	ds_load_b128 v[160:163], v1 offset:832
	s_waitcnt lgkmcnt(1)
	v_fma_f64 v[2:3], v[136:137], v[146:147], v[2:3]
	scratch_load_b128 v[134:137], off, off offset:376
	s_waitcnt vmcnt(4)
	v_fma_f64 v[2:3], v[156:157], v[148:149], v[2:3]
	scratch_load_b128 v[146:149], off, off offset:392
	s_waitcnt lgkmcnt(0)
	v_fma_f64 v[2:3], v[158:159], v[160:161], v[2:3]
	ds_load_b128 v[154:157], v1 offset:848
	ds_load_b128 v[158:161], v1 offset:864
	s_waitcnt vmcnt(4)
	v_fma_f64 v[2:3], v[138:139], v[162:163], v[2:3]
	s_waitcnt lgkmcnt(1)
	s_delay_alu instid0(VALU_DEP_1) | instskip(SKIP_4) | instid1(VALU_DEP_1)
	v_fma_f64 v[2:3], v[140:141], v[154:155], v[2:3]
	scratch_load_b128 v[138:141], off, off offset:408
	s_waitcnt vmcnt(4)
	v_fma_f64 v[2:3], v[150:151], v[156:157], v[2:3]
	s_waitcnt lgkmcnt(0)
	v_fma_f64 v[2:3], v[152:153], v[158:159], v[2:3]
	scratch_load_b128 v[150:153], off, off offset:424
	s_waitcnt vmcnt(4)
	v_fma_f64 v[2:3], v[142:143], v[160:161], v[2:3]
	ds_load_b128 v[154:157], v1 offset:880
	ds_load_b128 v[158:161], v1 offset:896
	s_waitcnt lgkmcnt(1)
	v_fma_f64 v[2:3], v[144:145], v[154:155], v[2:3]
	scratch_load_b128 v[142:145], off, off offset:440
	s_waitcnt vmcnt(4)
	v_fma_f64 v[2:3], v[134:135], v[156:157], v[2:3]
	s_waitcnt lgkmcnt(0)
	s_delay_alu instid0(VALU_DEP_1)
	v_fma_f64 v[2:3], v[136:137], v[158:159], v[2:3]
	scratch_load_b128 v[134:137], off, off offset:456
	s_waitcnt vmcnt(4)
	v_fma_f64 v[2:3], v[146:147], v[160:161], v[2:3]
	ds_load_b128 v[154:157], v1 offset:912
	ds_load_b128 v[158:161], v1 offset:928
	s_waitcnt lgkmcnt(1)
	v_fma_f64 v[2:3], v[148:149], v[154:155], v[2:3]
	scratch_load_b128 v[146:149], off, off offset:472
	s_waitcnt vmcnt(4)
	v_fma_f64 v[2:3], v[138:139], v[156:157], v[2:3]
	s_waitcnt lgkmcnt(0)
	s_delay_alu instid0(VALU_DEP_1)
	v_fma_f64 v[2:3], v[140:141], v[158:159], v[2:3]
	scratch_load_b128 v[138:141], off, off offset:488
	s_waitcnt vmcnt(4)
	v_fma_f64 v[2:3], v[150:151], v[160:161], v[2:3]
	ds_load_b128 v[154:157], v1 offset:944
	ds_load_b128 v[158:161], v1 offset:960
	s_waitcnt lgkmcnt(1)
	v_fma_f64 v[2:3], v[152:153], v[154:155], v[2:3]
	s_waitcnt vmcnt(3)
	s_delay_alu instid0(VALU_DEP_1) | instskip(SKIP_1) | instid1(VALU_DEP_1)
	v_fma_f64 v[2:3], v[142:143], v[156:157], v[2:3]
	s_waitcnt lgkmcnt(0)
	v_fma_f64 v[2:3], v[144:145], v[158:159], v[2:3]
	ds_load_b128 v[142:145], v1 offset:976
	ds_load_b128 v[150:153], v1 offset:992
	s_waitcnt vmcnt(2)
	v_fma_f64 v[2:3], v[134:135], v[160:161], v[2:3]
	ds_load_b64 v[134:135], v1 offset:1008
	s_waitcnt lgkmcnt(2)
	v_fma_f64 v[2:3], v[136:137], v[142:143], v[2:3]
	s_waitcnt vmcnt(1)
	s_delay_alu instid0(VALU_DEP_1) | instskip(SKIP_1) | instid1(VALU_DEP_1)
	v_fma_f64 v[2:3], v[146:147], v[144:145], v[2:3]
	s_waitcnt lgkmcnt(1)
	v_fma_f64 v[2:3], v[148:149], v[150:151], v[2:3]
	s_waitcnt vmcnt(0)
	s_delay_alu instid0(VALU_DEP_1) | instskip(SKIP_1) | instid1(VALU_DEP_1)
	v_fma_f64 v[2:3], v[138:139], v[152:153], v[2:3]
	s_waitcnt lgkmcnt(0)
	v_fma_f64 v[2:3], v[140:141], v[134:135], v[2:3]
	s_delay_alu instid0(VALU_DEP_1)
	v_add_f64 v[2:3], v[132:133], -v[2:3]
	scratch_store_b64 off, v[2:3], off offset:200
	v_cmpx_lt_u32_e32 24, v0
	s_cbranch_execz .LBB126_339
; %bb.338:
	scratch_load_b64 v[3:4], off, off offset:192
	v_mov_b32_e32 v2, v1
	scratch_store_b64 off, v[1:2], off offset:192
	s_waitcnt vmcnt(0)
	ds_store_b64 v5, v[3:4]
.LBB126_339:
	s_or_b32 exec_lo, exec_lo, s0
	s_waitcnt lgkmcnt(0)
	s_waitcnt_vscnt null, 0x0
	s_barrier
	buffer_gl0_inv
	s_clause 0x4
	scratch_load_b128 v[132:135], off, off offset:192
	scratch_load_b128 v[136:139], off, off offset:208
	;; [unrolled: 1-line block ×5, first 2 shown]
	ds_load_2addr_b64 v[152:155], v1 offset0:89 offset1:90
	ds_load_2addr_b64 v[156:159], v1 offset0:91 offset1:92
	scratch_load_b128 v[160:163], off, off offset:272
	s_mov_b32 s0, exec_lo
	s_waitcnt vmcnt(5) lgkmcnt(1)
	v_fma_f64 v[2:3], v[134:135], v[152:153], 0
	s_waitcnt vmcnt(4)
	s_delay_alu instid0(VALU_DEP_1) | instskip(SKIP_4) | instid1(VALU_DEP_1)
	v_fma_f64 v[2:3], v[136:137], v[154:155], v[2:3]
	scratch_load_b128 v[134:137], off, off offset:288
	s_waitcnt lgkmcnt(0)
	v_fma_f64 v[2:3], v[138:139], v[156:157], v[2:3]
	s_waitcnt vmcnt(4)
	v_fma_f64 v[2:3], v[140:141], v[158:159], v[2:3]
	ds_load_2addr_b64 v[138:141], v1 offset0:93 offset1:94
	ds_load_2addr_b64 v[152:155], v1 offset0:95 offset1:96
	scratch_load_b128 v[156:159], off, off offset:304
	s_waitcnt lgkmcnt(1)
	v_fma_f64 v[2:3], v[142:143], v[138:139], v[2:3]
	s_waitcnt vmcnt(4)
	s_delay_alu instid0(VALU_DEP_1) | instskip(SKIP_4) | instid1(VALU_DEP_1)
	v_fma_f64 v[2:3], v[144:145], v[140:141], v[2:3]
	scratch_load_b128 v[138:141], off, off offset:320
	s_waitcnt lgkmcnt(0)
	v_fma_f64 v[2:3], v[146:147], v[152:153], v[2:3]
	s_waitcnt vmcnt(4)
	v_fma_f64 v[2:3], v[148:149], v[154:155], v[2:3]
	ds_load_2addr_b64 v[142:145], v1 offset0:97 offset1:98
	ds_load_2addr_b64 v[146:149], v1 offset0:99 offset1:100
	s_waitcnt lgkmcnt(1)
	v_fma_f64 v[2:3], v[150:151], v[142:143], v[2:3]
	scratch_load_b128 v[150:153], off, off offset:336
	s_waitcnt vmcnt(4)
	v_fma_f64 v[2:3], v[160:161], v[144:145], v[2:3]
	scratch_load_b128 v[142:145], off, off offset:352
	s_waitcnt lgkmcnt(0)
	v_fma_f64 v[2:3], v[162:163], v[146:147], v[2:3]
	s_waitcnt vmcnt(4)
	s_delay_alu instid0(VALU_DEP_1)
	v_fma_f64 v[2:3], v[134:135], v[148:149], v[2:3]
	ds_load_2addr_b64 v[146:149], v1 offset0:101 offset1:102
	ds_load_2addr_b64 v[160:163], v1 offset0:103 offset1:104
	s_waitcnt lgkmcnt(1)
	v_fma_f64 v[2:3], v[136:137], v[146:147], v[2:3]
	scratch_load_b128 v[134:137], off, off offset:368
	s_waitcnt vmcnt(4)
	v_fma_f64 v[2:3], v[156:157], v[148:149], v[2:3]
	scratch_load_b128 v[146:149], off, off offset:384
	s_waitcnt lgkmcnt(0)
	v_fma_f64 v[2:3], v[158:159], v[160:161], v[2:3]
	ds_load_2addr_b64 v[154:157], v1 offset0:105 offset1:106
	ds_load_2addr_b64 v[158:161], v1 offset0:107 offset1:108
	s_waitcnt vmcnt(4)
	v_fma_f64 v[2:3], v[138:139], v[162:163], v[2:3]
	s_waitcnt lgkmcnt(1)
	s_delay_alu instid0(VALU_DEP_1) | instskip(SKIP_4) | instid1(VALU_DEP_1)
	v_fma_f64 v[2:3], v[140:141], v[154:155], v[2:3]
	scratch_load_b128 v[138:141], off, off offset:400
	s_waitcnt vmcnt(4)
	v_fma_f64 v[2:3], v[150:151], v[156:157], v[2:3]
	s_waitcnt lgkmcnt(0)
	v_fma_f64 v[2:3], v[152:153], v[158:159], v[2:3]
	scratch_load_b128 v[150:153], off, off offset:416
	s_waitcnt vmcnt(4)
	v_fma_f64 v[2:3], v[142:143], v[160:161], v[2:3]
	ds_load_2addr_b64 v[154:157], v1 offset0:109 offset1:110
	ds_load_2addr_b64 v[158:161], v1 offset0:111 offset1:112
	s_waitcnt lgkmcnt(1)
	v_fma_f64 v[2:3], v[144:145], v[154:155], v[2:3]
	scratch_load_b128 v[142:145], off, off offset:432
	s_waitcnt vmcnt(4)
	v_fma_f64 v[2:3], v[134:135], v[156:157], v[2:3]
	s_waitcnt lgkmcnt(0)
	s_delay_alu instid0(VALU_DEP_1)
	v_fma_f64 v[2:3], v[136:137], v[158:159], v[2:3]
	scratch_load_b128 v[134:137], off, off offset:448
	s_waitcnt vmcnt(4)
	v_fma_f64 v[2:3], v[146:147], v[160:161], v[2:3]
	ds_load_2addr_b64 v[154:157], v1 offset0:113 offset1:114
	ds_load_2addr_b64 v[158:161], v1 offset0:115 offset1:116
	s_waitcnt lgkmcnt(1)
	v_fma_f64 v[2:3], v[148:149], v[154:155], v[2:3]
	scratch_load_b128 v[146:149], off, off offset:464
	s_waitcnt vmcnt(4)
	v_fma_f64 v[2:3], v[138:139], v[156:157], v[2:3]
	s_waitcnt lgkmcnt(0)
	s_delay_alu instid0(VALU_DEP_1)
	v_fma_f64 v[2:3], v[140:141], v[158:159], v[2:3]
	scratch_load_b128 v[138:141], off, off offset:480
	s_waitcnt vmcnt(4)
	v_fma_f64 v[2:3], v[150:151], v[160:161], v[2:3]
	ds_load_2addr_b64 v[154:157], v1 offset0:117 offset1:118
	ds_load_2addr_b64 v[158:161], v1 offset0:119 offset1:120
	s_waitcnt lgkmcnt(1)
	v_fma_f64 v[2:3], v[152:153], v[154:155], v[2:3]
	scratch_load_b64 v[154:155], off, off offset:496
	s_waitcnt vmcnt(4)
	v_fma_f64 v[2:3], v[142:143], v[156:157], v[2:3]
	s_waitcnt lgkmcnt(0)
	s_delay_alu instid0(VALU_DEP_1)
	v_fma_f64 v[2:3], v[144:145], v[158:159], v[2:3]
	ds_load_2addr_b64 v[142:145], v1 offset0:121 offset1:122
	ds_load_2addr_b64 v[150:153], v1 offset0:123 offset1:124
	s_waitcnt vmcnt(3)
	v_fma_f64 v[2:3], v[134:135], v[160:161], v[2:3]
	s_waitcnt lgkmcnt(1)
	s_delay_alu instid0(VALU_DEP_1) | instskip(SKIP_1) | instid1(VALU_DEP_1)
	v_fma_f64 v[2:3], v[136:137], v[142:143], v[2:3]
	s_waitcnt vmcnt(2)
	v_fma_f64 v[2:3], v[146:147], v[144:145], v[2:3]
	s_waitcnt lgkmcnt(0)
	s_delay_alu instid0(VALU_DEP_1) | instskip(SKIP_1) | instid1(VALU_DEP_1)
	v_fma_f64 v[2:3], v[148:149], v[150:151], v[2:3]
	s_waitcnt vmcnt(1)
	v_fma_f64 v[134:135], v[138:139], v[152:153], v[2:3]
	ds_load_2addr_b64 v[1:4], v1 offset0:125 offset1:126
	s_waitcnt lgkmcnt(0)
	v_fma_f64 v[1:2], v[140:141], v[1:2], v[134:135]
	s_waitcnt vmcnt(0)
	s_delay_alu instid0(VALU_DEP_1) | instskip(NEXT) | instid1(VALU_DEP_1)
	v_fma_f64 v[1:2], v[154:155], v[3:4], v[1:2]
	v_add_f64 v[1:2], v[132:133], -v[1:2]
	scratch_store_b64 off, v[1:2], off offset:192
	v_cmpx_lt_u32_e32 23, v0
	s_cbranch_execz .LBB126_341
; %bb.340:
	scratch_load_b64 v[1:2], off, off offset:184
	v_mov_b32_e32 v3, 0
	s_delay_alu instid0(VALU_DEP_1)
	v_mov_b32_e32 v4, v3
	scratch_store_b64 off, v[3:4], off offset:184
	s_waitcnt vmcnt(0)
	ds_store_b64 v5, v[1:2]
.LBB126_341:
	s_or_b32 exec_lo, exec_lo, s0
	s_waitcnt lgkmcnt(0)
	s_waitcnt_vscnt null, 0x0
	s_barrier
	buffer_gl0_inv
	s_clause 0x4
	scratch_load_b128 v[132:135], off, off offset:184
	scratch_load_b128 v[136:139], off, off offset:200
	;; [unrolled: 1-line block ×5, first 2 shown]
	v_mov_b32_e32 v1, 0
	ds_load_b128 v[152:155], v1 offset:704
	ds_load_b128 v[156:159], v1 offset:720
	scratch_load_b128 v[160:163], off, off offset:264
	s_mov_b32 s0, exec_lo
	s_waitcnt vmcnt(5) lgkmcnt(1)
	v_fma_f64 v[2:3], v[134:135], v[152:153], 0
	s_waitcnt vmcnt(4)
	s_delay_alu instid0(VALU_DEP_1) | instskip(SKIP_4) | instid1(VALU_DEP_1)
	v_fma_f64 v[2:3], v[136:137], v[154:155], v[2:3]
	scratch_load_b128 v[134:137], off, off offset:280
	s_waitcnt lgkmcnt(0)
	v_fma_f64 v[2:3], v[138:139], v[156:157], v[2:3]
	s_waitcnt vmcnt(4)
	v_fma_f64 v[2:3], v[140:141], v[158:159], v[2:3]
	ds_load_b128 v[138:141], v1 offset:736
	ds_load_b128 v[152:155], v1 offset:752
	scratch_load_b128 v[156:159], off, off offset:296
	s_waitcnt lgkmcnt(1)
	v_fma_f64 v[2:3], v[142:143], v[138:139], v[2:3]
	s_waitcnt vmcnt(4)
	s_delay_alu instid0(VALU_DEP_1) | instskip(SKIP_4) | instid1(VALU_DEP_1)
	v_fma_f64 v[2:3], v[144:145], v[140:141], v[2:3]
	scratch_load_b128 v[138:141], off, off offset:312
	s_waitcnt lgkmcnt(0)
	v_fma_f64 v[2:3], v[146:147], v[152:153], v[2:3]
	s_waitcnt vmcnt(4)
	v_fma_f64 v[2:3], v[148:149], v[154:155], v[2:3]
	ds_load_b128 v[142:145], v1 offset:768
	ds_load_b128 v[146:149], v1 offset:784
	s_waitcnt lgkmcnt(1)
	v_fma_f64 v[2:3], v[150:151], v[142:143], v[2:3]
	scratch_load_b128 v[150:153], off, off offset:328
	s_waitcnt vmcnt(4)
	v_fma_f64 v[2:3], v[160:161], v[144:145], v[2:3]
	scratch_load_b128 v[142:145], off, off offset:344
	s_waitcnt lgkmcnt(0)
	v_fma_f64 v[2:3], v[162:163], v[146:147], v[2:3]
	s_waitcnt vmcnt(4)
	s_delay_alu instid0(VALU_DEP_1)
	v_fma_f64 v[2:3], v[134:135], v[148:149], v[2:3]
	ds_load_b128 v[146:149], v1 offset:800
	ds_load_b128 v[160:163], v1 offset:816
	s_waitcnt lgkmcnt(1)
	v_fma_f64 v[2:3], v[136:137], v[146:147], v[2:3]
	scratch_load_b128 v[134:137], off, off offset:360
	s_waitcnt vmcnt(4)
	v_fma_f64 v[2:3], v[156:157], v[148:149], v[2:3]
	scratch_load_b128 v[146:149], off, off offset:376
	s_waitcnt lgkmcnt(0)
	v_fma_f64 v[2:3], v[158:159], v[160:161], v[2:3]
	ds_load_b128 v[154:157], v1 offset:832
	ds_load_b128 v[158:161], v1 offset:848
	s_waitcnt vmcnt(4)
	v_fma_f64 v[2:3], v[138:139], v[162:163], v[2:3]
	s_waitcnt lgkmcnt(1)
	s_delay_alu instid0(VALU_DEP_1) | instskip(SKIP_4) | instid1(VALU_DEP_1)
	v_fma_f64 v[2:3], v[140:141], v[154:155], v[2:3]
	scratch_load_b128 v[138:141], off, off offset:392
	s_waitcnt vmcnt(4)
	v_fma_f64 v[2:3], v[150:151], v[156:157], v[2:3]
	s_waitcnt lgkmcnt(0)
	v_fma_f64 v[2:3], v[152:153], v[158:159], v[2:3]
	scratch_load_b128 v[150:153], off, off offset:408
	s_waitcnt vmcnt(4)
	v_fma_f64 v[2:3], v[142:143], v[160:161], v[2:3]
	ds_load_b128 v[154:157], v1 offset:864
	ds_load_b128 v[158:161], v1 offset:880
	s_waitcnt lgkmcnt(1)
	v_fma_f64 v[2:3], v[144:145], v[154:155], v[2:3]
	scratch_load_b128 v[142:145], off, off offset:424
	s_waitcnt vmcnt(4)
	v_fma_f64 v[2:3], v[134:135], v[156:157], v[2:3]
	s_waitcnt lgkmcnt(0)
	s_delay_alu instid0(VALU_DEP_1)
	v_fma_f64 v[2:3], v[136:137], v[158:159], v[2:3]
	scratch_load_b128 v[134:137], off, off offset:440
	s_waitcnt vmcnt(4)
	v_fma_f64 v[2:3], v[146:147], v[160:161], v[2:3]
	ds_load_b128 v[154:157], v1 offset:896
	ds_load_b128 v[158:161], v1 offset:912
	s_waitcnt lgkmcnt(1)
	v_fma_f64 v[2:3], v[148:149], v[154:155], v[2:3]
	scratch_load_b128 v[146:149], off, off offset:456
	s_waitcnt vmcnt(4)
	v_fma_f64 v[2:3], v[138:139], v[156:157], v[2:3]
	s_waitcnt lgkmcnt(0)
	s_delay_alu instid0(VALU_DEP_1)
	;; [unrolled: 13-line block ×3, first 2 shown]
	v_fma_f64 v[2:3], v[144:145], v[158:159], v[2:3]
	ds_load_b128 v[142:145], v1 offset:960
	ds_load_b128 v[154:157], v1 offset:976
	s_waitcnt vmcnt(3)
	v_fma_f64 v[2:3], v[134:135], v[160:161], v[2:3]
	s_waitcnt lgkmcnt(1)
	s_delay_alu instid0(VALU_DEP_1) | instskip(SKIP_1) | instid1(VALU_DEP_1)
	v_fma_f64 v[2:3], v[136:137], v[142:143], v[2:3]
	s_waitcnt vmcnt(2)
	v_fma_f64 v[2:3], v[146:147], v[144:145], v[2:3]
	s_waitcnt lgkmcnt(0)
	s_delay_alu instid0(VALU_DEP_1) | instskip(SKIP_1) | instid1(VALU_DEP_1)
	v_fma_f64 v[2:3], v[148:149], v[154:155], v[2:3]
	s_waitcnt vmcnt(1)
	v_fma_f64 v[2:3], v[138:139], v[156:157], v[2:3]
	ds_load_b128 v[134:137], v1 offset:992
	ds_load_b64 v[138:139], v1 offset:1008
	s_waitcnt lgkmcnt(1)
	v_fma_f64 v[2:3], v[140:141], v[134:135], v[2:3]
	s_waitcnt vmcnt(0)
	s_delay_alu instid0(VALU_DEP_1) | instskip(SKIP_1) | instid1(VALU_DEP_1)
	v_fma_f64 v[2:3], v[150:151], v[136:137], v[2:3]
	s_waitcnt lgkmcnt(0)
	v_fma_f64 v[2:3], v[152:153], v[138:139], v[2:3]
	s_delay_alu instid0(VALU_DEP_1)
	v_add_f64 v[2:3], v[132:133], -v[2:3]
	scratch_store_b64 off, v[2:3], off offset:184
	v_cmpx_lt_u32_e32 22, v0
	s_cbranch_execz .LBB126_343
; %bb.342:
	scratch_load_b64 v[3:4], off, off offset:176
	v_mov_b32_e32 v2, v1
	scratch_store_b64 off, v[1:2], off offset:176
	s_waitcnt vmcnt(0)
	ds_store_b64 v5, v[3:4]
.LBB126_343:
	s_or_b32 exec_lo, exec_lo, s0
	s_waitcnt lgkmcnt(0)
	s_waitcnt_vscnt null, 0x0
	s_barrier
	buffer_gl0_inv
	s_clause 0x4
	scratch_load_b128 v[132:135], off, off offset:176
	scratch_load_b128 v[136:139], off, off offset:192
	;; [unrolled: 1-line block ×5, first 2 shown]
	ds_load_2addr_b64 v[152:155], v1 offset0:87 offset1:88
	ds_load_2addr_b64 v[156:159], v1 offset0:89 offset1:90
	scratch_load_b128 v[160:163], off, off offset:256
	s_mov_b32 s0, exec_lo
	s_waitcnt vmcnt(5) lgkmcnt(1)
	v_fma_f64 v[2:3], v[134:135], v[152:153], 0
	s_waitcnt vmcnt(4)
	s_delay_alu instid0(VALU_DEP_1) | instskip(SKIP_4) | instid1(VALU_DEP_1)
	v_fma_f64 v[2:3], v[136:137], v[154:155], v[2:3]
	scratch_load_b128 v[134:137], off, off offset:272
	s_waitcnt lgkmcnt(0)
	v_fma_f64 v[2:3], v[138:139], v[156:157], v[2:3]
	s_waitcnt vmcnt(4)
	v_fma_f64 v[2:3], v[140:141], v[158:159], v[2:3]
	ds_load_2addr_b64 v[138:141], v1 offset0:91 offset1:92
	ds_load_2addr_b64 v[152:155], v1 offset0:93 offset1:94
	scratch_load_b128 v[156:159], off, off offset:288
	s_waitcnt lgkmcnt(1)
	v_fma_f64 v[2:3], v[142:143], v[138:139], v[2:3]
	s_waitcnt vmcnt(4)
	s_delay_alu instid0(VALU_DEP_1) | instskip(SKIP_4) | instid1(VALU_DEP_1)
	v_fma_f64 v[2:3], v[144:145], v[140:141], v[2:3]
	scratch_load_b128 v[138:141], off, off offset:304
	s_waitcnt lgkmcnt(0)
	v_fma_f64 v[2:3], v[146:147], v[152:153], v[2:3]
	s_waitcnt vmcnt(4)
	v_fma_f64 v[2:3], v[148:149], v[154:155], v[2:3]
	ds_load_2addr_b64 v[142:145], v1 offset0:95 offset1:96
	ds_load_2addr_b64 v[146:149], v1 offset0:97 offset1:98
	s_waitcnt lgkmcnt(1)
	v_fma_f64 v[2:3], v[150:151], v[142:143], v[2:3]
	scratch_load_b128 v[150:153], off, off offset:320
	s_waitcnt vmcnt(4)
	v_fma_f64 v[2:3], v[160:161], v[144:145], v[2:3]
	scratch_load_b128 v[142:145], off, off offset:336
	s_waitcnt lgkmcnt(0)
	v_fma_f64 v[2:3], v[162:163], v[146:147], v[2:3]
	s_waitcnt vmcnt(4)
	s_delay_alu instid0(VALU_DEP_1)
	v_fma_f64 v[2:3], v[134:135], v[148:149], v[2:3]
	ds_load_2addr_b64 v[146:149], v1 offset0:99 offset1:100
	ds_load_2addr_b64 v[160:163], v1 offset0:101 offset1:102
	s_waitcnt lgkmcnt(1)
	v_fma_f64 v[2:3], v[136:137], v[146:147], v[2:3]
	scratch_load_b128 v[134:137], off, off offset:352
	s_waitcnt vmcnt(4)
	v_fma_f64 v[2:3], v[156:157], v[148:149], v[2:3]
	scratch_load_b128 v[146:149], off, off offset:368
	s_waitcnt lgkmcnt(0)
	v_fma_f64 v[2:3], v[158:159], v[160:161], v[2:3]
	ds_load_2addr_b64 v[154:157], v1 offset0:103 offset1:104
	ds_load_2addr_b64 v[158:161], v1 offset0:105 offset1:106
	s_waitcnt vmcnt(4)
	v_fma_f64 v[2:3], v[138:139], v[162:163], v[2:3]
	s_waitcnt lgkmcnt(1)
	s_delay_alu instid0(VALU_DEP_1) | instskip(SKIP_4) | instid1(VALU_DEP_1)
	v_fma_f64 v[2:3], v[140:141], v[154:155], v[2:3]
	scratch_load_b128 v[138:141], off, off offset:384
	s_waitcnt vmcnt(4)
	v_fma_f64 v[2:3], v[150:151], v[156:157], v[2:3]
	s_waitcnt lgkmcnt(0)
	v_fma_f64 v[2:3], v[152:153], v[158:159], v[2:3]
	scratch_load_b128 v[150:153], off, off offset:400
	s_waitcnt vmcnt(4)
	v_fma_f64 v[2:3], v[142:143], v[160:161], v[2:3]
	ds_load_2addr_b64 v[154:157], v1 offset0:107 offset1:108
	ds_load_2addr_b64 v[158:161], v1 offset0:109 offset1:110
	s_waitcnt lgkmcnt(1)
	v_fma_f64 v[2:3], v[144:145], v[154:155], v[2:3]
	scratch_load_b128 v[142:145], off, off offset:416
	s_waitcnt vmcnt(4)
	v_fma_f64 v[2:3], v[134:135], v[156:157], v[2:3]
	s_waitcnt lgkmcnt(0)
	s_delay_alu instid0(VALU_DEP_1)
	v_fma_f64 v[2:3], v[136:137], v[158:159], v[2:3]
	scratch_load_b128 v[134:137], off, off offset:432
	s_waitcnt vmcnt(4)
	v_fma_f64 v[2:3], v[146:147], v[160:161], v[2:3]
	ds_load_2addr_b64 v[154:157], v1 offset0:111 offset1:112
	ds_load_2addr_b64 v[158:161], v1 offset0:113 offset1:114
	s_waitcnt lgkmcnt(1)
	v_fma_f64 v[2:3], v[148:149], v[154:155], v[2:3]
	scratch_load_b128 v[146:149], off, off offset:448
	s_waitcnt vmcnt(4)
	v_fma_f64 v[2:3], v[138:139], v[156:157], v[2:3]
	s_waitcnt lgkmcnt(0)
	s_delay_alu instid0(VALU_DEP_1)
	;; [unrolled: 13-line block ×3, first 2 shown]
	v_fma_f64 v[2:3], v[144:145], v[158:159], v[2:3]
	scratch_load_b64 v[158:159], off, off offset:496
	ds_load_2addr_b64 v[142:145], v1 offset0:119 offset1:120
	ds_load_2addr_b64 v[154:157], v1 offset0:121 offset1:122
	s_waitcnt vmcnt(4)
	v_fma_f64 v[2:3], v[134:135], v[160:161], v[2:3]
	s_waitcnt lgkmcnt(1)
	s_delay_alu instid0(VALU_DEP_1) | instskip(SKIP_1) | instid1(VALU_DEP_1)
	v_fma_f64 v[2:3], v[136:137], v[142:143], v[2:3]
	s_waitcnt vmcnt(3)
	v_fma_f64 v[2:3], v[146:147], v[144:145], v[2:3]
	s_waitcnt lgkmcnt(0)
	s_delay_alu instid0(VALU_DEP_1) | instskip(SKIP_1) | instid1(VALU_DEP_1)
	v_fma_f64 v[2:3], v[148:149], v[154:155], v[2:3]
	s_waitcnt vmcnt(2)
	v_fma_f64 v[138:139], v[138:139], v[156:157], v[2:3]
	ds_load_2addr_b64 v[134:137], v1 offset0:123 offset1:124
	ds_load_2addr_b64 v[1:4], v1 offset0:125 offset1:126
	s_waitcnt lgkmcnt(1)
	v_fma_f64 v[134:135], v[140:141], v[134:135], v[138:139]
	s_waitcnt vmcnt(1)
	s_delay_alu instid0(VALU_DEP_1) | instskip(SKIP_1) | instid1(VALU_DEP_1)
	v_fma_f64 v[134:135], v[150:151], v[136:137], v[134:135]
	s_waitcnt lgkmcnt(0)
	v_fma_f64 v[1:2], v[152:153], v[1:2], v[134:135]
	s_waitcnt vmcnt(0)
	s_delay_alu instid0(VALU_DEP_1) | instskip(NEXT) | instid1(VALU_DEP_1)
	v_fma_f64 v[1:2], v[158:159], v[3:4], v[1:2]
	v_add_f64 v[1:2], v[132:133], -v[1:2]
	scratch_store_b64 off, v[1:2], off offset:176
	v_cmpx_lt_u32_e32 21, v0
	s_cbranch_execz .LBB126_345
; %bb.344:
	scratch_load_b64 v[1:2], off, off offset:168
	v_mov_b32_e32 v3, 0
	s_delay_alu instid0(VALU_DEP_1)
	v_mov_b32_e32 v4, v3
	scratch_store_b64 off, v[3:4], off offset:168
	s_waitcnt vmcnt(0)
	ds_store_b64 v5, v[1:2]
.LBB126_345:
	s_or_b32 exec_lo, exec_lo, s0
	s_waitcnt lgkmcnt(0)
	s_waitcnt_vscnt null, 0x0
	s_barrier
	buffer_gl0_inv
	s_clause 0x4
	scratch_load_b128 v[132:135], off, off offset:168
	scratch_load_b128 v[136:139], off, off offset:184
	;; [unrolled: 1-line block ×5, first 2 shown]
	v_mov_b32_e32 v1, 0
	ds_load_b128 v[152:155], v1 offset:688
	ds_load_b128 v[156:159], v1 offset:704
	scratch_load_b128 v[160:163], off, off offset:248
	s_mov_b32 s0, exec_lo
	s_waitcnt vmcnt(5) lgkmcnt(1)
	v_fma_f64 v[2:3], v[134:135], v[152:153], 0
	s_waitcnt vmcnt(4)
	s_delay_alu instid0(VALU_DEP_1) | instskip(SKIP_4) | instid1(VALU_DEP_1)
	v_fma_f64 v[2:3], v[136:137], v[154:155], v[2:3]
	scratch_load_b128 v[134:137], off, off offset:264
	s_waitcnt lgkmcnt(0)
	v_fma_f64 v[2:3], v[138:139], v[156:157], v[2:3]
	s_waitcnt vmcnt(4)
	v_fma_f64 v[2:3], v[140:141], v[158:159], v[2:3]
	ds_load_b128 v[138:141], v1 offset:720
	ds_load_b128 v[152:155], v1 offset:736
	scratch_load_b128 v[156:159], off, off offset:280
	s_waitcnt lgkmcnt(1)
	v_fma_f64 v[2:3], v[142:143], v[138:139], v[2:3]
	s_waitcnt vmcnt(4)
	s_delay_alu instid0(VALU_DEP_1) | instskip(SKIP_4) | instid1(VALU_DEP_1)
	v_fma_f64 v[2:3], v[144:145], v[140:141], v[2:3]
	scratch_load_b128 v[138:141], off, off offset:296
	s_waitcnt lgkmcnt(0)
	v_fma_f64 v[2:3], v[146:147], v[152:153], v[2:3]
	s_waitcnt vmcnt(4)
	v_fma_f64 v[2:3], v[148:149], v[154:155], v[2:3]
	ds_load_b128 v[142:145], v1 offset:752
	ds_load_b128 v[146:149], v1 offset:768
	s_waitcnt lgkmcnt(1)
	v_fma_f64 v[2:3], v[150:151], v[142:143], v[2:3]
	scratch_load_b128 v[150:153], off, off offset:312
	s_waitcnt vmcnt(4)
	v_fma_f64 v[2:3], v[160:161], v[144:145], v[2:3]
	scratch_load_b128 v[142:145], off, off offset:328
	s_waitcnt lgkmcnt(0)
	v_fma_f64 v[2:3], v[162:163], v[146:147], v[2:3]
	s_waitcnt vmcnt(4)
	s_delay_alu instid0(VALU_DEP_1)
	v_fma_f64 v[2:3], v[134:135], v[148:149], v[2:3]
	ds_load_b128 v[146:149], v1 offset:784
	ds_load_b128 v[160:163], v1 offset:800
	s_waitcnt lgkmcnt(1)
	v_fma_f64 v[2:3], v[136:137], v[146:147], v[2:3]
	scratch_load_b128 v[134:137], off, off offset:344
	s_waitcnt vmcnt(4)
	v_fma_f64 v[2:3], v[156:157], v[148:149], v[2:3]
	scratch_load_b128 v[146:149], off, off offset:360
	s_waitcnt lgkmcnt(0)
	v_fma_f64 v[2:3], v[158:159], v[160:161], v[2:3]
	ds_load_b128 v[154:157], v1 offset:816
	ds_load_b128 v[158:161], v1 offset:832
	s_waitcnt vmcnt(4)
	v_fma_f64 v[2:3], v[138:139], v[162:163], v[2:3]
	s_waitcnt lgkmcnt(1)
	s_delay_alu instid0(VALU_DEP_1) | instskip(SKIP_4) | instid1(VALU_DEP_1)
	v_fma_f64 v[2:3], v[140:141], v[154:155], v[2:3]
	scratch_load_b128 v[138:141], off, off offset:376
	s_waitcnt vmcnt(4)
	v_fma_f64 v[2:3], v[150:151], v[156:157], v[2:3]
	s_waitcnt lgkmcnt(0)
	v_fma_f64 v[2:3], v[152:153], v[158:159], v[2:3]
	scratch_load_b128 v[150:153], off, off offset:392
	s_waitcnt vmcnt(4)
	v_fma_f64 v[2:3], v[142:143], v[160:161], v[2:3]
	ds_load_b128 v[154:157], v1 offset:848
	ds_load_b128 v[158:161], v1 offset:864
	s_waitcnt lgkmcnt(1)
	v_fma_f64 v[2:3], v[144:145], v[154:155], v[2:3]
	scratch_load_b128 v[142:145], off, off offset:408
	s_waitcnt vmcnt(4)
	v_fma_f64 v[2:3], v[134:135], v[156:157], v[2:3]
	s_waitcnt lgkmcnt(0)
	s_delay_alu instid0(VALU_DEP_1)
	v_fma_f64 v[2:3], v[136:137], v[158:159], v[2:3]
	scratch_load_b128 v[134:137], off, off offset:424
	s_waitcnt vmcnt(4)
	v_fma_f64 v[2:3], v[146:147], v[160:161], v[2:3]
	ds_load_b128 v[154:157], v1 offset:880
	ds_load_b128 v[158:161], v1 offset:896
	s_waitcnt lgkmcnt(1)
	v_fma_f64 v[2:3], v[148:149], v[154:155], v[2:3]
	scratch_load_b128 v[146:149], off, off offset:440
	s_waitcnt vmcnt(4)
	v_fma_f64 v[2:3], v[138:139], v[156:157], v[2:3]
	s_waitcnt lgkmcnt(0)
	s_delay_alu instid0(VALU_DEP_1)
	v_fma_f64 v[2:3], v[140:141], v[158:159], v[2:3]
	scratch_load_b128 v[138:141], off, off offset:456
	s_waitcnt vmcnt(4)
	v_fma_f64 v[2:3], v[150:151], v[160:161], v[2:3]
	ds_load_b128 v[154:157], v1 offset:912
	ds_load_b128 v[158:161], v1 offset:928
	s_waitcnt lgkmcnt(1)
	v_fma_f64 v[2:3], v[152:153], v[154:155], v[2:3]
	scratch_load_b128 v[150:153], off, off offset:472
	s_waitcnt vmcnt(4)
	v_fma_f64 v[2:3], v[142:143], v[156:157], v[2:3]
	s_waitcnt lgkmcnt(0)
	s_delay_alu instid0(VALU_DEP_1)
	v_fma_f64 v[2:3], v[144:145], v[158:159], v[2:3]
	scratch_load_b128 v[142:145], off, off offset:488
	s_waitcnt vmcnt(4)
	v_fma_f64 v[2:3], v[134:135], v[160:161], v[2:3]
	ds_load_b128 v[154:157], v1 offset:944
	ds_load_b128 v[158:161], v1 offset:960
	s_waitcnt lgkmcnt(1)
	v_fma_f64 v[2:3], v[136:137], v[154:155], v[2:3]
	s_waitcnt vmcnt(3)
	s_delay_alu instid0(VALU_DEP_1) | instskip(SKIP_1) | instid1(VALU_DEP_1)
	v_fma_f64 v[2:3], v[146:147], v[156:157], v[2:3]
	s_waitcnt lgkmcnt(0)
	v_fma_f64 v[2:3], v[148:149], v[158:159], v[2:3]
	ds_load_b128 v[134:137], v1 offset:976
	ds_load_b128 v[146:149], v1 offset:992
	s_waitcnt vmcnt(2)
	v_fma_f64 v[2:3], v[138:139], v[160:161], v[2:3]
	s_waitcnt lgkmcnt(1)
	s_delay_alu instid0(VALU_DEP_1) | instskip(SKIP_4) | instid1(VALU_DEP_1)
	v_fma_f64 v[2:3], v[140:141], v[134:135], v[2:3]
	ds_load_b64 v[134:135], v1 offset:1008
	s_waitcnt vmcnt(1)
	v_fma_f64 v[2:3], v[150:151], v[136:137], v[2:3]
	s_waitcnt lgkmcnt(1)
	v_fma_f64 v[2:3], v[152:153], v[146:147], v[2:3]
	s_waitcnt vmcnt(0)
	s_delay_alu instid0(VALU_DEP_1) | instskip(SKIP_1) | instid1(VALU_DEP_1)
	v_fma_f64 v[2:3], v[142:143], v[148:149], v[2:3]
	s_waitcnt lgkmcnt(0)
	v_fma_f64 v[2:3], v[144:145], v[134:135], v[2:3]
	s_delay_alu instid0(VALU_DEP_1)
	v_add_f64 v[2:3], v[132:133], -v[2:3]
	scratch_store_b64 off, v[2:3], off offset:168
	v_cmpx_lt_u32_e32 20, v0
	s_cbranch_execz .LBB126_347
; %bb.346:
	scratch_load_b64 v[3:4], off, off offset:160
	v_mov_b32_e32 v2, v1
	scratch_store_b64 off, v[1:2], off offset:160
	s_waitcnt vmcnt(0)
	ds_store_b64 v5, v[3:4]
.LBB126_347:
	s_or_b32 exec_lo, exec_lo, s0
	s_waitcnt lgkmcnt(0)
	s_waitcnt_vscnt null, 0x0
	s_barrier
	buffer_gl0_inv
	s_clause 0x4
	scratch_load_b128 v[132:135], off, off offset:160
	scratch_load_b128 v[136:139], off, off offset:176
	;; [unrolled: 1-line block ×5, first 2 shown]
	ds_load_2addr_b64 v[152:155], v1 offset0:85 offset1:86
	ds_load_2addr_b64 v[156:159], v1 offset0:87 offset1:88
	scratch_load_b128 v[160:163], off, off offset:240
	s_mov_b32 s0, exec_lo
	s_waitcnt vmcnt(5) lgkmcnt(1)
	v_fma_f64 v[2:3], v[134:135], v[152:153], 0
	s_waitcnt vmcnt(4)
	s_delay_alu instid0(VALU_DEP_1) | instskip(SKIP_4) | instid1(VALU_DEP_1)
	v_fma_f64 v[2:3], v[136:137], v[154:155], v[2:3]
	scratch_load_b128 v[134:137], off, off offset:256
	s_waitcnt lgkmcnt(0)
	v_fma_f64 v[2:3], v[138:139], v[156:157], v[2:3]
	s_waitcnt vmcnt(4)
	v_fma_f64 v[2:3], v[140:141], v[158:159], v[2:3]
	ds_load_2addr_b64 v[138:141], v1 offset0:89 offset1:90
	ds_load_2addr_b64 v[152:155], v1 offset0:91 offset1:92
	scratch_load_b128 v[156:159], off, off offset:272
	s_waitcnt lgkmcnt(1)
	v_fma_f64 v[2:3], v[142:143], v[138:139], v[2:3]
	s_waitcnt vmcnt(4)
	s_delay_alu instid0(VALU_DEP_1) | instskip(SKIP_4) | instid1(VALU_DEP_1)
	v_fma_f64 v[2:3], v[144:145], v[140:141], v[2:3]
	scratch_load_b128 v[138:141], off, off offset:288
	s_waitcnt lgkmcnt(0)
	v_fma_f64 v[2:3], v[146:147], v[152:153], v[2:3]
	s_waitcnt vmcnt(4)
	v_fma_f64 v[2:3], v[148:149], v[154:155], v[2:3]
	ds_load_2addr_b64 v[142:145], v1 offset0:93 offset1:94
	ds_load_2addr_b64 v[146:149], v1 offset0:95 offset1:96
	s_waitcnt lgkmcnt(1)
	v_fma_f64 v[2:3], v[150:151], v[142:143], v[2:3]
	scratch_load_b128 v[150:153], off, off offset:304
	s_waitcnt vmcnt(4)
	v_fma_f64 v[2:3], v[160:161], v[144:145], v[2:3]
	scratch_load_b128 v[142:145], off, off offset:320
	s_waitcnt lgkmcnt(0)
	v_fma_f64 v[2:3], v[162:163], v[146:147], v[2:3]
	s_waitcnt vmcnt(4)
	s_delay_alu instid0(VALU_DEP_1)
	v_fma_f64 v[2:3], v[134:135], v[148:149], v[2:3]
	ds_load_2addr_b64 v[146:149], v1 offset0:97 offset1:98
	ds_load_2addr_b64 v[160:163], v1 offset0:99 offset1:100
	s_waitcnt lgkmcnt(1)
	v_fma_f64 v[2:3], v[136:137], v[146:147], v[2:3]
	scratch_load_b128 v[134:137], off, off offset:336
	s_waitcnt vmcnt(4)
	v_fma_f64 v[2:3], v[156:157], v[148:149], v[2:3]
	scratch_load_b128 v[146:149], off, off offset:352
	s_waitcnt lgkmcnt(0)
	v_fma_f64 v[2:3], v[158:159], v[160:161], v[2:3]
	ds_load_2addr_b64 v[154:157], v1 offset0:101 offset1:102
	ds_load_2addr_b64 v[158:161], v1 offset0:103 offset1:104
	s_waitcnt vmcnt(4)
	v_fma_f64 v[2:3], v[138:139], v[162:163], v[2:3]
	s_waitcnt lgkmcnt(1)
	s_delay_alu instid0(VALU_DEP_1) | instskip(SKIP_4) | instid1(VALU_DEP_1)
	v_fma_f64 v[2:3], v[140:141], v[154:155], v[2:3]
	scratch_load_b128 v[138:141], off, off offset:368
	s_waitcnt vmcnt(4)
	v_fma_f64 v[2:3], v[150:151], v[156:157], v[2:3]
	s_waitcnt lgkmcnt(0)
	v_fma_f64 v[2:3], v[152:153], v[158:159], v[2:3]
	scratch_load_b128 v[150:153], off, off offset:384
	s_waitcnt vmcnt(4)
	v_fma_f64 v[2:3], v[142:143], v[160:161], v[2:3]
	ds_load_2addr_b64 v[154:157], v1 offset0:105 offset1:106
	ds_load_2addr_b64 v[158:161], v1 offset0:107 offset1:108
	s_waitcnt lgkmcnt(1)
	v_fma_f64 v[2:3], v[144:145], v[154:155], v[2:3]
	scratch_load_b128 v[142:145], off, off offset:400
	s_waitcnt vmcnt(4)
	v_fma_f64 v[2:3], v[134:135], v[156:157], v[2:3]
	s_waitcnt lgkmcnt(0)
	s_delay_alu instid0(VALU_DEP_1)
	v_fma_f64 v[2:3], v[136:137], v[158:159], v[2:3]
	scratch_load_b128 v[134:137], off, off offset:416
	s_waitcnt vmcnt(4)
	v_fma_f64 v[2:3], v[146:147], v[160:161], v[2:3]
	ds_load_2addr_b64 v[154:157], v1 offset0:109 offset1:110
	ds_load_2addr_b64 v[158:161], v1 offset0:111 offset1:112
	s_waitcnt lgkmcnt(1)
	v_fma_f64 v[2:3], v[148:149], v[154:155], v[2:3]
	scratch_load_b128 v[146:149], off, off offset:432
	s_waitcnt vmcnt(4)
	v_fma_f64 v[2:3], v[138:139], v[156:157], v[2:3]
	s_waitcnt lgkmcnt(0)
	s_delay_alu instid0(VALU_DEP_1)
	;; [unrolled: 13-line block ×3, first 2 shown]
	v_fma_f64 v[2:3], v[144:145], v[158:159], v[2:3]
	scratch_load_b128 v[142:145], off, off offset:480
	s_waitcnt vmcnt(4)
	v_fma_f64 v[2:3], v[134:135], v[160:161], v[2:3]
	ds_load_2addr_b64 v[154:157], v1 offset0:117 offset1:118
	ds_load_2addr_b64 v[158:161], v1 offset0:119 offset1:120
	s_waitcnt lgkmcnt(1)
	v_fma_f64 v[2:3], v[136:137], v[154:155], v[2:3]
	scratch_load_b64 v[154:155], off, off offset:496
	s_waitcnt vmcnt(4)
	v_fma_f64 v[2:3], v[146:147], v[156:157], v[2:3]
	s_waitcnt lgkmcnt(0)
	s_delay_alu instid0(VALU_DEP_1)
	v_fma_f64 v[2:3], v[148:149], v[158:159], v[2:3]
	ds_load_2addr_b64 v[134:137], v1 offset0:121 offset1:122
	ds_load_2addr_b64 v[146:149], v1 offset0:123 offset1:124
	s_waitcnt vmcnt(3)
	v_fma_f64 v[2:3], v[138:139], v[160:161], v[2:3]
	s_waitcnt lgkmcnt(1)
	s_delay_alu instid0(VALU_DEP_1) | instskip(SKIP_1) | instid1(VALU_DEP_1)
	v_fma_f64 v[2:3], v[140:141], v[134:135], v[2:3]
	s_waitcnt vmcnt(2)
	v_fma_f64 v[2:3], v[150:151], v[136:137], v[2:3]
	s_waitcnt lgkmcnt(0)
	s_delay_alu instid0(VALU_DEP_1) | instskip(SKIP_1) | instid1(VALU_DEP_1)
	v_fma_f64 v[2:3], v[152:153], v[146:147], v[2:3]
	s_waitcnt vmcnt(1)
	v_fma_f64 v[134:135], v[142:143], v[148:149], v[2:3]
	ds_load_2addr_b64 v[1:4], v1 offset0:125 offset1:126
	s_waitcnt lgkmcnt(0)
	v_fma_f64 v[1:2], v[144:145], v[1:2], v[134:135]
	s_waitcnt vmcnt(0)
	s_delay_alu instid0(VALU_DEP_1) | instskip(NEXT) | instid1(VALU_DEP_1)
	v_fma_f64 v[1:2], v[154:155], v[3:4], v[1:2]
	v_add_f64 v[1:2], v[132:133], -v[1:2]
	scratch_store_b64 off, v[1:2], off offset:160
	v_cmpx_lt_u32_e32 19, v0
	s_cbranch_execz .LBB126_349
; %bb.348:
	scratch_load_b64 v[1:2], off, off offset:152
	v_mov_b32_e32 v3, 0
	s_delay_alu instid0(VALU_DEP_1)
	v_mov_b32_e32 v4, v3
	scratch_store_b64 off, v[3:4], off offset:152
	s_waitcnt vmcnt(0)
	ds_store_b64 v5, v[1:2]
.LBB126_349:
	s_or_b32 exec_lo, exec_lo, s0
	s_waitcnt lgkmcnt(0)
	s_waitcnt_vscnt null, 0x0
	s_barrier
	buffer_gl0_inv
	s_clause 0x4
	scratch_load_b128 v[132:135], off, off offset:152
	scratch_load_b128 v[136:139], off, off offset:168
	;; [unrolled: 1-line block ×5, first 2 shown]
	v_mov_b32_e32 v1, 0
	ds_load_b128 v[152:155], v1 offset:672
	ds_load_b128 v[156:159], v1 offset:688
	scratch_load_b128 v[160:163], off, off offset:232
	s_mov_b32 s0, exec_lo
	s_waitcnt vmcnt(5) lgkmcnt(1)
	v_fma_f64 v[2:3], v[134:135], v[152:153], 0
	s_waitcnt vmcnt(4)
	s_delay_alu instid0(VALU_DEP_1) | instskip(SKIP_4) | instid1(VALU_DEP_1)
	v_fma_f64 v[2:3], v[136:137], v[154:155], v[2:3]
	scratch_load_b128 v[134:137], off, off offset:248
	s_waitcnt lgkmcnt(0)
	v_fma_f64 v[2:3], v[138:139], v[156:157], v[2:3]
	s_waitcnt vmcnt(4)
	v_fma_f64 v[2:3], v[140:141], v[158:159], v[2:3]
	ds_load_b128 v[138:141], v1 offset:704
	ds_load_b128 v[152:155], v1 offset:720
	scratch_load_b128 v[156:159], off, off offset:264
	s_waitcnt lgkmcnt(1)
	v_fma_f64 v[2:3], v[142:143], v[138:139], v[2:3]
	s_waitcnt vmcnt(4)
	s_delay_alu instid0(VALU_DEP_1) | instskip(SKIP_4) | instid1(VALU_DEP_1)
	v_fma_f64 v[2:3], v[144:145], v[140:141], v[2:3]
	scratch_load_b128 v[138:141], off, off offset:280
	s_waitcnt lgkmcnt(0)
	v_fma_f64 v[2:3], v[146:147], v[152:153], v[2:3]
	s_waitcnt vmcnt(4)
	v_fma_f64 v[2:3], v[148:149], v[154:155], v[2:3]
	ds_load_b128 v[142:145], v1 offset:736
	ds_load_b128 v[146:149], v1 offset:752
	s_waitcnt lgkmcnt(1)
	v_fma_f64 v[2:3], v[150:151], v[142:143], v[2:3]
	scratch_load_b128 v[150:153], off, off offset:296
	s_waitcnt vmcnt(4)
	v_fma_f64 v[2:3], v[160:161], v[144:145], v[2:3]
	scratch_load_b128 v[142:145], off, off offset:312
	s_waitcnt lgkmcnt(0)
	v_fma_f64 v[2:3], v[162:163], v[146:147], v[2:3]
	s_waitcnt vmcnt(4)
	s_delay_alu instid0(VALU_DEP_1)
	v_fma_f64 v[2:3], v[134:135], v[148:149], v[2:3]
	ds_load_b128 v[146:149], v1 offset:768
	ds_load_b128 v[160:163], v1 offset:784
	s_waitcnt lgkmcnt(1)
	v_fma_f64 v[2:3], v[136:137], v[146:147], v[2:3]
	scratch_load_b128 v[134:137], off, off offset:328
	s_waitcnt vmcnt(4)
	v_fma_f64 v[2:3], v[156:157], v[148:149], v[2:3]
	scratch_load_b128 v[146:149], off, off offset:344
	s_waitcnt lgkmcnt(0)
	v_fma_f64 v[2:3], v[158:159], v[160:161], v[2:3]
	ds_load_b128 v[154:157], v1 offset:800
	ds_load_b128 v[158:161], v1 offset:816
	s_waitcnt vmcnt(4)
	v_fma_f64 v[2:3], v[138:139], v[162:163], v[2:3]
	s_waitcnt lgkmcnt(1)
	s_delay_alu instid0(VALU_DEP_1) | instskip(SKIP_4) | instid1(VALU_DEP_1)
	v_fma_f64 v[2:3], v[140:141], v[154:155], v[2:3]
	scratch_load_b128 v[138:141], off, off offset:360
	s_waitcnt vmcnt(4)
	v_fma_f64 v[2:3], v[150:151], v[156:157], v[2:3]
	s_waitcnt lgkmcnt(0)
	v_fma_f64 v[2:3], v[152:153], v[158:159], v[2:3]
	scratch_load_b128 v[150:153], off, off offset:376
	s_waitcnt vmcnt(4)
	v_fma_f64 v[2:3], v[142:143], v[160:161], v[2:3]
	ds_load_b128 v[154:157], v1 offset:832
	ds_load_b128 v[158:161], v1 offset:848
	s_waitcnt lgkmcnt(1)
	v_fma_f64 v[2:3], v[144:145], v[154:155], v[2:3]
	scratch_load_b128 v[142:145], off, off offset:392
	s_waitcnt vmcnt(4)
	v_fma_f64 v[2:3], v[134:135], v[156:157], v[2:3]
	s_waitcnt lgkmcnt(0)
	s_delay_alu instid0(VALU_DEP_1)
	v_fma_f64 v[2:3], v[136:137], v[158:159], v[2:3]
	scratch_load_b128 v[134:137], off, off offset:408
	s_waitcnt vmcnt(4)
	v_fma_f64 v[2:3], v[146:147], v[160:161], v[2:3]
	ds_load_b128 v[154:157], v1 offset:864
	ds_load_b128 v[158:161], v1 offset:880
	s_waitcnt lgkmcnt(1)
	v_fma_f64 v[2:3], v[148:149], v[154:155], v[2:3]
	scratch_load_b128 v[146:149], off, off offset:424
	s_waitcnt vmcnt(4)
	v_fma_f64 v[2:3], v[138:139], v[156:157], v[2:3]
	s_waitcnt lgkmcnt(0)
	s_delay_alu instid0(VALU_DEP_1)
	;; [unrolled: 13-line block ×4, first 2 shown]
	v_fma_f64 v[2:3], v[148:149], v[158:159], v[2:3]
	ds_load_b128 v[146:149], v1 offset:960
	ds_load_b128 v[154:157], v1 offset:976
	s_waitcnt vmcnt(3)
	v_fma_f64 v[2:3], v[138:139], v[160:161], v[2:3]
	s_waitcnt lgkmcnt(1)
	s_delay_alu instid0(VALU_DEP_1) | instskip(SKIP_1) | instid1(VALU_DEP_1)
	v_fma_f64 v[2:3], v[140:141], v[146:147], v[2:3]
	s_waitcnt vmcnt(2)
	v_fma_f64 v[2:3], v[150:151], v[148:149], v[2:3]
	s_waitcnt lgkmcnt(0)
	s_delay_alu instid0(VALU_DEP_1) | instskip(SKIP_1) | instid1(VALU_DEP_1)
	v_fma_f64 v[2:3], v[152:153], v[154:155], v[2:3]
	s_waitcnt vmcnt(1)
	v_fma_f64 v[2:3], v[142:143], v[156:157], v[2:3]
	ds_load_b128 v[138:141], v1 offset:992
	ds_load_b64 v[142:143], v1 offset:1008
	s_waitcnt lgkmcnt(1)
	v_fma_f64 v[2:3], v[144:145], v[138:139], v[2:3]
	s_waitcnt vmcnt(0)
	s_delay_alu instid0(VALU_DEP_1) | instskip(SKIP_1) | instid1(VALU_DEP_1)
	v_fma_f64 v[2:3], v[134:135], v[140:141], v[2:3]
	s_waitcnt lgkmcnt(0)
	v_fma_f64 v[2:3], v[136:137], v[142:143], v[2:3]
	s_delay_alu instid0(VALU_DEP_1)
	v_add_f64 v[2:3], v[132:133], -v[2:3]
	scratch_store_b64 off, v[2:3], off offset:152
	v_cmpx_lt_u32_e32 18, v0
	s_cbranch_execz .LBB126_351
; %bb.350:
	scratch_load_b64 v[3:4], off, off offset:144
	v_mov_b32_e32 v2, v1
	scratch_store_b64 off, v[1:2], off offset:144
	s_waitcnt vmcnt(0)
	ds_store_b64 v5, v[3:4]
.LBB126_351:
	s_or_b32 exec_lo, exec_lo, s0
	s_waitcnt lgkmcnt(0)
	s_waitcnt_vscnt null, 0x0
	s_barrier
	buffer_gl0_inv
	s_clause 0x4
	scratch_load_b128 v[132:135], off, off offset:144
	scratch_load_b128 v[136:139], off, off offset:160
	;; [unrolled: 1-line block ×5, first 2 shown]
	ds_load_2addr_b64 v[152:155], v1 offset0:83 offset1:84
	ds_load_2addr_b64 v[156:159], v1 offset0:85 offset1:86
	scratch_load_b128 v[160:163], off, off offset:224
	s_mov_b32 s0, exec_lo
	s_waitcnt vmcnt(5) lgkmcnt(1)
	v_fma_f64 v[2:3], v[134:135], v[152:153], 0
	s_waitcnt vmcnt(4)
	s_delay_alu instid0(VALU_DEP_1) | instskip(SKIP_4) | instid1(VALU_DEP_1)
	v_fma_f64 v[2:3], v[136:137], v[154:155], v[2:3]
	scratch_load_b128 v[134:137], off, off offset:240
	s_waitcnt lgkmcnt(0)
	v_fma_f64 v[2:3], v[138:139], v[156:157], v[2:3]
	s_waitcnt vmcnt(4)
	v_fma_f64 v[2:3], v[140:141], v[158:159], v[2:3]
	ds_load_2addr_b64 v[138:141], v1 offset0:87 offset1:88
	ds_load_2addr_b64 v[152:155], v1 offset0:89 offset1:90
	scratch_load_b128 v[156:159], off, off offset:256
	s_waitcnt lgkmcnt(1)
	v_fma_f64 v[2:3], v[142:143], v[138:139], v[2:3]
	s_waitcnt vmcnt(4)
	s_delay_alu instid0(VALU_DEP_1) | instskip(SKIP_4) | instid1(VALU_DEP_1)
	v_fma_f64 v[2:3], v[144:145], v[140:141], v[2:3]
	scratch_load_b128 v[138:141], off, off offset:272
	s_waitcnt lgkmcnt(0)
	v_fma_f64 v[2:3], v[146:147], v[152:153], v[2:3]
	s_waitcnt vmcnt(4)
	v_fma_f64 v[2:3], v[148:149], v[154:155], v[2:3]
	ds_load_2addr_b64 v[142:145], v1 offset0:91 offset1:92
	ds_load_2addr_b64 v[146:149], v1 offset0:93 offset1:94
	s_waitcnt lgkmcnt(1)
	v_fma_f64 v[2:3], v[150:151], v[142:143], v[2:3]
	scratch_load_b128 v[150:153], off, off offset:288
	s_waitcnt vmcnt(4)
	v_fma_f64 v[2:3], v[160:161], v[144:145], v[2:3]
	scratch_load_b128 v[142:145], off, off offset:304
	s_waitcnt lgkmcnt(0)
	v_fma_f64 v[2:3], v[162:163], v[146:147], v[2:3]
	s_waitcnt vmcnt(4)
	s_delay_alu instid0(VALU_DEP_1)
	v_fma_f64 v[2:3], v[134:135], v[148:149], v[2:3]
	ds_load_2addr_b64 v[146:149], v1 offset0:95 offset1:96
	ds_load_2addr_b64 v[160:163], v1 offset0:97 offset1:98
	s_waitcnt lgkmcnt(1)
	v_fma_f64 v[2:3], v[136:137], v[146:147], v[2:3]
	scratch_load_b128 v[134:137], off, off offset:320
	s_waitcnt vmcnt(4)
	v_fma_f64 v[2:3], v[156:157], v[148:149], v[2:3]
	scratch_load_b128 v[146:149], off, off offset:336
	s_waitcnt lgkmcnt(0)
	v_fma_f64 v[2:3], v[158:159], v[160:161], v[2:3]
	ds_load_2addr_b64 v[154:157], v1 offset0:99 offset1:100
	ds_load_2addr_b64 v[158:161], v1 offset0:101 offset1:102
	s_waitcnt vmcnt(4)
	v_fma_f64 v[2:3], v[138:139], v[162:163], v[2:3]
	s_waitcnt lgkmcnt(1)
	s_delay_alu instid0(VALU_DEP_1) | instskip(SKIP_4) | instid1(VALU_DEP_1)
	v_fma_f64 v[2:3], v[140:141], v[154:155], v[2:3]
	scratch_load_b128 v[138:141], off, off offset:352
	s_waitcnt vmcnt(4)
	v_fma_f64 v[2:3], v[150:151], v[156:157], v[2:3]
	s_waitcnt lgkmcnt(0)
	v_fma_f64 v[2:3], v[152:153], v[158:159], v[2:3]
	scratch_load_b128 v[150:153], off, off offset:368
	s_waitcnt vmcnt(4)
	v_fma_f64 v[2:3], v[142:143], v[160:161], v[2:3]
	ds_load_2addr_b64 v[154:157], v1 offset0:103 offset1:104
	ds_load_2addr_b64 v[158:161], v1 offset0:105 offset1:106
	s_waitcnt lgkmcnt(1)
	v_fma_f64 v[2:3], v[144:145], v[154:155], v[2:3]
	scratch_load_b128 v[142:145], off, off offset:384
	s_waitcnt vmcnt(4)
	v_fma_f64 v[2:3], v[134:135], v[156:157], v[2:3]
	s_waitcnt lgkmcnt(0)
	s_delay_alu instid0(VALU_DEP_1)
	v_fma_f64 v[2:3], v[136:137], v[158:159], v[2:3]
	scratch_load_b128 v[134:137], off, off offset:400
	s_waitcnt vmcnt(4)
	v_fma_f64 v[2:3], v[146:147], v[160:161], v[2:3]
	ds_load_2addr_b64 v[154:157], v1 offset0:107 offset1:108
	ds_load_2addr_b64 v[158:161], v1 offset0:109 offset1:110
	s_waitcnt lgkmcnt(1)
	v_fma_f64 v[2:3], v[148:149], v[154:155], v[2:3]
	scratch_load_b128 v[146:149], off, off offset:416
	s_waitcnt vmcnt(4)
	v_fma_f64 v[2:3], v[138:139], v[156:157], v[2:3]
	s_waitcnt lgkmcnt(0)
	s_delay_alu instid0(VALU_DEP_1)
	;; [unrolled: 13-line block ×4, first 2 shown]
	v_fma_f64 v[2:3], v[148:149], v[158:159], v[2:3]
	scratch_load_b64 v[158:159], off, off offset:496
	ds_load_2addr_b64 v[146:149], v1 offset0:119 offset1:120
	ds_load_2addr_b64 v[154:157], v1 offset0:121 offset1:122
	s_waitcnt vmcnt(4)
	v_fma_f64 v[2:3], v[138:139], v[160:161], v[2:3]
	s_waitcnt lgkmcnt(1)
	s_delay_alu instid0(VALU_DEP_1) | instskip(SKIP_1) | instid1(VALU_DEP_1)
	v_fma_f64 v[2:3], v[140:141], v[146:147], v[2:3]
	s_waitcnt vmcnt(3)
	v_fma_f64 v[2:3], v[150:151], v[148:149], v[2:3]
	s_waitcnt lgkmcnt(0)
	s_delay_alu instid0(VALU_DEP_1) | instskip(SKIP_1) | instid1(VALU_DEP_1)
	v_fma_f64 v[2:3], v[152:153], v[154:155], v[2:3]
	s_waitcnt vmcnt(2)
	v_fma_f64 v[142:143], v[142:143], v[156:157], v[2:3]
	ds_load_2addr_b64 v[138:141], v1 offset0:123 offset1:124
	ds_load_2addr_b64 v[1:4], v1 offset0:125 offset1:126
	s_waitcnt lgkmcnt(1)
	v_fma_f64 v[138:139], v[144:145], v[138:139], v[142:143]
	s_waitcnt vmcnt(1)
	s_delay_alu instid0(VALU_DEP_1) | instskip(SKIP_1) | instid1(VALU_DEP_1)
	v_fma_f64 v[134:135], v[134:135], v[140:141], v[138:139]
	s_waitcnt lgkmcnt(0)
	v_fma_f64 v[1:2], v[136:137], v[1:2], v[134:135]
	s_waitcnt vmcnt(0)
	s_delay_alu instid0(VALU_DEP_1) | instskip(NEXT) | instid1(VALU_DEP_1)
	v_fma_f64 v[1:2], v[158:159], v[3:4], v[1:2]
	v_add_f64 v[1:2], v[132:133], -v[1:2]
	scratch_store_b64 off, v[1:2], off offset:144
	v_cmpx_lt_u32_e32 17, v0
	s_cbranch_execz .LBB126_353
; %bb.352:
	scratch_load_b64 v[1:2], off, off offset:136
	v_mov_b32_e32 v3, 0
	s_delay_alu instid0(VALU_DEP_1)
	v_mov_b32_e32 v4, v3
	scratch_store_b64 off, v[3:4], off offset:136
	s_waitcnt vmcnt(0)
	ds_store_b64 v5, v[1:2]
.LBB126_353:
	s_or_b32 exec_lo, exec_lo, s0
	s_waitcnt lgkmcnt(0)
	s_waitcnt_vscnt null, 0x0
	s_barrier
	buffer_gl0_inv
	s_clause 0x4
	scratch_load_b128 v[1:4], off, off offset:136
	scratch_load_b128 v[133:136], off, off offset:152
	;; [unrolled: 1-line block ×5, first 2 shown]
	v_mov_b32_e32 v132, 0
	ds_load_b128 v[149:152], v132 offset:656
	ds_load_b128 v[153:156], v132 offset:672
	scratch_load_b128 v[157:160], off, off offset:216
	s_mov_b32 s0, exec_lo
	s_waitcnt vmcnt(5) lgkmcnt(1)
	v_fma_f64 v[3:4], v[3:4], v[149:150], 0
	s_waitcnt vmcnt(4)
	s_delay_alu instid0(VALU_DEP_1) | instskip(SKIP_1) | instid1(VALU_DEP_1)
	v_fma_f64 v[3:4], v[133:134], v[151:152], v[3:4]
	s_waitcnt lgkmcnt(0)
	v_fma_f64 v[3:4], v[135:136], v[153:154], v[3:4]
	scratch_load_b128 v[133:136], off, off offset:232
	s_waitcnt vmcnt(4)
	v_fma_f64 v[3:4], v[137:138], v[155:156], v[3:4]
	ds_load_b128 v[149:152], v132 offset:688
	ds_load_b128 v[153:156], v132 offset:704
	s_waitcnt lgkmcnt(1)
	v_fma_f64 v[3:4], v[139:140], v[149:150], v[3:4]
	scratch_load_b128 v[137:140], off, off offset:248
	s_waitcnt vmcnt(4)
	v_fma_f64 v[3:4], v[141:142], v[151:152], v[3:4]
	s_waitcnt lgkmcnt(0)
	s_delay_alu instid0(VALU_DEP_1)
	v_fma_f64 v[3:4], v[143:144], v[153:154], v[3:4]
	scratch_load_b128 v[141:144], off, off offset:264
	s_waitcnt vmcnt(4)
	v_fma_f64 v[3:4], v[145:146], v[155:156], v[3:4]
	ds_load_b128 v[149:152], v132 offset:720
	ds_load_b128 v[153:156], v132 offset:736
	s_waitcnt lgkmcnt(1)
	v_fma_f64 v[3:4], v[147:148], v[149:150], v[3:4]
	scratch_load_b128 v[145:148], off, off offset:280
	s_waitcnt vmcnt(4)
	v_fma_f64 v[3:4], v[157:158], v[151:152], v[3:4]
	scratch_load_b128 v[149:152], off, off offset:296
	s_waitcnt lgkmcnt(0)
	v_fma_f64 v[3:4], v[159:160], v[153:154], v[3:4]
	s_waitcnt vmcnt(4)
	s_delay_alu instid0(VALU_DEP_1)
	v_fma_f64 v[3:4], v[133:134], v[155:156], v[3:4]
	ds_load_b128 v[153:156], v132 offset:752
	ds_load_b128 v[157:160], v132 offset:768
	s_waitcnt lgkmcnt(1)
	v_fma_f64 v[3:4], v[135:136], v[153:154], v[3:4]
	scratch_load_b128 v[133:136], off, off offset:312
	s_waitcnt vmcnt(4)
	v_fma_f64 v[3:4], v[137:138], v[155:156], v[3:4]
	s_waitcnt lgkmcnt(0)
	s_delay_alu instid0(VALU_DEP_1)
	v_fma_f64 v[3:4], v[139:140], v[157:158], v[3:4]
	scratch_load_b128 v[137:140], off, off offset:328
	s_waitcnt vmcnt(4)
	v_fma_f64 v[3:4], v[141:142], v[159:160], v[3:4]
	ds_load_b128 v[153:156], v132 offset:784
	ds_load_b128 v[157:160], v132 offset:800
	s_waitcnt lgkmcnt(1)
	v_fma_f64 v[3:4], v[143:144], v[153:154], v[3:4]
	scratch_load_b128 v[141:144], off, off offset:344
	s_waitcnt vmcnt(4)
	v_fma_f64 v[3:4], v[145:146], v[155:156], v[3:4]
	s_waitcnt lgkmcnt(0)
	s_delay_alu instid0(VALU_DEP_1)
	v_fma_f64 v[3:4], v[147:148], v[157:158], v[3:4]
	scratch_load_b128 v[145:148], off, off offset:360
	s_waitcnt vmcnt(4)
	v_fma_f64 v[3:4], v[149:150], v[159:160], v[3:4]
	ds_load_b128 v[153:156], v132 offset:816
	ds_load_b128 v[157:160], v132 offset:832
	s_waitcnt lgkmcnt(1)
	v_fma_f64 v[3:4], v[151:152], v[153:154], v[3:4]
	scratch_load_b128 v[149:152], off, off offset:376
	s_waitcnt vmcnt(4)
	v_fma_f64 v[3:4], v[133:134], v[155:156], v[3:4]
	s_waitcnt lgkmcnt(0)
	s_delay_alu instid0(VALU_DEP_1)
	v_fma_f64 v[3:4], v[135:136], v[157:158], v[3:4]
	scratch_load_b128 v[133:136], off, off offset:392
	s_waitcnt vmcnt(4)
	v_fma_f64 v[3:4], v[137:138], v[159:160], v[3:4]
	ds_load_b128 v[153:156], v132 offset:848
	ds_load_b128 v[157:160], v132 offset:864
	s_waitcnt lgkmcnt(1)
	v_fma_f64 v[3:4], v[139:140], v[153:154], v[3:4]
	scratch_load_b128 v[137:140], off, off offset:408
	s_waitcnt vmcnt(4)
	v_fma_f64 v[3:4], v[141:142], v[155:156], v[3:4]
	s_waitcnt lgkmcnt(0)
	s_delay_alu instid0(VALU_DEP_1)
	v_fma_f64 v[3:4], v[143:144], v[157:158], v[3:4]
	scratch_load_b128 v[141:144], off, off offset:424
	s_waitcnt vmcnt(4)
	v_fma_f64 v[3:4], v[145:146], v[159:160], v[3:4]
	ds_load_b128 v[153:156], v132 offset:880
	ds_load_b128 v[157:160], v132 offset:896
	s_waitcnt lgkmcnt(1)
	v_fma_f64 v[3:4], v[147:148], v[153:154], v[3:4]
	scratch_load_b128 v[145:148], off, off offset:440
	s_waitcnt vmcnt(4)
	v_fma_f64 v[3:4], v[149:150], v[155:156], v[3:4]
	s_waitcnt lgkmcnt(0)
	s_delay_alu instid0(VALU_DEP_1)
	v_fma_f64 v[3:4], v[151:152], v[157:158], v[3:4]
	scratch_load_b128 v[149:152], off, off offset:456
	s_waitcnt vmcnt(4)
	v_fma_f64 v[3:4], v[133:134], v[159:160], v[3:4]
	ds_load_b128 v[153:156], v132 offset:912
	ds_load_b128 v[157:160], v132 offset:928
	s_waitcnt lgkmcnt(1)
	v_fma_f64 v[3:4], v[135:136], v[153:154], v[3:4]
	scratch_load_b128 v[133:136], off, off offset:472
	s_waitcnt vmcnt(4)
	v_fma_f64 v[3:4], v[137:138], v[155:156], v[3:4]
	s_waitcnt lgkmcnt(0)
	s_delay_alu instid0(VALU_DEP_1)
	v_fma_f64 v[3:4], v[139:140], v[157:158], v[3:4]
	scratch_load_b128 v[137:140], off, off offset:488
	s_waitcnt vmcnt(4)
	v_fma_f64 v[3:4], v[141:142], v[159:160], v[3:4]
	ds_load_b128 v[153:156], v132 offset:944
	ds_load_b128 v[157:160], v132 offset:960
	s_waitcnt lgkmcnt(1)
	v_fma_f64 v[3:4], v[143:144], v[153:154], v[3:4]
	s_waitcnt vmcnt(3)
	s_delay_alu instid0(VALU_DEP_1) | instskip(SKIP_1) | instid1(VALU_DEP_1)
	v_fma_f64 v[3:4], v[145:146], v[155:156], v[3:4]
	s_waitcnt lgkmcnt(0)
	v_fma_f64 v[3:4], v[147:148], v[157:158], v[3:4]
	ds_load_b128 v[141:144], v132 offset:976
	ds_load_b128 v[145:148], v132 offset:992
	s_waitcnt vmcnt(2)
	v_fma_f64 v[3:4], v[149:150], v[159:160], v[3:4]
	s_waitcnt lgkmcnt(1)
	s_delay_alu instid0(VALU_DEP_1) | instskip(SKIP_1) | instid1(VALU_DEP_1)
	v_fma_f64 v[3:4], v[151:152], v[141:142], v[3:4]
	s_waitcnt vmcnt(1)
	v_fma_f64 v[3:4], v[133:134], v[143:144], v[3:4]
	ds_load_b64 v[133:134], v132 offset:1008
	s_waitcnt lgkmcnt(1)
	v_fma_f64 v[3:4], v[135:136], v[145:146], v[3:4]
	s_waitcnt vmcnt(0)
	s_delay_alu instid0(VALU_DEP_1) | instskip(SKIP_1) | instid1(VALU_DEP_1)
	v_fma_f64 v[3:4], v[137:138], v[147:148], v[3:4]
	s_waitcnt lgkmcnt(0)
	v_fma_f64 v[3:4], v[139:140], v[133:134], v[3:4]
	s_delay_alu instid0(VALU_DEP_1)
	v_add_f64 v[1:2], v[1:2], -v[3:4]
	scratch_store_b64 off, v[1:2], off offset:136
	v_cmpx_lt_u32_e32 16, v0
	s_cbranch_execz .LBB126_355
; %bb.354:
	scratch_load_b64 v[1:2], off, off offset:128
	v_mov_b32_e32 v133, v132
	scratch_store_b64 off, v[132:133], off offset:128
	s_waitcnt vmcnt(0)
	ds_store_b64 v5, v[1:2]
.LBB126_355:
	s_or_b32 exec_lo, exec_lo, s0
	s_waitcnt lgkmcnt(0)
	s_waitcnt_vscnt null, 0x0
	s_barrier
	buffer_gl0_inv
	s_clause 0x4
	scratch_load_b128 v[1:4], off, off offset:128
	scratch_load_b128 v[133:136], off, off offset:144
	;; [unrolled: 1-line block ×5, first 2 shown]
	ds_load_2addr_b64 v[149:152], v132 offset0:81 offset1:82
	ds_load_2addr_b64 v[153:156], v132 offset0:83 offset1:84
	scratch_load_b128 v[157:160], off, off offset:208
	s_mov_b32 s0, exec_lo
	s_waitcnt vmcnt(5) lgkmcnt(1)
	v_fma_f64 v[3:4], v[3:4], v[149:150], 0
	s_waitcnt vmcnt(4)
	s_delay_alu instid0(VALU_DEP_1) | instskip(SKIP_1) | instid1(VALU_DEP_1)
	v_fma_f64 v[3:4], v[133:134], v[151:152], v[3:4]
	s_waitcnt lgkmcnt(0)
	v_fma_f64 v[3:4], v[135:136], v[153:154], v[3:4]
	scratch_load_b128 v[133:136], off, off offset:224
	s_waitcnt vmcnt(4)
	v_fma_f64 v[3:4], v[137:138], v[155:156], v[3:4]
	ds_load_2addr_b64 v[149:152], v132 offset0:85 offset1:86
	ds_load_2addr_b64 v[153:156], v132 offset0:87 offset1:88
	s_waitcnt lgkmcnt(1)
	v_fma_f64 v[3:4], v[139:140], v[149:150], v[3:4]
	scratch_load_b128 v[137:140], off, off offset:240
	s_waitcnt vmcnt(4)
	v_fma_f64 v[3:4], v[141:142], v[151:152], v[3:4]
	s_waitcnt lgkmcnt(0)
	s_delay_alu instid0(VALU_DEP_1)
	v_fma_f64 v[3:4], v[143:144], v[153:154], v[3:4]
	scratch_load_b128 v[141:144], off, off offset:256
	s_waitcnt vmcnt(4)
	v_fma_f64 v[3:4], v[145:146], v[155:156], v[3:4]
	ds_load_2addr_b64 v[149:152], v132 offset0:89 offset1:90
	ds_load_2addr_b64 v[153:156], v132 offset0:91 offset1:92
	s_waitcnt lgkmcnt(1)
	v_fma_f64 v[3:4], v[147:148], v[149:150], v[3:4]
	scratch_load_b128 v[145:148], off, off offset:272
	s_waitcnt vmcnt(4)
	v_fma_f64 v[3:4], v[157:158], v[151:152], v[3:4]
	scratch_load_b128 v[149:152], off, off offset:288
	s_waitcnt lgkmcnt(0)
	v_fma_f64 v[3:4], v[159:160], v[153:154], v[3:4]
	s_waitcnt vmcnt(4)
	s_delay_alu instid0(VALU_DEP_1)
	v_fma_f64 v[3:4], v[133:134], v[155:156], v[3:4]
	ds_load_2addr_b64 v[153:156], v132 offset0:93 offset1:94
	ds_load_2addr_b64 v[157:160], v132 offset0:95 offset1:96
	s_waitcnt lgkmcnt(1)
	v_fma_f64 v[3:4], v[135:136], v[153:154], v[3:4]
	scratch_load_b128 v[133:136], off, off offset:304
	s_waitcnt vmcnt(4)
	v_fma_f64 v[3:4], v[137:138], v[155:156], v[3:4]
	s_waitcnt lgkmcnt(0)
	s_delay_alu instid0(VALU_DEP_1)
	v_fma_f64 v[3:4], v[139:140], v[157:158], v[3:4]
	scratch_load_b128 v[137:140], off, off offset:320
	s_waitcnt vmcnt(4)
	v_fma_f64 v[3:4], v[141:142], v[159:160], v[3:4]
	ds_load_2addr_b64 v[153:156], v132 offset0:97 offset1:98
	ds_load_2addr_b64 v[157:160], v132 offset0:99 offset1:100
	s_waitcnt lgkmcnt(1)
	v_fma_f64 v[3:4], v[143:144], v[153:154], v[3:4]
	scratch_load_b128 v[141:144], off, off offset:336
	s_waitcnt vmcnt(4)
	v_fma_f64 v[3:4], v[145:146], v[155:156], v[3:4]
	s_waitcnt lgkmcnt(0)
	s_delay_alu instid0(VALU_DEP_1)
	v_fma_f64 v[3:4], v[147:148], v[157:158], v[3:4]
	scratch_load_b128 v[145:148], off, off offset:352
	s_waitcnt vmcnt(4)
	;; [unrolled: 13-line block ×6, first 2 shown]
	v_fma_f64 v[3:4], v[141:142], v[159:160], v[3:4]
	ds_load_2addr_b64 v[153:156], v132 offset0:117 offset1:118
	ds_load_2addr_b64 v[157:160], v132 offset0:119 offset1:120
	s_waitcnt lgkmcnt(1)
	v_fma_f64 v[3:4], v[143:144], v[153:154], v[3:4]
	scratch_load_b64 v[153:154], off, off offset:496
	s_waitcnt vmcnt(4)
	v_fma_f64 v[3:4], v[145:146], v[155:156], v[3:4]
	s_waitcnt lgkmcnt(0)
	s_delay_alu instid0(VALU_DEP_1)
	v_fma_f64 v[3:4], v[147:148], v[157:158], v[3:4]
	ds_load_2addr_b64 v[141:144], v132 offset0:121 offset1:122
	ds_load_2addr_b64 v[145:148], v132 offset0:123 offset1:124
	s_waitcnt vmcnt(3)
	v_fma_f64 v[3:4], v[149:150], v[159:160], v[3:4]
	s_waitcnt lgkmcnt(1)
	s_delay_alu instid0(VALU_DEP_1) | instskip(SKIP_1) | instid1(VALU_DEP_1)
	v_fma_f64 v[3:4], v[151:152], v[141:142], v[3:4]
	s_waitcnt vmcnt(2)
	v_fma_f64 v[3:4], v[133:134], v[143:144], v[3:4]
	s_waitcnt lgkmcnt(0)
	s_delay_alu instid0(VALU_DEP_1) | instskip(SKIP_4) | instid1(VALU_DEP_1)
	v_fma_f64 v[3:4], v[135:136], v[145:146], v[3:4]
	ds_load_2addr_b64 v[132:135], v132 offset0:125 offset1:126
	s_waitcnt vmcnt(1)
	v_fma_f64 v[3:4], v[137:138], v[147:148], v[3:4]
	s_waitcnt lgkmcnt(0)
	v_fma_f64 v[3:4], v[139:140], v[132:133], v[3:4]
	s_waitcnt vmcnt(0)
	s_delay_alu instid0(VALU_DEP_1) | instskip(NEXT) | instid1(VALU_DEP_1)
	v_fma_f64 v[3:4], v[153:154], v[134:135], v[3:4]
	v_add_f64 v[1:2], v[1:2], -v[3:4]
	scratch_store_b64 off, v[1:2], off offset:128
	v_cmpx_lt_u32_e32 15, v0
	s_cbranch_execz .LBB126_357
; %bb.356:
	scratch_load_b64 v[1:2], off, off offset:120
	v_mov_b32_e32 v3, 0
	s_delay_alu instid0(VALU_DEP_1)
	v_mov_b32_e32 v4, v3
	scratch_store_b64 off, v[3:4], off offset:120
	s_waitcnt vmcnt(0)
	ds_store_b64 v5, v[1:2]
.LBB126_357:
	s_or_b32 exec_lo, exec_lo, s0
	s_waitcnt lgkmcnt(0)
	s_waitcnt_vscnt null, 0x0
	s_barrier
	buffer_gl0_inv
	s_clause 0x4
	scratch_load_b128 v[1:4], off, off offset:120
	scratch_load_b128 v[133:136], off, off offset:136
	;; [unrolled: 1-line block ×5, first 2 shown]
	v_mov_b32_e32 v132, 0
	ds_load_b128 v[149:152], v132 offset:640
	ds_load_b128 v[153:156], v132 offset:656
	scratch_load_b128 v[157:160], off, off offset:200
	s_mov_b32 s0, exec_lo
	s_waitcnt vmcnt(5) lgkmcnt(1)
	v_fma_f64 v[3:4], v[3:4], v[149:150], 0
	s_waitcnt vmcnt(4)
	s_delay_alu instid0(VALU_DEP_1) | instskip(SKIP_1) | instid1(VALU_DEP_1)
	v_fma_f64 v[3:4], v[133:134], v[151:152], v[3:4]
	s_waitcnt lgkmcnt(0)
	v_fma_f64 v[3:4], v[135:136], v[153:154], v[3:4]
	scratch_load_b128 v[133:136], off, off offset:216
	s_waitcnt vmcnt(4)
	v_fma_f64 v[3:4], v[137:138], v[155:156], v[3:4]
	ds_load_b128 v[149:152], v132 offset:672
	ds_load_b128 v[153:156], v132 offset:688
	s_waitcnt lgkmcnt(1)
	v_fma_f64 v[3:4], v[139:140], v[149:150], v[3:4]
	scratch_load_b128 v[137:140], off, off offset:232
	s_waitcnt vmcnt(4)
	v_fma_f64 v[3:4], v[141:142], v[151:152], v[3:4]
	s_waitcnt lgkmcnt(0)
	s_delay_alu instid0(VALU_DEP_1)
	v_fma_f64 v[3:4], v[143:144], v[153:154], v[3:4]
	scratch_load_b128 v[141:144], off, off offset:248
	s_waitcnt vmcnt(4)
	v_fma_f64 v[3:4], v[145:146], v[155:156], v[3:4]
	ds_load_b128 v[149:152], v132 offset:704
	ds_load_b128 v[153:156], v132 offset:720
	s_waitcnt lgkmcnt(1)
	v_fma_f64 v[3:4], v[147:148], v[149:150], v[3:4]
	scratch_load_b128 v[145:148], off, off offset:264
	s_waitcnt vmcnt(4)
	v_fma_f64 v[3:4], v[157:158], v[151:152], v[3:4]
	scratch_load_b128 v[149:152], off, off offset:280
	s_waitcnt lgkmcnt(0)
	v_fma_f64 v[3:4], v[159:160], v[153:154], v[3:4]
	s_waitcnt vmcnt(4)
	s_delay_alu instid0(VALU_DEP_1)
	v_fma_f64 v[3:4], v[133:134], v[155:156], v[3:4]
	ds_load_b128 v[153:156], v132 offset:736
	ds_load_b128 v[157:160], v132 offset:752
	s_waitcnt lgkmcnt(1)
	v_fma_f64 v[3:4], v[135:136], v[153:154], v[3:4]
	scratch_load_b128 v[133:136], off, off offset:296
	s_waitcnt vmcnt(4)
	v_fma_f64 v[3:4], v[137:138], v[155:156], v[3:4]
	s_waitcnt lgkmcnt(0)
	s_delay_alu instid0(VALU_DEP_1)
	v_fma_f64 v[3:4], v[139:140], v[157:158], v[3:4]
	scratch_load_b128 v[137:140], off, off offset:312
	s_waitcnt vmcnt(4)
	v_fma_f64 v[3:4], v[141:142], v[159:160], v[3:4]
	ds_load_b128 v[153:156], v132 offset:768
	ds_load_b128 v[157:160], v132 offset:784
	s_waitcnt lgkmcnt(1)
	v_fma_f64 v[3:4], v[143:144], v[153:154], v[3:4]
	scratch_load_b128 v[141:144], off, off offset:328
	s_waitcnt vmcnt(4)
	v_fma_f64 v[3:4], v[145:146], v[155:156], v[3:4]
	s_waitcnt lgkmcnt(0)
	s_delay_alu instid0(VALU_DEP_1)
	v_fma_f64 v[3:4], v[147:148], v[157:158], v[3:4]
	scratch_load_b128 v[145:148], off, off offset:344
	s_waitcnt vmcnt(4)
	;; [unrolled: 13-line block ×6, first 2 shown]
	v_fma_f64 v[3:4], v[141:142], v[159:160], v[3:4]
	ds_load_b128 v[153:156], v132 offset:928
	ds_load_b128 v[157:160], v132 offset:944
	s_waitcnt lgkmcnt(1)
	v_fma_f64 v[3:4], v[143:144], v[153:154], v[3:4]
	scratch_load_b128 v[141:144], off, off offset:488
	s_waitcnt vmcnt(4)
	v_fma_f64 v[3:4], v[145:146], v[155:156], v[3:4]
	s_waitcnt lgkmcnt(0)
	s_delay_alu instid0(VALU_DEP_1)
	v_fma_f64 v[3:4], v[147:148], v[157:158], v[3:4]
	ds_load_b128 v[145:148], v132 offset:960
	ds_load_b128 v[153:156], v132 offset:976
	s_waitcnt vmcnt(3)
	v_fma_f64 v[3:4], v[149:150], v[159:160], v[3:4]
	s_waitcnt lgkmcnt(1)
	s_delay_alu instid0(VALU_DEP_1) | instskip(SKIP_1) | instid1(VALU_DEP_1)
	v_fma_f64 v[3:4], v[151:152], v[145:146], v[3:4]
	s_waitcnt vmcnt(2)
	v_fma_f64 v[3:4], v[133:134], v[147:148], v[3:4]
	s_waitcnt lgkmcnt(0)
	s_delay_alu instid0(VALU_DEP_1) | instskip(SKIP_1) | instid1(VALU_DEP_1)
	v_fma_f64 v[3:4], v[135:136], v[153:154], v[3:4]
	s_waitcnt vmcnt(1)
	v_fma_f64 v[3:4], v[137:138], v[155:156], v[3:4]
	ds_load_b128 v[133:136], v132 offset:992
	ds_load_b64 v[137:138], v132 offset:1008
	s_waitcnt lgkmcnt(1)
	v_fma_f64 v[3:4], v[139:140], v[133:134], v[3:4]
	s_waitcnt vmcnt(0)
	s_delay_alu instid0(VALU_DEP_1) | instskip(SKIP_1) | instid1(VALU_DEP_1)
	v_fma_f64 v[3:4], v[141:142], v[135:136], v[3:4]
	s_waitcnt lgkmcnt(0)
	v_fma_f64 v[3:4], v[143:144], v[137:138], v[3:4]
	s_delay_alu instid0(VALU_DEP_1)
	v_add_f64 v[1:2], v[1:2], -v[3:4]
	scratch_store_b64 off, v[1:2], off offset:120
	v_cmpx_lt_u32_e32 14, v0
	s_cbranch_execz .LBB126_359
; %bb.358:
	scratch_load_b64 v[1:2], off, off offset:112
	v_mov_b32_e32 v133, v132
	scratch_store_b64 off, v[132:133], off offset:112
	s_waitcnt vmcnt(0)
	ds_store_b64 v5, v[1:2]
.LBB126_359:
	s_or_b32 exec_lo, exec_lo, s0
	s_waitcnt lgkmcnt(0)
	s_waitcnt_vscnt null, 0x0
	s_barrier
	buffer_gl0_inv
	s_clause 0x4
	scratch_load_b128 v[1:4], off, off offset:112
	scratch_load_b128 v[133:136], off, off offset:128
	;; [unrolled: 1-line block ×5, first 2 shown]
	ds_load_2addr_b64 v[149:152], v132 offset0:79 offset1:80
	ds_load_2addr_b64 v[153:156], v132 offset0:81 offset1:82
	scratch_load_b128 v[157:160], off, off offset:192
	s_mov_b32 s0, exec_lo
	s_waitcnt vmcnt(5) lgkmcnt(1)
	v_fma_f64 v[3:4], v[3:4], v[149:150], 0
	s_waitcnt vmcnt(4)
	s_delay_alu instid0(VALU_DEP_1) | instskip(SKIP_1) | instid1(VALU_DEP_1)
	v_fma_f64 v[3:4], v[133:134], v[151:152], v[3:4]
	s_waitcnt lgkmcnt(0)
	v_fma_f64 v[3:4], v[135:136], v[153:154], v[3:4]
	scratch_load_b128 v[133:136], off, off offset:208
	s_waitcnt vmcnt(4)
	v_fma_f64 v[3:4], v[137:138], v[155:156], v[3:4]
	ds_load_2addr_b64 v[149:152], v132 offset0:83 offset1:84
	ds_load_2addr_b64 v[153:156], v132 offset0:85 offset1:86
	s_waitcnt lgkmcnt(1)
	v_fma_f64 v[3:4], v[139:140], v[149:150], v[3:4]
	scratch_load_b128 v[137:140], off, off offset:224
	s_waitcnt vmcnt(4)
	v_fma_f64 v[3:4], v[141:142], v[151:152], v[3:4]
	s_waitcnt lgkmcnt(0)
	s_delay_alu instid0(VALU_DEP_1)
	v_fma_f64 v[3:4], v[143:144], v[153:154], v[3:4]
	scratch_load_b128 v[141:144], off, off offset:240
	s_waitcnt vmcnt(4)
	v_fma_f64 v[3:4], v[145:146], v[155:156], v[3:4]
	ds_load_2addr_b64 v[149:152], v132 offset0:87 offset1:88
	ds_load_2addr_b64 v[153:156], v132 offset0:89 offset1:90
	s_waitcnt lgkmcnt(1)
	v_fma_f64 v[3:4], v[147:148], v[149:150], v[3:4]
	scratch_load_b128 v[145:148], off, off offset:256
	s_waitcnt vmcnt(4)
	v_fma_f64 v[3:4], v[157:158], v[151:152], v[3:4]
	scratch_load_b128 v[149:152], off, off offset:272
	s_waitcnt lgkmcnt(0)
	v_fma_f64 v[3:4], v[159:160], v[153:154], v[3:4]
	s_waitcnt vmcnt(4)
	s_delay_alu instid0(VALU_DEP_1)
	v_fma_f64 v[3:4], v[133:134], v[155:156], v[3:4]
	ds_load_2addr_b64 v[153:156], v132 offset0:91 offset1:92
	ds_load_2addr_b64 v[157:160], v132 offset0:93 offset1:94
	s_waitcnt lgkmcnt(1)
	v_fma_f64 v[3:4], v[135:136], v[153:154], v[3:4]
	scratch_load_b128 v[133:136], off, off offset:288
	s_waitcnt vmcnt(4)
	v_fma_f64 v[3:4], v[137:138], v[155:156], v[3:4]
	s_waitcnt lgkmcnt(0)
	s_delay_alu instid0(VALU_DEP_1)
	v_fma_f64 v[3:4], v[139:140], v[157:158], v[3:4]
	scratch_load_b128 v[137:140], off, off offset:304
	s_waitcnt vmcnt(4)
	v_fma_f64 v[3:4], v[141:142], v[159:160], v[3:4]
	ds_load_2addr_b64 v[153:156], v132 offset0:95 offset1:96
	ds_load_2addr_b64 v[157:160], v132 offset0:97 offset1:98
	s_waitcnt lgkmcnt(1)
	v_fma_f64 v[3:4], v[143:144], v[153:154], v[3:4]
	scratch_load_b128 v[141:144], off, off offset:320
	s_waitcnt vmcnt(4)
	v_fma_f64 v[3:4], v[145:146], v[155:156], v[3:4]
	s_waitcnt lgkmcnt(0)
	s_delay_alu instid0(VALU_DEP_1)
	v_fma_f64 v[3:4], v[147:148], v[157:158], v[3:4]
	scratch_load_b128 v[145:148], off, off offset:336
	s_waitcnt vmcnt(4)
	;; [unrolled: 13-line block ×6, first 2 shown]
	v_fma_f64 v[3:4], v[141:142], v[159:160], v[3:4]
	ds_load_2addr_b64 v[153:156], v132 offset0:115 offset1:116
	ds_load_2addr_b64 v[157:160], v132 offset0:117 offset1:118
	s_waitcnt lgkmcnt(1)
	v_fma_f64 v[3:4], v[143:144], v[153:154], v[3:4]
	scratch_load_b128 v[141:144], off, off offset:480
	s_waitcnt vmcnt(4)
	v_fma_f64 v[3:4], v[145:146], v[155:156], v[3:4]
	s_waitcnt lgkmcnt(0)
	s_delay_alu instid0(VALU_DEP_1)
	v_fma_f64 v[3:4], v[147:148], v[157:158], v[3:4]
	scratch_load_b64 v[157:158], off, off offset:496
	ds_load_2addr_b64 v[145:148], v132 offset0:119 offset1:120
	ds_load_2addr_b64 v[153:156], v132 offset0:121 offset1:122
	s_waitcnt vmcnt(4)
	v_fma_f64 v[3:4], v[149:150], v[159:160], v[3:4]
	s_waitcnt lgkmcnt(1)
	s_delay_alu instid0(VALU_DEP_1) | instskip(SKIP_1) | instid1(VALU_DEP_1)
	v_fma_f64 v[3:4], v[151:152], v[145:146], v[3:4]
	s_waitcnt vmcnt(3)
	v_fma_f64 v[3:4], v[133:134], v[147:148], v[3:4]
	s_waitcnt lgkmcnt(0)
	s_delay_alu instid0(VALU_DEP_1)
	v_fma_f64 v[3:4], v[135:136], v[153:154], v[3:4]
	ds_load_2addr_b64 v[133:136], v132 offset0:123 offset1:124
	ds_load_2addr_b64 v[145:148], v132 offset0:125 offset1:126
	s_waitcnt vmcnt(2)
	v_fma_f64 v[3:4], v[137:138], v[155:156], v[3:4]
	s_waitcnt lgkmcnt(1)
	s_delay_alu instid0(VALU_DEP_1) | instskip(SKIP_1) | instid1(VALU_DEP_1)
	v_fma_f64 v[3:4], v[139:140], v[133:134], v[3:4]
	s_waitcnt vmcnt(1)
	v_fma_f64 v[3:4], v[141:142], v[135:136], v[3:4]
	s_waitcnt lgkmcnt(0)
	s_delay_alu instid0(VALU_DEP_1) | instskip(SKIP_1) | instid1(VALU_DEP_1)
	v_fma_f64 v[3:4], v[143:144], v[145:146], v[3:4]
	s_waitcnt vmcnt(0)
	v_fma_f64 v[3:4], v[157:158], v[147:148], v[3:4]
	s_delay_alu instid0(VALU_DEP_1)
	v_add_f64 v[1:2], v[1:2], -v[3:4]
	scratch_store_b64 off, v[1:2], off offset:112
	v_cmpx_lt_u32_e32 13, v0
	s_cbranch_execz .LBB126_361
; %bb.360:
	scratch_load_b64 v[1:2], off, off offset:104
	v_mov_b32_e32 v3, 0
	s_delay_alu instid0(VALU_DEP_1)
	v_mov_b32_e32 v4, v3
	scratch_store_b64 off, v[3:4], off offset:104
	s_waitcnt vmcnt(0)
	ds_store_b64 v5, v[1:2]
.LBB126_361:
	s_or_b32 exec_lo, exec_lo, s0
	s_waitcnt lgkmcnt(0)
	s_waitcnt_vscnt null, 0x0
	s_barrier
	buffer_gl0_inv
	s_clause 0x4
	scratch_load_b128 v[1:4], off, off offset:104
	scratch_load_b128 v[133:136], off, off offset:120
	;; [unrolled: 1-line block ×5, first 2 shown]
	v_mov_b32_e32 v132, 0
	ds_load_b128 v[149:152], v132 offset:624
	ds_load_b128 v[153:156], v132 offset:640
	scratch_load_b128 v[157:160], off, off offset:184
	s_mov_b32 s0, exec_lo
	s_waitcnt vmcnt(5) lgkmcnt(1)
	v_fma_f64 v[3:4], v[3:4], v[149:150], 0
	s_waitcnt vmcnt(4)
	s_delay_alu instid0(VALU_DEP_1) | instskip(SKIP_1) | instid1(VALU_DEP_1)
	v_fma_f64 v[3:4], v[133:134], v[151:152], v[3:4]
	s_waitcnt lgkmcnt(0)
	v_fma_f64 v[3:4], v[135:136], v[153:154], v[3:4]
	scratch_load_b128 v[133:136], off, off offset:200
	s_waitcnt vmcnt(4)
	v_fma_f64 v[3:4], v[137:138], v[155:156], v[3:4]
	ds_load_b128 v[149:152], v132 offset:656
	ds_load_b128 v[153:156], v132 offset:672
	s_waitcnt lgkmcnt(1)
	v_fma_f64 v[3:4], v[139:140], v[149:150], v[3:4]
	scratch_load_b128 v[137:140], off, off offset:216
	s_waitcnt vmcnt(4)
	v_fma_f64 v[3:4], v[141:142], v[151:152], v[3:4]
	s_waitcnt lgkmcnt(0)
	s_delay_alu instid0(VALU_DEP_1)
	v_fma_f64 v[3:4], v[143:144], v[153:154], v[3:4]
	scratch_load_b128 v[141:144], off, off offset:232
	s_waitcnt vmcnt(4)
	v_fma_f64 v[3:4], v[145:146], v[155:156], v[3:4]
	ds_load_b128 v[149:152], v132 offset:688
	ds_load_b128 v[153:156], v132 offset:704
	s_waitcnt lgkmcnt(1)
	v_fma_f64 v[3:4], v[147:148], v[149:150], v[3:4]
	scratch_load_b128 v[145:148], off, off offset:248
	s_waitcnt vmcnt(4)
	v_fma_f64 v[3:4], v[157:158], v[151:152], v[3:4]
	scratch_load_b128 v[149:152], off, off offset:264
	s_waitcnt lgkmcnt(0)
	v_fma_f64 v[3:4], v[159:160], v[153:154], v[3:4]
	s_waitcnt vmcnt(4)
	s_delay_alu instid0(VALU_DEP_1)
	v_fma_f64 v[3:4], v[133:134], v[155:156], v[3:4]
	ds_load_b128 v[153:156], v132 offset:720
	ds_load_b128 v[157:160], v132 offset:736
	s_waitcnt lgkmcnt(1)
	v_fma_f64 v[3:4], v[135:136], v[153:154], v[3:4]
	scratch_load_b128 v[133:136], off, off offset:280
	s_waitcnt vmcnt(4)
	v_fma_f64 v[3:4], v[137:138], v[155:156], v[3:4]
	s_waitcnt lgkmcnt(0)
	s_delay_alu instid0(VALU_DEP_1)
	v_fma_f64 v[3:4], v[139:140], v[157:158], v[3:4]
	scratch_load_b128 v[137:140], off, off offset:296
	s_waitcnt vmcnt(4)
	v_fma_f64 v[3:4], v[141:142], v[159:160], v[3:4]
	ds_load_b128 v[153:156], v132 offset:752
	ds_load_b128 v[157:160], v132 offset:768
	s_waitcnt lgkmcnt(1)
	v_fma_f64 v[3:4], v[143:144], v[153:154], v[3:4]
	scratch_load_b128 v[141:144], off, off offset:312
	s_waitcnt vmcnt(4)
	v_fma_f64 v[3:4], v[145:146], v[155:156], v[3:4]
	s_waitcnt lgkmcnt(0)
	s_delay_alu instid0(VALU_DEP_1)
	v_fma_f64 v[3:4], v[147:148], v[157:158], v[3:4]
	scratch_load_b128 v[145:148], off, off offset:328
	s_waitcnt vmcnt(4)
	;; [unrolled: 13-line block ×7, first 2 shown]
	v_fma_f64 v[3:4], v[149:150], v[159:160], v[3:4]
	ds_load_b128 v[153:156], v132 offset:944
	ds_load_b128 v[157:160], v132 offset:960
	s_waitcnt lgkmcnt(1)
	v_fma_f64 v[3:4], v[151:152], v[153:154], v[3:4]
	s_waitcnt vmcnt(3)
	s_delay_alu instid0(VALU_DEP_1) | instskip(SKIP_1) | instid1(VALU_DEP_1)
	v_fma_f64 v[3:4], v[133:134], v[155:156], v[3:4]
	s_waitcnt lgkmcnt(0)
	v_fma_f64 v[3:4], v[135:136], v[157:158], v[3:4]
	ds_load_b128 v[133:136], v132 offset:976
	ds_load_b128 v[149:152], v132 offset:992
	s_waitcnt vmcnt(2)
	v_fma_f64 v[3:4], v[137:138], v[159:160], v[3:4]
	s_waitcnt lgkmcnt(1)
	s_delay_alu instid0(VALU_DEP_1) | instskip(SKIP_4) | instid1(VALU_DEP_1)
	v_fma_f64 v[3:4], v[139:140], v[133:134], v[3:4]
	ds_load_b64 v[133:134], v132 offset:1008
	s_waitcnt vmcnt(1)
	v_fma_f64 v[3:4], v[141:142], v[135:136], v[3:4]
	s_waitcnt lgkmcnt(1)
	v_fma_f64 v[3:4], v[143:144], v[149:150], v[3:4]
	s_waitcnt vmcnt(0)
	s_delay_alu instid0(VALU_DEP_1) | instskip(SKIP_1) | instid1(VALU_DEP_1)
	v_fma_f64 v[3:4], v[145:146], v[151:152], v[3:4]
	s_waitcnt lgkmcnt(0)
	v_fma_f64 v[3:4], v[147:148], v[133:134], v[3:4]
	s_delay_alu instid0(VALU_DEP_1)
	v_add_f64 v[1:2], v[1:2], -v[3:4]
	scratch_store_b64 off, v[1:2], off offset:104
	v_cmpx_lt_u32_e32 12, v0
	s_cbranch_execz .LBB126_363
; %bb.362:
	scratch_load_b64 v[1:2], off, off offset:96
	v_mov_b32_e32 v133, v132
	scratch_store_b64 off, v[132:133], off offset:96
	s_waitcnt vmcnt(0)
	ds_store_b64 v5, v[1:2]
.LBB126_363:
	s_or_b32 exec_lo, exec_lo, s0
	s_waitcnt lgkmcnt(0)
	s_waitcnt_vscnt null, 0x0
	s_barrier
	buffer_gl0_inv
	s_clause 0x4
	scratch_load_b128 v[1:4], off, off offset:96
	scratch_load_b128 v[133:136], off, off offset:112
	;; [unrolled: 1-line block ×5, first 2 shown]
	ds_load_2addr_b64 v[149:152], v132 offset0:77 offset1:78
	ds_load_2addr_b64 v[153:156], v132 offset0:79 offset1:80
	scratch_load_b128 v[157:160], off, off offset:176
	s_mov_b32 s0, exec_lo
	s_waitcnt vmcnt(5) lgkmcnt(1)
	v_fma_f64 v[3:4], v[3:4], v[149:150], 0
	s_waitcnt vmcnt(4)
	s_delay_alu instid0(VALU_DEP_1) | instskip(SKIP_1) | instid1(VALU_DEP_1)
	v_fma_f64 v[3:4], v[133:134], v[151:152], v[3:4]
	s_waitcnt lgkmcnt(0)
	v_fma_f64 v[3:4], v[135:136], v[153:154], v[3:4]
	scratch_load_b128 v[133:136], off, off offset:192
	s_waitcnt vmcnt(4)
	v_fma_f64 v[3:4], v[137:138], v[155:156], v[3:4]
	ds_load_2addr_b64 v[149:152], v132 offset0:81 offset1:82
	ds_load_2addr_b64 v[153:156], v132 offset0:83 offset1:84
	s_waitcnt lgkmcnt(1)
	v_fma_f64 v[3:4], v[139:140], v[149:150], v[3:4]
	scratch_load_b128 v[137:140], off, off offset:208
	s_waitcnt vmcnt(4)
	v_fma_f64 v[3:4], v[141:142], v[151:152], v[3:4]
	s_waitcnt lgkmcnt(0)
	s_delay_alu instid0(VALU_DEP_1)
	v_fma_f64 v[3:4], v[143:144], v[153:154], v[3:4]
	scratch_load_b128 v[141:144], off, off offset:224
	s_waitcnt vmcnt(4)
	v_fma_f64 v[3:4], v[145:146], v[155:156], v[3:4]
	ds_load_2addr_b64 v[149:152], v132 offset0:85 offset1:86
	ds_load_2addr_b64 v[153:156], v132 offset0:87 offset1:88
	s_waitcnt lgkmcnt(1)
	v_fma_f64 v[3:4], v[147:148], v[149:150], v[3:4]
	scratch_load_b128 v[145:148], off, off offset:240
	s_waitcnt vmcnt(4)
	v_fma_f64 v[3:4], v[157:158], v[151:152], v[3:4]
	scratch_load_b128 v[149:152], off, off offset:256
	s_waitcnt lgkmcnt(0)
	v_fma_f64 v[3:4], v[159:160], v[153:154], v[3:4]
	s_waitcnt vmcnt(4)
	s_delay_alu instid0(VALU_DEP_1)
	v_fma_f64 v[3:4], v[133:134], v[155:156], v[3:4]
	ds_load_2addr_b64 v[153:156], v132 offset0:89 offset1:90
	ds_load_2addr_b64 v[157:160], v132 offset0:91 offset1:92
	s_waitcnt lgkmcnt(1)
	v_fma_f64 v[3:4], v[135:136], v[153:154], v[3:4]
	scratch_load_b128 v[133:136], off, off offset:272
	s_waitcnt vmcnt(4)
	v_fma_f64 v[3:4], v[137:138], v[155:156], v[3:4]
	s_waitcnt lgkmcnt(0)
	s_delay_alu instid0(VALU_DEP_1)
	v_fma_f64 v[3:4], v[139:140], v[157:158], v[3:4]
	scratch_load_b128 v[137:140], off, off offset:288
	s_waitcnt vmcnt(4)
	v_fma_f64 v[3:4], v[141:142], v[159:160], v[3:4]
	ds_load_2addr_b64 v[153:156], v132 offset0:93 offset1:94
	ds_load_2addr_b64 v[157:160], v132 offset0:95 offset1:96
	s_waitcnt lgkmcnt(1)
	v_fma_f64 v[3:4], v[143:144], v[153:154], v[3:4]
	scratch_load_b128 v[141:144], off, off offset:304
	s_waitcnt vmcnt(4)
	v_fma_f64 v[3:4], v[145:146], v[155:156], v[3:4]
	s_waitcnt lgkmcnt(0)
	s_delay_alu instid0(VALU_DEP_1)
	v_fma_f64 v[3:4], v[147:148], v[157:158], v[3:4]
	scratch_load_b128 v[145:148], off, off offset:320
	s_waitcnt vmcnt(4)
	;; [unrolled: 13-line block ×7, first 2 shown]
	v_fma_f64 v[3:4], v[149:150], v[159:160], v[3:4]
	ds_load_2addr_b64 v[153:156], v132 offset0:117 offset1:118
	ds_load_2addr_b64 v[157:160], v132 offset0:119 offset1:120
	s_waitcnt lgkmcnt(1)
	v_fma_f64 v[3:4], v[151:152], v[153:154], v[3:4]
	scratch_load_b64 v[153:154], off, off offset:496
	s_waitcnt vmcnt(4)
	v_fma_f64 v[3:4], v[133:134], v[155:156], v[3:4]
	s_waitcnt lgkmcnt(0)
	s_delay_alu instid0(VALU_DEP_1)
	v_fma_f64 v[3:4], v[135:136], v[157:158], v[3:4]
	ds_load_2addr_b64 v[133:136], v132 offset0:121 offset1:122
	ds_load_2addr_b64 v[149:152], v132 offset0:123 offset1:124
	s_waitcnt vmcnt(3)
	v_fma_f64 v[3:4], v[137:138], v[159:160], v[3:4]
	s_waitcnt lgkmcnt(1)
	s_delay_alu instid0(VALU_DEP_1) | instskip(SKIP_1) | instid1(VALU_DEP_1)
	v_fma_f64 v[3:4], v[139:140], v[133:134], v[3:4]
	s_waitcnt vmcnt(2)
	v_fma_f64 v[3:4], v[141:142], v[135:136], v[3:4]
	ds_load_2addr_b64 v[132:135], v132 offset0:125 offset1:126
	s_waitcnt lgkmcnt(1)
	v_fma_f64 v[3:4], v[143:144], v[149:150], v[3:4]
	s_waitcnt vmcnt(1)
	s_delay_alu instid0(VALU_DEP_1) | instskip(SKIP_1) | instid1(VALU_DEP_1)
	v_fma_f64 v[3:4], v[145:146], v[151:152], v[3:4]
	s_waitcnt lgkmcnt(0)
	v_fma_f64 v[3:4], v[147:148], v[132:133], v[3:4]
	s_waitcnt vmcnt(0)
	s_delay_alu instid0(VALU_DEP_1) | instskip(NEXT) | instid1(VALU_DEP_1)
	v_fma_f64 v[3:4], v[153:154], v[134:135], v[3:4]
	v_add_f64 v[1:2], v[1:2], -v[3:4]
	scratch_store_b64 off, v[1:2], off offset:96
	v_cmpx_lt_u32_e32 11, v0
	s_cbranch_execz .LBB126_365
; %bb.364:
	scratch_load_b64 v[1:2], off, off offset:88
	v_mov_b32_e32 v3, 0
	s_delay_alu instid0(VALU_DEP_1)
	v_mov_b32_e32 v4, v3
	scratch_store_b64 off, v[3:4], off offset:88
	s_waitcnt vmcnt(0)
	ds_store_b64 v5, v[1:2]
.LBB126_365:
	s_or_b32 exec_lo, exec_lo, s0
	s_waitcnt lgkmcnt(0)
	s_waitcnt_vscnt null, 0x0
	s_barrier
	buffer_gl0_inv
	s_clause 0x4
	scratch_load_b128 v[1:4], off, off offset:88
	scratch_load_b128 v[133:136], off, off offset:104
	scratch_load_b128 v[137:140], off, off offset:120
	scratch_load_b128 v[141:144], off, off offset:136
	scratch_load_b128 v[145:148], off, off offset:152
	v_mov_b32_e32 v132, 0
	ds_load_b128 v[149:152], v132 offset:608
	ds_load_b128 v[153:156], v132 offset:624
	scratch_load_b128 v[157:160], off, off offset:168
	s_mov_b32 s0, exec_lo
	s_waitcnt vmcnt(5) lgkmcnt(1)
	v_fma_f64 v[3:4], v[3:4], v[149:150], 0
	s_waitcnt vmcnt(4)
	s_delay_alu instid0(VALU_DEP_1) | instskip(SKIP_1) | instid1(VALU_DEP_1)
	v_fma_f64 v[3:4], v[133:134], v[151:152], v[3:4]
	s_waitcnt lgkmcnt(0)
	v_fma_f64 v[3:4], v[135:136], v[153:154], v[3:4]
	scratch_load_b128 v[133:136], off, off offset:184
	s_waitcnt vmcnt(4)
	v_fma_f64 v[3:4], v[137:138], v[155:156], v[3:4]
	ds_load_b128 v[149:152], v132 offset:640
	ds_load_b128 v[153:156], v132 offset:656
	s_waitcnt lgkmcnt(1)
	v_fma_f64 v[3:4], v[139:140], v[149:150], v[3:4]
	scratch_load_b128 v[137:140], off, off offset:200
	s_waitcnt vmcnt(4)
	v_fma_f64 v[3:4], v[141:142], v[151:152], v[3:4]
	s_waitcnt lgkmcnt(0)
	s_delay_alu instid0(VALU_DEP_1)
	v_fma_f64 v[3:4], v[143:144], v[153:154], v[3:4]
	scratch_load_b128 v[141:144], off, off offset:216
	s_waitcnt vmcnt(4)
	v_fma_f64 v[3:4], v[145:146], v[155:156], v[3:4]
	ds_load_b128 v[149:152], v132 offset:672
	ds_load_b128 v[153:156], v132 offset:688
	s_waitcnt lgkmcnt(1)
	v_fma_f64 v[3:4], v[147:148], v[149:150], v[3:4]
	scratch_load_b128 v[145:148], off, off offset:232
	s_waitcnt vmcnt(4)
	v_fma_f64 v[3:4], v[157:158], v[151:152], v[3:4]
	scratch_load_b128 v[149:152], off, off offset:248
	s_waitcnt lgkmcnt(0)
	v_fma_f64 v[3:4], v[159:160], v[153:154], v[3:4]
	s_waitcnt vmcnt(4)
	s_delay_alu instid0(VALU_DEP_1)
	v_fma_f64 v[3:4], v[133:134], v[155:156], v[3:4]
	ds_load_b128 v[153:156], v132 offset:704
	ds_load_b128 v[157:160], v132 offset:720
	s_waitcnt lgkmcnt(1)
	v_fma_f64 v[3:4], v[135:136], v[153:154], v[3:4]
	scratch_load_b128 v[133:136], off, off offset:264
	s_waitcnt vmcnt(4)
	v_fma_f64 v[3:4], v[137:138], v[155:156], v[3:4]
	s_waitcnt lgkmcnt(0)
	s_delay_alu instid0(VALU_DEP_1)
	v_fma_f64 v[3:4], v[139:140], v[157:158], v[3:4]
	scratch_load_b128 v[137:140], off, off offset:280
	s_waitcnt vmcnt(4)
	v_fma_f64 v[3:4], v[141:142], v[159:160], v[3:4]
	ds_load_b128 v[153:156], v132 offset:736
	ds_load_b128 v[157:160], v132 offset:752
	s_waitcnt lgkmcnt(1)
	v_fma_f64 v[3:4], v[143:144], v[153:154], v[3:4]
	scratch_load_b128 v[141:144], off, off offset:296
	s_waitcnt vmcnt(4)
	v_fma_f64 v[3:4], v[145:146], v[155:156], v[3:4]
	s_waitcnt lgkmcnt(0)
	s_delay_alu instid0(VALU_DEP_1)
	v_fma_f64 v[3:4], v[147:148], v[157:158], v[3:4]
	scratch_load_b128 v[145:148], off, off offset:312
	s_waitcnt vmcnt(4)
	;; [unrolled: 13-line block ×7, first 2 shown]
	v_fma_f64 v[3:4], v[149:150], v[159:160], v[3:4]
	ds_load_b128 v[153:156], v132 offset:928
	ds_load_b128 v[157:160], v132 offset:944
	s_waitcnt lgkmcnt(1)
	v_fma_f64 v[3:4], v[151:152], v[153:154], v[3:4]
	scratch_load_b128 v[149:152], off, off offset:488
	s_waitcnt vmcnt(4)
	v_fma_f64 v[3:4], v[133:134], v[155:156], v[3:4]
	s_waitcnt lgkmcnt(0)
	s_delay_alu instid0(VALU_DEP_1)
	v_fma_f64 v[3:4], v[135:136], v[157:158], v[3:4]
	ds_load_b128 v[133:136], v132 offset:960
	ds_load_b128 v[153:156], v132 offset:976
	s_waitcnt vmcnt(3)
	v_fma_f64 v[3:4], v[137:138], v[159:160], v[3:4]
	s_waitcnt lgkmcnt(1)
	s_delay_alu instid0(VALU_DEP_1) | instskip(SKIP_1) | instid1(VALU_DEP_1)
	v_fma_f64 v[3:4], v[139:140], v[133:134], v[3:4]
	s_waitcnt vmcnt(2)
	v_fma_f64 v[3:4], v[141:142], v[135:136], v[3:4]
	ds_load_b128 v[133:136], v132 offset:992
	ds_load_b64 v[137:138], v132 offset:1008
	s_waitcnt lgkmcnt(2)
	v_fma_f64 v[3:4], v[143:144], v[153:154], v[3:4]
	s_waitcnt vmcnt(1)
	s_delay_alu instid0(VALU_DEP_1) | instskip(SKIP_1) | instid1(VALU_DEP_1)
	v_fma_f64 v[3:4], v[145:146], v[155:156], v[3:4]
	s_waitcnt lgkmcnt(1)
	v_fma_f64 v[3:4], v[147:148], v[133:134], v[3:4]
	s_waitcnt vmcnt(0)
	s_delay_alu instid0(VALU_DEP_1) | instskip(SKIP_1) | instid1(VALU_DEP_1)
	v_fma_f64 v[3:4], v[149:150], v[135:136], v[3:4]
	s_waitcnt lgkmcnt(0)
	v_fma_f64 v[3:4], v[151:152], v[137:138], v[3:4]
	s_delay_alu instid0(VALU_DEP_1)
	v_add_f64 v[1:2], v[1:2], -v[3:4]
	scratch_store_b64 off, v[1:2], off offset:88
	v_cmpx_lt_u32_e32 10, v0
	s_cbranch_execz .LBB126_367
; %bb.366:
	scratch_load_b64 v[1:2], off, off offset:80
	v_mov_b32_e32 v133, v132
	scratch_store_b64 off, v[132:133], off offset:80
	s_waitcnt vmcnt(0)
	ds_store_b64 v5, v[1:2]
.LBB126_367:
	s_or_b32 exec_lo, exec_lo, s0
	s_waitcnt lgkmcnt(0)
	s_waitcnt_vscnt null, 0x0
	s_barrier
	buffer_gl0_inv
	s_clause 0x4
	scratch_load_b128 v[1:4], off, off offset:80
	scratch_load_b128 v[133:136], off, off offset:96
	;; [unrolled: 1-line block ×5, first 2 shown]
	ds_load_2addr_b64 v[149:152], v132 offset0:75 offset1:76
	ds_load_2addr_b64 v[153:156], v132 offset0:77 offset1:78
	scratch_load_b128 v[157:160], off, off offset:160
	s_mov_b32 s0, exec_lo
	s_waitcnt vmcnt(5) lgkmcnt(1)
	v_fma_f64 v[3:4], v[3:4], v[149:150], 0
	s_waitcnt vmcnt(4)
	s_delay_alu instid0(VALU_DEP_1) | instskip(SKIP_1) | instid1(VALU_DEP_1)
	v_fma_f64 v[3:4], v[133:134], v[151:152], v[3:4]
	s_waitcnt lgkmcnt(0)
	v_fma_f64 v[3:4], v[135:136], v[153:154], v[3:4]
	scratch_load_b128 v[133:136], off, off offset:176
	s_waitcnt vmcnt(4)
	v_fma_f64 v[3:4], v[137:138], v[155:156], v[3:4]
	ds_load_2addr_b64 v[149:152], v132 offset0:79 offset1:80
	ds_load_2addr_b64 v[153:156], v132 offset0:81 offset1:82
	s_waitcnt lgkmcnt(1)
	v_fma_f64 v[3:4], v[139:140], v[149:150], v[3:4]
	scratch_load_b128 v[137:140], off, off offset:192
	s_waitcnt vmcnt(4)
	v_fma_f64 v[3:4], v[141:142], v[151:152], v[3:4]
	s_waitcnt lgkmcnt(0)
	s_delay_alu instid0(VALU_DEP_1)
	v_fma_f64 v[3:4], v[143:144], v[153:154], v[3:4]
	scratch_load_b128 v[141:144], off, off offset:208
	s_waitcnt vmcnt(4)
	v_fma_f64 v[3:4], v[145:146], v[155:156], v[3:4]
	ds_load_2addr_b64 v[149:152], v132 offset0:83 offset1:84
	ds_load_2addr_b64 v[153:156], v132 offset0:85 offset1:86
	s_waitcnt lgkmcnt(1)
	v_fma_f64 v[3:4], v[147:148], v[149:150], v[3:4]
	scratch_load_b128 v[145:148], off, off offset:224
	s_waitcnt vmcnt(4)
	v_fma_f64 v[3:4], v[157:158], v[151:152], v[3:4]
	scratch_load_b128 v[149:152], off, off offset:240
	s_waitcnt lgkmcnt(0)
	v_fma_f64 v[3:4], v[159:160], v[153:154], v[3:4]
	s_waitcnt vmcnt(4)
	s_delay_alu instid0(VALU_DEP_1)
	v_fma_f64 v[3:4], v[133:134], v[155:156], v[3:4]
	ds_load_2addr_b64 v[153:156], v132 offset0:87 offset1:88
	ds_load_2addr_b64 v[157:160], v132 offset0:89 offset1:90
	s_waitcnt lgkmcnt(1)
	v_fma_f64 v[3:4], v[135:136], v[153:154], v[3:4]
	scratch_load_b128 v[133:136], off, off offset:256
	s_waitcnt vmcnt(4)
	v_fma_f64 v[3:4], v[137:138], v[155:156], v[3:4]
	s_waitcnt lgkmcnt(0)
	s_delay_alu instid0(VALU_DEP_1)
	v_fma_f64 v[3:4], v[139:140], v[157:158], v[3:4]
	scratch_load_b128 v[137:140], off, off offset:272
	s_waitcnt vmcnt(4)
	v_fma_f64 v[3:4], v[141:142], v[159:160], v[3:4]
	ds_load_2addr_b64 v[153:156], v132 offset0:91 offset1:92
	ds_load_2addr_b64 v[157:160], v132 offset0:93 offset1:94
	s_waitcnt lgkmcnt(1)
	v_fma_f64 v[3:4], v[143:144], v[153:154], v[3:4]
	scratch_load_b128 v[141:144], off, off offset:288
	s_waitcnt vmcnt(4)
	v_fma_f64 v[3:4], v[145:146], v[155:156], v[3:4]
	s_waitcnt lgkmcnt(0)
	s_delay_alu instid0(VALU_DEP_1)
	v_fma_f64 v[3:4], v[147:148], v[157:158], v[3:4]
	scratch_load_b128 v[145:148], off, off offset:304
	s_waitcnt vmcnt(4)
	;; [unrolled: 13-line block ×7, first 2 shown]
	v_fma_f64 v[3:4], v[149:150], v[159:160], v[3:4]
	ds_load_2addr_b64 v[153:156], v132 offset0:115 offset1:116
	ds_load_2addr_b64 v[157:160], v132 offset0:117 offset1:118
	s_waitcnt lgkmcnt(1)
	v_fma_f64 v[3:4], v[151:152], v[153:154], v[3:4]
	scratch_load_b128 v[149:152], off, off offset:480
	s_waitcnt vmcnt(4)
	v_fma_f64 v[3:4], v[133:134], v[155:156], v[3:4]
	s_waitcnt lgkmcnt(0)
	s_delay_alu instid0(VALU_DEP_1)
	v_fma_f64 v[3:4], v[135:136], v[157:158], v[3:4]
	scratch_load_b64 v[157:158], off, off offset:496
	ds_load_2addr_b64 v[133:136], v132 offset0:119 offset1:120
	ds_load_2addr_b64 v[153:156], v132 offset0:121 offset1:122
	s_waitcnt vmcnt(4)
	v_fma_f64 v[3:4], v[137:138], v[159:160], v[3:4]
	s_waitcnt lgkmcnt(1)
	s_delay_alu instid0(VALU_DEP_1) | instskip(SKIP_1) | instid1(VALU_DEP_1)
	v_fma_f64 v[3:4], v[139:140], v[133:134], v[3:4]
	s_waitcnt vmcnt(3)
	v_fma_f64 v[3:4], v[141:142], v[135:136], v[3:4]
	ds_load_2addr_b64 v[133:136], v132 offset0:123 offset1:124
	ds_load_2addr_b64 v[137:140], v132 offset0:125 offset1:126
	s_waitcnt lgkmcnt(2)
	v_fma_f64 v[3:4], v[143:144], v[153:154], v[3:4]
	s_waitcnt vmcnt(2)
	s_delay_alu instid0(VALU_DEP_1) | instskip(SKIP_1) | instid1(VALU_DEP_1)
	v_fma_f64 v[3:4], v[145:146], v[155:156], v[3:4]
	s_waitcnt lgkmcnt(1)
	v_fma_f64 v[3:4], v[147:148], v[133:134], v[3:4]
	s_waitcnt vmcnt(1)
	s_delay_alu instid0(VALU_DEP_1) | instskip(SKIP_1) | instid1(VALU_DEP_1)
	v_fma_f64 v[3:4], v[149:150], v[135:136], v[3:4]
	s_waitcnt lgkmcnt(0)
	v_fma_f64 v[3:4], v[151:152], v[137:138], v[3:4]
	s_waitcnt vmcnt(0)
	s_delay_alu instid0(VALU_DEP_1) | instskip(NEXT) | instid1(VALU_DEP_1)
	v_fma_f64 v[3:4], v[157:158], v[139:140], v[3:4]
	v_add_f64 v[1:2], v[1:2], -v[3:4]
	scratch_store_b64 off, v[1:2], off offset:80
	v_cmpx_lt_u32_e32 9, v0
	s_cbranch_execz .LBB126_369
; %bb.368:
	scratch_load_b64 v[1:2], off, off offset:72
	v_mov_b32_e32 v3, 0
	s_delay_alu instid0(VALU_DEP_1)
	v_mov_b32_e32 v4, v3
	scratch_store_b64 off, v[3:4], off offset:72
	s_waitcnt vmcnt(0)
	ds_store_b64 v5, v[1:2]
.LBB126_369:
	s_or_b32 exec_lo, exec_lo, s0
	s_waitcnt lgkmcnt(0)
	s_waitcnt_vscnt null, 0x0
	s_barrier
	buffer_gl0_inv
	s_clause 0x4
	scratch_load_b128 v[1:4], off, off offset:72
	scratch_load_b128 v[133:136], off, off offset:88
	;; [unrolled: 1-line block ×5, first 2 shown]
	v_mov_b32_e32 v132, 0
	ds_load_b128 v[149:152], v132 offset:592
	ds_load_b128 v[153:156], v132 offset:608
	scratch_load_b128 v[157:160], off, off offset:152
	s_mov_b32 s0, exec_lo
	s_waitcnt vmcnt(5) lgkmcnt(1)
	v_fma_f64 v[3:4], v[3:4], v[149:150], 0
	s_waitcnt vmcnt(4)
	s_delay_alu instid0(VALU_DEP_1) | instskip(SKIP_1) | instid1(VALU_DEP_1)
	v_fma_f64 v[3:4], v[133:134], v[151:152], v[3:4]
	s_waitcnt lgkmcnt(0)
	v_fma_f64 v[3:4], v[135:136], v[153:154], v[3:4]
	scratch_load_b128 v[133:136], off, off offset:168
	s_waitcnt vmcnt(4)
	v_fma_f64 v[3:4], v[137:138], v[155:156], v[3:4]
	ds_load_b128 v[149:152], v132 offset:624
	ds_load_b128 v[153:156], v132 offset:640
	s_waitcnt lgkmcnt(1)
	v_fma_f64 v[3:4], v[139:140], v[149:150], v[3:4]
	scratch_load_b128 v[137:140], off, off offset:184
	s_waitcnt vmcnt(4)
	v_fma_f64 v[3:4], v[141:142], v[151:152], v[3:4]
	s_waitcnt lgkmcnt(0)
	s_delay_alu instid0(VALU_DEP_1)
	v_fma_f64 v[3:4], v[143:144], v[153:154], v[3:4]
	scratch_load_b128 v[141:144], off, off offset:200
	s_waitcnt vmcnt(4)
	v_fma_f64 v[3:4], v[145:146], v[155:156], v[3:4]
	ds_load_b128 v[149:152], v132 offset:656
	ds_load_b128 v[153:156], v132 offset:672
	s_waitcnt lgkmcnt(1)
	v_fma_f64 v[3:4], v[147:148], v[149:150], v[3:4]
	scratch_load_b128 v[145:148], off, off offset:216
	s_waitcnt vmcnt(4)
	v_fma_f64 v[3:4], v[157:158], v[151:152], v[3:4]
	scratch_load_b128 v[149:152], off, off offset:232
	s_waitcnt lgkmcnt(0)
	v_fma_f64 v[3:4], v[159:160], v[153:154], v[3:4]
	s_waitcnt vmcnt(4)
	s_delay_alu instid0(VALU_DEP_1)
	v_fma_f64 v[3:4], v[133:134], v[155:156], v[3:4]
	ds_load_b128 v[153:156], v132 offset:688
	ds_load_b128 v[157:160], v132 offset:704
	s_waitcnt lgkmcnt(1)
	v_fma_f64 v[3:4], v[135:136], v[153:154], v[3:4]
	scratch_load_b128 v[133:136], off, off offset:248
	s_waitcnt vmcnt(4)
	v_fma_f64 v[3:4], v[137:138], v[155:156], v[3:4]
	s_waitcnt lgkmcnt(0)
	s_delay_alu instid0(VALU_DEP_1)
	v_fma_f64 v[3:4], v[139:140], v[157:158], v[3:4]
	scratch_load_b128 v[137:140], off, off offset:264
	s_waitcnt vmcnt(4)
	v_fma_f64 v[3:4], v[141:142], v[159:160], v[3:4]
	ds_load_b128 v[153:156], v132 offset:720
	ds_load_b128 v[157:160], v132 offset:736
	s_waitcnt lgkmcnt(1)
	v_fma_f64 v[3:4], v[143:144], v[153:154], v[3:4]
	scratch_load_b128 v[141:144], off, off offset:280
	s_waitcnt vmcnt(4)
	v_fma_f64 v[3:4], v[145:146], v[155:156], v[3:4]
	s_waitcnt lgkmcnt(0)
	s_delay_alu instid0(VALU_DEP_1)
	v_fma_f64 v[3:4], v[147:148], v[157:158], v[3:4]
	scratch_load_b128 v[145:148], off, off offset:296
	s_waitcnt vmcnt(4)
	;; [unrolled: 13-line block ×8, first 2 shown]
	v_fma_f64 v[3:4], v[137:138], v[159:160], v[3:4]
	ds_load_b128 v[153:156], v132 offset:944
	ds_load_b128 v[157:160], v132 offset:960
	s_waitcnt lgkmcnt(1)
	v_fma_f64 v[3:4], v[139:140], v[153:154], v[3:4]
	s_waitcnt vmcnt(3)
	s_delay_alu instid0(VALU_DEP_1) | instskip(SKIP_1) | instid1(VALU_DEP_1)
	v_fma_f64 v[3:4], v[141:142], v[155:156], v[3:4]
	s_waitcnt lgkmcnt(0)
	v_fma_f64 v[3:4], v[143:144], v[157:158], v[3:4]
	ds_load_b128 v[137:140], v132 offset:976
	ds_load_b128 v[141:144], v132 offset:992
	s_waitcnt vmcnt(2)
	v_fma_f64 v[3:4], v[145:146], v[159:160], v[3:4]
	s_waitcnt lgkmcnt(1)
	s_delay_alu instid0(VALU_DEP_1) | instskip(SKIP_1) | instid1(VALU_DEP_1)
	v_fma_f64 v[3:4], v[147:148], v[137:138], v[3:4]
	s_waitcnt vmcnt(1)
	v_fma_f64 v[3:4], v[149:150], v[139:140], v[3:4]
	s_waitcnt lgkmcnt(0)
	s_delay_alu instid0(VALU_DEP_1) | instskip(SKIP_1) | instid1(VALU_DEP_1)
	v_fma_f64 v[3:4], v[151:152], v[141:142], v[3:4]
	s_waitcnt vmcnt(0)
	v_fma_f64 v[3:4], v[133:134], v[143:144], v[3:4]
	ds_load_b64 v[133:134], v132 offset:1008
	s_waitcnt lgkmcnt(0)
	v_fma_f64 v[3:4], v[135:136], v[133:134], v[3:4]
	s_delay_alu instid0(VALU_DEP_1)
	v_add_f64 v[1:2], v[1:2], -v[3:4]
	scratch_store_b64 off, v[1:2], off offset:72
	v_cmpx_lt_u32_e32 8, v0
	s_cbranch_execz .LBB126_371
; %bb.370:
	scratch_load_b64 v[1:2], off, off offset:64
	v_mov_b32_e32 v133, v132
	scratch_store_b64 off, v[132:133], off offset:64
	s_waitcnt vmcnt(0)
	ds_store_b64 v5, v[1:2]
.LBB126_371:
	s_or_b32 exec_lo, exec_lo, s0
	s_waitcnt lgkmcnt(0)
	s_waitcnt_vscnt null, 0x0
	s_barrier
	buffer_gl0_inv
	s_clause 0x4
	scratch_load_b128 v[1:4], off, off offset:64
	scratch_load_b128 v[133:136], off, off offset:80
	;; [unrolled: 1-line block ×5, first 2 shown]
	ds_load_2addr_b64 v[149:152], v132 offset0:73 offset1:74
	ds_load_2addr_b64 v[153:156], v132 offset0:75 offset1:76
	scratch_load_b128 v[157:160], off, off offset:144
	s_mov_b32 s0, exec_lo
	s_waitcnt vmcnt(5) lgkmcnt(1)
	v_fma_f64 v[3:4], v[3:4], v[149:150], 0
	s_waitcnt vmcnt(4)
	s_delay_alu instid0(VALU_DEP_1) | instskip(SKIP_1) | instid1(VALU_DEP_1)
	v_fma_f64 v[3:4], v[133:134], v[151:152], v[3:4]
	s_waitcnt lgkmcnt(0)
	v_fma_f64 v[3:4], v[135:136], v[153:154], v[3:4]
	scratch_load_b128 v[133:136], off, off offset:160
	s_waitcnt vmcnt(4)
	v_fma_f64 v[3:4], v[137:138], v[155:156], v[3:4]
	ds_load_2addr_b64 v[149:152], v132 offset0:77 offset1:78
	ds_load_2addr_b64 v[153:156], v132 offset0:79 offset1:80
	s_waitcnt lgkmcnt(1)
	v_fma_f64 v[3:4], v[139:140], v[149:150], v[3:4]
	scratch_load_b128 v[137:140], off, off offset:176
	s_waitcnt vmcnt(4)
	v_fma_f64 v[3:4], v[141:142], v[151:152], v[3:4]
	s_waitcnt lgkmcnt(0)
	s_delay_alu instid0(VALU_DEP_1)
	v_fma_f64 v[3:4], v[143:144], v[153:154], v[3:4]
	scratch_load_b128 v[141:144], off, off offset:192
	s_waitcnt vmcnt(4)
	v_fma_f64 v[3:4], v[145:146], v[155:156], v[3:4]
	ds_load_2addr_b64 v[149:152], v132 offset0:81 offset1:82
	ds_load_2addr_b64 v[153:156], v132 offset0:83 offset1:84
	s_waitcnt lgkmcnt(1)
	v_fma_f64 v[3:4], v[147:148], v[149:150], v[3:4]
	scratch_load_b128 v[145:148], off, off offset:208
	s_waitcnt vmcnt(4)
	v_fma_f64 v[3:4], v[157:158], v[151:152], v[3:4]
	scratch_load_b128 v[149:152], off, off offset:224
	s_waitcnt lgkmcnt(0)
	v_fma_f64 v[3:4], v[159:160], v[153:154], v[3:4]
	s_waitcnt vmcnt(4)
	s_delay_alu instid0(VALU_DEP_1)
	v_fma_f64 v[3:4], v[133:134], v[155:156], v[3:4]
	ds_load_2addr_b64 v[153:156], v132 offset0:85 offset1:86
	ds_load_2addr_b64 v[157:160], v132 offset0:87 offset1:88
	s_waitcnt lgkmcnt(1)
	v_fma_f64 v[3:4], v[135:136], v[153:154], v[3:4]
	scratch_load_b128 v[133:136], off, off offset:240
	s_waitcnt vmcnt(4)
	v_fma_f64 v[3:4], v[137:138], v[155:156], v[3:4]
	s_waitcnt lgkmcnt(0)
	s_delay_alu instid0(VALU_DEP_1)
	v_fma_f64 v[3:4], v[139:140], v[157:158], v[3:4]
	scratch_load_b128 v[137:140], off, off offset:256
	s_waitcnt vmcnt(4)
	v_fma_f64 v[3:4], v[141:142], v[159:160], v[3:4]
	ds_load_2addr_b64 v[153:156], v132 offset0:89 offset1:90
	ds_load_2addr_b64 v[157:160], v132 offset0:91 offset1:92
	s_waitcnt lgkmcnt(1)
	v_fma_f64 v[3:4], v[143:144], v[153:154], v[3:4]
	scratch_load_b128 v[141:144], off, off offset:272
	s_waitcnt vmcnt(4)
	v_fma_f64 v[3:4], v[145:146], v[155:156], v[3:4]
	s_waitcnt lgkmcnt(0)
	s_delay_alu instid0(VALU_DEP_1)
	v_fma_f64 v[3:4], v[147:148], v[157:158], v[3:4]
	scratch_load_b128 v[145:148], off, off offset:288
	s_waitcnt vmcnt(4)
	v_fma_f64 v[3:4], v[149:150], v[159:160], v[3:4]
	ds_load_2addr_b64 v[153:156], v132 offset0:93 offset1:94
	ds_load_2addr_b64 v[157:160], v132 offset0:95 offset1:96
	s_waitcnt lgkmcnt(1)
	v_fma_f64 v[3:4], v[151:152], v[153:154], v[3:4]
	scratch_load_b128 v[149:152], off, off offset:304
	s_waitcnt vmcnt(4)
	v_fma_f64 v[3:4], v[133:134], v[155:156], v[3:4]
	s_waitcnt lgkmcnt(0)
	s_delay_alu instid0(VALU_DEP_1)
	v_fma_f64 v[3:4], v[135:136], v[157:158], v[3:4]
	scratch_load_b128 v[133:136], off, off offset:320
	s_waitcnt vmcnt(4)
	v_fma_f64 v[3:4], v[137:138], v[159:160], v[3:4]
	ds_load_2addr_b64 v[153:156], v132 offset0:97 offset1:98
	ds_load_2addr_b64 v[157:160], v132 offset0:99 offset1:100
	s_waitcnt lgkmcnt(1)
	v_fma_f64 v[3:4], v[139:140], v[153:154], v[3:4]
	scratch_load_b128 v[137:140], off, off offset:336
	s_waitcnt vmcnt(4)
	v_fma_f64 v[3:4], v[141:142], v[155:156], v[3:4]
	s_waitcnt lgkmcnt(0)
	s_delay_alu instid0(VALU_DEP_1)
	v_fma_f64 v[3:4], v[143:144], v[157:158], v[3:4]
	scratch_load_b128 v[141:144], off, off offset:352
	s_waitcnt vmcnt(4)
	v_fma_f64 v[3:4], v[145:146], v[159:160], v[3:4]
	ds_load_2addr_b64 v[153:156], v132 offset0:101 offset1:102
	ds_load_2addr_b64 v[157:160], v132 offset0:103 offset1:104
	s_waitcnt lgkmcnt(1)
	v_fma_f64 v[3:4], v[147:148], v[153:154], v[3:4]
	scratch_load_b128 v[145:148], off, off offset:368
	s_waitcnt vmcnt(4)
	v_fma_f64 v[3:4], v[149:150], v[155:156], v[3:4]
	s_waitcnt lgkmcnt(0)
	s_delay_alu instid0(VALU_DEP_1)
	v_fma_f64 v[3:4], v[151:152], v[157:158], v[3:4]
	scratch_load_b128 v[149:152], off, off offset:384
	s_waitcnt vmcnt(4)
	v_fma_f64 v[3:4], v[133:134], v[159:160], v[3:4]
	ds_load_2addr_b64 v[153:156], v132 offset0:105 offset1:106
	ds_load_2addr_b64 v[157:160], v132 offset0:107 offset1:108
	s_waitcnt lgkmcnt(1)
	v_fma_f64 v[3:4], v[135:136], v[153:154], v[3:4]
	scratch_load_b128 v[133:136], off, off offset:400
	s_waitcnt vmcnt(4)
	v_fma_f64 v[3:4], v[137:138], v[155:156], v[3:4]
	s_waitcnt lgkmcnt(0)
	s_delay_alu instid0(VALU_DEP_1)
	v_fma_f64 v[3:4], v[139:140], v[157:158], v[3:4]
	scratch_load_b128 v[137:140], off, off offset:416
	s_waitcnt vmcnt(4)
	v_fma_f64 v[3:4], v[141:142], v[159:160], v[3:4]
	ds_load_2addr_b64 v[153:156], v132 offset0:109 offset1:110
	ds_load_2addr_b64 v[157:160], v132 offset0:111 offset1:112
	s_waitcnt lgkmcnt(1)
	v_fma_f64 v[3:4], v[143:144], v[153:154], v[3:4]
	scratch_load_b128 v[141:144], off, off offset:432
	s_waitcnt vmcnt(4)
	v_fma_f64 v[3:4], v[145:146], v[155:156], v[3:4]
	s_waitcnt lgkmcnt(0)
	s_delay_alu instid0(VALU_DEP_1)
	v_fma_f64 v[3:4], v[147:148], v[157:158], v[3:4]
	scratch_load_b128 v[145:148], off, off offset:448
	s_waitcnt vmcnt(4)
	v_fma_f64 v[3:4], v[149:150], v[159:160], v[3:4]
	ds_load_2addr_b64 v[153:156], v132 offset0:113 offset1:114
	ds_load_2addr_b64 v[157:160], v132 offset0:115 offset1:116
	s_waitcnt lgkmcnt(1)
	v_fma_f64 v[3:4], v[151:152], v[153:154], v[3:4]
	scratch_load_b128 v[149:152], off, off offset:464
	s_waitcnt vmcnt(4)
	v_fma_f64 v[3:4], v[133:134], v[155:156], v[3:4]
	s_waitcnt lgkmcnt(0)
	s_delay_alu instid0(VALU_DEP_1)
	v_fma_f64 v[3:4], v[135:136], v[157:158], v[3:4]
	scratch_load_b128 v[133:136], off, off offset:480
	s_waitcnt vmcnt(4)
	v_fma_f64 v[3:4], v[137:138], v[159:160], v[3:4]
	ds_load_2addr_b64 v[153:156], v132 offset0:117 offset1:118
	ds_load_2addr_b64 v[157:160], v132 offset0:119 offset1:120
	s_waitcnt lgkmcnt(1)
	v_fma_f64 v[3:4], v[139:140], v[153:154], v[3:4]
	scratch_load_b64 v[153:154], off, off offset:496
	s_waitcnt vmcnt(4)
	v_fma_f64 v[3:4], v[141:142], v[155:156], v[3:4]
	s_waitcnt lgkmcnt(0)
	s_delay_alu instid0(VALU_DEP_1)
	v_fma_f64 v[3:4], v[143:144], v[157:158], v[3:4]
	ds_load_2addr_b64 v[137:140], v132 offset0:121 offset1:122
	ds_load_2addr_b64 v[141:144], v132 offset0:123 offset1:124
	s_waitcnt vmcnt(3)
	v_fma_f64 v[3:4], v[145:146], v[159:160], v[3:4]
	s_waitcnt lgkmcnt(1)
	s_delay_alu instid0(VALU_DEP_1) | instskip(SKIP_1) | instid1(VALU_DEP_1)
	v_fma_f64 v[3:4], v[147:148], v[137:138], v[3:4]
	s_waitcnt vmcnt(2)
	v_fma_f64 v[3:4], v[149:150], v[139:140], v[3:4]
	ds_load_2addr_b64 v[137:140], v132 offset0:125 offset1:126
	s_waitcnt lgkmcnt(1)
	v_fma_f64 v[3:4], v[151:152], v[141:142], v[3:4]
	s_waitcnt vmcnt(1)
	s_delay_alu instid0(VALU_DEP_1) | instskip(SKIP_1) | instid1(VALU_DEP_1)
	v_fma_f64 v[3:4], v[133:134], v[143:144], v[3:4]
	s_waitcnt lgkmcnt(0)
	v_fma_f64 v[3:4], v[135:136], v[137:138], v[3:4]
	s_waitcnt vmcnt(0)
	s_delay_alu instid0(VALU_DEP_1) | instskip(NEXT) | instid1(VALU_DEP_1)
	v_fma_f64 v[3:4], v[153:154], v[139:140], v[3:4]
	v_add_f64 v[1:2], v[1:2], -v[3:4]
	scratch_store_b64 off, v[1:2], off offset:64
	v_cmpx_lt_u32_e32 7, v0
	s_cbranch_execz .LBB126_373
; %bb.372:
	scratch_load_b64 v[1:2], off, off offset:56
	v_mov_b32_e32 v3, 0
	s_delay_alu instid0(VALU_DEP_1)
	v_mov_b32_e32 v4, v3
	scratch_store_b64 off, v[3:4], off offset:56
	s_waitcnt vmcnt(0)
	ds_store_b64 v5, v[1:2]
.LBB126_373:
	s_or_b32 exec_lo, exec_lo, s0
	s_waitcnt lgkmcnt(0)
	s_waitcnt_vscnt null, 0x0
	s_barrier
	buffer_gl0_inv
	s_clause 0x4
	scratch_load_b128 v[1:4], off, off offset:56
	scratch_load_b128 v[133:136], off, off offset:72
	;; [unrolled: 1-line block ×5, first 2 shown]
	v_mov_b32_e32 v132, 0
	ds_load_b128 v[149:152], v132 offset:576
	ds_load_b128 v[153:156], v132 offset:592
	scratch_load_b128 v[157:160], off, off offset:136
	s_mov_b32 s0, exec_lo
	s_waitcnt vmcnt(5) lgkmcnt(1)
	v_fma_f64 v[3:4], v[3:4], v[149:150], 0
	s_waitcnt vmcnt(4)
	s_delay_alu instid0(VALU_DEP_1) | instskip(SKIP_1) | instid1(VALU_DEP_1)
	v_fma_f64 v[3:4], v[133:134], v[151:152], v[3:4]
	s_waitcnt lgkmcnt(0)
	v_fma_f64 v[3:4], v[135:136], v[153:154], v[3:4]
	scratch_load_b128 v[133:136], off, off offset:152
	s_waitcnt vmcnt(4)
	v_fma_f64 v[3:4], v[137:138], v[155:156], v[3:4]
	ds_load_b128 v[149:152], v132 offset:608
	ds_load_b128 v[153:156], v132 offset:624
	s_waitcnt lgkmcnt(1)
	v_fma_f64 v[3:4], v[139:140], v[149:150], v[3:4]
	scratch_load_b128 v[137:140], off, off offset:168
	s_waitcnt vmcnt(4)
	v_fma_f64 v[3:4], v[141:142], v[151:152], v[3:4]
	s_waitcnt lgkmcnt(0)
	s_delay_alu instid0(VALU_DEP_1)
	v_fma_f64 v[3:4], v[143:144], v[153:154], v[3:4]
	scratch_load_b128 v[141:144], off, off offset:184
	s_waitcnt vmcnt(4)
	v_fma_f64 v[3:4], v[145:146], v[155:156], v[3:4]
	ds_load_b128 v[149:152], v132 offset:640
	ds_load_b128 v[153:156], v132 offset:656
	s_waitcnt lgkmcnt(1)
	v_fma_f64 v[3:4], v[147:148], v[149:150], v[3:4]
	scratch_load_b128 v[145:148], off, off offset:200
	s_waitcnt vmcnt(4)
	v_fma_f64 v[3:4], v[157:158], v[151:152], v[3:4]
	scratch_load_b128 v[149:152], off, off offset:216
	s_waitcnt lgkmcnt(0)
	v_fma_f64 v[3:4], v[159:160], v[153:154], v[3:4]
	s_waitcnt vmcnt(4)
	s_delay_alu instid0(VALU_DEP_1)
	v_fma_f64 v[3:4], v[133:134], v[155:156], v[3:4]
	ds_load_b128 v[153:156], v132 offset:672
	ds_load_b128 v[157:160], v132 offset:688
	s_waitcnt lgkmcnt(1)
	v_fma_f64 v[3:4], v[135:136], v[153:154], v[3:4]
	scratch_load_b128 v[133:136], off, off offset:232
	s_waitcnt vmcnt(4)
	v_fma_f64 v[3:4], v[137:138], v[155:156], v[3:4]
	s_waitcnt lgkmcnt(0)
	s_delay_alu instid0(VALU_DEP_1)
	v_fma_f64 v[3:4], v[139:140], v[157:158], v[3:4]
	scratch_load_b128 v[137:140], off, off offset:248
	s_waitcnt vmcnt(4)
	v_fma_f64 v[3:4], v[141:142], v[159:160], v[3:4]
	ds_load_b128 v[153:156], v132 offset:704
	ds_load_b128 v[157:160], v132 offset:720
	s_waitcnt lgkmcnt(1)
	v_fma_f64 v[3:4], v[143:144], v[153:154], v[3:4]
	scratch_load_b128 v[141:144], off, off offset:264
	s_waitcnt vmcnt(4)
	v_fma_f64 v[3:4], v[145:146], v[155:156], v[3:4]
	s_waitcnt lgkmcnt(0)
	s_delay_alu instid0(VALU_DEP_1)
	v_fma_f64 v[3:4], v[147:148], v[157:158], v[3:4]
	scratch_load_b128 v[145:148], off, off offset:280
	s_waitcnt vmcnt(4)
	;; [unrolled: 13-line block ×8, first 2 shown]
	v_fma_f64 v[3:4], v[137:138], v[159:160], v[3:4]
	ds_load_b128 v[153:156], v132 offset:928
	ds_load_b128 v[157:160], v132 offset:944
	s_waitcnt lgkmcnt(1)
	v_fma_f64 v[3:4], v[139:140], v[153:154], v[3:4]
	scratch_load_b128 v[137:140], off, off offset:488
	s_waitcnt vmcnt(4)
	v_fma_f64 v[3:4], v[141:142], v[155:156], v[3:4]
	s_waitcnt lgkmcnt(0)
	s_delay_alu instid0(VALU_DEP_1)
	v_fma_f64 v[3:4], v[143:144], v[157:158], v[3:4]
	ds_load_b128 v[141:144], v132 offset:960
	ds_load_b128 v[153:156], v132 offset:976
	s_waitcnt vmcnt(3)
	v_fma_f64 v[3:4], v[145:146], v[159:160], v[3:4]
	s_waitcnt lgkmcnt(1)
	s_delay_alu instid0(VALU_DEP_1) | instskip(SKIP_1) | instid1(VALU_DEP_1)
	v_fma_f64 v[3:4], v[147:148], v[141:142], v[3:4]
	s_waitcnt vmcnt(2)
	v_fma_f64 v[3:4], v[149:150], v[143:144], v[3:4]
	s_waitcnt lgkmcnt(0)
	s_delay_alu instid0(VALU_DEP_1) | instskip(SKIP_1) | instid1(VALU_DEP_1)
	v_fma_f64 v[3:4], v[151:152], v[153:154], v[3:4]
	s_waitcnt vmcnt(1)
	v_fma_f64 v[3:4], v[133:134], v[155:156], v[3:4]
	ds_load_b128 v[141:144], v132 offset:992
	ds_load_b64 v[133:134], v132 offset:1008
	s_waitcnt lgkmcnt(1)
	v_fma_f64 v[3:4], v[135:136], v[141:142], v[3:4]
	s_waitcnt vmcnt(0)
	s_delay_alu instid0(VALU_DEP_1) | instskip(SKIP_1) | instid1(VALU_DEP_1)
	v_fma_f64 v[3:4], v[137:138], v[143:144], v[3:4]
	s_waitcnt lgkmcnt(0)
	v_fma_f64 v[3:4], v[139:140], v[133:134], v[3:4]
	s_delay_alu instid0(VALU_DEP_1)
	v_add_f64 v[1:2], v[1:2], -v[3:4]
	scratch_store_b64 off, v[1:2], off offset:56
	v_cmpx_lt_u32_e32 6, v0
	s_cbranch_execz .LBB126_375
; %bb.374:
	scratch_load_b64 v[1:2], off, off offset:48
	v_mov_b32_e32 v133, v132
	scratch_store_b64 off, v[132:133], off offset:48
	s_waitcnt vmcnt(0)
	ds_store_b64 v5, v[1:2]
.LBB126_375:
	s_or_b32 exec_lo, exec_lo, s0
	s_waitcnt lgkmcnt(0)
	s_waitcnt_vscnt null, 0x0
	s_barrier
	buffer_gl0_inv
	s_clause 0x4
	scratch_load_b128 v[1:4], off, off offset:48
	scratch_load_b128 v[133:136], off, off offset:64
	;; [unrolled: 1-line block ×5, first 2 shown]
	ds_load_2addr_b64 v[149:152], v132 offset0:71 offset1:72
	ds_load_2addr_b64 v[153:156], v132 offset0:73 offset1:74
	scratch_load_b128 v[157:160], off, off offset:128
	s_mov_b32 s0, exec_lo
	s_waitcnt vmcnt(5) lgkmcnt(1)
	v_fma_f64 v[3:4], v[3:4], v[149:150], 0
	s_waitcnt vmcnt(4)
	s_delay_alu instid0(VALU_DEP_1) | instskip(SKIP_1) | instid1(VALU_DEP_1)
	v_fma_f64 v[3:4], v[133:134], v[151:152], v[3:4]
	s_waitcnt lgkmcnt(0)
	v_fma_f64 v[3:4], v[135:136], v[153:154], v[3:4]
	scratch_load_b128 v[133:136], off, off offset:144
	s_waitcnt vmcnt(4)
	v_fma_f64 v[3:4], v[137:138], v[155:156], v[3:4]
	ds_load_2addr_b64 v[149:152], v132 offset0:75 offset1:76
	ds_load_2addr_b64 v[153:156], v132 offset0:77 offset1:78
	s_waitcnt lgkmcnt(1)
	v_fma_f64 v[3:4], v[139:140], v[149:150], v[3:4]
	scratch_load_b128 v[137:140], off, off offset:160
	s_waitcnt vmcnt(4)
	v_fma_f64 v[3:4], v[141:142], v[151:152], v[3:4]
	s_waitcnt lgkmcnt(0)
	s_delay_alu instid0(VALU_DEP_1)
	v_fma_f64 v[3:4], v[143:144], v[153:154], v[3:4]
	scratch_load_b128 v[141:144], off, off offset:176
	s_waitcnt vmcnt(4)
	v_fma_f64 v[3:4], v[145:146], v[155:156], v[3:4]
	ds_load_2addr_b64 v[149:152], v132 offset0:79 offset1:80
	ds_load_2addr_b64 v[153:156], v132 offset0:81 offset1:82
	s_waitcnt lgkmcnt(1)
	v_fma_f64 v[3:4], v[147:148], v[149:150], v[3:4]
	scratch_load_b128 v[145:148], off, off offset:192
	s_waitcnt vmcnt(4)
	v_fma_f64 v[3:4], v[157:158], v[151:152], v[3:4]
	scratch_load_b128 v[149:152], off, off offset:208
	s_waitcnt lgkmcnt(0)
	v_fma_f64 v[3:4], v[159:160], v[153:154], v[3:4]
	s_waitcnt vmcnt(4)
	s_delay_alu instid0(VALU_DEP_1)
	v_fma_f64 v[3:4], v[133:134], v[155:156], v[3:4]
	ds_load_2addr_b64 v[153:156], v132 offset0:83 offset1:84
	ds_load_2addr_b64 v[157:160], v132 offset0:85 offset1:86
	s_waitcnt lgkmcnt(1)
	v_fma_f64 v[3:4], v[135:136], v[153:154], v[3:4]
	scratch_load_b128 v[133:136], off, off offset:224
	s_waitcnt vmcnt(4)
	v_fma_f64 v[3:4], v[137:138], v[155:156], v[3:4]
	s_waitcnt lgkmcnt(0)
	s_delay_alu instid0(VALU_DEP_1)
	v_fma_f64 v[3:4], v[139:140], v[157:158], v[3:4]
	scratch_load_b128 v[137:140], off, off offset:240
	s_waitcnt vmcnt(4)
	v_fma_f64 v[3:4], v[141:142], v[159:160], v[3:4]
	ds_load_2addr_b64 v[153:156], v132 offset0:87 offset1:88
	ds_load_2addr_b64 v[157:160], v132 offset0:89 offset1:90
	s_waitcnt lgkmcnt(1)
	v_fma_f64 v[3:4], v[143:144], v[153:154], v[3:4]
	scratch_load_b128 v[141:144], off, off offset:256
	s_waitcnt vmcnt(4)
	v_fma_f64 v[3:4], v[145:146], v[155:156], v[3:4]
	s_waitcnt lgkmcnt(0)
	s_delay_alu instid0(VALU_DEP_1)
	v_fma_f64 v[3:4], v[147:148], v[157:158], v[3:4]
	scratch_load_b128 v[145:148], off, off offset:272
	s_waitcnt vmcnt(4)
	;; [unrolled: 13-line block ×8, first 2 shown]
	v_fma_f64 v[3:4], v[137:138], v[159:160], v[3:4]
	ds_load_2addr_b64 v[153:156], v132 offset0:115 offset1:116
	ds_load_2addr_b64 v[157:160], v132 offset0:117 offset1:118
	s_waitcnt lgkmcnt(1)
	v_fma_f64 v[3:4], v[139:140], v[153:154], v[3:4]
	scratch_load_b128 v[137:140], off, off offset:480
	s_waitcnt vmcnt(4)
	v_fma_f64 v[3:4], v[141:142], v[155:156], v[3:4]
	s_waitcnt lgkmcnt(0)
	s_delay_alu instid0(VALU_DEP_1)
	v_fma_f64 v[3:4], v[143:144], v[157:158], v[3:4]
	scratch_load_b64 v[157:158], off, off offset:496
	ds_load_2addr_b64 v[141:144], v132 offset0:119 offset1:120
	ds_load_2addr_b64 v[153:156], v132 offset0:121 offset1:122
	s_waitcnt vmcnt(4)
	v_fma_f64 v[3:4], v[145:146], v[159:160], v[3:4]
	s_waitcnt lgkmcnt(1)
	s_delay_alu instid0(VALU_DEP_1) | instskip(SKIP_1) | instid1(VALU_DEP_1)
	v_fma_f64 v[3:4], v[147:148], v[141:142], v[3:4]
	s_waitcnt vmcnt(3)
	v_fma_f64 v[3:4], v[149:150], v[143:144], v[3:4]
	ds_load_2addr_b64 v[141:144], v132 offset0:123 offset1:124
	ds_load_2addr_b64 v[145:148], v132 offset0:125 offset1:126
	s_waitcnt lgkmcnt(2)
	v_fma_f64 v[3:4], v[151:152], v[153:154], v[3:4]
	s_waitcnt vmcnt(2)
	s_delay_alu instid0(VALU_DEP_1) | instskip(SKIP_1) | instid1(VALU_DEP_1)
	v_fma_f64 v[3:4], v[133:134], v[155:156], v[3:4]
	s_waitcnt lgkmcnt(1)
	v_fma_f64 v[3:4], v[135:136], v[141:142], v[3:4]
	s_waitcnt vmcnt(1)
	s_delay_alu instid0(VALU_DEP_1) | instskip(SKIP_1) | instid1(VALU_DEP_1)
	v_fma_f64 v[3:4], v[137:138], v[143:144], v[3:4]
	s_waitcnt lgkmcnt(0)
	v_fma_f64 v[3:4], v[139:140], v[145:146], v[3:4]
	s_waitcnt vmcnt(0)
	s_delay_alu instid0(VALU_DEP_1) | instskip(NEXT) | instid1(VALU_DEP_1)
	v_fma_f64 v[3:4], v[157:158], v[147:148], v[3:4]
	v_add_f64 v[1:2], v[1:2], -v[3:4]
	scratch_store_b64 off, v[1:2], off offset:48
	v_cmpx_lt_u32_e32 5, v0
	s_cbranch_execz .LBB126_377
; %bb.376:
	scratch_load_b64 v[1:2], off, off offset:40
	v_mov_b32_e32 v3, 0
	s_delay_alu instid0(VALU_DEP_1)
	v_mov_b32_e32 v4, v3
	scratch_store_b64 off, v[3:4], off offset:40
	s_waitcnt vmcnt(0)
	ds_store_b64 v5, v[1:2]
.LBB126_377:
	s_or_b32 exec_lo, exec_lo, s0
	s_waitcnt lgkmcnt(0)
	s_waitcnt_vscnt null, 0x0
	s_barrier
	buffer_gl0_inv
	s_clause 0x4
	scratch_load_b128 v[1:4], off, off offset:40
	scratch_load_b128 v[133:136], off, off offset:56
	;; [unrolled: 1-line block ×5, first 2 shown]
	v_mov_b32_e32 v132, 0
	ds_load_b128 v[149:152], v132 offset:560
	ds_load_b128 v[153:156], v132 offset:576
	scratch_load_b128 v[157:160], off, off offset:120
	s_mov_b32 s0, exec_lo
	s_waitcnt vmcnt(5) lgkmcnt(1)
	v_fma_f64 v[3:4], v[3:4], v[149:150], 0
	s_waitcnt vmcnt(4)
	s_delay_alu instid0(VALU_DEP_1) | instskip(SKIP_1) | instid1(VALU_DEP_1)
	v_fma_f64 v[3:4], v[133:134], v[151:152], v[3:4]
	s_waitcnt lgkmcnt(0)
	v_fma_f64 v[3:4], v[135:136], v[153:154], v[3:4]
	scratch_load_b128 v[133:136], off, off offset:136
	s_waitcnt vmcnt(4)
	v_fma_f64 v[3:4], v[137:138], v[155:156], v[3:4]
	ds_load_b128 v[149:152], v132 offset:592
	ds_load_b128 v[153:156], v132 offset:608
	s_waitcnt lgkmcnt(1)
	v_fma_f64 v[3:4], v[139:140], v[149:150], v[3:4]
	scratch_load_b128 v[137:140], off, off offset:152
	s_waitcnt vmcnt(4)
	v_fma_f64 v[3:4], v[141:142], v[151:152], v[3:4]
	s_waitcnt lgkmcnt(0)
	s_delay_alu instid0(VALU_DEP_1)
	v_fma_f64 v[3:4], v[143:144], v[153:154], v[3:4]
	scratch_load_b128 v[141:144], off, off offset:168
	s_waitcnt vmcnt(4)
	v_fma_f64 v[3:4], v[145:146], v[155:156], v[3:4]
	ds_load_b128 v[149:152], v132 offset:624
	ds_load_b128 v[153:156], v132 offset:640
	s_waitcnt lgkmcnt(1)
	v_fma_f64 v[3:4], v[147:148], v[149:150], v[3:4]
	scratch_load_b128 v[145:148], off, off offset:184
	s_waitcnt vmcnt(4)
	v_fma_f64 v[3:4], v[157:158], v[151:152], v[3:4]
	scratch_load_b128 v[149:152], off, off offset:200
	s_waitcnt lgkmcnt(0)
	v_fma_f64 v[3:4], v[159:160], v[153:154], v[3:4]
	s_waitcnt vmcnt(4)
	s_delay_alu instid0(VALU_DEP_1)
	v_fma_f64 v[3:4], v[133:134], v[155:156], v[3:4]
	ds_load_b128 v[153:156], v132 offset:656
	ds_load_b128 v[157:160], v132 offset:672
	s_waitcnt lgkmcnt(1)
	v_fma_f64 v[3:4], v[135:136], v[153:154], v[3:4]
	scratch_load_b128 v[133:136], off, off offset:216
	s_waitcnt vmcnt(4)
	v_fma_f64 v[3:4], v[137:138], v[155:156], v[3:4]
	s_waitcnt lgkmcnt(0)
	s_delay_alu instid0(VALU_DEP_1)
	v_fma_f64 v[3:4], v[139:140], v[157:158], v[3:4]
	scratch_load_b128 v[137:140], off, off offset:232
	s_waitcnt vmcnt(4)
	v_fma_f64 v[3:4], v[141:142], v[159:160], v[3:4]
	ds_load_b128 v[153:156], v132 offset:688
	ds_load_b128 v[157:160], v132 offset:704
	s_waitcnt lgkmcnt(1)
	v_fma_f64 v[3:4], v[143:144], v[153:154], v[3:4]
	scratch_load_b128 v[141:144], off, off offset:248
	s_waitcnt vmcnt(4)
	v_fma_f64 v[3:4], v[145:146], v[155:156], v[3:4]
	s_waitcnt lgkmcnt(0)
	s_delay_alu instid0(VALU_DEP_1)
	v_fma_f64 v[3:4], v[147:148], v[157:158], v[3:4]
	scratch_load_b128 v[145:148], off, off offset:264
	s_waitcnt vmcnt(4)
	v_fma_f64 v[3:4], v[149:150], v[159:160], v[3:4]
	ds_load_b128 v[153:156], v132 offset:720
	ds_load_b128 v[157:160], v132 offset:736
	s_waitcnt lgkmcnt(1)
	v_fma_f64 v[3:4], v[151:152], v[153:154], v[3:4]
	scratch_load_b128 v[149:152], off, off offset:280
	s_waitcnt vmcnt(4)
	v_fma_f64 v[3:4], v[133:134], v[155:156], v[3:4]
	s_waitcnt lgkmcnt(0)
	s_delay_alu instid0(VALU_DEP_1)
	v_fma_f64 v[3:4], v[135:136], v[157:158], v[3:4]
	scratch_load_b128 v[133:136], off, off offset:296
	s_waitcnt vmcnt(4)
	v_fma_f64 v[3:4], v[137:138], v[159:160], v[3:4]
	ds_load_b128 v[153:156], v132 offset:752
	ds_load_b128 v[157:160], v132 offset:768
	s_waitcnt lgkmcnt(1)
	v_fma_f64 v[3:4], v[139:140], v[153:154], v[3:4]
	scratch_load_b128 v[137:140], off, off offset:312
	s_waitcnt vmcnt(4)
	v_fma_f64 v[3:4], v[141:142], v[155:156], v[3:4]
	s_waitcnt lgkmcnt(0)
	s_delay_alu instid0(VALU_DEP_1)
	v_fma_f64 v[3:4], v[143:144], v[157:158], v[3:4]
	scratch_load_b128 v[141:144], off, off offset:328
	s_waitcnt vmcnt(4)
	v_fma_f64 v[3:4], v[145:146], v[159:160], v[3:4]
	ds_load_b128 v[153:156], v132 offset:784
	ds_load_b128 v[157:160], v132 offset:800
	s_waitcnt lgkmcnt(1)
	v_fma_f64 v[3:4], v[147:148], v[153:154], v[3:4]
	scratch_load_b128 v[145:148], off, off offset:344
	s_waitcnt vmcnt(4)
	v_fma_f64 v[3:4], v[149:150], v[155:156], v[3:4]
	s_waitcnt lgkmcnt(0)
	s_delay_alu instid0(VALU_DEP_1)
	v_fma_f64 v[3:4], v[151:152], v[157:158], v[3:4]
	scratch_load_b128 v[149:152], off, off offset:360
	s_waitcnt vmcnt(4)
	v_fma_f64 v[3:4], v[133:134], v[159:160], v[3:4]
	ds_load_b128 v[153:156], v132 offset:816
	ds_load_b128 v[157:160], v132 offset:832
	s_waitcnt lgkmcnt(1)
	v_fma_f64 v[3:4], v[135:136], v[153:154], v[3:4]
	scratch_load_b128 v[133:136], off, off offset:376
	s_waitcnt vmcnt(4)
	v_fma_f64 v[3:4], v[137:138], v[155:156], v[3:4]
	s_waitcnt lgkmcnt(0)
	s_delay_alu instid0(VALU_DEP_1)
	v_fma_f64 v[3:4], v[139:140], v[157:158], v[3:4]
	scratch_load_b128 v[137:140], off, off offset:392
	s_waitcnt vmcnt(4)
	v_fma_f64 v[3:4], v[141:142], v[159:160], v[3:4]
	ds_load_b128 v[153:156], v132 offset:848
	ds_load_b128 v[157:160], v132 offset:864
	s_waitcnt lgkmcnt(1)
	v_fma_f64 v[3:4], v[143:144], v[153:154], v[3:4]
	scratch_load_b128 v[141:144], off, off offset:408
	s_waitcnt vmcnt(4)
	v_fma_f64 v[3:4], v[145:146], v[155:156], v[3:4]
	s_waitcnt lgkmcnt(0)
	s_delay_alu instid0(VALU_DEP_1)
	v_fma_f64 v[3:4], v[147:148], v[157:158], v[3:4]
	scratch_load_b128 v[145:148], off, off offset:424
	s_waitcnt vmcnt(4)
	v_fma_f64 v[3:4], v[149:150], v[159:160], v[3:4]
	ds_load_b128 v[153:156], v132 offset:880
	ds_load_b128 v[157:160], v132 offset:896
	s_waitcnt lgkmcnt(1)
	v_fma_f64 v[3:4], v[151:152], v[153:154], v[3:4]
	scratch_load_b128 v[149:152], off, off offset:440
	s_waitcnt vmcnt(4)
	v_fma_f64 v[3:4], v[133:134], v[155:156], v[3:4]
	s_waitcnt lgkmcnt(0)
	s_delay_alu instid0(VALU_DEP_1)
	v_fma_f64 v[3:4], v[135:136], v[157:158], v[3:4]
	scratch_load_b128 v[133:136], off, off offset:456
	s_waitcnt vmcnt(4)
	v_fma_f64 v[3:4], v[137:138], v[159:160], v[3:4]
	ds_load_b128 v[153:156], v132 offset:912
	ds_load_b128 v[157:160], v132 offset:928
	s_waitcnt lgkmcnt(1)
	v_fma_f64 v[3:4], v[139:140], v[153:154], v[3:4]
	scratch_load_b128 v[137:140], off, off offset:472
	s_waitcnt vmcnt(4)
	v_fma_f64 v[3:4], v[141:142], v[155:156], v[3:4]
	s_waitcnt lgkmcnt(0)
	s_delay_alu instid0(VALU_DEP_1)
	v_fma_f64 v[3:4], v[143:144], v[157:158], v[3:4]
	scratch_load_b128 v[141:144], off, off offset:488
	s_waitcnt vmcnt(4)
	v_fma_f64 v[3:4], v[145:146], v[159:160], v[3:4]
	ds_load_b128 v[153:156], v132 offset:944
	ds_load_b128 v[157:160], v132 offset:960
	s_waitcnt lgkmcnt(1)
	v_fma_f64 v[3:4], v[147:148], v[153:154], v[3:4]
	s_waitcnt vmcnt(3)
	s_delay_alu instid0(VALU_DEP_1) | instskip(SKIP_1) | instid1(VALU_DEP_1)
	v_fma_f64 v[3:4], v[149:150], v[155:156], v[3:4]
	s_waitcnt lgkmcnt(0)
	v_fma_f64 v[3:4], v[151:152], v[157:158], v[3:4]
	ds_load_b128 v[145:148], v132 offset:976
	ds_load_b128 v[149:152], v132 offset:992
	s_waitcnt vmcnt(2)
	v_fma_f64 v[3:4], v[133:134], v[159:160], v[3:4]
	ds_load_b64 v[133:134], v132 offset:1008
	s_waitcnt lgkmcnt(2)
	v_fma_f64 v[3:4], v[135:136], v[145:146], v[3:4]
	s_waitcnt vmcnt(1)
	s_delay_alu instid0(VALU_DEP_1) | instskip(SKIP_1) | instid1(VALU_DEP_1)
	v_fma_f64 v[3:4], v[137:138], v[147:148], v[3:4]
	s_waitcnt lgkmcnt(1)
	v_fma_f64 v[3:4], v[139:140], v[149:150], v[3:4]
	s_waitcnt vmcnt(0)
	s_delay_alu instid0(VALU_DEP_1) | instskip(SKIP_1) | instid1(VALU_DEP_1)
	v_fma_f64 v[3:4], v[141:142], v[151:152], v[3:4]
	s_waitcnt lgkmcnt(0)
	v_fma_f64 v[3:4], v[143:144], v[133:134], v[3:4]
	s_delay_alu instid0(VALU_DEP_1)
	v_add_f64 v[1:2], v[1:2], -v[3:4]
	scratch_store_b64 off, v[1:2], off offset:40
	v_cmpx_lt_u32_e32 4, v0
	s_cbranch_execz .LBB126_379
; %bb.378:
	scratch_load_b64 v[1:2], off, off offset:32
	v_mov_b32_e32 v133, v132
	scratch_store_b64 off, v[132:133], off offset:32
	s_waitcnt vmcnt(0)
	ds_store_b64 v5, v[1:2]
.LBB126_379:
	s_or_b32 exec_lo, exec_lo, s0
	s_waitcnt lgkmcnt(0)
	s_waitcnt_vscnt null, 0x0
	s_barrier
	buffer_gl0_inv
	s_clause 0x4
	scratch_load_b128 v[1:4], off, off offset:32
	scratch_load_b128 v[133:136], off, off offset:48
	;; [unrolled: 1-line block ×5, first 2 shown]
	ds_load_2addr_b64 v[149:152], v132 offset0:69 offset1:70
	ds_load_2addr_b64 v[153:156], v132 offset0:71 offset1:72
	scratch_load_b128 v[157:160], off, off offset:112
	s_mov_b32 s0, exec_lo
	s_waitcnt vmcnt(5) lgkmcnt(1)
	v_fma_f64 v[3:4], v[3:4], v[149:150], 0
	s_waitcnt vmcnt(4)
	s_delay_alu instid0(VALU_DEP_1) | instskip(SKIP_1) | instid1(VALU_DEP_1)
	v_fma_f64 v[3:4], v[133:134], v[151:152], v[3:4]
	s_waitcnt lgkmcnt(0)
	v_fma_f64 v[3:4], v[135:136], v[153:154], v[3:4]
	scratch_load_b128 v[133:136], off, off offset:128
	s_waitcnt vmcnt(4)
	v_fma_f64 v[3:4], v[137:138], v[155:156], v[3:4]
	ds_load_2addr_b64 v[149:152], v132 offset0:73 offset1:74
	ds_load_2addr_b64 v[153:156], v132 offset0:75 offset1:76
	s_waitcnt lgkmcnt(1)
	v_fma_f64 v[3:4], v[139:140], v[149:150], v[3:4]
	scratch_load_b128 v[137:140], off, off offset:144
	s_waitcnt vmcnt(4)
	v_fma_f64 v[3:4], v[141:142], v[151:152], v[3:4]
	s_waitcnt lgkmcnt(0)
	s_delay_alu instid0(VALU_DEP_1)
	v_fma_f64 v[3:4], v[143:144], v[153:154], v[3:4]
	scratch_load_b128 v[141:144], off, off offset:160
	s_waitcnt vmcnt(4)
	v_fma_f64 v[3:4], v[145:146], v[155:156], v[3:4]
	ds_load_2addr_b64 v[149:152], v132 offset0:77 offset1:78
	ds_load_2addr_b64 v[153:156], v132 offset0:79 offset1:80
	s_waitcnt lgkmcnt(1)
	v_fma_f64 v[3:4], v[147:148], v[149:150], v[3:4]
	scratch_load_b128 v[145:148], off, off offset:176
	s_waitcnt vmcnt(4)
	v_fma_f64 v[3:4], v[157:158], v[151:152], v[3:4]
	scratch_load_b128 v[149:152], off, off offset:192
	s_waitcnt lgkmcnt(0)
	v_fma_f64 v[3:4], v[159:160], v[153:154], v[3:4]
	s_waitcnt vmcnt(4)
	s_delay_alu instid0(VALU_DEP_1)
	v_fma_f64 v[3:4], v[133:134], v[155:156], v[3:4]
	ds_load_2addr_b64 v[153:156], v132 offset0:81 offset1:82
	ds_load_2addr_b64 v[157:160], v132 offset0:83 offset1:84
	s_waitcnt lgkmcnt(1)
	v_fma_f64 v[3:4], v[135:136], v[153:154], v[3:4]
	scratch_load_b128 v[133:136], off, off offset:208
	s_waitcnt vmcnt(4)
	v_fma_f64 v[3:4], v[137:138], v[155:156], v[3:4]
	s_waitcnt lgkmcnt(0)
	s_delay_alu instid0(VALU_DEP_1)
	v_fma_f64 v[3:4], v[139:140], v[157:158], v[3:4]
	scratch_load_b128 v[137:140], off, off offset:224
	s_waitcnt vmcnt(4)
	v_fma_f64 v[3:4], v[141:142], v[159:160], v[3:4]
	ds_load_2addr_b64 v[153:156], v132 offset0:85 offset1:86
	ds_load_2addr_b64 v[157:160], v132 offset0:87 offset1:88
	s_waitcnt lgkmcnt(1)
	v_fma_f64 v[3:4], v[143:144], v[153:154], v[3:4]
	scratch_load_b128 v[141:144], off, off offset:240
	s_waitcnt vmcnt(4)
	v_fma_f64 v[3:4], v[145:146], v[155:156], v[3:4]
	s_waitcnt lgkmcnt(0)
	s_delay_alu instid0(VALU_DEP_1)
	v_fma_f64 v[3:4], v[147:148], v[157:158], v[3:4]
	scratch_load_b128 v[145:148], off, off offset:256
	s_waitcnt vmcnt(4)
	;; [unrolled: 13-line block ×9, first 2 shown]
	v_fma_f64 v[3:4], v[145:146], v[159:160], v[3:4]
	ds_load_2addr_b64 v[153:156], v132 offset0:117 offset1:118
	ds_load_2addr_b64 v[157:160], v132 offset0:119 offset1:120
	s_waitcnt lgkmcnt(1)
	v_fma_f64 v[3:4], v[147:148], v[153:154], v[3:4]
	scratch_load_b64 v[153:154], off, off offset:496
	s_waitcnt vmcnt(4)
	v_fma_f64 v[3:4], v[149:150], v[155:156], v[3:4]
	s_waitcnt lgkmcnt(0)
	s_delay_alu instid0(VALU_DEP_1)
	v_fma_f64 v[3:4], v[151:152], v[157:158], v[3:4]
	ds_load_2addr_b64 v[145:148], v132 offset0:121 offset1:122
	ds_load_2addr_b64 v[149:152], v132 offset0:123 offset1:124
	s_waitcnt vmcnt(3)
	v_fma_f64 v[3:4], v[133:134], v[159:160], v[3:4]
	s_waitcnt lgkmcnt(1)
	s_delay_alu instid0(VALU_DEP_1) | instskip(SKIP_4) | instid1(VALU_DEP_1)
	v_fma_f64 v[3:4], v[135:136], v[145:146], v[3:4]
	ds_load_2addr_b64 v[132:135], v132 offset0:125 offset1:126
	s_waitcnt vmcnt(2)
	v_fma_f64 v[3:4], v[137:138], v[147:148], v[3:4]
	s_waitcnt lgkmcnt(1)
	v_fma_f64 v[3:4], v[139:140], v[149:150], v[3:4]
	s_waitcnt vmcnt(1)
	s_delay_alu instid0(VALU_DEP_1) | instskip(SKIP_1) | instid1(VALU_DEP_1)
	v_fma_f64 v[3:4], v[141:142], v[151:152], v[3:4]
	s_waitcnt lgkmcnt(0)
	v_fma_f64 v[3:4], v[143:144], v[132:133], v[3:4]
	s_waitcnt vmcnt(0)
	s_delay_alu instid0(VALU_DEP_1) | instskip(NEXT) | instid1(VALU_DEP_1)
	v_fma_f64 v[3:4], v[153:154], v[134:135], v[3:4]
	v_add_f64 v[1:2], v[1:2], -v[3:4]
	scratch_store_b64 off, v[1:2], off offset:32
	v_cmpx_lt_u32_e32 3, v0
	s_cbranch_execz .LBB126_381
; %bb.380:
	scratch_load_b64 v[1:2], off, off offset:24
	v_mov_b32_e32 v3, 0
	s_delay_alu instid0(VALU_DEP_1)
	v_mov_b32_e32 v4, v3
	scratch_store_b64 off, v[3:4], off offset:24
	s_waitcnt vmcnt(0)
	ds_store_b64 v5, v[1:2]
.LBB126_381:
	s_or_b32 exec_lo, exec_lo, s0
	s_waitcnt lgkmcnt(0)
	s_waitcnt_vscnt null, 0x0
	s_barrier
	buffer_gl0_inv
	s_clause 0x4
	scratch_load_b128 v[1:4], off, off offset:24
	scratch_load_b128 v[133:136], off, off offset:40
	scratch_load_b128 v[137:140], off, off offset:56
	scratch_load_b128 v[141:144], off, off offset:72
	scratch_load_b128 v[145:148], off, off offset:88
	v_mov_b32_e32 v132, 0
	ds_load_b128 v[149:152], v132 offset:544
	ds_load_b128 v[153:156], v132 offset:560
	scratch_load_b128 v[157:160], off, off offset:104
	s_mov_b32 s0, exec_lo
	s_waitcnt vmcnt(5) lgkmcnt(1)
	v_fma_f64 v[3:4], v[3:4], v[149:150], 0
	s_waitcnt vmcnt(4)
	s_delay_alu instid0(VALU_DEP_1) | instskip(SKIP_1) | instid1(VALU_DEP_1)
	v_fma_f64 v[3:4], v[133:134], v[151:152], v[3:4]
	s_waitcnt lgkmcnt(0)
	v_fma_f64 v[3:4], v[135:136], v[153:154], v[3:4]
	scratch_load_b128 v[133:136], off, off offset:120
	s_waitcnt vmcnt(4)
	v_fma_f64 v[3:4], v[137:138], v[155:156], v[3:4]
	ds_load_b128 v[149:152], v132 offset:576
	ds_load_b128 v[153:156], v132 offset:592
	s_waitcnt lgkmcnt(1)
	v_fma_f64 v[3:4], v[139:140], v[149:150], v[3:4]
	scratch_load_b128 v[137:140], off, off offset:136
	s_waitcnt vmcnt(4)
	v_fma_f64 v[3:4], v[141:142], v[151:152], v[3:4]
	s_waitcnt lgkmcnt(0)
	s_delay_alu instid0(VALU_DEP_1)
	v_fma_f64 v[3:4], v[143:144], v[153:154], v[3:4]
	scratch_load_b128 v[141:144], off, off offset:152
	s_waitcnt vmcnt(4)
	v_fma_f64 v[3:4], v[145:146], v[155:156], v[3:4]
	ds_load_b128 v[149:152], v132 offset:608
	ds_load_b128 v[153:156], v132 offset:624
	s_waitcnt lgkmcnt(1)
	v_fma_f64 v[3:4], v[147:148], v[149:150], v[3:4]
	scratch_load_b128 v[145:148], off, off offset:168
	s_waitcnt vmcnt(4)
	v_fma_f64 v[3:4], v[157:158], v[151:152], v[3:4]
	scratch_load_b128 v[149:152], off, off offset:184
	s_waitcnt lgkmcnt(0)
	v_fma_f64 v[3:4], v[159:160], v[153:154], v[3:4]
	s_waitcnt vmcnt(4)
	s_delay_alu instid0(VALU_DEP_1)
	v_fma_f64 v[3:4], v[133:134], v[155:156], v[3:4]
	ds_load_b128 v[153:156], v132 offset:640
	ds_load_b128 v[157:160], v132 offset:656
	s_waitcnt lgkmcnt(1)
	v_fma_f64 v[3:4], v[135:136], v[153:154], v[3:4]
	scratch_load_b128 v[133:136], off, off offset:200
	s_waitcnt vmcnt(4)
	v_fma_f64 v[3:4], v[137:138], v[155:156], v[3:4]
	s_waitcnt lgkmcnt(0)
	s_delay_alu instid0(VALU_DEP_1)
	v_fma_f64 v[3:4], v[139:140], v[157:158], v[3:4]
	scratch_load_b128 v[137:140], off, off offset:216
	s_waitcnt vmcnt(4)
	v_fma_f64 v[3:4], v[141:142], v[159:160], v[3:4]
	ds_load_b128 v[153:156], v132 offset:672
	ds_load_b128 v[157:160], v132 offset:688
	s_waitcnt lgkmcnt(1)
	v_fma_f64 v[3:4], v[143:144], v[153:154], v[3:4]
	scratch_load_b128 v[141:144], off, off offset:232
	s_waitcnt vmcnt(4)
	v_fma_f64 v[3:4], v[145:146], v[155:156], v[3:4]
	s_waitcnt lgkmcnt(0)
	s_delay_alu instid0(VALU_DEP_1)
	v_fma_f64 v[3:4], v[147:148], v[157:158], v[3:4]
	scratch_load_b128 v[145:148], off, off offset:248
	s_waitcnt vmcnt(4)
	;; [unrolled: 13-line block ×9, first 2 shown]
	v_fma_f64 v[3:4], v[145:146], v[159:160], v[3:4]
	ds_load_b128 v[153:156], v132 offset:928
	ds_load_b128 v[157:160], v132 offset:944
	s_waitcnt lgkmcnt(1)
	v_fma_f64 v[3:4], v[147:148], v[153:154], v[3:4]
	scratch_load_b128 v[145:148], off, off offset:488
	s_waitcnt vmcnt(4)
	v_fma_f64 v[3:4], v[149:150], v[155:156], v[3:4]
	s_waitcnt lgkmcnt(0)
	s_delay_alu instid0(VALU_DEP_1)
	v_fma_f64 v[3:4], v[151:152], v[157:158], v[3:4]
	ds_load_b128 v[149:152], v132 offset:960
	ds_load_b128 v[153:156], v132 offset:976
	s_waitcnt vmcnt(3)
	v_fma_f64 v[3:4], v[133:134], v[159:160], v[3:4]
	s_waitcnt lgkmcnt(1)
	s_delay_alu instid0(VALU_DEP_1) | instskip(SKIP_1) | instid1(VALU_DEP_1)
	v_fma_f64 v[3:4], v[135:136], v[149:150], v[3:4]
	s_waitcnt vmcnt(2)
	v_fma_f64 v[3:4], v[137:138], v[151:152], v[3:4]
	ds_load_b128 v[133:136], v132 offset:992
	ds_load_b64 v[137:138], v132 offset:1008
	s_waitcnt lgkmcnt(2)
	v_fma_f64 v[3:4], v[139:140], v[153:154], v[3:4]
	s_waitcnt vmcnt(1)
	s_delay_alu instid0(VALU_DEP_1) | instskip(SKIP_1) | instid1(VALU_DEP_1)
	v_fma_f64 v[3:4], v[141:142], v[155:156], v[3:4]
	s_waitcnt lgkmcnt(1)
	v_fma_f64 v[3:4], v[143:144], v[133:134], v[3:4]
	s_waitcnt vmcnt(0)
	s_delay_alu instid0(VALU_DEP_1) | instskip(SKIP_1) | instid1(VALU_DEP_1)
	v_fma_f64 v[3:4], v[145:146], v[135:136], v[3:4]
	s_waitcnt lgkmcnt(0)
	v_fma_f64 v[3:4], v[147:148], v[137:138], v[3:4]
	s_delay_alu instid0(VALU_DEP_1)
	v_add_f64 v[1:2], v[1:2], -v[3:4]
	scratch_store_b64 off, v[1:2], off offset:24
	v_cmpx_lt_u32_e32 2, v0
	s_cbranch_execz .LBB126_383
; %bb.382:
	scratch_load_b64 v[1:2], off, off offset:16
	v_mov_b32_e32 v133, v132
	scratch_store_b64 off, v[132:133], off offset:16
	s_waitcnt vmcnt(0)
	ds_store_b64 v5, v[1:2]
.LBB126_383:
	s_or_b32 exec_lo, exec_lo, s0
	s_waitcnt lgkmcnt(0)
	s_waitcnt_vscnt null, 0x0
	s_barrier
	buffer_gl0_inv
	s_clause 0x4
	scratch_load_b128 v[1:4], off, off offset:16
	scratch_load_b128 v[133:136], off, off offset:32
	;; [unrolled: 1-line block ×5, first 2 shown]
	ds_load_2addr_b64 v[149:152], v132 offset0:67 offset1:68
	ds_load_2addr_b64 v[153:156], v132 offset0:69 offset1:70
	scratch_load_b128 v[157:160], off, off offset:96
	s_mov_b32 s0, exec_lo
	s_waitcnt vmcnt(5) lgkmcnt(1)
	v_fma_f64 v[3:4], v[3:4], v[149:150], 0
	s_waitcnt vmcnt(4)
	s_delay_alu instid0(VALU_DEP_1) | instskip(SKIP_1) | instid1(VALU_DEP_1)
	v_fma_f64 v[3:4], v[133:134], v[151:152], v[3:4]
	s_waitcnt lgkmcnt(0)
	v_fma_f64 v[3:4], v[135:136], v[153:154], v[3:4]
	scratch_load_b128 v[133:136], off, off offset:112
	s_waitcnt vmcnt(4)
	v_fma_f64 v[3:4], v[137:138], v[155:156], v[3:4]
	ds_load_2addr_b64 v[149:152], v132 offset0:71 offset1:72
	ds_load_2addr_b64 v[153:156], v132 offset0:73 offset1:74
	s_waitcnt lgkmcnt(1)
	v_fma_f64 v[3:4], v[139:140], v[149:150], v[3:4]
	scratch_load_b128 v[137:140], off, off offset:128
	s_waitcnt vmcnt(4)
	v_fma_f64 v[3:4], v[141:142], v[151:152], v[3:4]
	s_waitcnt lgkmcnt(0)
	s_delay_alu instid0(VALU_DEP_1)
	v_fma_f64 v[3:4], v[143:144], v[153:154], v[3:4]
	scratch_load_b128 v[141:144], off, off offset:144
	s_waitcnt vmcnt(4)
	v_fma_f64 v[3:4], v[145:146], v[155:156], v[3:4]
	ds_load_2addr_b64 v[149:152], v132 offset0:75 offset1:76
	ds_load_2addr_b64 v[153:156], v132 offset0:77 offset1:78
	s_waitcnt lgkmcnt(1)
	v_fma_f64 v[3:4], v[147:148], v[149:150], v[3:4]
	scratch_load_b128 v[145:148], off, off offset:160
	s_waitcnt vmcnt(4)
	v_fma_f64 v[3:4], v[157:158], v[151:152], v[3:4]
	scratch_load_b128 v[149:152], off, off offset:176
	s_waitcnt lgkmcnt(0)
	v_fma_f64 v[3:4], v[159:160], v[153:154], v[3:4]
	s_waitcnt vmcnt(4)
	s_delay_alu instid0(VALU_DEP_1)
	v_fma_f64 v[3:4], v[133:134], v[155:156], v[3:4]
	ds_load_2addr_b64 v[153:156], v132 offset0:79 offset1:80
	ds_load_2addr_b64 v[157:160], v132 offset0:81 offset1:82
	s_waitcnt lgkmcnt(1)
	v_fma_f64 v[3:4], v[135:136], v[153:154], v[3:4]
	scratch_load_b128 v[133:136], off, off offset:192
	s_waitcnt vmcnt(4)
	v_fma_f64 v[3:4], v[137:138], v[155:156], v[3:4]
	s_waitcnt lgkmcnt(0)
	s_delay_alu instid0(VALU_DEP_1)
	v_fma_f64 v[3:4], v[139:140], v[157:158], v[3:4]
	scratch_load_b128 v[137:140], off, off offset:208
	s_waitcnt vmcnt(4)
	v_fma_f64 v[3:4], v[141:142], v[159:160], v[3:4]
	ds_load_2addr_b64 v[153:156], v132 offset0:83 offset1:84
	ds_load_2addr_b64 v[157:160], v132 offset0:85 offset1:86
	s_waitcnt lgkmcnt(1)
	v_fma_f64 v[3:4], v[143:144], v[153:154], v[3:4]
	scratch_load_b128 v[141:144], off, off offset:224
	s_waitcnt vmcnt(4)
	v_fma_f64 v[3:4], v[145:146], v[155:156], v[3:4]
	s_waitcnt lgkmcnt(0)
	s_delay_alu instid0(VALU_DEP_1)
	v_fma_f64 v[3:4], v[147:148], v[157:158], v[3:4]
	scratch_load_b128 v[145:148], off, off offset:240
	s_waitcnt vmcnt(4)
	;; [unrolled: 13-line block ×9, first 2 shown]
	v_fma_f64 v[3:4], v[145:146], v[159:160], v[3:4]
	ds_load_2addr_b64 v[153:156], v132 offset0:115 offset1:116
	ds_load_2addr_b64 v[157:160], v132 offset0:117 offset1:118
	s_waitcnt lgkmcnt(1)
	v_fma_f64 v[3:4], v[147:148], v[153:154], v[3:4]
	scratch_load_b128 v[145:148], off, off offset:480
	s_waitcnt vmcnt(4)
	v_fma_f64 v[3:4], v[149:150], v[155:156], v[3:4]
	s_waitcnt lgkmcnt(0)
	s_delay_alu instid0(VALU_DEP_1)
	v_fma_f64 v[3:4], v[151:152], v[157:158], v[3:4]
	scratch_load_b64 v[157:158], off, off offset:496
	ds_load_2addr_b64 v[149:152], v132 offset0:119 offset1:120
	ds_load_2addr_b64 v[153:156], v132 offset0:121 offset1:122
	s_waitcnt vmcnt(4)
	v_fma_f64 v[3:4], v[133:134], v[159:160], v[3:4]
	s_waitcnt lgkmcnt(1)
	s_delay_alu instid0(VALU_DEP_1) | instskip(SKIP_1) | instid1(VALU_DEP_1)
	v_fma_f64 v[3:4], v[135:136], v[149:150], v[3:4]
	s_waitcnt vmcnt(3)
	v_fma_f64 v[3:4], v[137:138], v[151:152], v[3:4]
	s_waitcnt lgkmcnt(0)
	s_delay_alu instid0(VALU_DEP_1)
	v_fma_f64 v[3:4], v[139:140], v[153:154], v[3:4]
	ds_load_2addr_b64 v[133:136], v132 offset0:123 offset1:124
	ds_load_2addr_b64 v[137:140], v132 offset0:125 offset1:126
	s_waitcnt vmcnt(2)
	v_fma_f64 v[3:4], v[141:142], v[155:156], v[3:4]
	s_waitcnt lgkmcnt(1)
	s_delay_alu instid0(VALU_DEP_1) | instskip(SKIP_1) | instid1(VALU_DEP_1)
	v_fma_f64 v[3:4], v[143:144], v[133:134], v[3:4]
	s_waitcnt vmcnt(1)
	v_fma_f64 v[3:4], v[145:146], v[135:136], v[3:4]
	s_waitcnt lgkmcnt(0)
	s_delay_alu instid0(VALU_DEP_1) | instskip(SKIP_1) | instid1(VALU_DEP_1)
	v_fma_f64 v[3:4], v[147:148], v[137:138], v[3:4]
	s_waitcnt vmcnt(0)
	v_fma_f64 v[3:4], v[157:158], v[139:140], v[3:4]
	s_delay_alu instid0(VALU_DEP_1)
	v_add_f64 v[1:2], v[1:2], -v[3:4]
	scratch_store_b64 off, v[1:2], off offset:16
	v_cmpx_lt_u32_e32 1, v0
	s_cbranch_execz .LBB126_385
; %bb.384:
	scratch_load_b64 v[1:2], off, off offset:8
	v_mov_b32_e32 v3, 0
	s_delay_alu instid0(VALU_DEP_1)
	v_mov_b32_e32 v4, v3
	scratch_store_b64 off, v[3:4], off offset:8
	s_waitcnt vmcnt(0)
	ds_store_b64 v5, v[1:2]
.LBB126_385:
	s_or_b32 exec_lo, exec_lo, s0
	s_waitcnt lgkmcnt(0)
	s_waitcnt_vscnt null, 0x0
	s_barrier
	buffer_gl0_inv
	s_clause 0x4
	scratch_load_b128 v[1:4], off, off offset:8
	scratch_load_b128 v[133:136], off, off offset:24
	;; [unrolled: 1-line block ×5, first 2 shown]
	v_mov_b32_e32 v132, 0
	ds_load_b128 v[149:152], v132 offset:528
	ds_load_b128 v[153:156], v132 offset:544
	scratch_load_b128 v[157:160], off, off offset:88
	s_mov_b32 s0, exec_lo
	s_waitcnt vmcnt(5) lgkmcnt(1)
	v_fma_f64 v[3:4], v[3:4], v[149:150], 0
	s_waitcnt vmcnt(4)
	s_delay_alu instid0(VALU_DEP_1) | instskip(SKIP_1) | instid1(VALU_DEP_1)
	v_fma_f64 v[3:4], v[133:134], v[151:152], v[3:4]
	s_waitcnt lgkmcnt(0)
	v_fma_f64 v[3:4], v[135:136], v[153:154], v[3:4]
	scratch_load_b128 v[133:136], off, off offset:104
	s_waitcnt vmcnt(4)
	v_fma_f64 v[3:4], v[137:138], v[155:156], v[3:4]
	ds_load_b128 v[149:152], v132 offset:560
	ds_load_b128 v[153:156], v132 offset:576
	s_waitcnt lgkmcnt(1)
	v_fma_f64 v[3:4], v[139:140], v[149:150], v[3:4]
	scratch_load_b128 v[137:140], off, off offset:120
	s_waitcnt vmcnt(4)
	v_fma_f64 v[3:4], v[141:142], v[151:152], v[3:4]
	s_waitcnt lgkmcnt(0)
	s_delay_alu instid0(VALU_DEP_1)
	v_fma_f64 v[3:4], v[143:144], v[153:154], v[3:4]
	scratch_load_b128 v[141:144], off, off offset:136
	s_waitcnt vmcnt(4)
	v_fma_f64 v[3:4], v[145:146], v[155:156], v[3:4]
	ds_load_b128 v[149:152], v132 offset:592
	ds_load_b128 v[153:156], v132 offset:608
	s_waitcnt lgkmcnt(1)
	v_fma_f64 v[3:4], v[147:148], v[149:150], v[3:4]
	scratch_load_b128 v[145:148], off, off offset:152
	s_waitcnt vmcnt(4)
	v_fma_f64 v[3:4], v[157:158], v[151:152], v[3:4]
	scratch_load_b128 v[149:152], off, off offset:168
	s_waitcnt lgkmcnt(0)
	v_fma_f64 v[3:4], v[159:160], v[153:154], v[3:4]
	s_waitcnt vmcnt(4)
	s_delay_alu instid0(VALU_DEP_1)
	v_fma_f64 v[3:4], v[133:134], v[155:156], v[3:4]
	ds_load_b128 v[153:156], v132 offset:624
	ds_load_b128 v[157:160], v132 offset:640
	s_waitcnt lgkmcnt(1)
	v_fma_f64 v[3:4], v[135:136], v[153:154], v[3:4]
	scratch_load_b128 v[133:136], off, off offset:184
	s_waitcnt vmcnt(4)
	v_fma_f64 v[3:4], v[137:138], v[155:156], v[3:4]
	s_waitcnt lgkmcnt(0)
	s_delay_alu instid0(VALU_DEP_1)
	v_fma_f64 v[3:4], v[139:140], v[157:158], v[3:4]
	scratch_load_b128 v[137:140], off, off offset:200
	s_waitcnt vmcnt(4)
	v_fma_f64 v[3:4], v[141:142], v[159:160], v[3:4]
	ds_load_b128 v[153:156], v132 offset:656
	ds_load_b128 v[157:160], v132 offset:672
	s_waitcnt lgkmcnt(1)
	v_fma_f64 v[3:4], v[143:144], v[153:154], v[3:4]
	scratch_load_b128 v[141:144], off, off offset:216
	s_waitcnt vmcnt(4)
	v_fma_f64 v[3:4], v[145:146], v[155:156], v[3:4]
	s_waitcnt lgkmcnt(0)
	s_delay_alu instid0(VALU_DEP_1)
	v_fma_f64 v[3:4], v[147:148], v[157:158], v[3:4]
	scratch_load_b128 v[145:148], off, off offset:232
	s_waitcnt vmcnt(4)
	;; [unrolled: 13-line block ×10, first 2 shown]
	v_fma_f64 v[3:4], v[133:134], v[159:160], v[3:4]
	ds_load_b128 v[153:156], v132 offset:944
	ds_load_b128 v[157:160], v132 offset:960
	s_waitcnt lgkmcnt(1)
	v_fma_f64 v[3:4], v[135:136], v[153:154], v[3:4]
	s_waitcnt vmcnt(3)
	s_delay_alu instid0(VALU_DEP_1) | instskip(SKIP_1) | instid1(VALU_DEP_1)
	v_fma_f64 v[3:4], v[137:138], v[155:156], v[3:4]
	s_waitcnt lgkmcnt(0)
	v_fma_f64 v[3:4], v[139:140], v[157:158], v[3:4]
	ds_load_b128 v[133:136], v132 offset:976
	ds_load_b128 v[137:140], v132 offset:992
	s_waitcnt vmcnt(2)
	v_fma_f64 v[3:4], v[141:142], v[159:160], v[3:4]
	s_waitcnt lgkmcnt(1)
	s_delay_alu instid0(VALU_DEP_1) | instskip(SKIP_4) | instid1(VALU_DEP_1)
	v_fma_f64 v[3:4], v[143:144], v[133:134], v[3:4]
	ds_load_b64 v[133:134], v132 offset:1008
	s_waitcnt vmcnt(1)
	v_fma_f64 v[3:4], v[145:146], v[135:136], v[3:4]
	s_waitcnt lgkmcnt(1)
	v_fma_f64 v[3:4], v[147:148], v[137:138], v[3:4]
	s_waitcnt vmcnt(0)
	s_delay_alu instid0(VALU_DEP_1) | instskip(SKIP_1) | instid1(VALU_DEP_1)
	v_fma_f64 v[3:4], v[149:150], v[139:140], v[3:4]
	s_waitcnt lgkmcnt(0)
	v_fma_f64 v[3:4], v[151:152], v[133:134], v[3:4]
	s_delay_alu instid0(VALU_DEP_1)
	v_add_f64 v[1:2], v[1:2], -v[3:4]
	scratch_store_b64 off, v[1:2], off offset:8
	v_cmpx_ne_u32_e32 0, v0
	s_cbranch_execz .LBB126_387
; %bb.386:
	scratch_load_b64 v[0:1], off, off
	v_mov_b32_e32 v133, v132
	scratch_store_b64 off, v[132:133], off
	s_waitcnt vmcnt(0)
	ds_store_b64 v5, v[0:1]
.LBB126_387:
	s_or_b32 exec_lo, exec_lo, s0
	s_waitcnt lgkmcnt(0)
	s_waitcnt_vscnt null, 0x0
	s_barrier
	buffer_gl0_inv
	s_clause 0x4
	scratch_load_b128 v[0:3], off, off
	scratch_load_b128 v[133:136], off, off offset:16
	scratch_load_b128 v[137:140], off, off offset:32
	;; [unrolled: 1-line block ×4, first 2 shown]
	ds_load_2addr_b64 v[149:152], v132 offset0:65 offset1:66
	ds_load_2addr_b64 v[153:156], v132 offset0:67 offset1:68
	s_and_b32 vcc_lo, exec_lo, s12
	s_waitcnt vmcnt(4) lgkmcnt(1)
	v_fma_f64 v[149:150], v[2:3], v[149:150], 0
	scratch_load_b128 v[2:5], off, off offset:80
	s_waitcnt vmcnt(4)
	v_fma_f64 v[133:134], v[133:134], v[151:152], v[149:150]
	s_waitcnt lgkmcnt(0)
	s_delay_alu instid0(VALU_DEP_1)
	v_fma_f64 v[149:150], v[135:136], v[153:154], v[133:134]
	scratch_load_b128 v[133:136], off, off offset:96
	s_waitcnt vmcnt(4)
	v_fma_f64 v[137:138], v[137:138], v[155:156], v[149:150]
	ds_load_2addr_b64 v[149:152], v132 offset0:69 offset1:70
	ds_load_2addr_b64 v[153:156], v132 offset0:71 offset1:72
	s_waitcnt lgkmcnt(1)
	v_fma_f64 v[149:150], v[139:140], v[149:150], v[137:138]
	scratch_load_b128 v[137:140], off, off offset:112
	s_waitcnt vmcnt(4)
	v_fma_f64 v[141:142], v[141:142], v[151:152], v[149:150]
	s_waitcnt lgkmcnt(0)
	s_delay_alu instid0(VALU_DEP_1)
	v_fma_f64 v[149:150], v[143:144], v[153:154], v[141:142]
	scratch_load_b128 v[141:144], off, off offset:128
	s_waitcnt vmcnt(4)
	v_fma_f64 v[145:146], v[145:146], v[155:156], v[149:150]
	ds_load_2addr_b64 v[149:152], v132 offset0:73 offset1:74
	ds_load_2addr_b64 v[153:156], v132 offset0:75 offset1:76
	s_waitcnt lgkmcnt(1)
	v_fma_f64 v[149:150], v[147:148], v[149:150], v[145:146]
	scratch_load_b128 v[145:148], off, off offset:144
	s_waitcnt vmcnt(4)
	v_fma_f64 v[2:3], v[2:3], v[151:152], v[149:150]
	s_waitcnt lgkmcnt(0)
	s_delay_alu instid0(VALU_DEP_1)
	v_fma_f64 v[149:150], v[4:5], v[153:154], v[2:3]
	scratch_load_b128 v[2:5], off, off offset:160
	s_waitcnt vmcnt(4)
	v_fma_f64 v[133:134], v[133:134], v[155:156], v[149:150]
	ds_load_2addr_b64 v[149:152], v132 offset0:77 offset1:78
	ds_load_2addr_b64 v[153:156], v132 offset0:79 offset1:80
	s_waitcnt lgkmcnt(1)
	v_fma_f64 v[149:150], v[135:136], v[149:150], v[133:134]
	scratch_load_b128 v[133:136], off, off offset:176
	s_waitcnt vmcnt(4)
	v_fma_f64 v[137:138], v[137:138], v[151:152], v[149:150]
	s_waitcnt lgkmcnt(0)
	s_delay_alu instid0(VALU_DEP_1)
	v_fma_f64 v[149:150], v[139:140], v[153:154], v[137:138]
	scratch_load_b128 v[137:140], off, off offset:192
	s_waitcnt vmcnt(4)
	v_fma_f64 v[141:142], v[141:142], v[155:156], v[149:150]
	ds_load_2addr_b64 v[149:152], v132 offset0:81 offset1:82
	ds_load_2addr_b64 v[153:156], v132 offset0:83 offset1:84
	s_waitcnt lgkmcnt(1)
	v_fma_f64 v[149:150], v[143:144], v[149:150], v[141:142]
	scratch_load_b128 v[141:144], off, off offset:208
	s_waitcnt vmcnt(4)
	v_fma_f64 v[145:146], v[145:146], v[151:152], v[149:150]
	s_waitcnt lgkmcnt(0)
	s_delay_alu instid0(VALU_DEP_1)
	v_fma_f64 v[149:150], v[147:148], v[153:154], v[145:146]
	scratch_load_b128 v[145:148], off, off offset:224
	s_waitcnt vmcnt(4)
	v_fma_f64 v[2:3], v[2:3], v[155:156], v[149:150]
	ds_load_2addr_b64 v[149:152], v132 offset0:85 offset1:86
	ds_load_2addr_b64 v[153:156], v132 offset0:87 offset1:88
	s_waitcnt lgkmcnt(1)
	v_fma_f64 v[149:150], v[4:5], v[149:150], v[2:3]
	scratch_load_b128 v[2:5], off, off offset:240
	s_waitcnt vmcnt(4)
	v_fma_f64 v[133:134], v[133:134], v[151:152], v[149:150]
	s_waitcnt lgkmcnt(0)
	s_delay_alu instid0(VALU_DEP_1)
	v_fma_f64 v[149:150], v[135:136], v[153:154], v[133:134]
	scratch_load_b128 v[133:136], off, off offset:256
	s_waitcnt vmcnt(4)
	v_fma_f64 v[137:138], v[137:138], v[155:156], v[149:150]
	ds_load_2addr_b64 v[149:152], v132 offset0:89 offset1:90
	ds_load_2addr_b64 v[153:156], v132 offset0:91 offset1:92
	s_waitcnt lgkmcnt(1)
	v_fma_f64 v[149:150], v[139:140], v[149:150], v[137:138]
	scratch_load_b128 v[137:140], off, off offset:272
	s_waitcnt vmcnt(4)
	v_fma_f64 v[141:142], v[141:142], v[151:152], v[149:150]
	s_waitcnt lgkmcnt(0)
	s_delay_alu instid0(VALU_DEP_1)
	v_fma_f64 v[149:150], v[143:144], v[153:154], v[141:142]
	scratch_load_b128 v[141:144], off, off offset:288
	s_waitcnt vmcnt(4)
	v_fma_f64 v[145:146], v[145:146], v[155:156], v[149:150]
	ds_load_2addr_b64 v[149:152], v132 offset0:93 offset1:94
	ds_load_2addr_b64 v[153:156], v132 offset0:95 offset1:96
	s_waitcnt lgkmcnt(1)
	v_fma_f64 v[149:150], v[147:148], v[149:150], v[145:146]
	scratch_load_b128 v[145:148], off, off offset:304
	s_waitcnt vmcnt(4)
	v_fma_f64 v[2:3], v[2:3], v[151:152], v[149:150]
	s_waitcnt lgkmcnt(0)
	s_delay_alu instid0(VALU_DEP_1)
	v_fma_f64 v[149:150], v[4:5], v[153:154], v[2:3]
	scratch_load_b128 v[2:5], off, off offset:320
	s_waitcnt vmcnt(4)
	v_fma_f64 v[133:134], v[133:134], v[155:156], v[149:150]
	ds_load_2addr_b64 v[149:152], v132 offset0:97 offset1:98
	ds_load_2addr_b64 v[153:156], v132 offset0:99 offset1:100
	s_waitcnt lgkmcnt(1)
	v_fma_f64 v[149:150], v[135:136], v[149:150], v[133:134]
	scratch_load_b128 v[133:136], off, off offset:336
	s_waitcnt vmcnt(4)
	v_fma_f64 v[137:138], v[137:138], v[151:152], v[149:150]
	s_waitcnt lgkmcnt(0)
	s_delay_alu instid0(VALU_DEP_1)
	v_fma_f64 v[149:150], v[139:140], v[153:154], v[137:138]
	scratch_load_b128 v[137:140], off, off offset:352
	s_waitcnt vmcnt(4)
	v_fma_f64 v[141:142], v[141:142], v[155:156], v[149:150]
	ds_load_2addr_b64 v[149:152], v132 offset0:101 offset1:102
	ds_load_2addr_b64 v[153:156], v132 offset0:103 offset1:104
	s_waitcnt lgkmcnt(1)
	v_fma_f64 v[149:150], v[143:144], v[149:150], v[141:142]
	scratch_load_b128 v[141:144], off, off offset:368
	s_waitcnt vmcnt(4)
	v_fma_f64 v[145:146], v[145:146], v[151:152], v[149:150]
	s_waitcnt lgkmcnt(0)
	s_delay_alu instid0(VALU_DEP_1)
	v_fma_f64 v[149:150], v[147:148], v[153:154], v[145:146]
	scratch_load_b128 v[145:148], off, off offset:384
	s_waitcnt vmcnt(4)
	v_fma_f64 v[2:3], v[2:3], v[155:156], v[149:150]
	ds_load_2addr_b64 v[149:152], v132 offset0:105 offset1:106
	ds_load_2addr_b64 v[153:156], v132 offset0:107 offset1:108
	s_waitcnt lgkmcnt(1)
	v_fma_f64 v[149:150], v[4:5], v[149:150], v[2:3]
	scratch_load_b128 v[2:5], off, off offset:400
	s_waitcnt vmcnt(4)
	v_fma_f64 v[133:134], v[133:134], v[151:152], v[149:150]
	s_waitcnt lgkmcnt(0)
	s_delay_alu instid0(VALU_DEP_1)
	v_fma_f64 v[149:150], v[135:136], v[153:154], v[133:134]
	scratch_load_b128 v[133:136], off, off offset:416
	s_waitcnt vmcnt(4)
	v_fma_f64 v[137:138], v[137:138], v[155:156], v[149:150]
	ds_load_2addr_b64 v[149:152], v132 offset0:109 offset1:110
	ds_load_2addr_b64 v[153:156], v132 offset0:111 offset1:112
	s_waitcnt lgkmcnt(1)
	v_fma_f64 v[149:150], v[139:140], v[149:150], v[137:138]
	scratch_load_b128 v[137:140], off, off offset:432
	s_waitcnt vmcnt(4)
	v_fma_f64 v[141:142], v[141:142], v[151:152], v[149:150]
	s_waitcnt lgkmcnt(0)
	s_delay_alu instid0(VALU_DEP_1)
	v_fma_f64 v[149:150], v[143:144], v[153:154], v[141:142]
	scratch_load_b128 v[141:144], off, off offset:448
	s_waitcnt vmcnt(4)
	v_fma_f64 v[145:146], v[145:146], v[155:156], v[149:150]
	ds_load_2addr_b64 v[149:152], v132 offset0:113 offset1:114
	ds_load_2addr_b64 v[153:156], v132 offset0:115 offset1:116
	s_waitcnt lgkmcnt(1)
	v_fma_f64 v[149:150], v[147:148], v[149:150], v[145:146]
	scratch_load_b128 v[145:148], off, off offset:464
	s_waitcnt vmcnt(4)
	v_fma_f64 v[2:3], v[2:3], v[151:152], v[149:150]
	s_waitcnt lgkmcnt(0)
	s_delay_alu instid0(VALU_DEP_1)
	v_fma_f64 v[149:150], v[4:5], v[153:154], v[2:3]
	scratch_load_b128 v[2:5], off, off offset:480
	s_waitcnt vmcnt(4)
	v_fma_f64 v[133:134], v[133:134], v[155:156], v[149:150]
	ds_load_2addr_b64 v[149:152], v132 offset0:117 offset1:118
	ds_load_2addr_b64 v[153:156], v132 offset0:119 offset1:120
	s_waitcnt lgkmcnt(1)
	v_fma_f64 v[133:134], v[135:136], v[149:150], v[133:134]
	scratch_load_b64 v[149:150], off, off offset:496
	s_waitcnt vmcnt(4)
	v_fma_f64 v[133:134], v[137:138], v[151:152], v[133:134]
	s_waitcnt lgkmcnt(0)
	s_delay_alu instid0(VALU_DEP_1) | instskip(SKIP_1) | instid1(VALU_DEP_1)
	v_fma_f64 v[133:134], v[139:140], v[153:154], v[133:134]
	s_waitcnt vmcnt(3)
	v_fma_f64 v[141:142], v[141:142], v[155:156], v[133:134]
	ds_load_2addr_b64 v[133:136], v132 offset0:121 offset1:122
	ds_load_2addr_b64 v[137:140], v132 offset0:123 offset1:124
	s_waitcnt lgkmcnt(1)
	v_fma_f64 v[133:134], v[143:144], v[133:134], v[141:142]
	s_waitcnt vmcnt(2)
	s_delay_alu instid0(VALU_DEP_1) | instskip(SKIP_1) | instid1(VALU_DEP_1)
	v_fma_f64 v[133:134], v[145:146], v[135:136], v[133:134]
	s_waitcnt lgkmcnt(0)
	v_fma_f64 v[133:134], v[147:148], v[137:138], v[133:134]
	s_waitcnt vmcnt(1)
	s_delay_alu instid0(VALU_DEP_1) | instskip(SKIP_4) | instid1(VALU_DEP_1)
	v_fma_f64 v[2:3], v[2:3], v[139:140], v[133:134]
	ds_load_2addr_b64 v[132:135], v132 offset0:125 offset1:126
	s_waitcnt lgkmcnt(0)
	v_fma_f64 v[2:3], v[4:5], v[132:133], v[2:3]
	s_waitcnt vmcnt(0)
	v_fma_f64 v[2:3], v[149:150], v[134:135], v[2:3]
	s_delay_alu instid0(VALU_DEP_1)
	v_add_f64 v[0:1], v[0:1], -v[2:3]
	scratch_store_b64 off, v[0:1], off
	s_cbranch_vccz .LBB126_513
; %bb.388:
	v_dual_mov_b32 v0, s2 :: v_dual_mov_b32 v1, s3
	s_mov_b32 s0, exec_lo
	flat_load_b32 v0, v[0:1] offset:244
	s_waitcnt vmcnt(0) lgkmcnt(0)
	v_cmpx_ne_u32_e32 62, v0
	s_cbranch_execz .LBB126_390
; %bb.389:
	v_lshl_add_u32 v2, v0, 3, 0
	scratch_load_b64 v[0:1], v2, off offset:-8
	s_waitcnt vmcnt(0)
	scratch_store_b64 off, v[0:1], off offset:488
	scratch_store_b64 v2, v[4:5], off offset:-8
.LBB126_390:
	s_or_b32 exec_lo, exec_lo, s0
	v_dual_mov_b32 v0, s2 :: v_dual_mov_b32 v1, s3
	s_mov_b32 s0, exec_lo
	flat_load_b32 v0, v[0:1] offset:240
	s_waitcnt vmcnt(0) lgkmcnt(0)
	v_cmpx_ne_u32_e32 61, v0
	s_cbranch_execz .LBB126_392
; %bb.391:
	v_lshl_add_u32 v4, v0, 3, 0
	scratch_load_b64 v[0:1], v4, off offset:-8
	scratch_load_b64 v[2:3], off, off offset:480
	s_waitcnt vmcnt(1)
	scratch_store_b64 off, v[0:1], off offset:480
	s_waitcnt vmcnt(0)
	scratch_store_b64 v4, v[2:3], off offset:-8
.LBB126_392:
	s_or_b32 exec_lo, exec_lo, s0
	v_dual_mov_b32 v0, s2 :: v_dual_mov_b32 v1, s3
	s_mov_b32 s0, exec_lo
	flat_load_b32 v0, v[0:1] offset:236
	s_waitcnt vmcnt(0) lgkmcnt(0)
	v_cmpx_ne_u32_e32 60, v0
	s_cbranch_execz .LBB126_394
; %bb.393:
	v_lshl_add_u32 v4, v0, 3, 0
	scratch_load_b64 v[0:1], v4, off offset:-8
	scratch_load_b64 v[2:3], off, off offset:472
	s_waitcnt vmcnt(1)
	scratch_store_b64 off, v[0:1], off offset:472
	s_waitcnt vmcnt(0)
	scratch_store_b64 v4, v[2:3], off offset:-8
.LBB126_394:
	;; [unrolled: 16-line block ×60, first 2 shown]
	s_or_b32 exec_lo, exec_lo, s0
	v_dual_mov_b32 v0, s2 :: v_dual_mov_b32 v1, s3
	s_mov_b32 s0, exec_lo
	flat_load_b32 v2, v[0:1]
	scratch_load_b64 v[0:1], off, off
	s_waitcnt vmcnt(1) lgkmcnt(0)
	v_cmpx_ne_u32_e32 1, v2
	s_cbranch_execz .LBB126_512
; %bb.511:
	v_lshl_add_u32 v4, v2, 3, 0
	scratch_load_b64 v[2:3], v4, off offset:-8
	s_waitcnt vmcnt(0)
	scratch_store_b64 off, v[2:3], off
	scratch_store_b64 v4, v[0:1], off offset:-8
	scratch_load_b64 v[0:1], off, off
.LBB126_512:
	s_or_b32 exec_lo, exec_lo, s0
.LBB126_513:
	s_clause 0x9
	scratch_load_b128 v[2:5], off, off offset:8
	scratch_load_b128 v[132:135], off, off offset:24
	;; [unrolled: 1-line block ×10, first 2 shown]
	s_waitcnt vmcnt(10)
	global_store_b64 v[34:35], v[0:1], off
	s_waitcnt vmcnt(9)
	s_clause 0x1
	global_store_b64 v[28:29], v[2:3], off
	global_store_b64 v[38:39], v[4:5], off
	s_clause 0x1
	scratch_load_b128 v[0:3], off, off offset:168
	scratch_load_b128 v[168:171], off, off offset:184
	s_waitcnt vmcnt(10)
	s_clause 0x1
	global_store_b64 v[26:27], v[132:133], off
	global_store_b64 v[32:33], v[134:135], off
	s_clause 0x1
	scratch_load_b128 v[26:29], off, off offset:200
	scratch_load_b128 v[32:35], off, off offset:216
	;; [unrolled: 7-line block ×10, first 2 shown]
	s_waitcnt vmcnt(19)
	s_clause 0x1
	global_store_b64 v[24:25], v[0:1], off
	global_store_b64 v[44:45], v[2:3], off
	scratch_load_b128 v[0:3], off, off offset:488
	s_waitcnt vmcnt(19)
	s_clause 0x1
	global_store_b64 v[42:43], v[168:169], off
	global_store_b64 v[48:49], v[170:171], off
	s_waitcnt vmcnt(18)
	s_clause 0x1
	global_store_b64 v[52:53], v[26:27], off
	global_store_b64 v[60:61], v[28:29], off
	s_waitcnt vmcnt(17)
	s_clause 0x1
	global_store_b64 v[62:63], v[32:33], off
	global_store_b64 v[64:65], v[34:35], off
	s_waitcnt vmcnt(16)
	s_clause 0x1
	global_store_b64 v[66:67], v[132:133], off
	global_store_b64 v[68:69], v[134:135], off
	s_waitcnt vmcnt(15)
	s_clause 0x1
	global_store_b64 v[70:71], v[136:137], off
	global_store_b64 v[72:73], v[138:139], off
	s_waitcnt vmcnt(14)
	s_clause 0x1
	global_store_b64 v[74:75], v[16:17], off
	global_store_b64 v[76:77], v[18:19], off
	s_waitcnt vmcnt(13)
	s_clause 0x1
	global_store_b64 v[78:79], v[140:141], off
	global_store_b64 v[80:81], v[142:143], off
	s_waitcnt vmcnt(12)
	s_clause 0x1
	global_store_b64 v[82:83], v[20:21], off
	global_store_b64 v[84:85], v[22:23], off
	s_waitcnt vmcnt(11)
	s_clause 0x1
	global_store_b64 v[86:87], v[144:145], off
	global_store_b64 v[88:89], v[146:147], off
	s_waitcnt vmcnt(10)
	s_clause 0x1
	global_store_b64 v[90:91], v[10:11], off
	global_store_b64 v[92:93], v[12:13], off
	s_waitcnt vmcnt(9)
	s_clause 0x1
	global_store_b64 v[94:95], v[148:149], off
	global_store_b64 v[96:97], v[150:151], off
	s_waitcnt vmcnt(8)
	s_clause 0x1
	global_store_b64 v[98:99], v[152:153], off
	global_store_b64 v[100:101], v[154:155], off
	s_waitcnt vmcnt(7)
	s_clause 0x1
	global_store_b64 v[102:103], v[172:173], off
	global_store_b64 v[104:105], v[174:175], off
	s_waitcnt vmcnt(6)
	s_clause 0x1
	global_store_b64 v[106:107], v[156:157], off
	global_store_b64 v[108:109], v[158:159], off
	s_waitcnt vmcnt(5)
	s_clause 0x1
	global_store_b64 v[110:111], v[176:177], off
	global_store_b64 v[112:113], v[178:179], off
	s_waitcnt vmcnt(4)
	s_clause 0x1
	global_store_b64 v[114:115], v[36:37], off
	global_store_b64 v[116:117], v[38:39], off
	s_waitcnt vmcnt(3)
	s_clause 0x1
	global_store_b64 v[118:119], v[54:55], off
	global_store_b64 v[120:121], v[56:57], off
	s_waitcnt vmcnt(2)
	s_clause 0x1
	global_store_b64 v[122:123], v[160:161], off
	global_store_b64 v[124:125], v[162:163], off
	s_waitcnt vmcnt(1)
	s_clause 0x1
	global_store_b64 v[128:129], v[164:165], off
	global_store_b64 v[130:131], v[166:167], off
	s_waitcnt vmcnt(0)
	s_clause 0x1
	global_store_b64 v[126:127], v[0:1], off
	global_store_b64 v[6:7], v[2:3], off
	s_endpgm
	.section	.rodata,"a",@progbits
	.p2align	6, 0x0
	.amdhsa_kernel _ZN9rocsolver6v33100L18getri_kernel_smallILi63EdPKPdEEvT1_iilPiilS6_bb
		.amdhsa_group_segment_fixed_size 1016
		.amdhsa_private_segment_fixed_size 512
		.amdhsa_kernarg_size 60
		.amdhsa_user_sgpr_count 15
		.amdhsa_user_sgpr_dispatch_ptr 0
		.amdhsa_user_sgpr_queue_ptr 0
		.amdhsa_user_sgpr_kernarg_segment_ptr 1
		.amdhsa_user_sgpr_dispatch_id 0
		.amdhsa_user_sgpr_private_segment_size 0
		.amdhsa_wavefront_size32 1
		.amdhsa_uses_dynamic_stack 0
		.amdhsa_enable_private_segment 1
		.amdhsa_system_sgpr_workgroup_id_x 1
		.amdhsa_system_sgpr_workgroup_id_y 0
		.amdhsa_system_sgpr_workgroup_id_z 0
		.amdhsa_system_sgpr_workgroup_info 0
		.amdhsa_system_vgpr_workitem_id 0
		.amdhsa_next_free_vgpr 182
		.amdhsa_next_free_sgpr 17
		.amdhsa_reserve_vcc 1
		.amdhsa_float_round_mode_32 0
		.amdhsa_float_round_mode_16_64 0
		.amdhsa_float_denorm_mode_32 3
		.amdhsa_float_denorm_mode_16_64 3
		.amdhsa_dx10_clamp 1
		.amdhsa_ieee_mode 1
		.amdhsa_fp16_overflow 0
		.amdhsa_workgroup_processor_mode 1
		.amdhsa_memory_ordered 1
		.amdhsa_forward_progress 0
		.amdhsa_shared_vgpr_count 0
		.amdhsa_exception_fp_ieee_invalid_op 0
		.amdhsa_exception_fp_denorm_src 0
		.amdhsa_exception_fp_ieee_div_zero 0
		.amdhsa_exception_fp_ieee_overflow 0
		.amdhsa_exception_fp_ieee_underflow 0
		.amdhsa_exception_fp_ieee_inexact 0
		.amdhsa_exception_int_div_zero 0
	.end_amdhsa_kernel
	.section	.text._ZN9rocsolver6v33100L18getri_kernel_smallILi63EdPKPdEEvT1_iilPiilS6_bb,"axG",@progbits,_ZN9rocsolver6v33100L18getri_kernel_smallILi63EdPKPdEEvT1_iilPiilS6_bb,comdat
.Lfunc_end126:
	.size	_ZN9rocsolver6v33100L18getri_kernel_smallILi63EdPKPdEEvT1_iilPiilS6_bb, .Lfunc_end126-_ZN9rocsolver6v33100L18getri_kernel_smallILi63EdPKPdEEvT1_iilPiilS6_bb
                                        ; -- End function
	.section	.AMDGPU.csdata,"",@progbits
; Kernel info:
; codeLenInByte = 69388
; NumSgprs: 19
; NumVgprs: 182
; ScratchSize: 512
; MemoryBound: 0
; FloatMode: 240
; IeeeMode: 1
; LDSByteSize: 1016 bytes/workgroup (compile time only)
; SGPRBlocks: 2
; VGPRBlocks: 22
; NumSGPRsForWavesPerEU: 19
; NumVGPRsForWavesPerEU: 182
; Occupancy: 8
; WaveLimiterHint : 1
; COMPUTE_PGM_RSRC2:SCRATCH_EN: 1
; COMPUTE_PGM_RSRC2:USER_SGPR: 15
; COMPUTE_PGM_RSRC2:TRAP_HANDLER: 0
; COMPUTE_PGM_RSRC2:TGID_X_EN: 1
; COMPUTE_PGM_RSRC2:TGID_Y_EN: 0
; COMPUTE_PGM_RSRC2:TGID_Z_EN: 0
; COMPUTE_PGM_RSRC2:TIDIG_COMP_CNT: 0
	.section	.text._ZN9rocsolver6v33100L18getri_kernel_smallILi64EdPKPdEEvT1_iilPiilS6_bb,"axG",@progbits,_ZN9rocsolver6v33100L18getri_kernel_smallILi64EdPKPdEEvT1_iilPiilS6_bb,comdat
	.globl	_ZN9rocsolver6v33100L18getri_kernel_smallILi64EdPKPdEEvT1_iilPiilS6_bb ; -- Begin function _ZN9rocsolver6v33100L18getri_kernel_smallILi64EdPKPdEEvT1_iilPiilS6_bb
	.p2align	8
	.type	_ZN9rocsolver6v33100L18getri_kernel_smallILi64EdPKPdEEvT1_iilPiilS6_bb,@function
_ZN9rocsolver6v33100L18getri_kernel_smallILi64EdPKPdEEvT1_iilPiilS6_bb: ; @_ZN9rocsolver6v33100L18getri_kernel_smallILi64EdPKPdEEvT1_iilPiilS6_bb
; %bb.0:
	s_mov_b32 s2, exec_lo
	v_cmpx_gt_u32_e32 64, v0
	s_cbranch_execz .LBB127_266
; %bb.1:
	s_clause 0x1
	s_load_b32 s13, s[0:1], 0x38
	s_load_b64 s[2:3], s[0:1], 0x0
	s_mov_b32 s8, s15
	s_load_b128 s[4:7], s[0:1], 0x28
	s_waitcnt lgkmcnt(0)
	s_bitcmp1_b32 s13, 8
	s_cselect_b32 s12, -1, 0
	s_ashr_i32 s9, s15, 31
	s_delay_alu instid0(SALU_CYCLE_1) | instskip(NEXT) | instid1(SALU_CYCLE_1)
	s_lshl_b64 s[10:11], s[8:9], 3
	s_add_u32 s2, s2, s10
	s_addc_u32 s3, s3, s11
	s_load_b64 s[10:11], s[2:3], 0x0
	s_bfe_u32 s2, s13, 0x10008
	s_delay_alu instid0(SALU_CYCLE_1)
	s_cmp_eq_u32 s2, 0
                                        ; implicit-def: $sgpr2_sgpr3
	s_cbranch_scc1 .LBB127_3
; %bb.2:
	s_clause 0x1
	s_load_b32 s2, s[0:1], 0x20
	s_load_b64 s[14:15], s[0:1], 0x18
	s_mul_i32 s3, s8, s5
	s_mul_hi_u32 s5, s8, s4
	s_mul_i32 s16, s9, s4
	s_add_i32 s3, s5, s3
	s_mul_i32 s4, s8, s4
	s_add_i32 s5, s3, s16
	s_delay_alu instid0(SALU_CYCLE_1)
	s_lshl_b64 s[4:5], s[4:5], 2
	s_waitcnt lgkmcnt(0)
	s_ashr_i32 s3, s2, 31
	s_add_u32 s4, s14, s4
	s_addc_u32 s5, s15, s5
	s_lshl_b64 s[2:3], s[2:3], 2
	s_delay_alu instid0(SALU_CYCLE_1)
	s_add_u32 s2, s4, s2
	s_addc_u32 s3, s5, s3
.LBB127_3:
	s_load_b64 s[0:1], s[0:1], 0x8
	v_lshlrev_b32_e32 v3, 3, v0
	s_waitcnt lgkmcnt(0)
	v_add3_u32 v1, s1, s1, v0
	s_ashr_i32 s5, s0, 31
	s_mov_b32 s4, s0
	s_mov_b32 s14, s1
	s_lshl_b64 s[4:5], s[4:5], 3
	v_add_nc_u32_e32 v4, s1, v1
	v_ashrrev_i32_e32 v2, 31, v1
	s_add_u32 s4, s10, s4
	s_addc_u32 s5, s11, s5
	v_add_co_u32 v36, s0, s4, v3
	v_ashrrev_i32_e32 v5, 31, v4
	s_ashr_i32 s15, s1, 31
	v_add_nc_u32_e32 v6, s1, v4
	v_add_co_ci_u32_e64 v37, null, s5, 0, s0
	v_lshlrev_b64 v[1:2], 3, v[1:2]
	s_lshl_b64 s[10:11], s[14:15], 3
	v_lshlrev_b64 v[4:5], 3, v[4:5]
	v_add_co_u32 v24, vcc_lo, v36, s10
	v_add_nc_u32_e32 v8, s1, v6
	v_add_co_ci_u32_e32 v25, vcc_lo, s11, v37, vcc_lo
	v_ashrrev_i32_e32 v7, 31, v6
	v_add_co_u32 v26, vcc_lo, s4, v1
	v_add_co_ci_u32_e32 v27, vcc_lo, s5, v2, vcc_lo
	v_add_co_u32 v16, vcc_lo, s4, v4
	v_ashrrev_i32_e32 v9, 31, v8
	v_add_co_ci_u32_e32 v17, vcc_lo, s5, v5, vcc_lo
	v_lshlrev_b64 v[4:5], 3, v[6:7]
	v_add_nc_u32_e32 v28, s1, v8
	s_delay_alu instid0(VALU_DEP_4)
	v_lshlrev_b64 v[7:8], 3, v[8:9]
	s_clause 0x3
	global_load_b64 v[12:13], v3, s[4:5]
	global_load_b64 v[14:15], v[24:25], off
	global_load_b64 v[20:21], v[26:27], off
	;; [unrolled: 1-line block ×3, first 2 shown]
	s_bitcmp0_b32 s13, 0
	v_add_co_u32 v18, vcc_lo, s4, v4
	v_add_co_ci_u32_e32 v19, vcc_lo, s5, v5, vcc_lo
	v_add_co_u32 v10, vcc_lo, s4, v7
	v_add_co_ci_u32_e32 v11, vcc_lo, s5, v8, vcc_lo
	v_add_nc_u32_e32 v30, s1, v28
	s_clause 0x1
	global_load_b64 v[46:47], v[18:19], off
	global_load_b64 v[48:49], v[10:11], off
	v_ashrrev_i32_e32 v29, 31, v28
	v_add_nc_u32_e32 v32, s1, v30
	v_ashrrev_i32_e32 v31, 31, v30
	s_delay_alu instid0(VALU_DEP_3) | instskip(NEXT) | instid1(VALU_DEP_3)
	v_lshlrev_b64 v[28:29], 3, v[28:29]
	v_add_nc_u32_e32 v34, s1, v32
	s_delay_alu instid0(VALU_DEP_3) | instskip(SKIP_1) | instid1(VALU_DEP_4)
	v_lshlrev_b64 v[30:31], 3, v[30:31]
	v_ashrrev_i32_e32 v33, 31, v32
	v_add_co_u32 v66, vcc_lo, s4, v28
	s_delay_alu instid0(VALU_DEP_4) | instskip(SKIP_3) | instid1(VALU_DEP_4)
	v_add_nc_u32_e32 v1, s1, v34
	v_ashrrev_i32_e32 v35, 31, v34
	v_add_co_ci_u32_e32 v67, vcc_lo, s5, v29, vcc_lo
	v_lshlrev_b64 v[28:29], 3, v[32:33]
	v_add_nc_u32_e32 v6, s1, v1
	v_add_co_u32 v64, vcc_lo, s4, v30
	v_ashrrev_i32_e32 v2, 31, v1
	v_add_co_ci_u32_e32 v65, vcc_lo, s5, v31, vcc_lo
	s_delay_alu instid0(VALU_DEP_4) | instskip(SKIP_3) | instid1(VALU_DEP_4)
	v_add_nc_u32_e32 v38, s1, v6
	v_lshlrev_b64 v[30:31], 3, v[34:35]
	v_add_co_u32 v62, vcc_lo, s4, v28
	v_lshlrev_b64 v[1:2], 3, v[1:2]
	v_add_nc_u32_e32 v4, s1, v38
	v_ashrrev_i32_e32 v7, 31, v6
	v_add_co_ci_u32_e32 v63, vcc_lo, s5, v29, vcc_lo
	v_add_co_u32 v58, vcc_lo, s4, v30
	s_delay_alu instid0(VALU_DEP_4) | instskip(SKIP_3) | instid1(VALU_DEP_4)
	v_add_nc_u32_e32 v8, s1, v4
	v_ashrrev_i32_e32 v39, 31, v38
	v_add_co_ci_u32_e32 v59, vcc_lo, s5, v31, vcc_lo
	v_lshlrev_b64 v[6:7], 3, v[6:7]
	v_add_nc_u32_e32 v40, s1, v8
	v_add_co_u32 v60, vcc_lo, s4, v1
	v_add_co_ci_u32_e32 v61, vcc_lo, s5, v2, vcc_lo
	s_delay_alu instid0(VALU_DEP_3) | instskip(SKIP_3) | instid1(VALU_DEP_4)
	v_add_nc_u32_e32 v44, s1, v40
	v_lshlrev_b64 v[1:2], 3, v[38:39]
	v_add_co_u32 v56, vcc_lo, s4, v6
	v_ashrrev_i32_e32 v5, 31, v4
	v_add_nc_u32_e32 v50, s1, v44
	v_add_co_ci_u32_e32 v57, vcc_lo, s5, v7, vcc_lo
	v_add_co_u32 v52, vcc_lo, s4, v1
	s_delay_alu instid0(VALU_DEP_3) | instskip(SKIP_3) | instid1(VALU_DEP_4)
	v_add_nc_u32_e32 v88, s1, v50
	v_ashrrev_i32_e32 v9, 31, v8
	v_lshlrev_b64 v[4:5], 3, v[4:5]
	v_add_co_ci_u32_e32 v53, vcc_lo, s5, v2, vcc_lo
	v_add_nc_u32_e32 v92, s1, v88
	s_delay_alu instid0(VALU_DEP_4) | instskip(SKIP_2) | instid1(VALU_DEP_4)
	v_lshlrev_b64 v[6:7], 3, v[8:9]
	v_ashrrev_i32_e32 v41, 31, v40
	v_add_co_u32 v54, vcc_lo, s4, v4
	v_add_nc_u32_e32 v96, s1, v92
	v_add_co_ci_u32_e32 v55, vcc_lo, s5, v5, vcc_lo
	s_delay_alu instid0(VALU_DEP_4) | instskip(SKIP_1) | instid1(VALU_DEP_4)
	v_lshlrev_b64 v[4:5], 3, v[40:41]
	v_add_co_u32 v42, vcc_lo, s4, v6
	v_add_nc_u32_e32 v98, s1, v96
	v_ashrrev_i32_e32 v45, 31, v44
	v_add_co_ci_u32_e32 v43, vcc_lo, s5, v7, vcc_lo
	v_ashrrev_i32_e32 v51, 31, v50
	s_delay_alu instid0(VALU_DEP_4)
	v_add_nc_u32_e32 v100, s1, v98
	v_ashrrev_i32_e32 v89, 31, v88
	v_ashrrev_i32_e32 v93, 31, v92
	s_clause 0x3
	global_load_b64 v[68:69], v[66:67], off
	global_load_b64 v[70:71], v[64:65], off
	;; [unrolled: 1-line block ×4, first 2 shown]
	v_add_nc_u32_e32 v102, s1, v100
	s_clause 0x2
	global_load_b64 v[76:77], v[60:61], off
	global_load_b64 v[78:79], v[56:57], off
	;; [unrolled: 1-line block ×3, first 2 shown]
	v_ashrrev_i32_e32 v97, 31, v96
	v_ashrrev_i32_e32 v99, 31, v98
	v_add_nc_u32_e32 v104, s1, v102
	v_ashrrev_i32_e32 v101, 31, v100
	v_ashrrev_i32_e32 v103, 31, v102
	s_delay_alu instid0(VALU_DEP_3) | instskip(SKIP_1) | instid1(VALU_DEP_2)
	v_add_nc_u32_e32 v106, s1, v104
	v_ashrrev_i32_e32 v105, 31, v104
	v_add_nc_u32_e32 v108, s1, v106
	v_ashrrev_i32_e32 v107, 31, v106
	s_delay_alu instid0(VALU_DEP_2) | instskip(SKIP_1) | instid1(VALU_DEP_2)
	v_add_nc_u32_e32 v110, s1, v108
	v_ashrrev_i32_e32 v109, 31, v108
	v_add_nc_u32_e32 v112, s1, v110
	v_ashrrev_i32_e32 v111, 31, v110
	s_delay_alu instid0(VALU_DEP_2) | instskip(SKIP_1) | instid1(VALU_DEP_2)
	;; [unrolled: 5-line block ×18, first 2 shown]
	v_add_nc_u32_e32 v180, s1, v178
	v_ashrrev_i32_e32 v179, 31, v178
	v_add_nc_u32_e32 v182, s1, v180
	v_ashrrev_i32_e32 v181, 31, v180
	s_delay_alu instid0(VALU_DEP_2) | instskip(SKIP_2) | instid1(VALU_DEP_2)
	v_add_nc_u32_e32 v1, s1, v182
	v_ashrrev_i32_e32 v183, 31, v182
	s_mov_b32 s1, -1
	v_ashrrev_i32_e32 v2, 31, v1
	s_delay_alu instid0(VALU_DEP_1) | instskip(NEXT) | instid1(VALU_DEP_1)
	v_lshlrev_b64 v[1:2], 3, v[1:2]
	v_add_co_u32 v6, vcc_lo, s4, v1
	s_delay_alu instid0(VALU_DEP_2)
	v_add_co_ci_u32_e32 v7, vcc_lo, s5, v2, vcc_lo
	v_lshlrev_b64 v[1:2], 3, v[44:45]
	v_add_co_u32 v34, vcc_lo, s4, v4
	global_load_b64 v[136:137], v[6:7], off
	v_add_co_ci_u32_e32 v35, vcc_lo, s5, v5, vcc_lo
	v_lshlrev_b64 v[4:5], 3, v[50:51]
	v_add_co_u32 v44, vcc_lo, s4, v1
	v_add_co_ci_u32_e32 v45, vcc_lo, s5, v2, vcc_lo
	v_lshlrev_b64 v[1:2], 3, v[88:89]
	s_delay_alu instid0(VALU_DEP_4) | instskip(SKIP_2) | instid1(VALU_DEP_4)
	v_add_co_u32 v32, vcc_lo, s4, v4
	v_add_co_ci_u32_e32 v33, vcc_lo, s5, v5, vcc_lo
	v_lshlrev_b64 v[4:5], 3, v[92:93]
	v_add_co_u32 v40, vcc_lo, s4, v1
	v_add_co_ci_u32_e32 v41, vcc_lo, s5, v2, vcc_lo
	s_waitcnt vmcnt(12)
	scratch_store_b128 off, v[12:15], off
	v_add_co_u32 v28, vcc_lo, s4, v4
	v_add_co_ci_u32_e32 v29, vcc_lo, s5, v5, vcc_lo
	s_clause 0x2
	global_load_b64 v[82:83], v[54:55], off
	global_load_b64 v[84:85], v[42:43], off
	;; [unrolled: 1-line block ×3, first 2 shown]
	s_waitcnt vmcnt(13)
	scratch_store_b128 off, v[20:23], off offset:16
	s_clause 0x1
	global_load_b64 v[88:89], v[44:45], off
	global_load_b64 v[90:91], v[32:33], off
	s_waitcnt vmcnt(13)
	scratch_store_b128 off, v[46:49], off offset:32
	s_clause 0x1
	global_load_b64 v[92:93], v[40:41], off
	global_load_b64 v[94:95], v[28:29], off
	v_lshlrev_b64 v[1:2], 3, v[96:97]
	v_lshlrev_b64 v[4:5], 3, v[98:99]
	s_delay_alu instid0(VALU_DEP_2) | instskip(NEXT) | instid1(VALU_DEP_3)
	v_add_co_u32 v30, vcc_lo, s4, v1
	v_add_co_ci_u32_e32 v31, vcc_lo, s5, v2, vcc_lo
	v_lshlrev_b64 v[1:2], 3, v[100:101]
	s_delay_alu instid0(VALU_DEP_4) | instskip(SKIP_2) | instid1(VALU_DEP_4)
	v_add_co_u32 v20, vcc_lo, s4, v4
	v_add_co_ci_u32_e32 v21, vcc_lo, s5, v5, vcc_lo
	v_lshlrev_b64 v[4:5], 3, v[102:103]
	v_add_co_u32 v22, vcc_lo, s4, v1
	v_add_co_ci_u32_e32 v23, vcc_lo, s5, v2, vcc_lo
	v_lshlrev_b64 v[1:2], 3, v[104:105]
	s_delay_alu instid0(VALU_DEP_4) | instskip(SKIP_2) | instid1(VALU_DEP_4)
	v_add_co_u32 v8, vcc_lo, s4, v4
	v_add_co_ci_u32_e32 v9, vcc_lo, s5, v5, vcc_lo
	v_lshlrev_b64 v[4:5], 3, v[106:107]
	;; [unrolled: 7-line block ×4, first 2 shown]
	v_add_co_u32 v48, vcc_lo, s4, v1
	v_add_co_ci_u32_e32 v49, vcc_lo, s5, v2, vcc_lo
	v_lshlrev_b64 v[1:2], 3, v[116:117]
	s_delay_alu instid0(VALU_DEP_4)
	v_add_co_u32 v50, vcc_lo, s4, v4
	s_clause 0x1
	global_load_b64 v[96:97], v[30:31], off
	global_load_b64 v[98:99], v[20:21], off
	v_add_co_ci_u32_e32 v51, vcc_lo, s5, v5, vcc_lo
	v_lshlrev_b64 v[4:5], 3, v[118:119]
	s_waitcnt vmcnt(15)
	scratch_store_b128 off, v[68:71], off offset:48
	v_add_co_u32 v68, vcc_lo, s4, v1
	s_waitcnt vmcnt(13)
	scratch_store_b128 off, v[72:75], off offset:64
	v_add_co_ci_u32_e32 v69, vcc_lo, s5, v2, vcc_lo
	v_lshlrev_b64 v[1:2], 3, v[120:121]
	v_add_co_u32 v70, vcc_lo, s4, v4
	s_clause 0x1
	global_load_b64 v[100:101], v[22:23], off
	global_load_b64 v[102:103], v[8:9], off
	s_waitcnt vmcnt(13)
	scratch_store_b128 off, v[76:79], off offset:80
	s_clause 0x1
	global_load_b64 v[104:105], v[12:13], off
	global_load_b64 v[106:107], v[14:15], off
	v_add_co_ci_u32_e32 v71, vcc_lo, s5, v5, vcc_lo
	v_lshlrev_b64 v[4:5], 3, v[122:123]
	v_add_co_u32 v72, vcc_lo, s4, v1
	v_add_co_ci_u32_e32 v73, vcc_lo, s5, v2, vcc_lo
	v_lshlrev_b64 v[1:2], 3, v[124:125]
	s_delay_alu instid0(VALU_DEP_4) | instskip(SKIP_2) | instid1(VALU_DEP_4)
	v_add_co_u32 v74, vcc_lo, s4, v4
	v_add_co_ci_u32_e32 v75, vcc_lo, s5, v5, vcc_lo
	v_lshlrev_b64 v[4:5], 3, v[126:127]
	v_add_co_u32 v76, vcc_lo, s4, v1
	v_add_co_ci_u32_e32 v77, vcc_lo, s5, v2, vcc_lo
	v_lshlrev_b64 v[1:2], 3, v[128:129]
	s_delay_alu instid0(VALU_DEP_4)
	v_add_co_u32 v78, vcc_lo, s4, v4
	v_add_co_ci_u32_e32 v79, vcc_lo, s5, v5, vcc_lo
	v_lshlrev_b64 v[4:5], 3, v[132:133]
	s_waitcnt vmcnt(12)
	scratch_store_b128 off, v[80:83], off offset:96
	s_waitcnt vmcnt(10)
	scratch_store_b128 off, v[84:87], off offset:112
	s_clause 0x3
	global_load_b64 v[108:109], v[38:39], off
	global_load_b64 v[110:111], v[46:47], off
	;; [unrolled: 1-line block ×4, first 2 shown]
	s_waitcnt vmcnt(12)
	scratch_store_b128 off, v[88:91], off offset:128
	s_clause 0x1
	global_load_b64 v[116:117], v[68:69], off
	global_load_b64 v[118:119], v[70:71], off
	s_waitcnt vmcnt(12)
	scratch_store_b128 off, v[92:95], off offset:144
	s_clause 0x1
	global_load_b64 v[120:121], v[72:73], off
	global_load_b64 v[122:123], v[74:75], off
	v_add_co_u32 v80, vcc_lo, s4, v1
	v_add_co_ci_u32_e32 v81, vcc_lo, s5, v2, vcc_lo
	v_lshlrev_b64 v[1:2], 3, v[130:131]
	s_delay_alu instid0(VALU_DEP_1) | instskip(NEXT) | instid1(VALU_DEP_2)
	v_add_co_u32 v82, vcc_lo, s4, v1
	v_add_co_ci_u32_e32 v83, vcc_lo, s5, v2, vcc_lo
	v_lshlrev_b64 v[1:2], 3, v[134:135]
	v_add_co_u32 v84, vcc_lo, s4, v4
	v_add_co_ci_u32_e32 v85, vcc_lo, s5, v5, vcc_lo
	v_lshlrev_b64 v[4:5], 3, v[140:141]
	s_delay_alu instid0(VALU_DEP_4) | instskip(SKIP_2) | instid1(VALU_DEP_1)
	v_add_co_u32 v86, vcc_lo, s4, v1
	v_add_co_ci_u32_e32 v87, vcc_lo, s5, v2, vcc_lo
	v_lshlrev_b64 v[1:2], 3, v[138:139]
	v_add_co_u32 v88, vcc_lo, s4, v1
	s_delay_alu instid0(VALU_DEP_2) | instskip(SKIP_4) | instid1(VALU_DEP_4)
	v_add_co_ci_u32_e32 v89, vcc_lo, s5, v2, vcc_lo
	v_lshlrev_b64 v[1:2], 3, v[142:143]
	v_add_co_u32 v90, vcc_lo, s4, v4
	v_add_co_ci_u32_e32 v91, vcc_lo, s5, v5, vcc_lo
	v_lshlrev_b64 v[4:5], 3, v[144:145]
	v_add_co_u32 v92, vcc_lo, s4, v1
	v_add_co_ci_u32_e32 v93, vcc_lo, s5, v2, vcc_lo
	v_lshlrev_b64 v[1:2], 3, v[146:147]
	s_delay_alu instid0(VALU_DEP_4)
	v_add_co_u32 v94, vcc_lo, s4, v4
	v_add_co_ci_u32_e32 v95, vcc_lo, s5, v5, vcc_lo
	v_lshlrev_b64 v[4:5], 3, v[150:151]
	s_waitcnt vmcnt(12)
	scratch_store_b128 off, v[96:99], off offset:160
	v_add_co_u32 v96, vcc_lo, s4, v1
	s_clause 0x1
	global_load_b64 v[124:125], v[76:77], off
	global_load_b64 v[126:127], v[78:79], off
	v_add_co_ci_u32_e32 v97, vcc_lo, s5, v2, vcc_lo
	v_lshlrev_b64 v[1:2], 3, v[148:149]
	global_load_b64 v[128:129], v[80:81], off
	v_add_co_u32 v98, vcc_lo, s4, v1
	v_add_co_ci_u32_e32 v99, vcc_lo, s5, v2, vcc_lo
	v_lshlrev_b64 v[1:2], 3, v[152:153]
	s_waitcnt vmcnt(13)
	scratch_store_b128 off, v[100:103], off offset:176
	v_add_co_u32 v100, vcc_lo, s4, v4
	s_waitcnt vmcnt(11)
	scratch_store_b128 off, v[104:107], off offset:192
	s_clause 0x2
	global_load_b64 v[130:131], v[82:83], off
	global_load_b64 v[132:133], v[84:85], off
	;; [unrolled: 1-line block ×3, first 2 shown]
	v_add_co_ci_u32_e32 v101, vcc_lo, s5, v5, vcc_lo
	v_add_co_u32 v102, vcc_lo, s4, v1
	v_add_co_ci_u32_e32 v103, vcc_lo, s5, v2, vcc_lo
	global_load_b64 v[138:139], v[88:89], off
	v_lshlrev_b64 v[1:2], 3, v[154:155]
	v_lshlrev_b64 v[4:5], 3, v[158:159]
	s_delay_alu instid0(VALU_DEP_2) | instskip(NEXT) | instid1(VALU_DEP_3)
	v_add_co_u32 v104, vcc_lo, s4, v1
	v_add_co_ci_u32_e32 v105, vcc_lo, s5, v2, vcc_lo
	v_lshlrev_b64 v[1:2], 3, v[156:157]
	s_delay_alu instid0(VALU_DEP_1) | instskip(NEXT) | instid1(VALU_DEP_2)
	v_add_co_u32 v106, vcc_lo, s4, v1
	v_add_co_ci_u32_e32 v107, vcc_lo, s5, v2, vcc_lo
	v_lshlrev_b64 v[1:2], 3, v[160:161]
	s_waitcnt vmcnt(13)
	scratch_store_b128 off, v[108:111], off offset:208
	v_add_co_u32 v108, vcc_lo, s4, v4
	s_waitcnt vmcnt(11)
	scratch_store_b128 off, v[112:115], off offset:224
	s_clause 0x2
	global_load_b64 v[140:141], v[90:91], off
	global_load_b64 v[142:143], v[92:93], off
	;; [unrolled: 1-line block ×3, first 2 shown]
	s_waitcnt vmcnt(12)
	scratch_store_b128 off, v[116:119], off offset:240
	s_waitcnt vmcnt(10)
	scratch_store_b128 off, v[120:123], off offset:256
	s_clause 0x3
	global_load_b64 v[146:147], v[96:97], off
	global_load_b64 v[148:149], v[98:99], off
	;; [unrolled: 1-line block ×4, first 2 shown]
	v_add_co_ci_u32_e32 v109, vcc_lo, s5, v5, vcc_lo
	v_lshlrev_b64 v[4:5], 3, v[162:163]
	v_add_co_u32 v110, vcc_lo, s4, v1
	v_add_co_ci_u32_e32 v111, vcc_lo, s5, v2, vcc_lo
	v_lshlrev_b64 v[1:2], 3, v[164:165]
	s_delay_alu instid0(VALU_DEP_4) | instskip(SKIP_2) | instid1(VALU_DEP_4)
	v_add_co_u32 v112, vcc_lo, s4, v4
	v_add_co_ci_u32_e32 v113, vcc_lo, s5, v5, vcc_lo
	v_lshlrev_b64 v[4:5], 3, v[166:167]
	v_add_co_u32 v114, vcc_lo, s4, v1
	v_add_co_ci_u32_e32 v115, vcc_lo, s5, v2, vcc_lo
	v_lshlrev_b64 v[1:2], 3, v[168:169]
	s_delay_alu instid0(VALU_DEP_4) | instskip(SKIP_2) | instid1(VALU_DEP_4)
	v_add_co_u32 v116, vcc_lo, s4, v4
	;; [unrolled: 7-line block ×3, first 2 shown]
	v_add_co_ci_u32_e32 v121, vcc_lo, s5, v5, vcc_lo
	v_lshlrev_b64 v[4:5], 3, v[174:175]
	v_add_co_u32 v122, vcc_lo, s4, v1
	v_add_co_ci_u32_e32 v123, vcc_lo, s5, v2, vcc_lo
	v_lshlrev_b64 v[1:2], 3, v[176:177]
	global_load_b64 v[154:155], v[104:105], off
	s_waitcnt vmcnt(13)
	scratch_store_b128 off, v[124:127], off offset:272
	v_add_co_u32 v124, vcc_lo, s4, v4
	v_add_co_ci_u32_e32 v125, vcc_lo, s5, v5, vcc_lo
	v_lshlrev_b64 v[4:5], 3, v[178:179]
	v_add_co_u32 v126, vcc_lo, s4, v1
	v_add_co_ci_u32_e32 v127, vcc_lo, s5, v2, vcc_lo
	v_lshlrev_b64 v[1:2], 3, v[180:181]
	s_waitcnt vmcnt(11)
	scratch_store_b128 off, v[128:131], off offset:288
	s_waitcnt vmcnt(9)
	scratch_store_b128 off, v[132:135], off offset:304
	v_add_co_u32 v128, vcc_lo, s4, v4
	v_add_co_ci_u32_e32 v129, vcc_lo, s5, v5, vcc_lo
	v_lshlrev_b64 v[4:5], 3, v[182:183]
	v_add_co_u32 v130, vcc_lo, s4, v1
	v_add_co_ci_u32_e32 v131, vcc_lo, s5, v2, vcc_lo
	s_clause 0x3
	global_load_b64 v[156:157], v[106:107], off
	global_load_b64 v[158:159], v[108:109], off
	;; [unrolled: 1-line block ×4, first 2 shown]
	v_add_co_u32 v132, vcc_lo, s4, v4
	v_add_co_ci_u32_e32 v133, vcc_lo, s5, v5, vcc_lo
	s_waitcnt vmcnt(11)
	scratch_store_b128 off, v[138:141], off offset:320
	s_waitcnt vmcnt(9)
	scratch_store_b128 off, v[142:145], off offset:336
	s_clause 0x3
	global_load_b64 v[164:165], v[114:115], off
	global_load_b64 v[138:139], v[116:117], off
	;; [unrolled: 1-line block ×4, first 2 shown]
	s_waitcnt vmcnt(11)
	scratch_store_b128 off, v[146:149], off offset:352
	s_clause 0x2
	global_load_b64 v[144:145], v[122:123], off
	global_load_b64 v[146:147], v[124:125], off
	;; [unrolled: 1-line block ×3, first 2 shown]
	s_waitcnt vmcnt(12)
	scratch_store_b128 off, v[150:153], off offset:368
	s_clause 0x2
	global_load_b64 v[150:151], v[128:129], off
	global_load_b64 v[152:153], v[130:131], off
	;; [unrolled: 1-line block ×3, first 2 shown]
	s_waitcnt vmcnt(13)
	scratch_store_b128 off, v[154:157], off offset:384
	s_waitcnt vmcnt(11)
	scratch_store_b128 off, v[158:161], off offset:400
	;; [unrolled: 2-line block ×8, first 2 shown]
	s_cbranch_scc1 .LBB127_264
; %bb.4:
	v_cmp_eq_u32_e64 s0, 0, v0
	s_delay_alu instid0(VALU_DEP_1)
	s_and_saveexec_b32 s1, s0
	s_cbranch_execz .LBB127_6
; %bb.5:
	v_mov_b32_e32 v1, 0
	ds_store_b32 v1, v1 offset:1024
.LBB127_6:
	s_or_b32 exec_lo, exec_lo, s1
	s_waitcnt lgkmcnt(0)
	s_waitcnt_vscnt null, 0x0
	s_barrier
	buffer_gl0_inv
	scratch_load_b64 v[1:2], v3, off
	s_mov_b32 s4, exec_lo
	s_waitcnt vmcnt(0)
	v_cmpx_eq_f64_e32 0, v[1:2]
	s_cbranch_execz .LBB127_10
; %bb.7:
	v_mov_b32_e32 v1, 0
	s_mov_b32 s5, 0
	ds_load_b32 v2, v1 offset:1024
	s_waitcnt lgkmcnt(0)
	v_readfirstlane_b32 s1, v2
	v_add_nc_u32_e32 v2, 1, v0
	s_delay_alu instid0(VALU_DEP_2) | instskip(NEXT) | instid1(VALU_DEP_1)
	s_cmp_eq_u32 s1, 0
	v_cmp_gt_i32_e32 vcc_lo, s1, v2
	s_cselect_b32 s10, -1, 0
	s_delay_alu instid0(SALU_CYCLE_1) | instskip(NEXT) | instid1(SALU_CYCLE_1)
	s_or_b32 s10, s10, vcc_lo
	s_and_b32 exec_lo, exec_lo, s10
	s_cbranch_execz .LBB127_10
; %bb.8:
	v_mov_b32_e32 v4, s1
.LBB127_9:                              ; =>This Inner Loop Header: Depth=1
	ds_cmpstore_rtn_b32 v4, v1, v2, v4 offset:1024
	s_waitcnt lgkmcnt(0)
	v_cmp_ne_u32_e32 vcc_lo, 0, v4
	v_cmp_le_i32_e64 s1, v4, v2
	s_delay_alu instid0(VALU_DEP_1) | instskip(NEXT) | instid1(SALU_CYCLE_1)
	s_and_b32 s1, vcc_lo, s1
	s_and_b32 s1, exec_lo, s1
	s_delay_alu instid0(SALU_CYCLE_1) | instskip(NEXT) | instid1(SALU_CYCLE_1)
	s_or_b32 s5, s1, s5
	s_and_not1_b32 exec_lo, exec_lo, s5
	s_cbranch_execnz .LBB127_9
.LBB127_10:
	s_or_b32 exec_lo, exec_lo, s4
	v_mov_b32_e32 v1, 0
	s_barrier
	buffer_gl0_inv
	ds_load_b32 v2, v1 offset:1024
	s_and_saveexec_b32 s1, s0
	s_cbranch_execz .LBB127_12
; %bb.11:
	s_lshl_b64 s[4:5], s[8:9], 2
	s_delay_alu instid0(SALU_CYCLE_1)
	s_add_u32 s4, s6, s4
	s_addc_u32 s5, s7, s5
	s_waitcnt lgkmcnt(0)
	global_store_b32 v1, v2, s[4:5]
.LBB127_12:
	s_or_b32 exec_lo, exec_lo, s1
	s_waitcnt lgkmcnt(0)
	v_cmp_ne_u32_e32 vcc_lo, 0, v2
	s_mov_b32 s1, 0
	s_cbranch_vccnz .LBB127_264
; %bb.13:
	v_add_nc_u32_e32 v4, 0, v3
	v_or_b32_e32 v5, 0x200, v3
	scratch_load_b64 v[1:2], v4, off
	s_waitcnt vmcnt(0)
	v_div_scale_f64 v[134:135], null, v[1:2], v[1:2], 1.0
	v_div_scale_f64 v[140:141], vcc_lo, 1.0, v[1:2], 1.0
	s_delay_alu instid0(VALU_DEP_2) | instskip(SKIP_2) | instid1(VALU_DEP_1)
	v_rcp_f64_e32 v[136:137], v[134:135]
	s_waitcnt_depctr 0xfff
	v_fma_f64 v[138:139], -v[134:135], v[136:137], 1.0
	v_fma_f64 v[136:137], v[136:137], v[138:139], v[136:137]
	s_delay_alu instid0(VALU_DEP_1) | instskip(NEXT) | instid1(VALU_DEP_1)
	v_fma_f64 v[138:139], -v[134:135], v[136:137], 1.0
	v_fma_f64 v[136:137], v[136:137], v[138:139], v[136:137]
	s_delay_alu instid0(VALU_DEP_1) | instskip(NEXT) | instid1(VALU_DEP_1)
	v_mul_f64 v[138:139], v[140:141], v[136:137]
	v_fma_f64 v[134:135], -v[134:135], v[138:139], v[140:141]
	s_delay_alu instid0(VALU_DEP_1) | instskip(NEXT) | instid1(VALU_DEP_1)
	v_div_fmas_f64 v[134:135], v[134:135], v[136:137], v[138:139]
	v_div_fixup_f64 v[1:2], v[134:135], v[1:2], 1.0
	scratch_store_b64 v4, v[1:2], off
	scratch_load_b64 v[134:135], off, off offset:8
	v_xor_b32_e32 v2, 0x80000000, v2
	s_waitcnt vmcnt(0)
	ds_store_2addr_stride64_b64 v3, v[1:2], v[134:135] offset1:1
	s_waitcnt lgkmcnt(0)
	s_waitcnt_vscnt null, 0x0
	s_barrier
	buffer_gl0_inv
	s_and_saveexec_b32 s1, s0
	s_cbranch_execz .LBB127_15
; %bb.14:
	scratch_load_b64 v[1:2], v4, off
	ds_load_b64 v[134:135], v5
	s_waitcnt vmcnt(0) lgkmcnt(0)
	v_fma_f64 v[1:2], v[1:2], v[134:135], 0
	v_mov_b32_e32 v134, 0
	ds_load_b64 v[134:135], v134 offset:8
	s_waitcnt lgkmcnt(0)
	v_mul_f64 v[1:2], v[1:2], v[134:135]
	scratch_store_b64 off, v[1:2], off offset:8
.LBB127_15:
	s_or_b32 exec_lo, exec_lo, s1
	s_waitcnt_vscnt null, 0x0
	s_barrier
	buffer_gl0_inv
	scratch_load_b64 v[1:2], off, off offset:16
	s_mov_b32 s1, exec_lo
	s_waitcnt vmcnt(0)
	ds_store_b64 v5, v[1:2]
	s_waitcnt lgkmcnt(0)
	s_barrier
	buffer_gl0_inv
	v_cmpx_gt_u32_e32 2, v0
	s_cbranch_execz .LBB127_19
; %bb.16:
	scratch_load_b64 v[1:2], v4, off
	ds_load_b64 v[134:135], v5
	s_waitcnt vmcnt(0) lgkmcnt(0)
	v_fma_f64 v[1:2], v[1:2], v[134:135], 0
	s_and_saveexec_b32 s4, s0
	s_cbranch_execz .LBB127_18
; %bb.17:
	scratch_load_b64 v[134:135], off, off offset:8
	v_mov_b32_e32 v136, 0
	ds_load_b64 v[136:137], v136 offset:520
	s_waitcnt vmcnt(0) lgkmcnt(0)
	v_fma_f64 v[1:2], v[134:135], v[136:137], v[1:2]
.LBB127_18:
	s_or_b32 exec_lo, exec_lo, s4
	v_mov_b32_e32 v134, 0
	ds_load_b64 v[134:135], v134 offset:16
	s_waitcnt lgkmcnt(0)
	v_mul_f64 v[1:2], v[1:2], v[134:135]
	scratch_store_b64 off, v[1:2], off offset:16
.LBB127_19:
	s_or_b32 exec_lo, exec_lo, s1
	s_waitcnt_vscnt null, 0x0
	s_barrier
	buffer_gl0_inv
	scratch_load_b64 v[1:2], off, off offset:24
	v_add_nc_u32_e32 v134, -1, v0
	s_mov_b32 s0, exec_lo
	s_waitcnt vmcnt(0)
	ds_store_b64 v5, v[1:2]
	s_waitcnt lgkmcnt(0)
	s_barrier
	buffer_gl0_inv
	v_cmpx_gt_u32_e32 3, v0
	s_cbranch_execz .LBB127_23
; %bb.20:
	v_mov_b32_e32 v1, 0
	v_dual_mov_b32 v2, 0 :: v_dual_add_nc_u32 v135, -1, v0
	v_or_b32_e32 v136, 0x200, v3
	v_add_nc_u32_e32 v137, 0, v3
	s_mov_b32 s1, 0
.LBB127_21:                             ; =>This Inner Loop Header: Depth=1
	scratch_load_b64 v[138:139], v137, off
	ds_load_b64 v[140:141], v136
	v_add_nc_u32_e32 v135, 1, v135
	v_add_nc_u32_e32 v136, 8, v136
	v_add_nc_u32_e32 v137, 8, v137
	s_delay_alu instid0(VALU_DEP_3)
	v_cmp_lt_u32_e32 vcc_lo, 1, v135
	s_or_b32 s1, vcc_lo, s1
	s_waitcnt vmcnt(0) lgkmcnt(0)
	v_fma_f64 v[1:2], v[138:139], v[140:141], v[1:2]
	s_and_not1_b32 exec_lo, exec_lo, s1
	s_cbranch_execnz .LBB127_21
; %bb.22:
	s_or_b32 exec_lo, exec_lo, s1
	v_mov_b32_e32 v135, 0
	ds_load_b64 v[135:136], v135 offset:24
	s_waitcnt lgkmcnt(0)
	v_mul_f64 v[1:2], v[1:2], v[135:136]
	scratch_store_b64 off, v[1:2], off offset:24
.LBB127_23:
	s_or_b32 exec_lo, exec_lo, s0
	s_waitcnt_vscnt null, 0x0
	s_barrier
	buffer_gl0_inv
	scratch_load_b64 v[1:2], off, off offset:32
	s_mov_b32 s0, exec_lo
	s_waitcnt vmcnt(0)
	ds_store_b64 v5, v[1:2]
	s_waitcnt lgkmcnt(0)
	s_barrier
	buffer_gl0_inv
	v_cmpx_gt_u32_e32 4, v0
	s_cbranch_execz .LBB127_27
; %bb.24:
	v_mov_b32_e32 v1, 0
	v_dual_mov_b32 v2, 0 :: v_dual_add_nc_u32 v135, -1, v0
	v_or_b32_e32 v136, 0x200, v3
	v_add_nc_u32_e32 v137, 0, v3
	s_mov_b32 s1, 0
.LBB127_25:                             ; =>This Inner Loop Header: Depth=1
	scratch_load_b64 v[138:139], v137, off
	ds_load_b64 v[140:141], v136
	v_add_nc_u32_e32 v135, 1, v135
	v_add_nc_u32_e32 v136, 8, v136
	v_add_nc_u32_e32 v137, 8, v137
	s_delay_alu instid0(VALU_DEP_3)
	v_cmp_lt_u32_e32 vcc_lo, 2, v135
	s_or_b32 s1, vcc_lo, s1
	s_waitcnt vmcnt(0) lgkmcnt(0)
	v_fma_f64 v[1:2], v[138:139], v[140:141], v[1:2]
	s_and_not1_b32 exec_lo, exec_lo, s1
	s_cbranch_execnz .LBB127_25
; %bb.26:
	s_or_b32 exec_lo, exec_lo, s1
	v_mov_b32_e32 v135, 0
	ds_load_b64 v[135:136], v135 offset:32
	s_waitcnt lgkmcnt(0)
	v_mul_f64 v[1:2], v[1:2], v[135:136]
	scratch_store_b64 off, v[1:2], off offset:32
.LBB127_27:
	s_or_b32 exec_lo, exec_lo, s0
	s_waitcnt_vscnt null, 0x0
	s_barrier
	buffer_gl0_inv
	scratch_load_b64 v[1:2], off, off offset:40
	;; [unrolled: 40-line block ×20, first 2 shown]
	s_mov_b32 s0, exec_lo
	s_waitcnt vmcnt(0)
	ds_store_b64 v5, v[1:2]
	s_waitcnt lgkmcnt(0)
	s_barrier
	buffer_gl0_inv
	v_cmpx_gt_u32_e32 23, v0
	s_cbranch_execz .LBB127_103
; %bb.100:
	v_mov_b32_e32 v1, 0
	v_dual_mov_b32 v2, 0 :: v_dual_add_nc_u32 v135, -1, v0
	v_or_b32_e32 v136, 0x200, v3
	v_add_nc_u32_e32 v137, 0, v3
	s_mov_b32 s1, 0
.LBB127_101:                            ; =>This Inner Loop Header: Depth=1
	scratch_load_b64 v[138:139], v137, off
	ds_load_b64 v[140:141], v136
	v_add_nc_u32_e32 v135, 1, v135
	v_add_nc_u32_e32 v136, 8, v136
	v_add_nc_u32_e32 v137, 8, v137
	s_delay_alu instid0(VALU_DEP_3)
	v_cmp_lt_u32_e32 vcc_lo, 21, v135
	s_or_b32 s1, vcc_lo, s1
	s_waitcnt vmcnt(0) lgkmcnt(0)
	v_fma_f64 v[1:2], v[138:139], v[140:141], v[1:2]
	s_and_not1_b32 exec_lo, exec_lo, s1
	s_cbranch_execnz .LBB127_101
; %bb.102:
	s_or_b32 exec_lo, exec_lo, s1
	v_mov_b32_e32 v135, 0
	ds_load_b64 v[135:136], v135 offset:184
	s_waitcnt lgkmcnt(0)
	v_mul_f64 v[1:2], v[1:2], v[135:136]
	scratch_store_b64 off, v[1:2], off offset:184
.LBB127_103:
	s_or_b32 exec_lo, exec_lo, s0
	s_waitcnt_vscnt null, 0x0
	s_barrier
	buffer_gl0_inv
	scratch_load_b64 v[1:2], off, off offset:192
	s_mov_b32 s0, exec_lo
	s_waitcnt vmcnt(0)
	ds_store_b64 v5, v[1:2]
	s_waitcnt lgkmcnt(0)
	s_barrier
	buffer_gl0_inv
	v_cmpx_gt_u32_e32 24, v0
	s_cbranch_execz .LBB127_107
; %bb.104:
	v_mov_b32_e32 v1, 0
	v_dual_mov_b32 v2, 0 :: v_dual_add_nc_u32 v135, -1, v0
	v_or_b32_e32 v136, 0x200, v3
	v_add_nc_u32_e32 v137, 0, v3
	s_mov_b32 s1, 0
.LBB127_105:                            ; =>This Inner Loop Header: Depth=1
	scratch_load_b64 v[138:139], v137, off
	ds_load_b64 v[140:141], v136
	v_add_nc_u32_e32 v135, 1, v135
	v_add_nc_u32_e32 v136, 8, v136
	v_add_nc_u32_e32 v137, 8, v137
	s_delay_alu instid0(VALU_DEP_3)
	v_cmp_lt_u32_e32 vcc_lo, 22, v135
	s_or_b32 s1, vcc_lo, s1
	s_waitcnt vmcnt(0) lgkmcnt(0)
	v_fma_f64 v[1:2], v[138:139], v[140:141], v[1:2]
	s_and_not1_b32 exec_lo, exec_lo, s1
	s_cbranch_execnz .LBB127_105
; %bb.106:
	s_or_b32 exec_lo, exec_lo, s1
	v_mov_b32_e32 v135, 0
	ds_load_b64 v[135:136], v135 offset:192
	s_waitcnt lgkmcnt(0)
	v_mul_f64 v[1:2], v[1:2], v[135:136]
	scratch_store_b64 off, v[1:2], off offset:192
.LBB127_107:
	s_or_b32 exec_lo, exec_lo, s0
	s_waitcnt_vscnt null, 0x0
	s_barrier
	buffer_gl0_inv
	scratch_load_b64 v[1:2], off, off offset:200
	;; [unrolled: 40-line block ×40, first 2 shown]
	s_mov_b32 s0, exec_lo
	s_waitcnt vmcnt(0)
	ds_store_b64 v5, v[1:2]
	s_waitcnt lgkmcnt(0)
	s_barrier
	buffer_gl0_inv
	v_cmpx_ne_u32_e32 63, v0
	s_cbranch_execz .LBB127_263
; %bb.260:
	v_mov_b32_e32 v1, 0
	v_mov_b32_e32 v2, 0
	s_mov_b32 s1, 0
.LBB127_261:                            ; =>This Inner Loop Header: Depth=1
	scratch_load_b64 v[135:136], v4, off
	ds_load_b64 v[137:138], v5
	v_add_nc_u32_e32 v134, 1, v134
	v_add_nc_u32_e32 v5, 8, v5
	;; [unrolled: 1-line block ×3, first 2 shown]
	s_delay_alu instid0(VALU_DEP_3)
	v_cmp_lt_u32_e32 vcc_lo, 61, v134
	s_or_b32 s1, vcc_lo, s1
	s_waitcnt vmcnt(0) lgkmcnt(0)
	v_fma_f64 v[1:2], v[135:136], v[137:138], v[1:2]
	s_and_not1_b32 exec_lo, exec_lo, s1
	s_cbranch_execnz .LBB127_261
; %bb.262:
	s_or_b32 exec_lo, exec_lo, s1
	v_mov_b32_e32 v3, 0
	ds_load_b64 v[3:4], v3 offset:504
	s_waitcnt lgkmcnt(0)
	v_mul_f64 v[1:2], v[1:2], v[3:4]
	scratch_store_b64 off, v[1:2], off offset:504
.LBB127_263:
	s_or_b32 exec_lo, exec_lo, s0
	s_mov_b32 s1, -1
	s_waitcnt_vscnt null, 0x0
	s_barrier
	buffer_gl0_inv
.LBB127_264:
	s_and_b32 vcc_lo, exec_lo, s1
	s_cbranch_vccz .LBB127_266
; %bb.265:
	s_lshl_b64 s[0:1], s[8:9], 2
	v_mov_b32_e32 v1, 0
	s_add_u32 s0, s6, s0
	s_addc_u32 s1, s7, s1
	global_load_b32 v1, v1, s[0:1]
	s_waitcnt vmcnt(0)
	v_cmp_ne_u32_e32 vcc_lo, 0, v1
	s_cbranch_vccz .LBB127_267
.LBB127_266:
	s_endpgm
.LBB127_267:
	v_lshl_or_b32 v5, v0, 3, 0x200
	s_mov_b32 s0, exec_lo
	v_cmpx_eq_u32_e32 63, v0
	s_cbranch_execz .LBB127_269
; %bb.268:
	scratch_load_b64 v[1:2], off, off offset:496
	v_mov_b32_e32 v3, 0
	s_delay_alu instid0(VALU_DEP_1)
	v_mov_b32_e32 v4, v3
	scratch_store_b64 off, v[3:4], off offset:496
	s_waitcnt vmcnt(0)
	ds_store_b64 v5, v[1:2]
.LBB127_269:
	s_or_b32 exec_lo, exec_lo, s0
	s_waitcnt lgkmcnt(0)
	s_waitcnt_vscnt null, 0x0
	s_barrier
	buffer_gl0_inv
	scratch_load_b128 v[134:137], off, off offset:496
	v_mov_b32_e32 v1, 0
	s_mov_b32 s0, exec_lo
	ds_load_b64 v[2:3], v1 offset:1016
	s_waitcnt vmcnt(0) lgkmcnt(0)
	v_fma_f64 v[2:3], v[136:137], v[2:3], 0
	s_delay_alu instid0(VALU_DEP_1)
	v_add_f64 v[2:3], v[134:135], -v[2:3]
	scratch_store_b64 off, v[2:3], off offset:496
	v_cmpx_lt_u32_e32 61, v0
	s_cbranch_execz .LBB127_271
; %bb.270:
	scratch_load_b64 v[3:4], off, off offset:488
	v_mov_b32_e32 v2, v1
	scratch_store_b64 off, v[1:2], off offset:488
	s_waitcnt vmcnt(0)
	ds_store_b64 v5, v[3:4]
.LBB127_271:
	s_or_b32 exec_lo, exec_lo, s0
	s_waitcnt lgkmcnt(0)
	s_waitcnt_vscnt null, 0x0
	s_barrier
	buffer_gl0_inv
	s_clause 0x1
	scratch_load_b128 v[134:137], off, off offset:488
	scratch_load_b64 v[138:139], off, off offset:504
	ds_load_b128 v[1:4], v1 offset:1008
	s_mov_b32 s0, exec_lo
	s_waitcnt vmcnt(1) lgkmcnt(0)
	v_fma_f64 v[1:2], v[136:137], v[1:2], 0
	s_waitcnt vmcnt(0)
	s_delay_alu instid0(VALU_DEP_1) | instskip(NEXT) | instid1(VALU_DEP_1)
	v_fma_f64 v[1:2], v[138:139], v[3:4], v[1:2]
	v_add_f64 v[1:2], v[134:135], -v[1:2]
	scratch_store_b64 off, v[1:2], off offset:488
	v_cmpx_lt_u32_e32 60, v0
	s_cbranch_execz .LBB127_273
; %bb.272:
	scratch_load_b64 v[1:2], off, off offset:480
	v_mov_b32_e32 v3, 0
	s_delay_alu instid0(VALU_DEP_1)
	v_mov_b32_e32 v4, v3
	scratch_store_b64 off, v[3:4], off offset:480
	s_waitcnt vmcnt(0)
	ds_store_b64 v5, v[1:2]
.LBB127_273:
	s_or_b32 exec_lo, exec_lo, s0
	s_waitcnt lgkmcnt(0)
	s_waitcnt_vscnt null, 0x0
	s_barrier
	buffer_gl0_inv
	s_clause 0x1
	scratch_load_b128 v[134:137], off, off offset:480
	scratch_load_b128 v[138:141], off, off offset:496
	v_mov_b32_e32 v1, 0
	s_mov_b32 s0, exec_lo
	ds_load_2addr_b64 v[142:145], v1 offset0:125 offset1:126
	s_waitcnt vmcnt(1) lgkmcnt(0)
	v_fma_f64 v[2:3], v[136:137], v[142:143], 0
	ds_load_b64 v[136:137], v1 offset:1016
	s_waitcnt vmcnt(0)
	v_fma_f64 v[2:3], v[138:139], v[144:145], v[2:3]
	s_waitcnt lgkmcnt(0)
	s_delay_alu instid0(VALU_DEP_1) | instskip(NEXT) | instid1(VALU_DEP_1)
	v_fma_f64 v[2:3], v[140:141], v[136:137], v[2:3]
	v_add_f64 v[2:3], v[134:135], -v[2:3]
	scratch_store_b64 off, v[2:3], off offset:480
	v_cmpx_lt_u32_e32 59, v0
	s_cbranch_execz .LBB127_275
; %bb.274:
	scratch_load_b64 v[3:4], off, off offset:472
	v_mov_b32_e32 v2, v1
	scratch_store_b64 off, v[1:2], off offset:472
	s_waitcnt vmcnt(0)
	ds_store_b64 v5, v[3:4]
.LBB127_275:
	s_or_b32 exec_lo, exec_lo, s0
	s_waitcnt lgkmcnt(0)
	s_waitcnt_vscnt null, 0x0
	s_barrier
	buffer_gl0_inv
	s_clause 0x2
	scratch_load_b128 v[134:137], off, off offset:472
	scratch_load_b128 v[138:141], off, off offset:488
	scratch_load_b64 v[146:147], off, off offset:504
	ds_load_b128 v[142:145], v1 offset:992
	ds_load_b128 v[1:4], v1 offset:1008
	s_mov_b32 s0, exec_lo
	s_waitcnt vmcnt(2) lgkmcnt(1)
	v_fma_f64 v[136:137], v[136:137], v[142:143], 0
	s_waitcnt vmcnt(1)
	s_delay_alu instid0(VALU_DEP_1) | instskip(SKIP_1) | instid1(VALU_DEP_1)
	v_fma_f64 v[136:137], v[138:139], v[144:145], v[136:137]
	s_waitcnt lgkmcnt(0)
	v_fma_f64 v[1:2], v[140:141], v[1:2], v[136:137]
	s_waitcnt vmcnt(0)
	s_delay_alu instid0(VALU_DEP_1) | instskip(NEXT) | instid1(VALU_DEP_1)
	v_fma_f64 v[1:2], v[146:147], v[3:4], v[1:2]
	v_add_f64 v[1:2], v[134:135], -v[1:2]
	scratch_store_b64 off, v[1:2], off offset:472
	v_cmpx_lt_u32_e32 58, v0
	s_cbranch_execz .LBB127_277
; %bb.276:
	scratch_load_b64 v[1:2], off, off offset:464
	v_mov_b32_e32 v3, 0
	s_delay_alu instid0(VALU_DEP_1)
	v_mov_b32_e32 v4, v3
	scratch_store_b64 off, v[3:4], off offset:464
	s_waitcnt vmcnt(0)
	ds_store_b64 v5, v[1:2]
.LBB127_277:
	s_or_b32 exec_lo, exec_lo, s0
	s_waitcnt lgkmcnt(0)
	s_waitcnt_vscnt null, 0x0
	s_barrier
	buffer_gl0_inv
	s_clause 0x2
	scratch_load_b128 v[134:137], off, off offset:464
	scratch_load_b128 v[138:141], off, off offset:480
	;; [unrolled: 1-line block ×3, first 2 shown]
	v_mov_b32_e32 v1, 0
	ds_load_2addr_b64 v[146:149], v1 offset0:123 offset1:124
	ds_load_2addr_b64 v[150:153], v1 offset0:125 offset1:126
	s_mov_b32 s0, exec_lo
	s_waitcnt vmcnt(2) lgkmcnt(1)
	v_fma_f64 v[2:3], v[136:137], v[146:147], 0
	ds_load_b64 v[136:137], v1 offset:1016
	s_waitcnt vmcnt(1)
	v_fma_f64 v[2:3], v[138:139], v[148:149], v[2:3]
	s_waitcnt lgkmcnt(1)
	s_delay_alu instid0(VALU_DEP_1) | instskip(SKIP_1) | instid1(VALU_DEP_1)
	v_fma_f64 v[2:3], v[140:141], v[150:151], v[2:3]
	s_waitcnt vmcnt(0)
	v_fma_f64 v[2:3], v[142:143], v[152:153], v[2:3]
	s_waitcnt lgkmcnt(0)
	s_delay_alu instid0(VALU_DEP_1) | instskip(NEXT) | instid1(VALU_DEP_1)
	v_fma_f64 v[2:3], v[144:145], v[136:137], v[2:3]
	v_add_f64 v[2:3], v[134:135], -v[2:3]
	scratch_store_b64 off, v[2:3], off offset:464
	v_cmpx_lt_u32_e32 57, v0
	s_cbranch_execz .LBB127_279
; %bb.278:
	scratch_load_b64 v[3:4], off, off offset:456
	v_mov_b32_e32 v2, v1
	scratch_store_b64 off, v[1:2], off offset:456
	s_waitcnt vmcnt(0)
	ds_store_b64 v5, v[3:4]
.LBB127_279:
	s_or_b32 exec_lo, exec_lo, s0
	s_waitcnt lgkmcnt(0)
	s_waitcnt_vscnt null, 0x0
	s_barrier
	buffer_gl0_inv
	s_clause 0x3
	scratch_load_b128 v[134:137], off, off offset:456
	scratch_load_b128 v[138:141], off, off offset:472
	;; [unrolled: 1-line block ×3, first 2 shown]
	scratch_load_b64 v[154:155], off, off offset:504
	ds_load_b128 v[146:149], v1 offset:976
	ds_load_b128 v[150:153], v1 offset:992
	s_mov_b32 s0, exec_lo
	s_waitcnt vmcnt(3) lgkmcnt(1)
	v_fma_f64 v[2:3], v[136:137], v[146:147], 0
	s_waitcnt vmcnt(2)
	s_delay_alu instid0(VALU_DEP_1) | instskip(SKIP_1) | instid1(VALU_DEP_1)
	v_fma_f64 v[2:3], v[138:139], v[148:149], v[2:3]
	s_waitcnt lgkmcnt(0)
	v_fma_f64 v[2:3], v[140:141], v[150:151], v[2:3]
	s_waitcnt vmcnt(1)
	s_delay_alu instid0(VALU_DEP_1) | instskip(SKIP_4) | instid1(VALU_DEP_1)
	v_fma_f64 v[136:137], v[142:143], v[152:153], v[2:3]
	ds_load_b128 v[1:4], v1 offset:1008
	s_waitcnt lgkmcnt(0)
	v_fma_f64 v[1:2], v[144:145], v[1:2], v[136:137]
	s_waitcnt vmcnt(0)
	v_fma_f64 v[1:2], v[154:155], v[3:4], v[1:2]
	s_delay_alu instid0(VALU_DEP_1)
	v_add_f64 v[1:2], v[134:135], -v[1:2]
	scratch_store_b64 off, v[1:2], off offset:456
	v_cmpx_lt_u32_e32 56, v0
	s_cbranch_execz .LBB127_281
; %bb.280:
	scratch_load_b64 v[1:2], off, off offset:448
	v_mov_b32_e32 v3, 0
	s_delay_alu instid0(VALU_DEP_1)
	v_mov_b32_e32 v4, v3
	scratch_store_b64 off, v[3:4], off offset:448
	s_waitcnt vmcnt(0)
	ds_store_b64 v5, v[1:2]
.LBB127_281:
	s_or_b32 exec_lo, exec_lo, s0
	s_waitcnt lgkmcnt(0)
	s_waitcnt_vscnt null, 0x0
	s_barrier
	buffer_gl0_inv
	s_clause 0x3
	scratch_load_b128 v[134:137], off, off offset:448
	scratch_load_b128 v[138:141], off, off offset:464
	;; [unrolled: 1-line block ×4, first 2 shown]
	v_mov_b32_e32 v1, 0
	ds_load_2addr_b64 v[150:153], v1 offset0:121 offset1:122
	ds_load_2addr_b64 v[154:157], v1 offset0:123 offset1:124
	s_mov_b32 s0, exec_lo
	s_waitcnt vmcnt(3) lgkmcnt(1)
	v_fma_f64 v[2:3], v[136:137], v[150:151], 0
	s_waitcnt vmcnt(2)
	s_delay_alu instid0(VALU_DEP_1) | instskip(SKIP_1) | instid1(VALU_DEP_1)
	v_fma_f64 v[2:3], v[138:139], v[152:153], v[2:3]
	s_waitcnt lgkmcnt(0)
	v_fma_f64 v[2:3], v[140:141], v[154:155], v[2:3]
	ds_load_2addr_b64 v[136:139], v1 offset0:125 offset1:126
	ds_load_b64 v[140:141], v1 offset:1016
	s_waitcnt vmcnt(1)
	v_fma_f64 v[2:3], v[142:143], v[156:157], v[2:3]
	s_waitcnt lgkmcnt(1)
	s_delay_alu instid0(VALU_DEP_1) | instskip(SKIP_1) | instid1(VALU_DEP_1)
	v_fma_f64 v[2:3], v[144:145], v[136:137], v[2:3]
	s_waitcnt vmcnt(0)
	v_fma_f64 v[2:3], v[146:147], v[138:139], v[2:3]
	s_waitcnt lgkmcnt(0)
	s_delay_alu instid0(VALU_DEP_1) | instskip(NEXT) | instid1(VALU_DEP_1)
	v_fma_f64 v[2:3], v[148:149], v[140:141], v[2:3]
	v_add_f64 v[2:3], v[134:135], -v[2:3]
	scratch_store_b64 off, v[2:3], off offset:448
	v_cmpx_lt_u32_e32 55, v0
	s_cbranch_execz .LBB127_283
; %bb.282:
	scratch_load_b64 v[3:4], off, off offset:440
	v_mov_b32_e32 v2, v1
	scratch_store_b64 off, v[1:2], off offset:440
	s_waitcnt vmcnt(0)
	ds_store_b64 v5, v[3:4]
.LBB127_283:
	s_or_b32 exec_lo, exec_lo, s0
	s_waitcnt lgkmcnt(0)
	s_waitcnt_vscnt null, 0x0
	s_barrier
	buffer_gl0_inv
	s_clause 0x4
	scratch_load_b128 v[134:137], off, off offset:440
	scratch_load_b128 v[138:141], off, off offset:456
	;; [unrolled: 1-line block ×4, first 2 shown]
	scratch_load_b64 v[158:159], off, off offset:504
	ds_load_b128 v[150:153], v1 offset:960
	ds_load_b128 v[154:157], v1 offset:976
	s_mov_b32 s0, exec_lo
	s_waitcnt vmcnt(4) lgkmcnt(1)
	v_fma_f64 v[2:3], v[136:137], v[150:151], 0
	s_waitcnt vmcnt(3)
	s_delay_alu instid0(VALU_DEP_1) | instskip(SKIP_1) | instid1(VALU_DEP_1)
	v_fma_f64 v[2:3], v[138:139], v[152:153], v[2:3]
	s_waitcnt lgkmcnt(0)
	v_fma_f64 v[2:3], v[140:141], v[154:155], v[2:3]
	s_waitcnt vmcnt(2)
	s_delay_alu instid0(VALU_DEP_1)
	v_fma_f64 v[140:141], v[142:143], v[156:157], v[2:3]
	ds_load_b128 v[136:139], v1 offset:992
	ds_load_b128 v[1:4], v1 offset:1008
	s_waitcnt lgkmcnt(1)
	v_fma_f64 v[136:137], v[144:145], v[136:137], v[140:141]
	s_waitcnt vmcnt(1)
	s_delay_alu instid0(VALU_DEP_1) | instskip(SKIP_1) | instid1(VALU_DEP_1)
	v_fma_f64 v[136:137], v[146:147], v[138:139], v[136:137]
	s_waitcnt lgkmcnt(0)
	v_fma_f64 v[1:2], v[148:149], v[1:2], v[136:137]
	s_waitcnt vmcnt(0)
	s_delay_alu instid0(VALU_DEP_1) | instskip(NEXT) | instid1(VALU_DEP_1)
	v_fma_f64 v[1:2], v[158:159], v[3:4], v[1:2]
	v_add_f64 v[1:2], v[134:135], -v[1:2]
	scratch_store_b64 off, v[1:2], off offset:440
	v_cmpx_lt_u32_e32 54, v0
	s_cbranch_execz .LBB127_285
; %bb.284:
	scratch_load_b64 v[1:2], off, off offset:432
	v_mov_b32_e32 v3, 0
	s_delay_alu instid0(VALU_DEP_1)
	v_mov_b32_e32 v4, v3
	scratch_store_b64 off, v[3:4], off offset:432
	s_waitcnt vmcnt(0)
	ds_store_b64 v5, v[1:2]
.LBB127_285:
	s_or_b32 exec_lo, exec_lo, s0
	s_waitcnt lgkmcnt(0)
	s_waitcnt_vscnt null, 0x0
	s_barrier
	buffer_gl0_inv
	s_clause 0x4
	scratch_load_b128 v[134:137], off, off offset:432
	scratch_load_b128 v[138:141], off, off offset:448
	;; [unrolled: 1-line block ×5, first 2 shown]
	v_mov_b32_e32 v1, 0
	ds_load_2addr_b64 v[154:157], v1 offset0:119 offset1:120
	ds_load_2addr_b64 v[158:161], v1 offset0:121 offset1:122
	s_mov_b32 s0, exec_lo
	s_waitcnt vmcnt(4) lgkmcnt(1)
	v_fma_f64 v[2:3], v[136:137], v[154:155], 0
	s_waitcnt vmcnt(3)
	s_delay_alu instid0(VALU_DEP_1) | instskip(SKIP_1) | instid1(VALU_DEP_1)
	v_fma_f64 v[2:3], v[138:139], v[156:157], v[2:3]
	s_waitcnt lgkmcnt(0)
	v_fma_f64 v[2:3], v[140:141], v[158:159], v[2:3]
	s_waitcnt vmcnt(2)
	s_delay_alu instid0(VALU_DEP_1)
	v_fma_f64 v[2:3], v[142:143], v[160:161], v[2:3]
	ds_load_2addr_b64 v[136:139], v1 offset0:123 offset1:124
	ds_load_2addr_b64 v[140:143], v1 offset0:125 offset1:126
	s_waitcnt lgkmcnt(1)
	v_fma_f64 v[2:3], v[144:145], v[136:137], v[2:3]
	ds_load_b64 v[136:137], v1 offset:1016
	s_waitcnt vmcnt(1)
	v_fma_f64 v[2:3], v[146:147], v[138:139], v[2:3]
	s_waitcnt lgkmcnt(1)
	s_delay_alu instid0(VALU_DEP_1) | instskip(SKIP_1) | instid1(VALU_DEP_1)
	v_fma_f64 v[2:3], v[148:149], v[140:141], v[2:3]
	s_waitcnt vmcnt(0)
	v_fma_f64 v[2:3], v[150:151], v[142:143], v[2:3]
	s_waitcnt lgkmcnt(0)
	s_delay_alu instid0(VALU_DEP_1) | instskip(NEXT) | instid1(VALU_DEP_1)
	v_fma_f64 v[2:3], v[152:153], v[136:137], v[2:3]
	v_add_f64 v[2:3], v[134:135], -v[2:3]
	scratch_store_b64 off, v[2:3], off offset:432
	v_cmpx_lt_u32_e32 53, v0
	s_cbranch_execz .LBB127_287
; %bb.286:
	scratch_load_b64 v[3:4], off, off offset:424
	v_mov_b32_e32 v2, v1
	scratch_store_b64 off, v[1:2], off offset:424
	s_waitcnt vmcnt(0)
	ds_store_b64 v5, v[3:4]
.LBB127_287:
	s_or_b32 exec_lo, exec_lo, s0
	s_waitcnt lgkmcnt(0)
	s_waitcnt_vscnt null, 0x0
	s_barrier
	buffer_gl0_inv
	s_clause 0x4
	scratch_load_b128 v[134:137], off, off offset:424
	scratch_load_b128 v[138:141], off, off offset:440
	;; [unrolled: 1-line block ×5, first 2 shown]
	ds_load_b128 v[154:157], v1 offset:944
	ds_load_b128 v[158:161], v1 offset:960
	s_mov_b32 s0, exec_lo
	s_waitcnt vmcnt(4) lgkmcnt(1)
	v_fma_f64 v[2:3], v[136:137], v[154:155], 0
	scratch_load_b64 v[154:155], off, off offset:504
	s_waitcnt vmcnt(4)
	v_fma_f64 v[2:3], v[138:139], v[156:157], v[2:3]
	s_waitcnt lgkmcnt(0)
	s_delay_alu instid0(VALU_DEP_1) | instskip(SKIP_1) | instid1(VALU_DEP_1)
	v_fma_f64 v[2:3], v[140:141], v[158:159], v[2:3]
	s_waitcnt vmcnt(3)
	v_fma_f64 v[2:3], v[142:143], v[160:161], v[2:3]
	ds_load_b128 v[136:139], v1 offset:976
	ds_load_b128 v[140:143], v1 offset:992
	s_waitcnt lgkmcnt(1)
	v_fma_f64 v[2:3], v[144:145], v[136:137], v[2:3]
	s_waitcnt vmcnt(2)
	s_delay_alu instid0(VALU_DEP_1) | instskip(SKIP_1) | instid1(VALU_DEP_1)
	v_fma_f64 v[2:3], v[146:147], v[138:139], v[2:3]
	s_waitcnt lgkmcnt(0)
	v_fma_f64 v[2:3], v[148:149], v[140:141], v[2:3]
	s_waitcnt vmcnt(1)
	s_delay_alu instid0(VALU_DEP_1) | instskip(SKIP_4) | instid1(VALU_DEP_1)
	v_fma_f64 v[136:137], v[150:151], v[142:143], v[2:3]
	ds_load_b128 v[1:4], v1 offset:1008
	s_waitcnt lgkmcnt(0)
	v_fma_f64 v[1:2], v[152:153], v[1:2], v[136:137]
	s_waitcnt vmcnt(0)
	v_fma_f64 v[1:2], v[154:155], v[3:4], v[1:2]
	s_delay_alu instid0(VALU_DEP_1)
	v_add_f64 v[1:2], v[134:135], -v[1:2]
	scratch_store_b64 off, v[1:2], off offset:424
	v_cmpx_lt_u32_e32 52, v0
	s_cbranch_execz .LBB127_289
; %bb.288:
	scratch_load_b64 v[1:2], off, off offset:416
	v_mov_b32_e32 v3, 0
	s_delay_alu instid0(VALU_DEP_1)
	v_mov_b32_e32 v4, v3
	scratch_store_b64 off, v[3:4], off offset:416
	s_waitcnt vmcnt(0)
	ds_store_b64 v5, v[1:2]
.LBB127_289:
	s_or_b32 exec_lo, exec_lo, s0
	s_waitcnt lgkmcnt(0)
	s_waitcnt_vscnt null, 0x0
	s_barrier
	buffer_gl0_inv
	s_clause 0x4
	scratch_load_b128 v[134:137], off, off offset:416
	scratch_load_b128 v[138:141], off, off offset:432
	;; [unrolled: 1-line block ×5, first 2 shown]
	v_mov_b32_e32 v1, 0
	ds_load_2addr_b64 v[154:157], v1 offset0:117 offset1:118
	ds_load_2addr_b64 v[158:161], v1 offset0:119 offset1:120
	scratch_load_b128 v[162:165], off, off offset:496
	s_mov_b32 s0, exec_lo
	s_waitcnt vmcnt(5) lgkmcnt(1)
	v_fma_f64 v[2:3], v[136:137], v[154:155], 0
	s_waitcnt vmcnt(4)
	s_delay_alu instid0(VALU_DEP_1) | instskip(SKIP_1) | instid1(VALU_DEP_1)
	v_fma_f64 v[2:3], v[138:139], v[156:157], v[2:3]
	s_waitcnt lgkmcnt(0)
	v_fma_f64 v[2:3], v[140:141], v[158:159], v[2:3]
	s_waitcnt vmcnt(3)
	s_delay_alu instid0(VALU_DEP_1)
	v_fma_f64 v[2:3], v[142:143], v[160:161], v[2:3]
	ds_load_2addr_b64 v[136:139], v1 offset0:121 offset1:122
	ds_load_2addr_b64 v[140:143], v1 offset0:123 offset1:124
	s_waitcnt lgkmcnt(1)
	v_fma_f64 v[2:3], v[144:145], v[136:137], v[2:3]
	s_waitcnt vmcnt(2)
	s_delay_alu instid0(VALU_DEP_1) | instskip(SKIP_1) | instid1(VALU_DEP_1)
	v_fma_f64 v[2:3], v[146:147], v[138:139], v[2:3]
	s_waitcnt lgkmcnt(0)
	v_fma_f64 v[2:3], v[148:149], v[140:141], v[2:3]
	ds_load_2addr_b64 v[136:139], v1 offset0:125 offset1:126
	ds_load_b64 v[140:141], v1 offset:1016
	s_waitcnt vmcnt(1)
	v_fma_f64 v[2:3], v[150:151], v[142:143], v[2:3]
	s_waitcnt lgkmcnt(1)
	s_delay_alu instid0(VALU_DEP_1) | instskip(SKIP_1) | instid1(VALU_DEP_1)
	v_fma_f64 v[2:3], v[152:153], v[136:137], v[2:3]
	s_waitcnt vmcnt(0)
	v_fma_f64 v[2:3], v[162:163], v[138:139], v[2:3]
	s_waitcnt lgkmcnt(0)
	s_delay_alu instid0(VALU_DEP_1) | instskip(NEXT) | instid1(VALU_DEP_1)
	v_fma_f64 v[2:3], v[164:165], v[140:141], v[2:3]
	v_add_f64 v[2:3], v[134:135], -v[2:3]
	scratch_store_b64 off, v[2:3], off offset:416
	v_cmpx_lt_u32_e32 51, v0
	s_cbranch_execz .LBB127_291
; %bb.290:
	scratch_load_b64 v[3:4], off, off offset:408
	v_mov_b32_e32 v2, v1
	scratch_store_b64 off, v[1:2], off offset:408
	s_waitcnt vmcnt(0)
	ds_store_b64 v5, v[3:4]
.LBB127_291:
	s_or_b32 exec_lo, exec_lo, s0
	s_waitcnt lgkmcnt(0)
	s_waitcnt_vscnt null, 0x0
	s_barrier
	buffer_gl0_inv
	s_clause 0x4
	scratch_load_b128 v[134:137], off, off offset:408
	scratch_load_b128 v[138:141], off, off offset:424
	;; [unrolled: 1-line block ×5, first 2 shown]
	ds_load_b128 v[154:157], v1 offset:928
	ds_load_b128 v[158:161], v1 offset:944
	scratch_load_b128 v[162:165], off, off offset:488
	s_mov_b32 s0, exec_lo
	s_waitcnt vmcnt(5) lgkmcnt(1)
	v_fma_f64 v[2:3], v[136:137], v[154:155], 0
	scratch_load_b64 v[154:155], off, off offset:504
	s_waitcnt vmcnt(5)
	v_fma_f64 v[2:3], v[138:139], v[156:157], v[2:3]
	s_waitcnt lgkmcnt(0)
	s_delay_alu instid0(VALU_DEP_1) | instskip(SKIP_1) | instid1(VALU_DEP_1)
	v_fma_f64 v[2:3], v[140:141], v[158:159], v[2:3]
	s_waitcnt vmcnt(4)
	v_fma_f64 v[2:3], v[142:143], v[160:161], v[2:3]
	ds_load_b128 v[136:139], v1 offset:960
	ds_load_b128 v[140:143], v1 offset:976
	s_waitcnt lgkmcnt(1)
	v_fma_f64 v[2:3], v[144:145], v[136:137], v[2:3]
	s_waitcnt vmcnt(3)
	s_delay_alu instid0(VALU_DEP_1) | instskip(SKIP_1) | instid1(VALU_DEP_1)
	v_fma_f64 v[2:3], v[146:147], v[138:139], v[2:3]
	s_waitcnt lgkmcnt(0)
	v_fma_f64 v[2:3], v[148:149], v[140:141], v[2:3]
	s_waitcnt vmcnt(2)
	s_delay_alu instid0(VALU_DEP_1)
	v_fma_f64 v[140:141], v[150:151], v[142:143], v[2:3]
	ds_load_b128 v[136:139], v1 offset:992
	ds_load_b128 v[1:4], v1 offset:1008
	s_waitcnt lgkmcnt(1)
	v_fma_f64 v[136:137], v[152:153], v[136:137], v[140:141]
	s_waitcnt vmcnt(1)
	s_delay_alu instid0(VALU_DEP_1) | instskip(SKIP_1) | instid1(VALU_DEP_1)
	v_fma_f64 v[136:137], v[162:163], v[138:139], v[136:137]
	s_waitcnt lgkmcnt(0)
	v_fma_f64 v[1:2], v[164:165], v[1:2], v[136:137]
	s_waitcnt vmcnt(0)
	s_delay_alu instid0(VALU_DEP_1) | instskip(NEXT) | instid1(VALU_DEP_1)
	v_fma_f64 v[1:2], v[154:155], v[3:4], v[1:2]
	v_add_f64 v[1:2], v[134:135], -v[1:2]
	scratch_store_b64 off, v[1:2], off offset:408
	v_cmpx_lt_u32_e32 50, v0
	s_cbranch_execz .LBB127_293
; %bb.292:
	scratch_load_b64 v[1:2], off, off offset:400
	v_mov_b32_e32 v3, 0
	s_delay_alu instid0(VALU_DEP_1)
	v_mov_b32_e32 v4, v3
	scratch_store_b64 off, v[3:4], off offset:400
	s_waitcnt vmcnt(0)
	ds_store_b64 v5, v[1:2]
.LBB127_293:
	s_or_b32 exec_lo, exec_lo, s0
	s_waitcnt lgkmcnt(0)
	s_waitcnt_vscnt null, 0x0
	s_barrier
	buffer_gl0_inv
	s_clause 0x4
	scratch_load_b128 v[134:137], off, off offset:400
	scratch_load_b128 v[138:141], off, off offset:416
	;; [unrolled: 1-line block ×5, first 2 shown]
	v_mov_b32_e32 v1, 0
	ds_load_2addr_b64 v[154:157], v1 offset0:115 offset1:116
	ds_load_2addr_b64 v[158:161], v1 offset0:117 offset1:118
	scratch_load_b128 v[162:165], off, off offset:480
	s_mov_b32 s0, exec_lo
	s_waitcnt vmcnt(5) lgkmcnt(1)
	v_fma_f64 v[2:3], v[136:137], v[154:155], 0
	s_waitcnt vmcnt(4)
	s_delay_alu instid0(VALU_DEP_1) | instskip(SKIP_4) | instid1(VALU_DEP_1)
	v_fma_f64 v[2:3], v[138:139], v[156:157], v[2:3]
	scratch_load_b128 v[136:139], off, off offset:496
	s_waitcnt lgkmcnt(0)
	v_fma_f64 v[2:3], v[140:141], v[158:159], v[2:3]
	s_waitcnt vmcnt(4)
	v_fma_f64 v[2:3], v[142:143], v[160:161], v[2:3]
	ds_load_2addr_b64 v[140:143], v1 offset0:119 offset1:120
	ds_load_2addr_b64 v[154:157], v1 offset0:121 offset1:122
	s_waitcnt lgkmcnt(1)
	v_fma_f64 v[2:3], v[144:145], v[140:141], v[2:3]
	s_waitcnt vmcnt(3)
	s_delay_alu instid0(VALU_DEP_1)
	v_fma_f64 v[2:3], v[146:147], v[142:143], v[2:3]
	ds_load_2addr_b64 v[140:143], v1 offset0:123 offset1:124
	ds_load_2addr_b64 v[144:147], v1 offset0:125 offset1:126
	s_waitcnt lgkmcnt(2)
	v_fma_f64 v[2:3], v[148:149], v[154:155], v[2:3]
	s_waitcnt vmcnt(2)
	s_delay_alu instid0(VALU_DEP_1) | instskip(SKIP_1) | instid1(VALU_DEP_1)
	v_fma_f64 v[2:3], v[150:151], v[156:157], v[2:3]
	s_waitcnt lgkmcnt(1)
	v_fma_f64 v[2:3], v[152:153], v[140:141], v[2:3]
	s_waitcnt vmcnt(1)
	s_delay_alu instid0(VALU_DEP_1) | instskip(SKIP_1) | instid1(VALU_DEP_1)
	v_fma_f64 v[2:3], v[162:163], v[142:143], v[2:3]
	s_waitcnt lgkmcnt(0)
	v_fma_f64 v[2:3], v[164:165], v[144:145], v[2:3]
	s_waitcnt vmcnt(0)
	s_delay_alu instid0(VALU_DEP_1) | instskip(SKIP_3) | instid1(VALU_DEP_1)
	v_fma_f64 v[2:3], v[136:137], v[146:147], v[2:3]
	ds_load_b64 v[136:137], v1 offset:1016
	s_waitcnt lgkmcnt(0)
	v_fma_f64 v[2:3], v[138:139], v[136:137], v[2:3]
	v_add_f64 v[2:3], v[134:135], -v[2:3]
	scratch_store_b64 off, v[2:3], off offset:400
	v_cmpx_lt_u32_e32 49, v0
	s_cbranch_execz .LBB127_295
; %bb.294:
	scratch_load_b64 v[3:4], off, off offset:392
	v_mov_b32_e32 v2, v1
	scratch_store_b64 off, v[1:2], off offset:392
	s_waitcnt vmcnt(0)
	ds_store_b64 v5, v[3:4]
.LBB127_295:
	s_or_b32 exec_lo, exec_lo, s0
	s_waitcnt lgkmcnt(0)
	s_waitcnt_vscnt null, 0x0
	s_barrier
	buffer_gl0_inv
	s_clause 0x4
	scratch_load_b128 v[134:137], off, off offset:392
	scratch_load_b128 v[138:141], off, off offset:408
	;; [unrolled: 1-line block ×5, first 2 shown]
	ds_load_b128 v[154:157], v1 offset:912
	ds_load_b128 v[158:161], v1 offset:928
	scratch_load_b128 v[162:165], off, off offset:472
	s_mov_b32 s0, exec_lo
	s_waitcnt vmcnt(5) lgkmcnt(1)
	v_fma_f64 v[2:3], v[136:137], v[154:155], 0
	s_waitcnt vmcnt(4)
	s_delay_alu instid0(VALU_DEP_1) | instskip(SKIP_4) | instid1(VALU_DEP_1)
	v_fma_f64 v[2:3], v[138:139], v[156:157], v[2:3]
	scratch_load_b128 v[136:139], off, off offset:488
	s_waitcnt lgkmcnt(0)
	v_fma_f64 v[2:3], v[140:141], v[158:159], v[2:3]
	s_waitcnt vmcnt(4)
	v_fma_f64 v[2:3], v[142:143], v[160:161], v[2:3]
	ds_load_b128 v[140:143], v1 offset:944
	ds_load_b128 v[154:157], v1 offset:960
	scratch_load_b64 v[158:159], off, off offset:504
	s_waitcnt lgkmcnt(1)
	v_fma_f64 v[2:3], v[144:145], v[140:141], v[2:3]
	s_waitcnt vmcnt(4)
	s_delay_alu instid0(VALU_DEP_1)
	v_fma_f64 v[2:3], v[146:147], v[142:143], v[2:3]
	ds_load_b128 v[140:143], v1 offset:976
	ds_load_b128 v[144:147], v1 offset:992
	s_waitcnt lgkmcnt(2)
	v_fma_f64 v[2:3], v[148:149], v[154:155], v[2:3]
	s_waitcnt vmcnt(3)
	s_delay_alu instid0(VALU_DEP_1) | instskip(SKIP_1) | instid1(VALU_DEP_1)
	v_fma_f64 v[2:3], v[150:151], v[156:157], v[2:3]
	s_waitcnt lgkmcnt(1)
	v_fma_f64 v[2:3], v[152:153], v[140:141], v[2:3]
	s_waitcnt vmcnt(2)
	s_delay_alu instid0(VALU_DEP_1) | instskip(SKIP_1) | instid1(VALU_DEP_1)
	v_fma_f64 v[2:3], v[162:163], v[142:143], v[2:3]
	s_waitcnt lgkmcnt(0)
	v_fma_f64 v[2:3], v[164:165], v[144:145], v[2:3]
	s_waitcnt vmcnt(1)
	s_delay_alu instid0(VALU_DEP_1) | instskip(SKIP_4) | instid1(VALU_DEP_1)
	v_fma_f64 v[136:137], v[136:137], v[146:147], v[2:3]
	ds_load_b128 v[1:4], v1 offset:1008
	s_waitcnt lgkmcnt(0)
	v_fma_f64 v[1:2], v[138:139], v[1:2], v[136:137]
	s_waitcnt vmcnt(0)
	v_fma_f64 v[1:2], v[158:159], v[3:4], v[1:2]
	s_delay_alu instid0(VALU_DEP_1)
	v_add_f64 v[1:2], v[134:135], -v[1:2]
	scratch_store_b64 off, v[1:2], off offset:392
	v_cmpx_lt_u32_e32 48, v0
	s_cbranch_execz .LBB127_297
; %bb.296:
	scratch_load_b64 v[1:2], off, off offset:384
	v_mov_b32_e32 v3, 0
	s_delay_alu instid0(VALU_DEP_1)
	v_mov_b32_e32 v4, v3
	scratch_store_b64 off, v[3:4], off offset:384
	s_waitcnt vmcnt(0)
	ds_store_b64 v5, v[1:2]
.LBB127_297:
	s_or_b32 exec_lo, exec_lo, s0
	s_waitcnt lgkmcnt(0)
	s_waitcnt_vscnt null, 0x0
	s_barrier
	buffer_gl0_inv
	s_clause 0x4
	scratch_load_b128 v[134:137], off, off offset:384
	scratch_load_b128 v[138:141], off, off offset:400
	scratch_load_b128 v[142:145], off, off offset:416
	scratch_load_b128 v[146:149], off, off offset:432
	scratch_load_b128 v[150:153], off, off offset:448
	v_mov_b32_e32 v1, 0
	ds_load_2addr_b64 v[154:157], v1 offset0:113 offset1:114
	ds_load_2addr_b64 v[158:161], v1 offset0:115 offset1:116
	scratch_load_b128 v[162:165], off, off offset:464
	s_mov_b32 s0, exec_lo
	s_waitcnt vmcnt(5) lgkmcnt(1)
	v_fma_f64 v[2:3], v[136:137], v[154:155], 0
	s_waitcnt vmcnt(4)
	s_delay_alu instid0(VALU_DEP_1) | instskip(SKIP_4) | instid1(VALU_DEP_1)
	v_fma_f64 v[2:3], v[138:139], v[156:157], v[2:3]
	scratch_load_b128 v[136:139], off, off offset:480
	s_waitcnt lgkmcnt(0)
	v_fma_f64 v[2:3], v[140:141], v[158:159], v[2:3]
	s_waitcnt vmcnt(4)
	v_fma_f64 v[2:3], v[142:143], v[160:161], v[2:3]
	ds_load_2addr_b64 v[140:143], v1 offset0:117 offset1:118
	ds_load_2addr_b64 v[154:157], v1 offset0:119 offset1:120
	scratch_load_b128 v[158:161], off, off offset:496
	s_waitcnt lgkmcnt(1)
	v_fma_f64 v[2:3], v[144:145], v[140:141], v[2:3]
	s_waitcnt vmcnt(4)
	s_delay_alu instid0(VALU_DEP_1)
	v_fma_f64 v[2:3], v[146:147], v[142:143], v[2:3]
	ds_load_2addr_b64 v[140:143], v1 offset0:121 offset1:122
	ds_load_2addr_b64 v[144:147], v1 offset0:123 offset1:124
	s_waitcnt lgkmcnt(2)
	v_fma_f64 v[2:3], v[148:149], v[154:155], v[2:3]
	s_waitcnt vmcnt(3)
	s_delay_alu instid0(VALU_DEP_1) | instskip(SKIP_1) | instid1(VALU_DEP_1)
	v_fma_f64 v[2:3], v[150:151], v[156:157], v[2:3]
	s_waitcnt lgkmcnt(1)
	v_fma_f64 v[2:3], v[152:153], v[140:141], v[2:3]
	s_waitcnt vmcnt(2)
	s_delay_alu instid0(VALU_DEP_1) | instskip(SKIP_1) | instid1(VALU_DEP_1)
	v_fma_f64 v[2:3], v[162:163], v[142:143], v[2:3]
	s_waitcnt lgkmcnt(0)
	v_fma_f64 v[2:3], v[164:165], v[144:145], v[2:3]
	s_waitcnt vmcnt(1)
	s_delay_alu instid0(VALU_DEP_1)
	v_fma_f64 v[2:3], v[136:137], v[146:147], v[2:3]
	ds_load_2addr_b64 v[140:143], v1 offset0:125 offset1:126
	ds_load_b64 v[136:137], v1 offset:1016
	s_waitcnt lgkmcnt(1)
	v_fma_f64 v[2:3], v[138:139], v[140:141], v[2:3]
	s_waitcnt vmcnt(0)
	s_delay_alu instid0(VALU_DEP_1) | instskip(SKIP_1) | instid1(VALU_DEP_1)
	v_fma_f64 v[2:3], v[158:159], v[142:143], v[2:3]
	s_waitcnt lgkmcnt(0)
	v_fma_f64 v[2:3], v[160:161], v[136:137], v[2:3]
	s_delay_alu instid0(VALU_DEP_1)
	v_add_f64 v[2:3], v[134:135], -v[2:3]
	scratch_store_b64 off, v[2:3], off offset:384
	v_cmpx_lt_u32_e32 47, v0
	s_cbranch_execz .LBB127_299
; %bb.298:
	scratch_load_b64 v[3:4], off, off offset:376
	v_mov_b32_e32 v2, v1
	scratch_store_b64 off, v[1:2], off offset:376
	s_waitcnt vmcnt(0)
	ds_store_b64 v5, v[3:4]
.LBB127_299:
	s_or_b32 exec_lo, exec_lo, s0
	s_waitcnt lgkmcnt(0)
	s_waitcnt_vscnt null, 0x0
	s_barrier
	buffer_gl0_inv
	s_clause 0x4
	scratch_load_b128 v[134:137], off, off offset:376
	scratch_load_b128 v[138:141], off, off offset:392
	;; [unrolled: 1-line block ×5, first 2 shown]
	ds_load_b128 v[154:157], v1 offset:896
	ds_load_b128 v[158:161], v1 offset:912
	scratch_load_b128 v[162:165], off, off offset:456
	s_mov_b32 s0, exec_lo
	s_waitcnt vmcnt(5) lgkmcnt(1)
	v_fma_f64 v[2:3], v[136:137], v[154:155], 0
	s_waitcnt vmcnt(4)
	s_delay_alu instid0(VALU_DEP_1) | instskip(SKIP_4) | instid1(VALU_DEP_1)
	v_fma_f64 v[2:3], v[138:139], v[156:157], v[2:3]
	scratch_load_b128 v[136:139], off, off offset:472
	s_waitcnt lgkmcnt(0)
	v_fma_f64 v[2:3], v[140:141], v[158:159], v[2:3]
	s_waitcnt vmcnt(4)
	v_fma_f64 v[2:3], v[142:143], v[160:161], v[2:3]
	ds_load_b128 v[140:143], v1 offset:928
	ds_load_b128 v[154:157], v1 offset:944
	scratch_load_b128 v[158:161], off, off offset:488
	s_waitcnt lgkmcnt(1)
	v_fma_f64 v[2:3], v[144:145], v[140:141], v[2:3]
	s_waitcnt vmcnt(4)
	s_delay_alu instid0(VALU_DEP_1) | instskip(SKIP_1) | instid1(VALU_DEP_1)
	v_fma_f64 v[2:3], v[146:147], v[142:143], v[2:3]
	s_waitcnt lgkmcnt(0)
	v_fma_f64 v[2:3], v[148:149], v[154:155], v[2:3]
	scratch_load_b64 v[148:149], off, off offset:504
	ds_load_b128 v[140:143], v1 offset:960
	ds_load_b128 v[144:147], v1 offset:976
	s_waitcnt vmcnt(4)
	v_fma_f64 v[2:3], v[150:151], v[156:157], v[2:3]
	s_waitcnt lgkmcnt(1)
	s_delay_alu instid0(VALU_DEP_1) | instskip(SKIP_1) | instid1(VALU_DEP_1)
	v_fma_f64 v[2:3], v[152:153], v[140:141], v[2:3]
	s_waitcnt vmcnt(3)
	v_fma_f64 v[2:3], v[162:163], v[142:143], v[2:3]
	s_waitcnt lgkmcnt(0)
	s_delay_alu instid0(VALU_DEP_1) | instskip(SKIP_1) | instid1(VALU_DEP_1)
	v_fma_f64 v[2:3], v[164:165], v[144:145], v[2:3]
	s_waitcnt vmcnt(2)
	v_fma_f64 v[136:137], v[136:137], v[146:147], v[2:3]
	ds_load_b128 v[140:143], v1 offset:992
	ds_load_b128 v[1:4], v1 offset:1008
	s_waitcnt lgkmcnt(1)
	v_fma_f64 v[136:137], v[138:139], v[140:141], v[136:137]
	s_waitcnt vmcnt(1)
	s_delay_alu instid0(VALU_DEP_1) | instskip(SKIP_1) | instid1(VALU_DEP_1)
	v_fma_f64 v[136:137], v[158:159], v[142:143], v[136:137]
	s_waitcnt lgkmcnt(0)
	v_fma_f64 v[1:2], v[160:161], v[1:2], v[136:137]
	s_waitcnt vmcnt(0)
	s_delay_alu instid0(VALU_DEP_1) | instskip(NEXT) | instid1(VALU_DEP_1)
	v_fma_f64 v[1:2], v[148:149], v[3:4], v[1:2]
	v_add_f64 v[1:2], v[134:135], -v[1:2]
	scratch_store_b64 off, v[1:2], off offset:376
	v_cmpx_lt_u32_e32 46, v0
	s_cbranch_execz .LBB127_301
; %bb.300:
	scratch_load_b64 v[1:2], off, off offset:368
	v_mov_b32_e32 v3, 0
	s_delay_alu instid0(VALU_DEP_1)
	v_mov_b32_e32 v4, v3
	scratch_store_b64 off, v[3:4], off offset:368
	s_waitcnt vmcnt(0)
	ds_store_b64 v5, v[1:2]
.LBB127_301:
	s_or_b32 exec_lo, exec_lo, s0
	s_waitcnt lgkmcnt(0)
	s_waitcnt_vscnt null, 0x0
	s_barrier
	buffer_gl0_inv
	s_clause 0x4
	scratch_load_b128 v[134:137], off, off offset:368
	scratch_load_b128 v[138:141], off, off offset:384
	;; [unrolled: 1-line block ×5, first 2 shown]
	v_mov_b32_e32 v1, 0
	ds_load_2addr_b64 v[154:157], v1 offset0:111 offset1:112
	ds_load_2addr_b64 v[158:161], v1 offset0:113 offset1:114
	scratch_load_b128 v[162:165], off, off offset:448
	s_mov_b32 s0, exec_lo
	s_waitcnt vmcnt(5) lgkmcnt(1)
	v_fma_f64 v[2:3], v[136:137], v[154:155], 0
	s_waitcnt vmcnt(4)
	s_delay_alu instid0(VALU_DEP_1) | instskip(SKIP_4) | instid1(VALU_DEP_1)
	v_fma_f64 v[2:3], v[138:139], v[156:157], v[2:3]
	scratch_load_b128 v[136:139], off, off offset:464
	s_waitcnt lgkmcnt(0)
	v_fma_f64 v[2:3], v[140:141], v[158:159], v[2:3]
	s_waitcnt vmcnt(4)
	v_fma_f64 v[2:3], v[142:143], v[160:161], v[2:3]
	ds_load_2addr_b64 v[140:143], v1 offset0:115 offset1:116
	ds_load_2addr_b64 v[154:157], v1 offset0:117 offset1:118
	scratch_load_b128 v[158:161], off, off offset:480
	s_waitcnt lgkmcnt(1)
	v_fma_f64 v[2:3], v[144:145], v[140:141], v[2:3]
	s_waitcnt vmcnt(4)
	s_delay_alu instid0(VALU_DEP_1) | instskip(SKIP_4) | instid1(VALU_DEP_1)
	v_fma_f64 v[2:3], v[146:147], v[142:143], v[2:3]
	scratch_load_b128 v[140:143], off, off offset:496
	s_waitcnt lgkmcnt(0)
	v_fma_f64 v[2:3], v[148:149], v[154:155], v[2:3]
	s_waitcnt vmcnt(4)
	v_fma_f64 v[2:3], v[150:151], v[156:157], v[2:3]
	ds_load_2addr_b64 v[144:147], v1 offset0:119 offset1:120
	ds_load_2addr_b64 v[148:151], v1 offset0:121 offset1:122
	s_waitcnt lgkmcnt(1)
	v_fma_f64 v[2:3], v[152:153], v[144:145], v[2:3]
	s_waitcnt vmcnt(3)
	s_delay_alu instid0(VALU_DEP_1) | instskip(SKIP_1) | instid1(VALU_DEP_1)
	v_fma_f64 v[2:3], v[162:163], v[146:147], v[2:3]
	s_waitcnt lgkmcnt(0)
	v_fma_f64 v[2:3], v[164:165], v[148:149], v[2:3]
	s_waitcnt vmcnt(2)
	s_delay_alu instid0(VALU_DEP_1)
	v_fma_f64 v[2:3], v[136:137], v[150:151], v[2:3]
	ds_load_2addr_b64 v[144:147], v1 offset0:123 offset1:124
	ds_load_2addr_b64 v[148:151], v1 offset0:125 offset1:126
	ds_load_b64 v[136:137], v1 offset:1016
	s_waitcnt lgkmcnt(2)
	v_fma_f64 v[2:3], v[138:139], v[144:145], v[2:3]
	s_waitcnt vmcnt(1)
	s_delay_alu instid0(VALU_DEP_1) | instskip(SKIP_1) | instid1(VALU_DEP_1)
	v_fma_f64 v[2:3], v[158:159], v[146:147], v[2:3]
	s_waitcnt lgkmcnt(1)
	v_fma_f64 v[2:3], v[160:161], v[148:149], v[2:3]
	s_waitcnt vmcnt(0)
	s_delay_alu instid0(VALU_DEP_1) | instskip(SKIP_1) | instid1(VALU_DEP_1)
	v_fma_f64 v[2:3], v[140:141], v[150:151], v[2:3]
	s_waitcnt lgkmcnt(0)
	v_fma_f64 v[2:3], v[142:143], v[136:137], v[2:3]
	s_delay_alu instid0(VALU_DEP_1)
	v_add_f64 v[2:3], v[134:135], -v[2:3]
	scratch_store_b64 off, v[2:3], off offset:368
	v_cmpx_lt_u32_e32 45, v0
	s_cbranch_execz .LBB127_303
; %bb.302:
	scratch_load_b64 v[3:4], off, off offset:360
	v_mov_b32_e32 v2, v1
	scratch_store_b64 off, v[1:2], off offset:360
	s_waitcnt vmcnt(0)
	ds_store_b64 v5, v[3:4]
.LBB127_303:
	s_or_b32 exec_lo, exec_lo, s0
	s_waitcnt lgkmcnt(0)
	s_waitcnt_vscnt null, 0x0
	s_barrier
	buffer_gl0_inv
	s_clause 0x4
	scratch_load_b128 v[134:137], off, off offset:360
	scratch_load_b128 v[138:141], off, off offset:376
	;; [unrolled: 1-line block ×5, first 2 shown]
	ds_load_b128 v[154:157], v1 offset:880
	ds_load_b128 v[158:161], v1 offset:896
	scratch_load_b128 v[162:165], off, off offset:440
	s_mov_b32 s0, exec_lo
	s_waitcnt vmcnt(5) lgkmcnt(1)
	v_fma_f64 v[2:3], v[136:137], v[154:155], 0
	s_waitcnt vmcnt(4)
	s_delay_alu instid0(VALU_DEP_1) | instskip(SKIP_4) | instid1(VALU_DEP_1)
	v_fma_f64 v[2:3], v[138:139], v[156:157], v[2:3]
	scratch_load_b128 v[136:139], off, off offset:456
	s_waitcnt lgkmcnt(0)
	v_fma_f64 v[2:3], v[140:141], v[158:159], v[2:3]
	s_waitcnt vmcnt(4)
	v_fma_f64 v[2:3], v[142:143], v[160:161], v[2:3]
	ds_load_b128 v[140:143], v1 offset:912
	ds_load_b128 v[154:157], v1 offset:928
	scratch_load_b128 v[158:161], off, off offset:472
	s_waitcnt lgkmcnt(1)
	v_fma_f64 v[2:3], v[144:145], v[140:141], v[2:3]
	s_waitcnt vmcnt(4)
	s_delay_alu instid0(VALU_DEP_1) | instskip(SKIP_4) | instid1(VALU_DEP_1)
	v_fma_f64 v[2:3], v[146:147], v[142:143], v[2:3]
	scratch_load_b128 v[140:143], off, off offset:488
	s_waitcnt lgkmcnt(0)
	v_fma_f64 v[2:3], v[148:149], v[154:155], v[2:3]
	s_waitcnt vmcnt(4)
	v_fma_f64 v[2:3], v[150:151], v[156:157], v[2:3]
	ds_load_b128 v[144:147], v1 offset:944
	ds_load_b128 v[148:151], v1 offset:960
	s_waitcnt lgkmcnt(1)
	v_fma_f64 v[2:3], v[152:153], v[144:145], v[2:3]
	scratch_load_b64 v[152:153], off, off offset:504
	s_waitcnt vmcnt(4)
	v_fma_f64 v[2:3], v[162:163], v[146:147], v[2:3]
	s_waitcnt lgkmcnt(0)
	s_delay_alu instid0(VALU_DEP_1) | instskip(SKIP_1) | instid1(VALU_DEP_1)
	v_fma_f64 v[2:3], v[164:165], v[148:149], v[2:3]
	s_waitcnt vmcnt(3)
	v_fma_f64 v[2:3], v[136:137], v[150:151], v[2:3]
	ds_load_b128 v[144:147], v1 offset:976
	ds_load_b128 v[148:151], v1 offset:992
	s_waitcnt lgkmcnt(1)
	v_fma_f64 v[2:3], v[138:139], v[144:145], v[2:3]
	s_waitcnt vmcnt(2)
	s_delay_alu instid0(VALU_DEP_1) | instskip(SKIP_1) | instid1(VALU_DEP_1)
	v_fma_f64 v[2:3], v[158:159], v[146:147], v[2:3]
	s_waitcnt lgkmcnt(0)
	v_fma_f64 v[2:3], v[160:161], v[148:149], v[2:3]
	s_waitcnt vmcnt(1)
	s_delay_alu instid0(VALU_DEP_1) | instskip(SKIP_4) | instid1(VALU_DEP_1)
	v_fma_f64 v[136:137], v[140:141], v[150:151], v[2:3]
	ds_load_b128 v[1:4], v1 offset:1008
	s_waitcnt lgkmcnt(0)
	v_fma_f64 v[1:2], v[142:143], v[1:2], v[136:137]
	s_waitcnt vmcnt(0)
	v_fma_f64 v[1:2], v[152:153], v[3:4], v[1:2]
	s_delay_alu instid0(VALU_DEP_1)
	v_add_f64 v[1:2], v[134:135], -v[1:2]
	scratch_store_b64 off, v[1:2], off offset:360
	v_cmpx_lt_u32_e32 44, v0
	s_cbranch_execz .LBB127_305
; %bb.304:
	scratch_load_b64 v[1:2], off, off offset:352
	v_mov_b32_e32 v3, 0
	s_delay_alu instid0(VALU_DEP_1)
	v_mov_b32_e32 v4, v3
	scratch_store_b64 off, v[3:4], off offset:352
	s_waitcnt vmcnt(0)
	ds_store_b64 v5, v[1:2]
.LBB127_305:
	s_or_b32 exec_lo, exec_lo, s0
	s_waitcnt lgkmcnt(0)
	s_waitcnt_vscnt null, 0x0
	s_barrier
	buffer_gl0_inv
	s_clause 0x4
	scratch_load_b128 v[134:137], off, off offset:352
	scratch_load_b128 v[138:141], off, off offset:368
	;; [unrolled: 1-line block ×5, first 2 shown]
	v_mov_b32_e32 v1, 0
	ds_load_2addr_b64 v[154:157], v1 offset0:109 offset1:110
	ds_load_2addr_b64 v[158:161], v1 offset0:111 offset1:112
	scratch_load_b128 v[162:165], off, off offset:432
	s_mov_b32 s0, exec_lo
	s_waitcnt vmcnt(5) lgkmcnt(1)
	v_fma_f64 v[2:3], v[136:137], v[154:155], 0
	s_waitcnt vmcnt(4)
	s_delay_alu instid0(VALU_DEP_1) | instskip(SKIP_4) | instid1(VALU_DEP_1)
	v_fma_f64 v[2:3], v[138:139], v[156:157], v[2:3]
	scratch_load_b128 v[136:139], off, off offset:448
	s_waitcnt lgkmcnt(0)
	v_fma_f64 v[2:3], v[140:141], v[158:159], v[2:3]
	s_waitcnt vmcnt(4)
	v_fma_f64 v[2:3], v[142:143], v[160:161], v[2:3]
	ds_load_2addr_b64 v[140:143], v1 offset0:113 offset1:114
	ds_load_2addr_b64 v[154:157], v1 offset0:115 offset1:116
	scratch_load_b128 v[158:161], off, off offset:464
	s_waitcnt lgkmcnt(1)
	v_fma_f64 v[2:3], v[144:145], v[140:141], v[2:3]
	s_waitcnt vmcnt(4)
	s_delay_alu instid0(VALU_DEP_1) | instskip(SKIP_4) | instid1(VALU_DEP_1)
	v_fma_f64 v[2:3], v[146:147], v[142:143], v[2:3]
	scratch_load_b128 v[140:143], off, off offset:480
	s_waitcnt lgkmcnt(0)
	v_fma_f64 v[2:3], v[148:149], v[154:155], v[2:3]
	s_waitcnt vmcnt(4)
	v_fma_f64 v[2:3], v[150:151], v[156:157], v[2:3]
	ds_load_2addr_b64 v[144:147], v1 offset0:117 offset1:118
	ds_load_2addr_b64 v[148:151], v1 offset0:119 offset1:120
	s_waitcnt lgkmcnt(1)
	v_fma_f64 v[2:3], v[152:153], v[144:145], v[2:3]
	scratch_load_b128 v[152:155], off, off offset:496
	s_waitcnt vmcnt(4)
	v_fma_f64 v[2:3], v[162:163], v[146:147], v[2:3]
	s_waitcnt lgkmcnt(0)
	s_delay_alu instid0(VALU_DEP_1) | instskip(SKIP_1) | instid1(VALU_DEP_1)
	v_fma_f64 v[2:3], v[164:165], v[148:149], v[2:3]
	s_waitcnt vmcnt(3)
	v_fma_f64 v[2:3], v[136:137], v[150:151], v[2:3]
	ds_load_2addr_b64 v[144:147], v1 offset0:121 offset1:122
	ds_load_2addr_b64 v[148:151], v1 offset0:123 offset1:124
	s_waitcnt lgkmcnt(1)
	v_fma_f64 v[2:3], v[138:139], v[144:145], v[2:3]
	s_waitcnt vmcnt(2)
	s_delay_alu instid0(VALU_DEP_1) | instskip(SKIP_1) | instid1(VALU_DEP_1)
	v_fma_f64 v[2:3], v[158:159], v[146:147], v[2:3]
	s_waitcnt lgkmcnt(0)
	v_fma_f64 v[2:3], v[160:161], v[148:149], v[2:3]
	s_waitcnt vmcnt(1)
	s_delay_alu instid0(VALU_DEP_1)
	v_fma_f64 v[2:3], v[140:141], v[150:151], v[2:3]
	ds_load_2addr_b64 v[136:139], v1 offset0:125 offset1:126
	ds_load_b64 v[140:141], v1 offset:1016
	s_waitcnt lgkmcnt(1)
	v_fma_f64 v[2:3], v[142:143], v[136:137], v[2:3]
	s_waitcnt vmcnt(0)
	s_delay_alu instid0(VALU_DEP_1) | instskip(SKIP_1) | instid1(VALU_DEP_1)
	v_fma_f64 v[2:3], v[152:153], v[138:139], v[2:3]
	s_waitcnt lgkmcnt(0)
	v_fma_f64 v[2:3], v[154:155], v[140:141], v[2:3]
	s_delay_alu instid0(VALU_DEP_1)
	v_add_f64 v[2:3], v[134:135], -v[2:3]
	scratch_store_b64 off, v[2:3], off offset:352
	v_cmpx_lt_u32_e32 43, v0
	s_cbranch_execz .LBB127_307
; %bb.306:
	scratch_load_b64 v[3:4], off, off offset:344
	v_mov_b32_e32 v2, v1
	scratch_store_b64 off, v[1:2], off offset:344
	s_waitcnt vmcnt(0)
	ds_store_b64 v5, v[3:4]
.LBB127_307:
	s_or_b32 exec_lo, exec_lo, s0
	s_waitcnt lgkmcnt(0)
	s_waitcnt_vscnt null, 0x0
	s_barrier
	buffer_gl0_inv
	s_clause 0x4
	scratch_load_b128 v[134:137], off, off offset:344
	scratch_load_b128 v[138:141], off, off offset:360
	;; [unrolled: 1-line block ×5, first 2 shown]
	ds_load_b128 v[154:157], v1 offset:864
	ds_load_b128 v[158:161], v1 offset:880
	scratch_load_b128 v[162:165], off, off offset:424
	s_mov_b32 s0, exec_lo
	s_waitcnt vmcnt(5) lgkmcnt(1)
	v_fma_f64 v[2:3], v[136:137], v[154:155], 0
	s_waitcnt vmcnt(4)
	s_delay_alu instid0(VALU_DEP_1) | instskip(SKIP_4) | instid1(VALU_DEP_1)
	v_fma_f64 v[2:3], v[138:139], v[156:157], v[2:3]
	scratch_load_b128 v[136:139], off, off offset:440
	s_waitcnt lgkmcnt(0)
	v_fma_f64 v[2:3], v[140:141], v[158:159], v[2:3]
	s_waitcnt vmcnt(4)
	v_fma_f64 v[2:3], v[142:143], v[160:161], v[2:3]
	ds_load_b128 v[140:143], v1 offset:896
	ds_load_b128 v[154:157], v1 offset:912
	scratch_load_b128 v[158:161], off, off offset:456
	s_waitcnt lgkmcnt(1)
	v_fma_f64 v[2:3], v[144:145], v[140:141], v[2:3]
	s_waitcnt vmcnt(4)
	s_delay_alu instid0(VALU_DEP_1) | instskip(SKIP_4) | instid1(VALU_DEP_1)
	v_fma_f64 v[2:3], v[146:147], v[142:143], v[2:3]
	scratch_load_b128 v[140:143], off, off offset:472
	s_waitcnt lgkmcnt(0)
	v_fma_f64 v[2:3], v[148:149], v[154:155], v[2:3]
	s_waitcnt vmcnt(4)
	v_fma_f64 v[2:3], v[150:151], v[156:157], v[2:3]
	ds_load_b128 v[144:147], v1 offset:928
	ds_load_b128 v[148:151], v1 offset:944
	scratch_load_b64 v[156:157], off, off offset:504
	s_waitcnt lgkmcnt(1)
	v_fma_f64 v[2:3], v[152:153], v[144:145], v[2:3]
	scratch_load_b128 v[152:155], off, off offset:488
	s_waitcnt vmcnt(5)
	v_fma_f64 v[2:3], v[162:163], v[146:147], v[2:3]
	s_waitcnt lgkmcnt(0)
	s_delay_alu instid0(VALU_DEP_1) | instskip(SKIP_1) | instid1(VALU_DEP_1)
	v_fma_f64 v[2:3], v[164:165], v[148:149], v[2:3]
	s_waitcnt vmcnt(4)
	v_fma_f64 v[2:3], v[136:137], v[150:151], v[2:3]
	ds_load_b128 v[144:147], v1 offset:960
	ds_load_b128 v[148:151], v1 offset:976
	s_waitcnt lgkmcnt(1)
	v_fma_f64 v[2:3], v[138:139], v[144:145], v[2:3]
	s_waitcnt vmcnt(3)
	s_delay_alu instid0(VALU_DEP_1) | instskip(SKIP_1) | instid1(VALU_DEP_1)
	v_fma_f64 v[2:3], v[158:159], v[146:147], v[2:3]
	s_waitcnt lgkmcnt(0)
	v_fma_f64 v[2:3], v[160:161], v[148:149], v[2:3]
	s_waitcnt vmcnt(2)
	s_delay_alu instid0(VALU_DEP_1)
	v_fma_f64 v[140:141], v[140:141], v[150:151], v[2:3]
	ds_load_b128 v[136:139], v1 offset:992
	ds_load_b128 v[1:4], v1 offset:1008
	s_waitcnt lgkmcnt(1)
	v_fma_f64 v[136:137], v[142:143], v[136:137], v[140:141]
	s_waitcnt vmcnt(0)
	s_delay_alu instid0(VALU_DEP_1) | instskip(SKIP_1) | instid1(VALU_DEP_1)
	v_fma_f64 v[136:137], v[152:153], v[138:139], v[136:137]
	s_waitcnt lgkmcnt(0)
	v_fma_f64 v[1:2], v[154:155], v[1:2], v[136:137]
	s_delay_alu instid0(VALU_DEP_1) | instskip(NEXT) | instid1(VALU_DEP_1)
	v_fma_f64 v[1:2], v[156:157], v[3:4], v[1:2]
	v_add_f64 v[1:2], v[134:135], -v[1:2]
	scratch_store_b64 off, v[1:2], off offset:344
	v_cmpx_lt_u32_e32 42, v0
	s_cbranch_execz .LBB127_309
; %bb.308:
	scratch_load_b64 v[1:2], off, off offset:336
	v_mov_b32_e32 v3, 0
	s_delay_alu instid0(VALU_DEP_1)
	v_mov_b32_e32 v4, v3
	scratch_store_b64 off, v[3:4], off offset:336
	s_waitcnt vmcnt(0)
	ds_store_b64 v5, v[1:2]
.LBB127_309:
	s_or_b32 exec_lo, exec_lo, s0
	s_waitcnt lgkmcnt(0)
	s_waitcnt_vscnt null, 0x0
	s_barrier
	buffer_gl0_inv
	s_clause 0x4
	scratch_load_b128 v[134:137], off, off offset:336
	scratch_load_b128 v[138:141], off, off offset:352
	;; [unrolled: 1-line block ×5, first 2 shown]
	v_mov_b32_e32 v1, 0
	ds_load_2addr_b64 v[154:157], v1 offset0:107 offset1:108
	ds_load_2addr_b64 v[158:161], v1 offset0:109 offset1:110
	scratch_load_b128 v[162:165], off, off offset:416
	s_mov_b32 s0, exec_lo
	s_waitcnt vmcnt(5) lgkmcnt(1)
	v_fma_f64 v[2:3], v[136:137], v[154:155], 0
	s_waitcnt vmcnt(4)
	s_delay_alu instid0(VALU_DEP_1) | instskip(SKIP_4) | instid1(VALU_DEP_1)
	v_fma_f64 v[2:3], v[138:139], v[156:157], v[2:3]
	scratch_load_b128 v[136:139], off, off offset:432
	s_waitcnt lgkmcnt(0)
	v_fma_f64 v[2:3], v[140:141], v[158:159], v[2:3]
	s_waitcnt vmcnt(4)
	v_fma_f64 v[2:3], v[142:143], v[160:161], v[2:3]
	ds_load_2addr_b64 v[140:143], v1 offset0:111 offset1:112
	ds_load_2addr_b64 v[154:157], v1 offset0:113 offset1:114
	scratch_load_b128 v[158:161], off, off offset:448
	s_waitcnt lgkmcnt(1)
	v_fma_f64 v[2:3], v[144:145], v[140:141], v[2:3]
	s_waitcnt vmcnt(4)
	s_delay_alu instid0(VALU_DEP_1) | instskip(SKIP_4) | instid1(VALU_DEP_1)
	v_fma_f64 v[2:3], v[146:147], v[142:143], v[2:3]
	scratch_load_b128 v[140:143], off, off offset:464
	s_waitcnt lgkmcnt(0)
	v_fma_f64 v[2:3], v[148:149], v[154:155], v[2:3]
	s_waitcnt vmcnt(4)
	v_fma_f64 v[2:3], v[150:151], v[156:157], v[2:3]
	ds_load_2addr_b64 v[144:147], v1 offset0:115 offset1:116
	ds_load_2addr_b64 v[148:151], v1 offset0:117 offset1:118
	s_waitcnt lgkmcnt(1)
	v_fma_f64 v[2:3], v[152:153], v[144:145], v[2:3]
	scratch_load_b128 v[152:155], off, off offset:480
	s_waitcnt vmcnt(4)
	v_fma_f64 v[2:3], v[162:163], v[146:147], v[2:3]
	scratch_load_b128 v[144:147], off, off offset:496
	s_waitcnt lgkmcnt(0)
	v_fma_f64 v[2:3], v[164:165], v[148:149], v[2:3]
	s_waitcnt vmcnt(4)
	s_delay_alu instid0(VALU_DEP_1)
	v_fma_f64 v[2:3], v[136:137], v[150:151], v[2:3]
	ds_load_2addr_b64 v[148:151], v1 offset0:119 offset1:120
	ds_load_2addr_b64 v[162:165], v1 offset0:121 offset1:122
	s_waitcnt lgkmcnt(1)
	v_fma_f64 v[2:3], v[138:139], v[148:149], v[2:3]
	s_waitcnt vmcnt(3)
	s_delay_alu instid0(VALU_DEP_1)
	v_fma_f64 v[2:3], v[158:159], v[150:151], v[2:3]
	ds_load_2addr_b64 v[136:139], v1 offset0:123 offset1:124
	ds_load_2addr_b64 v[148:151], v1 offset0:125 offset1:126
	s_waitcnt lgkmcnt(2)
	v_fma_f64 v[2:3], v[160:161], v[162:163], v[2:3]
	s_waitcnt vmcnt(2)
	s_delay_alu instid0(VALU_DEP_1) | instskip(SKIP_1) | instid1(VALU_DEP_1)
	v_fma_f64 v[2:3], v[140:141], v[164:165], v[2:3]
	s_waitcnt lgkmcnt(1)
	v_fma_f64 v[2:3], v[142:143], v[136:137], v[2:3]
	ds_load_b64 v[136:137], v1 offset:1016
	s_waitcnt vmcnt(1)
	v_fma_f64 v[2:3], v[152:153], v[138:139], v[2:3]
	s_waitcnt lgkmcnt(1)
	s_delay_alu instid0(VALU_DEP_1) | instskip(SKIP_1) | instid1(VALU_DEP_1)
	v_fma_f64 v[2:3], v[154:155], v[148:149], v[2:3]
	s_waitcnt vmcnt(0)
	v_fma_f64 v[2:3], v[144:145], v[150:151], v[2:3]
	s_waitcnt lgkmcnt(0)
	s_delay_alu instid0(VALU_DEP_1) | instskip(NEXT) | instid1(VALU_DEP_1)
	v_fma_f64 v[2:3], v[146:147], v[136:137], v[2:3]
	v_add_f64 v[2:3], v[134:135], -v[2:3]
	scratch_store_b64 off, v[2:3], off offset:336
	v_cmpx_lt_u32_e32 41, v0
	s_cbranch_execz .LBB127_311
; %bb.310:
	scratch_load_b64 v[3:4], off, off offset:328
	v_mov_b32_e32 v2, v1
	scratch_store_b64 off, v[1:2], off offset:328
	s_waitcnt vmcnt(0)
	ds_store_b64 v5, v[3:4]
.LBB127_311:
	s_or_b32 exec_lo, exec_lo, s0
	s_waitcnt lgkmcnt(0)
	s_waitcnt_vscnt null, 0x0
	s_barrier
	buffer_gl0_inv
	s_clause 0x4
	scratch_load_b128 v[134:137], off, off offset:328
	scratch_load_b128 v[138:141], off, off offset:344
	;; [unrolled: 1-line block ×5, first 2 shown]
	ds_load_b128 v[154:157], v1 offset:848
	ds_load_b128 v[158:161], v1 offset:864
	scratch_load_b128 v[162:165], off, off offset:408
	s_mov_b32 s0, exec_lo
	s_waitcnt vmcnt(5) lgkmcnt(1)
	v_fma_f64 v[2:3], v[136:137], v[154:155], 0
	s_waitcnt vmcnt(4)
	s_delay_alu instid0(VALU_DEP_1) | instskip(SKIP_4) | instid1(VALU_DEP_1)
	v_fma_f64 v[2:3], v[138:139], v[156:157], v[2:3]
	scratch_load_b128 v[136:139], off, off offset:424
	s_waitcnt lgkmcnt(0)
	v_fma_f64 v[2:3], v[140:141], v[158:159], v[2:3]
	s_waitcnt vmcnt(4)
	v_fma_f64 v[2:3], v[142:143], v[160:161], v[2:3]
	ds_load_b128 v[140:143], v1 offset:880
	ds_load_b128 v[154:157], v1 offset:896
	scratch_load_b128 v[158:161], off, off offset:440
	s_waitcnt lgkmcnt(1)
	v_fma_f64 v[2:3], v[144:145], v[140:141], v[2:3]
	s_waitcnt vmcnt(4)
	s_delay_alu instid0(VALU_DEP_1) | instskip(SKIP_4) | instid1(VALU_DEP_1)
	v_fma_f64 v[2:3], v[146:147], v[142:143], v[2:3]
	scratch_load_b128 v[140:143], off, off offset:456
	s_waitcnt lgkmcnt(0)
	v_fma_f64 v[2:3], v[148:149], v[154:155], v[2:3]
	s_waitcnt vmcnt(4)
	v_fma_f64 v[2:3], v[150:151], v[156:157], v[2:3]
	ds_load_b128 v[144:147], v1 offset:912
	ds_load_b128 v[148:151], v1 offset:928
	s_waitcnt lgkmcnt(1)
	v_fma_f64 v[2:3], v[152:153], v[144:145], v[2:3]
	scratch_load_b128 v[152:155], off, off offset:472
	s_waitcnt vmcnt(4)
	v_fma_f64 v[2:3], v[162:163], v[146:147], v[2:3]
	scratch_load_b128 v[144:147], off, off offset:488
	s_waitcnt lgkmcnt(0)
	v_fma_f64 v[2:3], v[164:165], v[148:149], v[2:3]
	s_waitcnt vmcnt(4)
	s_delay_alu instid0(VALU_DEP_1)
	v_fma_f64 v[2:3], v[136:137], v[150:151], v[2:3]
	ds_load_b128 v[148:151], v1 offset:944
	ds_load_b128 v[162:165], v1 offset:960
	scratch_load_b64 v[156:157], off, off offset:504
	s_waitcnt lgkmcnt(1)
	v_fma_f64 v[2:3], v[138:139], v[148:149], v[2:3]
	s_waitcnt vmcnt(4)
	s_delay_alu instid0(VALU_DEP_1)
	v_fma_f64 v[2:3], v[158:159], v[150:151], v[2:3]
	ds_load_b128 v[136:139], v1 offset:976
	ds_load_b128 v[148:151], v1 offset:992
	s_waitcnt lgkmcnt(2)
	v_fma_f64 v[2:3], v[160:161], v[162:163], v[2:3]
	s_waitcnt vmcnt(3)
	s_delay_alu instid0(VALU_DEP_1) | instskip(SKIP_1) | instid1(VALU_DEP_1)
	v_fma_f64 v[2:3], v[140:141], v[164:165], v[2:3]
	s_waitcnt lgkmcnt(1)
	v_fma_f64 v[2:3], v[142:143], v[136:137], v[2:3]
	s_waitcnt vmcnt(2)
	s_delay_alu instid0(VALU_DEP_1) | instskip(SKIP_1) | instid1(VALU_DEP_1)
	v_fma_f64 v[2:3], v[152:153], v[138:139], v[2:3]
	s_waitcnt lgkmcnt(0)
	v_fma_f64 v[2:3], v[154:155], v[148:149], v[2:3]
	s_waitcnt vmcnt(1)
	s_delay_alu instid0(VALU_DEP_1) | instskip(SKIP_4) | instid1(VALU_DEP_1)
	v_fma_f64 v[136:137], v[144:145], v[150:151], v[2:3]
	ds_load_b128 v[1:4], v1 offset:1008
	s_waitcnt lgkmcnt(0)
	v_fma_f64 v[1:2], v[146:147], v[1:2], v[136:137]
	s_waitcnt vmcnt(0)
	v_fma_f64 v[1:2], v[156:157], v[3:4], v[1:2]
	s_delay_alu instid0(VALU_DEP_1)
	v_add_f64 v[1:2], v[134:135], -v[1:2]
	scratch_store_b64 off, v[1:2], off offset:328
	v_cmpx_lt_u32_e32 40, v0
	s_cbranch_execz .LBB127_313
; %bb.312:
	scratch_load_b64 v[1:2], off, off offset:320
	v_mov_b32_e32 v3, 0
	s_delay_alu instid0(VALU_DEP_1)
	v_mov_b32_e32 v4, v3
	scratch_store_b64 off, v[3:4], off offset:320
	s_waitcnt vmcnt(0)
	ds_store_b64 v5, v[1:2]
.LBB127_313:
	s_or_b32 exec_lo, exec_lo, s0
	s_waitcnt lgkmcnt(0)
	s_waitcnt_vscnt null, 0x0
	s_barrier
	buffer_gl0_inv
	s_clause 0x4
	scratch_load_b128 v[134:137], off, off offset:320
	scratch_load_b128 v[138:141], off, off offset:336
	;; [unrolled: 1-line block ×5, first 2 shown]
	v_mov_b32_e32 v1, 0
	ds_load_2addr_b64 v[154:157], v1 offset0:105 offset1:106
	ds_load_2addr_b64 v[158:161], v1 offset0:107 offset1:108
	scratch_load_b128 v[162:165], off, off offset:400
	s_mov_b32 s0, exec_lo
	s_waitcnt vmcnt(5) lgkmcnt(1)
	v_fma_f64 v[2:3], v[136:137], v[154:155], 0
	s_waitcnt vmcnt(4)
	s_delay_alu instid0(VALU_DEP_1) | instskip(SKIP_4) | instid1(VALU_DEP_1)
	v_fma_f64 v[2:3], v[138:139], v[156:157], v[2:3]
	scratch_load_b128 v[136:139], off, off offset:416
	s_waitcnt lgkmcnt(0)
	v_fma_f64 v[2:3], v[140:141], v[158:159], v[2:3]
	s_waitcnt vmcnt(4)
	v_fma_f64 v[2:3], v[142:143], v[160:161], v[2:3]
	ds_load_2addr_b64 v[140:143], v1 offset0:109 offset1:110
	ds_load_2addr_b64 v[154:157], v1 offset0:111 offset1:112
	scratch_load_b128 v[158:161], off, off offset:432
	s_waitcnt lgkmcnt(1)
	v_fma_f64 v[2:3], v[144:145], v[140:141], v[2:3]
	s_waitcnt vmcnt(4)
	s_delay_alu instid0(VALU_DEP_1) | instskip(SKIP_4) | instid1(VALU_DEP_1)
	v_fma_f64 v[2:3], v[146:147], v[142:143], v[2:3]
	scratch_load_b128 v[140:143], off, off offset:448
	s_waitcnt lgkmcnt(0)
	v_fma_f64 v[2:3], v[148:149], v[154:155], v[2:3]
	s_waitcnt vmcnt(4)
	v_fma_f64 v[2:3], v[150:151], v[156:157], v[2:3]
	ds_load_2addr_b64 v[144:147], v1 offset0:113 offset1:114
	ds_load_2addr_b64 v[148:151], v1 offset0:115 offset1:116
	s_waitcnt lgkmcnt(1)
	v_fma_f64 v[2:3], v[152:153], v[144:145], v[2:3]
	scratch_load_b128 v[152:155], off, off offset:464
	s_waitcnt vmcnt(4)
	v_fma_f64 v[2:3], v[162:163], v[146:147], v[2:3]
	scratch_load_b128 v[144:147], off, off offset:480
	s_waitcnt lgkmcnt(0)
	v_fma_f64 v[2:3], v[164:165], v[148:149], v[2:3]
	s_waitcnt vmcnt(4)
	s_delay_alu instid0(VALU_DEP_1)
	v_fma_f64 v[2:3], v[136:137], v[150:151], v[2:3]
	ds_load_2addr_b64 v[148:151], v1 offset0:117 offset1:118
	ds_load_2addr_b64 v[162:165], v1 offset0:119 offset1:120
	s_waitcnt lgkmcnt(1)
	v_fma_f64 v[2:3], v[138:139], v[148:149], v[2:3]
	scratch_load_b128 v[136:139], off, off offset:496
	s_waitcnt vmcnt(4)
	v_fma_f64 v[2:3], v[158:159], v[150:151], v[2:3]
	ds_load_2addr_b64 v[148:151], v1 offset0:121 offset1:122
	ds_load_2addr_b64 v[156:159], v1 offset0:123 offset1:124
	s_waitcnt lgkmcnt(2)
	v_fma_f64 v[2:3], v[160:161], v[162:163], v[2:3]
	s_waitcnt vmcnt(3)
	s_delay_alu instid0(VALU_DEP_1) | instskip(SKIP_1) | instid1(VALU_DEP_1)
	v_fma_f64 v[2:3], v[140:141], v[164:165], v[2:3]
	s_waitcnt lgkmcnt(1)
	v_fma_f64 v[2:3], v[142:143], v[148:149], v[2:3]
	s_waitcnt vmcnt(2)
	s_delay_alu instid0(VALU_DEP_1) | instskip(SKIP_1) | instid1(VALU_DEP_1)
	v_fma_f64 v[2:3], v[152:153], v[150:151], v[2:3]
	s_waitcnt lgkmcnt(0)
	v_fma_f64 v[2:3], v[154:155], v[156:157], v[2:3]
	s_waitcnt vmcnt(1)
	s_delay_alu instid0(VALU_DEP_1)
	v_fma_f64 v[2:3], v[144:145], v[158:159], v[2:3]
	ds_load_2addr_b64 v[140:143], v1 offset0:125 offset1:126
	ds_load_b64 v[144:145], v1 offset:1016
	s_waitcnt lgkmcnt(1)
	v_fma_f64 v[2:3], v[146:147], v[140:141], v[2:3]
	s_waitcnt vmcnt(0)
	s_delay_alu instid0(VALU_DEP_1) | instskip(SKIP_1) | instid1(VALU_DEP_1)
	v_fma_f64 v[2:3], v[136:137], v[142:143], v[2:3]
	s_waitcnt lgkmcnt(0)
	v_fma_f64 v[2:3], v[138:139], v[144:145], v[2:3]
	s_delay_alu instid0(VALU_DEP_1)
	v_add_f64 v[2:3], v[134:135], -v[2:3]
	scratch_store_b64 off, v[2:3], off offset:320
	v_cmpx_lt_u32_e32 39, v0
	s_cbranch_execz .LBB127_315
; %bb.314:
	scratch_load_b64 v[3:4], off, off offset:312
	v_mov_b32_e32 v2, v1
	scratch_store_b64 off, v[1:2], off offset:312
	s_waitcnt vmcnt(0)
	ds_store_b64 v5, v[3:4]
.LBB127_315:
	s_or_b32 exec_lo, exec_lo, s0
	s_waitcnt lgkmcnt(0)
	s_waitcnt_vscnt null, 0x0
	s_barrier
	buffer_gl0_inv
	s_clause 0x4
	scratch_load_b128 v[134:137], off, off offset:312
	scratch_load_b128 v[138:141], off, off offset:328
	;; [unrolled: 1-line block ×5, first 2 shown]
	ds_load_b128 v[154:157], v1 offset:832
	ds_load_b128 v[158:161], v1 offset:848
	scratch_load_b128 v[162:165], off, off offset:392
	s_mov_b32 s0, exec_lo
	s_waitcnt vmcnt(5) lgkmcnt(1)
	v_fma_f64 v[2:3], v[136:137], v[154:155], 0
	s_waitcnt vmcnt(4)
	s_delay_alu instid0(VALU_DEP_1) | instskip(SKIP_4) | instid1(VALU_DEP_1)
	v_fma_f64 v[2:3], v[138:139], v[156:157], v[2:3]
	scratch_load_b128 v[136:139], off, off offset:408
	s_waitcnt lgkmcnt(0)
	v_fma_f64 v[2:3], v[140:141], v[158:159], v[2:3]
	s_waitcnt vmcnt(4)
	v_fma_f64 v[2:3], v[142:143], v[160:161], v[2:3]
	ds_load_b128 v[140:143], v1 offset:864
	ds_load_b128 v[154:157], v1 offset:880
	scratch_load_b128 v[158:161], off, off offset:424
	s_waitcnt lgkmcnt(1)
	v_fma_f64 v[2:3], v[144:145], v[140:141], v[2:3]
	s_waitcnt vmcnt(4)
	s_delay_alu instid0(VALU_DEP_1) | instskip(SKIP_4) | instid1(VALU_DEP_1)
	v_fma_f64 v[2:3], v[146:147], v[142:143], v[2:3]
	scratch_load_b128 v[140:143], off, off offset:440
	s_waitcnt lgkmcnt(0)
	v_fma_f64 v[2:3], v[148:149], v[154:155], v[2:3]
	s_waitcnt vmcnt(4)
	v_fma_f64 v[2:3], v[150:151], v[156:157], v[2:3]
	ds_load_b128 v[144:147], v1 offset:896
	ds_load_b128 v[148:151], v1 offset:912
	s_waitcnt lgkmcnt(1)
	v_fma_f64 v[2:3], v[152:153], v[144:145], v[2:3]
	scratch_load_b128 v[152:155], off, off offset:456
	s_waitcnt vmcnt(4)
	v_fma_f64 v[2:3], v[162:163], v[146:147], v[2:3]
	scratch_load_b128 v[144:147], off, off offset:472
	s_waitcnt lgkmcnt(0)
	v_fma_f64 v[2:3], v[164:165], v[148:149], v[2:3]
	s_waitcnt vmcnt(4)
	s_delay_alu instid0(VALU_DEP_1)
	v_fma_f64 v[2:3], v[136:137], v[150:151], v[2:3]
	ds_load_b128 v[148:151], v1 offset:928
	ds_load_b128 v[162:165], v1 offset:944
	s_waitcnt lgkmcnt(1)
	v_fma_f64 v[2:3], v[138:139], v[148:149], v[2:3]
	scratch_load_b128 v[136:139], off, off offset:488
	s_waitcnt vmcnt(4)
	v_fma_f64 v[2:3], v[158:159], v[150:151], v[2:3]
	s_waitcnt lgkmcnt(0)
	s_delay_alu instid0(VALU_DEP_1)
	v_fma_f64 v[2:3], v[160:161], v[162:163], v[2:3]
	scratch_load_b64 v[160:161], off, off offset:504
	ds_load_b128 v[148:151], v1 offset:960
	ds_load_b128 v[156:159], v1 offset:976
	s_waitcnt vmcnt(4)
	v_fma_f64 v[2:3], v[140:141], v[164:165], v[2:3]
	s_waitcnt lgkmcnt(1)
	s_delay_alu instid0(VALU_DEP_1) | instskip(SKIP_1) | instid1(VALU_DEP_1)
	v_fma_f64 v[2:3], v[142:143], v[148:149], v[2:3]
	s_waitcnt vmcnt(3)
	v_fma_f64 v[2:3], v[152:153], v[150:151], v[2:3]
	s_waitcnt lgkmcnt(0)
	s_delay_alu instid0(VALU_DEP_1) | instskip(SKIP_1) | instid1(VALU_DEP_1)
	v_fma_f64 v[2:3], v[154:155], v[156:157], v[2:3]
	s_waitcnt vmcnt(2)
	v_fma_f64 v[144:145], v[144:145], v[158:159], v[2:3]
	ds_load_b128 v[140:143], v1 offset:992
	ds_load_b128 v[1:4], v1 offset:1008
	s_waitcnt lgkmcnt(1)
	v_fma_f64 v[140:141], v[146:147], v[140:141], v[144:145]
	s_waitcnt vmcnt(1)
	s_delay_alu instid0(VALU_DEP_1) | instskip(SKIP_1) | instid1(VALU_DEP_1)
	v_fma_f64 v[136:137], v[136:137], v[142:143], v[140:141]
	s_waitcnt lgkmcnt(0)
	v_fma_f64 v[1:2], v[138:139], v[1:2], v[136:137]
	s_waitcnt vmcnt(0)
	s_delay_alu instid0(VALU_DEP_1) | instskip(NEXT) | instid1(VALU_DEP_1)
	v_fma_f64 v[1:2], v[160:161], v[3:4], v[1:2]
	v_add_f64 v[1:2], v[134:135], -v[1:2]
	scratch_store_b64 off, v[1:2], off offset:312
	v_cmpx_lt_u32_e32 38, v0
	s_cbranch_execz .LBB127_317
; %bb.316:
	scratch_load_b64 v[1:2], off, off offset:304
	v_mov_b32_e32 v3, 0
	s_delay_alu instid0(VALU_DEP_1)
	v_mov_b32_e32 v4, v3
	scratch_store_b64 off, v[3:4], off offset:304
	s_waitcnt vmcnt(0)
	ds_store_b64 v5, v[1:2]
.LBB127_317:
	s_or_b32 exec_lo, exec_lo, s0
	s_waitcnt lgkmcnt(0)
	s_waitcnt_vscnt null, 0x0
	s_barrier
	buffer_gl0_inv
	s_clause 0x4
	scratch_load_b128 v[134:137], off, off offset:304
	scratch_load_b128 v[138:141], off, off offset:320
	;; [unrolled: 1-line block ×5, first 2 shown]
	v_mov_b32_e32 v1, 0
	ds_load_2addr_b64 v[154:157], v1 offset0:103 offset1:104
	ds_load_2addr_b64 v[158:161], v1 offset0:105 offset1:106
	scratch_load_b128 v[162:165], off, off offset:384
	s_mov_b32 s0, exec_lo
	s_waitcnt vmcnt(5) lgkmcnt(1)
	v_fma_f64 v[2:3], v[136:137], v[154:155], 0
	s_waitcnt vmcnt(4)
	s_delay_alu instid0(VALU_DEP_1) | instskip(SKIP_4) | instid1(VALU_DEP_1)
	v_fma_f64 v[2:3], v[138:139], v[156:157], v[2:3]
	scratch_load_b128 v[136:139], off, off offset:400
	s_waitcnt lgkmcnt(0)
	v_fma_f64 v[2:3], v[140:141], v[158:159], v[2:3]
	s_waitcnt vmcnt(4)
	v_fma_f64 v[2:3], v[142:143], v[160:161], v[2:3]
	ds_load_2addr_b64 v[140:143], v1 offset0:107 offset1:108
	ds_load_2addr_b64 v[154:157], v1 offset0:109 offset1:110
	scratch_load_b128 v[158:161], off, off offset:416
	s_waitcnt lgkmcnt(1)
	v_fma_f64 v[2:3], v[144:145], v[140:141], v[2:3]
	s_waitcnt vmcnt(4)
	s_delay_alu instid0(VALU_DEP_1) | instskip(SKIP_4) | instid1(VALU_DEP_1)
	v_fma_f64 v[2:3], v[146:147], v[142:143], v[2:3]
	scratch_load_b128 v[140:143], off, off offset:432
	s_waitcnt lgkmcnt(0)
	v_fma_f64 v[2:3], v[148:149], v[154:155], v[2:3]
	s_waitcnt vmcnt(4)
	v_fma_f64 v[2:3], v[150:151], v[156:157], v[2:3]
	ds_load_2addr_b64 v[144:147], v1 offset0:111 offset1:112
	ds_load_2addr_b64 v[148:151], v1 offset0:113 offset1:114
	s_waitcnt lgkmcnt(1)
	v_fma_f64 v[2:3], v[152:153], v[144:145], v[2:3]
	scratch_load_b128 v[152:155], off, off offset:448
	s_waitcnt vmcnt(4)
	v_fma_f64 v[2:3], v[162:163], v[146:147], v[2:3]
	scratch_load_b128 v[144:147], off, off offset:464
	s_waitcnt lgkmcnt(0)
	v_fma_f64 v[2:3], v[164:165], v[148:149], v[2:3]
	s_waitcnt vmcnt(4)
	s_delay_alu instid0(VALU_DEP_1)
	v_fma_f64 v[2:3], v[136:137], v[150:151], v[2:3]
	ds_load_2addr_b64 v[148:151], v1 offset0:115 offset1:116
	ds_load_2addr_b64 v[162:165], v1 offset0:117 offset1:118
	s_waitcnt lgkmcnt(1)
	v_fma_f64 v[2:3], v[138:139], v[148:149], v[2:3]
	scratch_load_b128 v[136:139], off, off offset:480
	s_waitcnt vmcnt(4)
	v_fma_f64 v[2:3], v[158:159], v[150:151], v[2:3]
	scratch_load_b128 v[148:151], off, off offset:496
	s_waitcnt lgkmcnt(0)
	v_fma_f64 v[2:3], v[160:161], v[162:163], v[2:3]
	ds_load_2addr_b64 v[156:159], v1 offset0:119 offset1:120
	ds_load_2addr_b64 v[160:163], v1 offset0:121 offset1:122
	s_waitcnt vmcnt(4)
	v_fma_f64 v[2:3], v[140:141], v[164:165], v[2:3]
	s_waitcnt lgkmcnt(1)
	s_delay_alu instid0(VALU_DEP_1) | instskip(SKIP_1) | instid1(VALU_DEP_1)
	v_fma_f64 v[2:3], v[142:143], v[156:157], v[2:3]
	s_waitcnt vmcnt(3)
	v_fma_f64 v[2:3], v[152:153], v[158:159], v[2:3]
	s_waitcnt lgkmcnt(0)
	s_delay_alu instid0(VALU_DEP_1)
	v_fma_f64 v[2:3], v[154:155], v[160:161], v[2:3]
	ds_load_2addr_b64 v[140:143], v1 offset0:123 offset1:124
	ds_load_2addr_b64 v[152:155], v1 offset0:125 offset1:126
	s_waitcnt vmcnt(2)
	v_fma_f64 v[2:3], v[144:145], v[162:163], v[2:3]
	s_waitcnt lgkmcnt(1)
	s_delay_alu instid0(VALU_DEP_1) | instskip(SKIP_1) | instid1(VALU_DEP_1)
	v_fma_f64 v[2:3], v[146:147], v[140:141], v[2:3]
	s_waitcnt vmcnt(1)
	v_fma_f64 v[2:3], v[136:137], v[142:143], v[2:3]
	ds_load_b64 v[136:137], v1 offset:1016
	s_waitcnt lgkmcnt(1)
	v_fma_f64 v[2:3], v[138:139], v[152:153], v[2:3]
	s_waitcnt vmcnt(0)
	s_delay_alu instid0(VALU_DEP_1) | instskip(SKIP_1) | instid1(VALU_DEP_1)
	v_fma_f64 v[2:3], v[148:149], v[154:155], v[2:3]
	s_waitcnt lgkmcnt(0)
	v_fma_f64 v[2:3], v[150:151], v[136:137], v[2:3]
	s_delay_alu instid0(VALU_DEP_1)
	v_add_f64 v[2:3], v[134:135], -v[2:3]
	scratch_store_b64 off, v[2:3], off offset:304
	v_cmpx_lt_u32_e32 37, v0
	s_cbranch_execz .LBB127_319
; %bb.318:
	scratch_load_b64 v[3:4], off, off offset:296
	v_mov_b32_e32 v2, v1
	scratch_store_b64 off, v[1:2], off offset:296
	s_waitcnt vmcnt(0)
	ds_store_b64 v5, v[3:4]
.LBB127_319:
	s_or_b32 exec_lo, exec_lo, s0
	s_waitcnt lgkmcnt(0)
	s_waitcnt_vscnt null, 0x0
	s_barrier
	buffer_gl0_inv
	s_clause 0x4
	scratch_load_b128 v[134:137], off, off offset:296
	scratch_load_b128 v[138:141], off, off offset:312
	;; [unrolled: 1-line block ×5, first 2 shown]
	ds_load_b128 v[154:157], v1 offset:816
	ds_load_b128 v[158:161], v1 offset:832
	scratch_load_b128 v[162:165], off, off offset:376
	s_mov_b32 s0, exec_lo
	s_waitcnt vmcnt(5) lgkmcnt(1)
	v_fma_f64 v[2:3], v[136:137], v[154:155], 0
	s_waitcnt vmcnt(4)
	s_delay_alu instid0(VALU_DEP_1) | instskip(SKIP_4) | instid1(VALU_DEP_1)
	v_fma_f64 v[2:3], v[138:139], v[156:157], v[2:3]
	scratch_load_b128 v[136:139], off, off offset:392
	s_waitcnt lgkmcnt(0)
	v_fma_f64 v[2:3], v[140:141], v[158:159], v[2:3]
	s_waitcnt vmcnt(4)
	v_fma_f64 v[2:3], v[142:143], v[160:161], v[2:3]
	ds_load_b128 v[140:143], v1 offset:848
	ds_load_b128 v[154:157], v1 offset:864
	scratch_load_b128 v[158:161], off, off offset:408
	s_waitcnt lgkmcnt(1)
	v_fma_f64 v[2:3], v[144:145], v[140:141], v[2:3]
	s_waitcnt vmcnt(4)
	s_delay_alu instid0(VALU_DEP_1) | instskip(SKIP_4) | instid1(VALU_DEP_1)
	v_fma_f64 v[2:3], v[146:147], v[142:143], v[2:3]
	scratch_load_b128 v[140:143], off, off offset:424
	s_waitcnt lgkmcnt(0)
	v_fma_f64 v[2:3], v[148:149], v[154:155], v[2:3]
	s_waitcnt vmcnt(4)
	v_fma_f64 v[2:3], v[150:151], v[156:157], v[2:3]
	ds_load_b128 v[144:147], v1 offset:880
	ds_load_b128 v[148:151], v1 offset:896
	s_waitcnt lgkmcnt(1)
	v_fma_f64 v[2:3], v[152:153], v[144:145], v[2:3]
	scratch_load_b128 v[152:155], off, off offset:440
	s_waitcnt vmcnt(4)
	v_fma_f64 v[2:3], v[162:163], v[146:147], v[2:3]
	scratch_load_b128 v[144:147], off, off offset:456
	s_waitcnt lgkmcnt(0)
	v_fma_f64 v[2:3], v[164:165], v[148:149], v[2:3]
	s_waitcnt vmcnt(4)
	s_delay_alu instid0(VALU_DEP_1)
	v_fma_f64 v[2:3], v[136:137], v[150:151], v[2:3]
	ds_load_b128 v[148:151], v1 offset:912
	ds_load_b128 v[162:165], v1 offset:928
	s_waitcnt lgkmcnt(1)
	v_fma_f64 v[2:3], v[138:139], v[148:149], v[2:3]
	scratch_load_b128 v[136:139], off, off offset:472
	s_waitcnt vmcnt(4)
	v_fma_f64 v[2:3], v[158:159], v[150:151], v[2:3]
	scratch_load_b128 v[148:151], off, off offset:488
	s_waitcnt lgkmcnt(0)
	v_fma_f64 v[2:3], v[160:161], v[162:163], v[2:3]
	ds_load_b128 v[156:159], v1 offset:944
	ds_load_b128 v[160:163], v1 offset:960
	s_waitcnt vmcnt(4)
	v_fma_f64 v[2:3], v[140:141], v[164:165], v[2:3]
	s_waitcnt lgkmcnt(1)
	s_delay_alu instid0(VALU_DEP_1) | instskip(SKIP_4) | instid1(VALU_DEP_1)
	v_fma_f64 v[2:3], v[142:143], v[156:157], v[2:3]
	scratch_load_b64 v[156:157], off, off offset:504
	s_waitcnt vmcnt(4)
	v_fma_f64 v[2:3], v[152:153], v[158:159], v[2:3]
	s_waitcnt lgkmcnt(0)
	v_fma_f64 v[2:3], v[154:155], v[160:161], v[2:3]
	ds_load_b128 v[140:143], v1 offset:976
	ds_load_b128 v[152:155], v1 offset:992
	s_waitcnt vmcnt(3)
	v_fma_f64 v[2:3], v[144:145], v[162:163], v[2:3]
	s_waitcnt lgkmcnt(1)
	s_delay_alu instid0(VALU_DEP_1) | instskip(SKIP_1) | instid1(VALU_DEP_1)
	v_fma_f64 v[2:3], v[146:147], v[140:141], v[2:3]
	s_waitcnt vmcnt(2)
	v_fma_f64 v[2:3], v[136:137], v[142:143], v[2:3]
	s_waitcnt lgkmcnt(0)
	s_delay_alu instid0(VALU_DEP_1) | instskip(SKIP_1) | instid1(VALU_DEP_1)
	v_fma_f64 v[2:3], v[138:139], v[152:153], v[2:3]
	s_waitcnt vmcnt(1)
	v_fma_f64 v[136:137], v[148:149], v[154:155], v[2:3]
	ds_load_b128 v[1:4], v1 offset:1008
	s_waitcnt lgkmcnt(0)
	v_fma_f64 v[1:2], v[150:151], v[1:2], v[136:137]
	s_waitcnt vmcnt(0)
	s_delay_alu instid0(VALU_DEP_1) | instskip(NEXT) | instid1(VALU_DEP_1)
	v_fma_f64 v[1:2], v[156:157], v[3:4], v[1:2]
	v_add_f64 v[1:2], v[134:135], -v[1:2]
	scratch_store_b64 off, v[1:2], off offset:296
	v_cmpx_lt_u32_e32 36, v0
	s_cbranch_execz .LBB127_321
; %bb.320:
	scratch_load_b64 v[1:2], off, off offset:288
	v_mov_b32_e32 v3, 0
	s_delay_alu instid0(VALU_DEP_1)
	v_mov_b32_e32 v4, v3
	scratch_store_b64 off, v[3:4], off offset:288
	s_waitcnt vmcnt(0)
	ds_store_b64 v5, v[1:2]
.LBB127_321:
	s_or_b32 exec_lo, exec_lo, s0
	s_waitcnt lgkmcnt(0)
	s_waitcnt_vscnt null, 0x0
	s_barrier
	buffer_gl0_inv
	s_clause 0x4
	scratch_load_b128 v[134:137], off, off offset:288
	scratch_load_b128 v[138:141], off, off offset:304
	;; [unrolled: 1-line block ×5, first 2 shown]
	v_mov_b32_e32 v1, 0
	ds_load_2addr_b64 v[154:157], v1 offset0:101 offset1:102
	ds_load_2addr_b64 v[158:161], v1 offset0:103 offset1:104
	scratch_load_b128 v[162:165], off, off offset:368
	s_mov_b32 s0, exec_lo
	s_waitcnt vmcnt(5) lgkmcnt(1)
	v_fma_f64 v[2:3], v[136:137], v[154:155], 0
	s_waitcnt vmcnt(4)
	s_delay_alu instid0(VALU_DEP_1) | instskip(SKIP_4) | instid1(VALU_DEP_1)
	v_fma_f64 v[2:3], v[138:139], v[156:157], v[2:3]
	scratch_load_b128 v[136:139], off, off offset:384
	s_waitcnt lgkmcnt(0)
	v_fma_f64 v[2:3], v[140:141], v[158:159], v[2:3]
	s_waitcnt vmcnt(4)
	v_fma_f64 v[2:3], v[142:143], v[160:161], v[2:3]
	ds_load_2addr_b64 v[140:143], v1 offset0:105 offset1:106
	ds_load_2addr_b64 v[154:157], v1 offset0:107 offset1:108
	scratch_load_b128 v[158:161], off, off offset:400
	s_waitcnt lgkmcnt(1)
	v_fma_f64 v[2:3], v[144:145], v[140:141], v[2:3]
	s_waitcnt vmcnt(4)
	s_delay_alu instid0(VALU_DEP_1) | instskip(SKIP_4) | instid1(VALU_DEP_1)
	v_fma_f64 v[2:3], v[146:147], v[142:143], v[2:3]
	scratch_load_b128 v[140:143], off, off offset:416
	s_waitcnt lgkmcnt(0)
	v_fma_f64 v[2:3], v[148:149], v[154:155], v[2:3]
	s_waitcnt vmcnt(4)
	v_fma_f64 v[2:3], v[150:151], v[156:157], v[2:3]
	ds_load_2addr_b64 v[144:147], v1 offset0:109 offset1:110
	ds_load_2addr_b64 v[148:151], v1 offset0:111 offset1:112
	s_waitcnt lgkmcnt(1)
	v_fma_f64 v[2:3], v[152:153], v[144:145], v[2:3]
	scratch_load_b128 v[152:155], off, off offset:432
	s_waitcnt vmcnt(4)
	v_fma_f64 v[2:3], v[162:163], v[146:147], v[2:3]
	scratch_load_b128 v[144:147], off, off offset:448
	s_waitcnt lgkmcnt(0)
	v_fma_f64 v[2:3], v[164:165], v[148:149], v[2:3]
	s_waitcnt vmcnt(4)
	s_delay_alu instid0(VALU_DEP_1)
	v_fma_f64 v[2:3], v[136:137], v[150:151], v[2:3]
	ds_load_2addr_b64 v[148:151], v1 offset0:113 offset1:114
	ds_load_2addr_b64 v[162:165], v1 offset0:115 offset1:116
	s_waitcnt lgkmcnt(1)
	v_fma_f64 v[2:3], v[138:139], v[148:149], v[2:3]
	scratch_load_b128 v[136:139], off, off offset:464
	s_waitcnt vmcnt(4)
	v_fma_f64 v[2:3], v[158:159], v[150:151], v[2:3]
	scratch_load_b128 v[148:151], off, off offset:480
	s_waitcnt lgkmcnt(0)
	v_fma_f64 v[2:3], v[160:161], v[162:163], v[2:3]
	ds_load_2addr_b64 v[156:159], v1 offset0:117 offset1:118
	ds_load_2addr_b64 v[160:163], v1 offset0:119 offset1:120
	s_waitcnt vmcnt(4)
	v_fma_f64 v[2:3], v[140:141], v[164:165], v[2:3]
	s_waitcnt lgkmcnt(1)
	s_delay_alu instid0(VALU_DEP_1) | instskip(SKIP_4) | instid1(VALU_DEP_1)
	v_fma_f64 v[2:3], v[142:143], v[156:157], v[2:3]
	scratch_load_b128 v[140:143], off, off offset:496
	s_waitcnt vmcnt(4)
	v_fma_f64 v[2:3], v[152:153], v[158:159], v[2:3]
	s_waitcnt lgkmcnt(0)
	v_fma_f64 v[2:3], v[154:155], v[160:161], v[2:3]
	ds_load_2addr_b64 v[152:155], v1 offset0:121 offset1:122
	ds_load_2addr_b64 v[156:159], v1 offset0:123 offset1:124
	s_waitcnt vmcnt(3)
	v_fma_f64 v[2:3], v[144:145], v[162:163], v[2:3]
	s_waitcnt lgkmcnt(1)
	s_delay_alu instid0(VALU_DEP_1) | instskip(SKIP_1) | instid1(VALU_DEP_1)
	v_fma_f64 v[2:3], v[146:147], v[152:153], v[2:3]
	s_waitcnt vmcnt(2)
	v_fma_f64 v[2:3], v[136:137], v[154:155], v[2:3]
	s_waitcnt lgkmcnt(0)
	s_delay_alu instid0(VALU_DEP_1)
	v_fma_f64 v[2:3], v[138:139], v[156:157], v[2:3]
	ds_load_2addr_b64 v[136:139], v1 offset0:125 offset1:126
	ds_load_b64 v[144:145], v1 offset:1016
	s_waitcnt vmcnt(1)
	v_fma_f64 v[2:3], v[148:149], v[158:159], v[2:3]
	s_waitcnt lgkmcnt(1)
	s_delay_alu instid0(VALU_DEP_1) | instskip(SKIP_1) | instid1(VALU_DEP_1)
	v_fma_f64 v[2:3], v[150:151], v[136:137], v[2:3]
	s_waitcnt vmcnt(0)
	v_fma_f64 v[2:3], v[140:141], v[138:139], v[2:3]
	s_waitcnt lgkmcnt(0)
	s_delay_alu instid0(VALU_DEP_1) | instskip(NEXT) | instid1(VALU_DEP_1)
	v_fma_f64 v[2:3], v[142:143], v[144:145], v[2:3]
	v_add_f64 v[2:3], v[134:135], -v[2:3]
	scratch_store_b64 off, v[2:3], off offset:288
	v_cmpx_lt_u32_e32 35, v0
	s_cbranch_execz .LBB127_323
; %bb.322:
	scratch_load_b64 v[3:4], off, off offset:280
	v_mov_b32_e32 v2, v1
	scratch_store_b64 off, v[1:2], off offset:280
	s_waitcnt vmcnt(0)
	ds_store_b64 v5, v[3:4]
.LBB127_323:
	s_or_b32 exec_lo, exec_lo, s0
	s_waitcnt lgkmcnt(0)
	s_waitcnt_vscnt null, 0x0
	s_barrier
	buffer_gl0_inv
	s_clause 0x4
	scratch_load_b128 v[134:137], off, off offset:280
	scratch_load_b128 v[138:141], off, off offset:296
	;; [unrolled: 1-line block ×5, first 2 shown]
	ds_load_b128 v[154:157], v1 offset:800
	ds_load_b128 v[158:161], v1 offset:816
	scratch_load_b128 v[162:165], off, off offset:360
	s_mov_b32 s0, exec_lo
	s_waitcnt vmcnt(5) lgkmcnt(1)
	v_fma_f64 v[2:3], v[136:137], v[154:155], 0
	s_waitcnt vmcnt(4)
	s_delay_alu instid0(VALU_DEP_1) | instskip(SKIP_4) | instid1(VALU_DEP_1)
	v_fma_f64 v[2:3], v[138:139], v[156:157], v[2:3]
	scratch_load_b128 v[136:139], off, off offset:376
	s_waitcnt lgkmcnt(0)
	v_fma_f64 v[2:3], v[140:141], v[158:159], v[2:3]
	s_waitcnt vmcnt(4)
	v_fma_f64 v[2:3], v[142:143], v[160:161], v[2:3]
	ds_load_b128 v[140:143], v1 offset:832
	ds_load_b128 v[154:157], v1 offset:848
	scratch_load_b128 v[158:161], off, off offset:392
	s_waitcnt lgkmcnt(1)
	v_fma_f64 v[2:3], v[144:145], v[140:141], v[2:3]
	s_waitcnt vmcnt(4)
	s_delay_alu instid0(VALU_DEP_1) | instskip(SKIP_4) | instid1(VALU_DEP_1)
	v_fma_f64 v[2:3], v[146:147], v[142:143], v[2:3]
	scratch_load_b128 v[140:143], off, off offset:408
	s_waitcnt lgkmcnt(0)
	v_fma_f64 v[2:3], v[148:149], v[154:155], v[2:3]
	s_waitcnt vmcnt(4)
	v_fma_f64 v[2:3], v[150:151], v[156:157], v[2:3]
	ds_load_b128 v[144:147], v1 offset:864
	ds_load_b128 v[148:151], v1 offset:880
	s_waitcnt lgkmcnt(1)
	v_fma_f64 v[2:3], v[152:153], v[144:145], v[2:3]
	scratch_load_b128 v[152:155], off, off offset:424
	s_waitcnt vmcnt(4)
	v_fma_f64 v[2:3], v[162:163], v[146:147], v[2:3]
	scratch_load_b128 v[144:147], off, off offset:440
	s_waitcnt lgkmcnt(0)
	v_fma_f64 v[2:3], v[164:165], v[148:149], v[2:3]
	s_waitcnt vmcnt(4)
	s_delay_alu instid0(VALU_DEP_1)
	v_fma_f64 v[2:3], v[136:137], v[150:151], v[2:3]
	ds_load_b128 v[148:151], v1 offset:896
	ds_load_b128 v[162:165], v1 offset:912
	s_waitcnt lgkmcnt(1)
	v_fma_f64 v[2:3], v[138:139], v[148:149], v[2:3]
	scratch_load_b128 v[136:139], off, off offset:456
	s_waitcnt vmcnt(4)
	v_fma_f64 v[2:3], v[158:159], v[150:151], v[2:3]
	scratch_load_b128 v[148:151], off, off offset:472
	s_waitcnt lgkmcnt(0)
	v_fma_f64 v[2:3], v[160:161], v[162:163], v[2:3]
	ds_load_b128 v[156:159], v1 offset:928
	ds_load_b128 v[160:163], v1 offset:944
	s_waitcnt vmcnt(4)
	v_fma_f64 v[2:3], v[140:141], v[164:165], v[2:3]
	s_waitcnt lgkmcnt(1)
	s_delay_alu instid0(VALU_DEP_1) | instskip(SKIP_4) | instid1(VALU_DEP_1)
	v_fma_f64 v[2:3], v[142:143], v[156:157], v[2:3]
	scratch_load_b128 v[140:143], off, off offset:488
	s_waitcnt vmcnt(4)
	v_fma_f64 v[2:3], v[152:153], v[158:159], v[2:3]
	s_waitcnt lgkmcnt(0)
	v_fma_f64 v[2:3], v[154:155], v[160:161], v[2:3]
	scratch_load_b64 v[160:161], off, off offset:504
	ds_load_b128 v[152:155], v1 offset:960
	ds_load_b128 v[156:159], v1 offset:976
	s_waitcnt vmcnt(4)
	v_fma_f64 v[2:3], v[144:145], v[162:163], v[2:3]
	s_waitcnt lgkmcnt(1)
	s_delay_alu instid0(VALU_DEP_1) | instskip(SKIP_1) | instid1(VALU_DEP_1)
	v_fma_f64 v[2:3], v[146:147], v[152:153], v[2:3]
	s_waitcnt vmcnt(3)
	v_fma_f64 v[2:3], v[136:137], v[154:155], v[2:3]
	s_waitcnt lgkmcnt(0)
	s_delay_alu instid0(VALU_DEP_1) | instskip(SKIP_1) | instid1(VALU_DEP_1)
	v_fma_f64 v[2:3], v[138:139], v[156:157], v[2:3]
	s_waitcnt vmcnt(2)
	v_fma_f64 v[144:145], v[148:149], v[158:159], v[2:3]
	ds_load_b128 v[136:139], v1 offset:992
	ds_load_b128 v[1:4], v1 offset:1008
	s_waitcnt lgkmcnt(1)
	v_fma_f64 v[136:137], v[150:151], v[136:137], v[144:145]
	s_waitcnt vmcnt(1)
	s_delay_alu instid0(VALU_DEP_1) | instskip(SKIP_1) | instid1(VALU_DEP_1)
	v_fma_f64 v[136:137], v[140:141], v[138:139], v[136:137]
	s_waitcnt lgkmcnt(0)
	v_fma_f64 v[1:2], v[142:143], v[1:2], v[136:137]
	s_waitcnt vmcnt(0)
	s_delay_alu instid0(VALU_DEP_1) | instskip(NEXT) | instid1(VALU_DEP_1)
	v_fma_f64 v[1:2], v[160:161], v[3:4], v[1:2]
	v_add_f64 v[1:2], v[134:135], -v[1:2]
	scratch_store_b64 off, v[1:2], off offset:280
	v_cmpx_lt_u32_e32 34, v0
	s_cbranch_execz .LBB127_325
; %bb.324:
	scratch_load_b64 v[1:2], off, off offset:272
	v_mov_b32_e32 v3, 0
	s_delay_alu instid0(VALU_DEP_1)
	v_mov_b32_e32 v4, v3
	scratch_store_b64 off, v[3:4], off offset:272
	s_waitcnt vmcnt(0)
	ds_store_b64 v5, v[1:2]
.LBB127_325:
	s_or_b32 exec_lo, exec_lo, s0
	s_waitcnt lgkmcnt(0)
	s_waitcnt_vscnt null, 0x0
	s_barrier
	buffer_gl0_inv
	s_clause 0x4
	scratch_load_b128 v[134:137], off, off offset:272
	scratch_load_b128 v[138:141], off, off offset:288
	;; [unrolled: 1-line block ×5, first 2 shown]
	v_mov_b32_e32 v1, 0
	ds_load_2addr_b64 v[154:157], v1 offset0:99 offset1:100
	ds_load_2addr_b64 v[158:161], v1 offset0:101 offset1:102
	scratch_load_b128 v[162:165], off, off offset:352
	s_mov_b32 s0, exec_lo
	s_waitcnt vmcnt(5) lgkmcnt(1)
	v_fma_f64 v[2:3], v[136:137], v[154:155], 0
	s_waitcnt vmcnt(4)
	s_delay_alu instid0(VALU_DEP_1) | instskip(SKIP_4) | instid1(VALU_DEP_1)
	v_fma_f64 v[2:3], v[138:139], v[156:157], v[2:3]
	scratch_load_b128 v[136:139], off, off offset:368
	s_waitcnt lgkmcnt(0)
	v_fma_f64 v[2:3], v[140:141], v[158:159], v[2:3]
	s_waitcnt vmcnt(4)
	v_fma_f64 v[2:3], v[142:143], v[160:161], v[2:3]
	ds_load_2addr_b64 v[140:143], v1 offset0:103 offset1:104
	ds_load_2addr_b64 v[154:157], v1 offset0:105 offset1:106
	scratch_load_b128 v[158:161], off, off offset:384
	s_waitcnt lgkmcnt(1)
	v_fma_f64 v[2:3], v[144:145], v[140:141], v[2:3]
	s_waitcnt vmcnt(4)
	s_delay_alu instid0(VALU_DEP_1) | instskip(SKIP_4) | instid1(VALU_DEP_1)
	v_fma_f64 v[2:3], v[146:147], v[142:143], v[2:3]
	scratch_load_b128 v[140:143], off, off offset:400
	s_waitcnt lgkmcnt(0)
	v_fma_f64 v[2:3], v[148:149], v[154:155], v[2:3]
	s_waitcnt vmcnt(4)
	v_fma_f64 v[2:3], v[150:151], v[156:157], v[2:3]
	ds_load_2addr_b64 v[144:147], v1 offset0:107 offset1:108
	ds_load_2addr_b64 v[148:151], v1 offset0:109 offset1:110
	s_waitcnt lgkmcnt(1)
	v_fma_f64 v[2:3], v[152:153], v[144:145], v[2:3]
	scratch_load_b128 v[152:155], off, off offset:416
	s_waitcnt vmcnt(4)
	v_fma_f64 v[2:3], v[162:163], v[146:147], v[2:3]
	scratch_load_b128 v[144:147], off, off offset:432
	s_waitcnt lgkmcnt(0)
	v_fma_f64 v[2:3], v[164:165], v[148:149], v[2:3]
	s_waitcnt vmcnt(4)
	s_delay_alu instid0(VALU_DEP_1)
	v_fma_f64 v[2:3], v[136:137], v[150:151], v[2:3]
	ds_load_2addr_b64 v[148:151], v1 offset0:111 offset1:112
	ds_load_2addr_b64 v[162:165], v1 offset0:113 offset1:114
	s_waitcnt lgkmcnt(1)
	v_fma_f64 v[2:3], v[138:139], v[148:149], v[2:3]
	scratch_load_b128 v[136:139], off, off offset:448
	s_waitcnt vmcnt(4)
	v_fma_f64 v[2:3], v[158:159], v[150:151], v[2:3]
	scratch_load_b128 v[148:151], off, off offset:464
	s_waitcnt lgkmcnt(0)
	v_fma_f64 v[2:3], v[160:161], v[162:163], v[2:3]
	ds_load_2addr_b64 v[156:159], v1 offset0:115 offset1:116
	ds_load_2addr_b64 v[160:163], v1 offset0:117 offset1:118
	s_waitcnt vmcnt(4)
	v_fma_f64 v[2:3], v[140:141], v[164:165], v[2:3]
	s_waitcnt lgkmcnt(1)
	s_delay_alu instid0(VALU_DEP_1) | instskip(SKIP_4) | instid1(VALU_DEP_1)
	v_fma_f64 v[2:3], v[142:143], v[156:157], v[2:3]
	scratch_load_b128 v[140:143], off, off offset:480
	s_waitcnt vmcnt(4)
	v_fma_f64 v[2:3], v[152:153], v[158:159], v[2:3]
	s_waitcnt lgkmcnt(0)
	v_fma_f64 v[2:3], v[154:155], v[160:161], v[2:3]
	scratch_load_b128 v[152:155], off, off offset:496
	s_waitcnt vmcnt(4)
	v_fma_f64 v[2:3], v[144:145], v[162:163], v[2:3]
	ds_load_2addr_b64 v[156:159], v1 offset0:119 offset1:120
	ds_load_2addr_b64 v[160:163], v1 offset0:121 offset1:122
	s_waitcnt lgkmcnt(1)
	v_fma_f64 v[2:3], v[146:147], v[156:157], v[2:3]
	s_waitcnt vmcnt(3)
	s_delay_alu instid0(VALU_DEP_1) | instskip(SKIP_1) | instid1(VALU_DEP_1)
	v_fma_f64 v[2:3], v[136:137], v[158:159], v[2:3]
	s_waitcnt lgkmcnt(0)
	v_fma_f64 v[2:3], v[138:139], v[160:161], v[2:3]
	ds_load_2addr_b64 v[136:139], v1 offset0:123 offset1:124
	ds_load_2addr_b64 v[144:147], v1 offset0:125 offset1:126
	s_waitcnt vmcnt(2)
	v_fma_f64 v[2:3], v[148:149], v[162:163], v[2:3]
	s_waitcnt lgkmcnt(1)
	s_delay_alu instid0(VALU_DEP_1) | instskip(SKIP_4) | instid1(VALU_DEP_1)
	v_fma_f64 v[2:3], v[150:151], v[136:137], v[2:3]
	ds_load_b64 v[136:137], v1 offset:1016
	s_waitcnt vmcnt(1)
	v_fma_f64 v[2:3], v[140:141], v[138:139], v[2:3]
	s_waitcnt lgkmcnt(1)
	v_fma_f64 v[2:3], v[142:143], v[144:145], v[2:3]
	s_waitcnt vmcnt(0)
	s_delay_alu instid0(VALU_DEP_1) | instskip(SKIP_1) | instid1(VALU_DEP_1)
	v_fma_f64 v[2:3], v[152:153], v[146:147], v[2:3]
	s_waitcnt lgkmcnt(0)
	v_fma_f64 v[2:3], v[154:155], v[136:137], v[2:3]
	s_delay_alu instid0(VALU_DEP_1)
	v_add_f64 v[2:3], v[134:135], -v[2:3]
	scratch_store_b64 off, v[2:3], off offset:272
	v_cmpx_lt_u32_e32 33, v0
	s_cbranch_execz .LBB127_327
; %bb.326:
	scratch_load_b64 v[3:4], off, off offset:264
	v_mov_b32_e32 v2, v1
	scratch_store_b64 off, v[1:2], off offset:264
	s_waitcnt vmcnt(0)
	ds_store_b64 v5, v[3:4]
.LBB127_327:
	s_or_b32 exec_lo, exec_lo, s0
	s_waitcnt lgkmcnt(0)
	s_waitcnt_vscnt null, 0x0
	s_barrier
	buffer_gl0_inv
	s_clause 0x4
	scratch_load_b128 v[134:137], off, off offset:264
	scratch_load_b128 v[138:141], off, off offset:280
	;; [unrolled: 1-line block ×5, first 2 shown]
	ds_load_b128 v[154:157], v1 offset:784
	ds_load_b128 v[158:161], v1 offset:800
	scratch_load_b128 v[162:165], off, off offset:344
	s_mov_b32 s0, exec_lo
	s_waitcnt vmcnt(5) lgkmcnt(1)
	v_fma_f64 v[2:3], v[136:137], v[154:155], 0
	s_waitcnt vmcnt(4)
	s_delay_alu instid0(VALU_DEP_1) | instskip(SKIP_4) | instid1(VALU_DEP_1)
	v_fma_f64 v[2:3], v[138:139], v[156:157], v[2:3]
	scratch_load_b128 v[136:139], off, off offset:360
	s_waitcnt lgkmcnt(0)
	v_fma_f64 v[2:3], v[140:141], v[158:159], v[2:3]
	s_waitcnt vmcnt(4)
	v_fma_f64 v[2:3], v[142:143], v[160:161], v[2:3]
	ds_load_b128 v[140:143], v1 offset:816
	ds_load_b128 v[154:157], v1 offset:832
	scratch_load_b128 v[158:161], off, off offset:376
	s_waitcnt lgkmcnt(1)
	v_fma_f64 v[2:3], v[144:145], v[140:141], v[2:3]
	s_waitcnt vmcnt(4)
	s_delay_alu instid0(VALU_DEP_1) | instskip(SKIP_4) | instid1(VALU_DEP_1)
	v_fma_f64 v[2:3], v[146:147], v[142:143], v[2:3]
	scratch_load_b128 v[140:143], off, off offset:392
	s_waitcnt lgkmcnt(0)
	v_fma_f64 v[2:3], v[148:149], v[154:155], v[2:3]
	s_waitcnt vmcnt(4)
	v_fma_f64 v[2:3], v[150:151], v[156:157], v[2:3]
	ds_load_b128 v[144:147], v1 offset:848
	ds_load_b128 v[148:151], v1 offset:864
	s_waitcnt lgkmcnt(1)
	v_fma_f64 v[2:3], v[152:153], v[144:145], v[2:3]
	scratch_load_b128 v[152:155], off, off offset:408
	s_waitcnt vmcnt(4)
	v_fma_f64 v[2:3], v[162:163], v[146:147], v[2:3]
	scratch_load_b128 v[144:147], off, off offset:424
	s_waitcnt lgkmcnt(0)
	v_fma_f64 v[2:3], v[164:165], v[148:149], v[2:3]
	s_waitcnt vmcnt(4)
	s_delay_alu instid0(VALU_DEP_1)
	v_fma_f64 v[2:3], v[136:137], v[150:151], v[2:3]
	ds_load_b128 v[148:151], v1 offset:880
	ds_load_b128 v[162:165], v1 offset:896
	s_waitcnt lgkmcnt(1)
	v_fma_f64 v[2:3], v[138:139], v[148:149], v[2:3]
	scratch_load_b128 v[136:139], off, off offset:440
	s_waitcnt vmcnt(4)
	v_fma_f64 v[2:3], v[158:159], v[150:151], v[2:3]
	scratch_load_b128 v[148:151], off, off offset:456
	s_waitcnt lgkmcnt(0)
	v_fma_f64 v[2:3], v[160:161], v[162:163], v[2:3]
	ds_load_b128 v[156:159], v1 offset:912
	ds_load_b128 v[160:163], v1 offset:928
	s_waitcnt vmcnt(4)
	v_fma_f64 v[2:3], v[140:141], v[164:165], v[2:3]
	s_waitcnt lgkmcnt(1)
	s_delay_alu instid0(VALU_DEP_1) | instskip(SKIP_4) | instid1(VALU_DEP_1)
	v_fma_f64 v[2:3], v[142:143], v[156:157], v[2:3]
	scratch_load_b128 v[140:143], off, off offset:472
	s_waitcnt vmcnt(4)
	v_fma_f64 v[2:3], v[152:153], v[158:159], v[2:3]
	s_waitcnt lgkmcnt(0)
	v_fma_f64 v[2:3], v[154:155], v[160:161], v[2:3]
	scratch_load_b128 v[152:155], off, off offset:488
	s_waitcnt vmcnt(4)
	v_fma_f64 v[2:3], v[144:145], v[162:163], v[2:3]
	ds_load_b128 v[156:159], v1 offset:944
	ds_load_b128 v[160:163], v1 offset:960
	s_waitcnt lgkmcnt(1)
	v_fma_f64 v[2:3], v[146:147], v[156:157], v[2:3]
	scratch_load_b64 v[156:157], off, off offset:504
	s_waitcnt vmcnt(4)
	v_fma_f64 v[2:3], v[136:137], v[158:159], v[2:3]
	s_waitcnt lgkmcnt(0)
	s_delay_alu instid0(VALU_DEP_1)
	v_fma_f64 v[2:3], v[138:139], v[160:161], v[2:3]
	ds_load_b128 v[136:139], v1 offset:976
	ds_load_b128 v[144:147], v1 offset:992
	s_waitcnt vmcnt(3)
	v_fma_f64 v[2:3], v[148:149], v[162:163], v[2:3]
	s_waitcnt lgkmcnt(1)
	s_delay_alu instid0(VALU_DEP_1) | instskip(SKIP_1) | instid1(VALU_DEP_1)
	v_fma_f64 v[2:3], v[150:151], v[136:137], v[2:3]
	s_waitcnt vmcnt(2)
	v_fma_f64 v[2:3], v[140:141], v[138:139], v[2:3]
	s_waitcnt lgkmcnt(0)
	s_delay_alu instid0(VALU_DEP_1) | instskip(SKIP_1) | instid1(VALU_DEP_1)
	v_fma_f64 v[2:3], v[142:143], v[144:145], v[2:3]
	s_waitcnt vmcnt(1)
	v_fma_f64 v[136:137], v[152:153], v[146:147], v[2:3]
	ds_load_b128 v[1:4], v1 offset:1008
	s_waitcnt lgkmcnt(0)
	v_fma_f64 v[1:2], v[154:155], v[1:2], v[136:137]
	s_waitcnt vmcnt(0)
	s_delay_alu instid0(VALU_DEP_1) | instskip(NEXT) | instid1(VALU_DEP_1)
	v_fma_f64 v[1:2], v[156:157], v[3:4], v[1:2]
	v_add_f64 v[1:2], v[134:135], -v[1:2]
	scratch_store_b64 off, v[1:2], off offset:264
	v_cmpx_lt_u32_e32 32, v0
	s_cbranch_execz .LBB127_329
; %bb.328:
	scratch_load_b64 v[1:2], off, off offset:256
	v_mov_b32_e32 v3, 0
	s_delay_alu instid0(VALU_DEP_1)
	v_mov_b32_e32 v4, v3
	scratch_store_b64 off, v[3:4], off offset:256
	s_waitcnt vmcnt(0)
	ds_store_b64 v5, v[1:2]
.LBB127_329:
	s_or_b32 exec_lo, exec_lo, s0
	s_waitcnt lgkmcnt(0)
	s_waitcnt_vscnt null, 0x0
	s_barrier
	buffer_gl0_inv
	s_clause 0x4
	scratch_load_b128 v[134:137], off, off offset:256
	scratch_load_b128 v[138:141], off, off offset:272
	;; [unrolled: 1-line block ×5, first 2 shown]
	v_mov_b32_e32 v1, 0
	ds_load_2addr_b64 v[154:157], v1 offset0:97 offset1:98
	ds_load_2addr_b64 v[158:161], v1 offset0:99 offset1:100
	scratch_load_b128 v[162:165], off, off offset:336
	s_mov_b32 s0, exec_lo
	s_waitcnt vmcnt(5) lgkmcnt(1)
	v_fma_f64 v[2:3], v[136:137], v[154:155], 0
	s_waitcnt vmcnt(4)
	s_delay_alu instid0(VALU_DEP_1) | instskip(SKIP_4) | instid1(VALU_DEP_1)
	v_fma_f64 v[2:3], v[138:139], v[156:157], v[2:3]
	scratch_load_b128 v[136:139], off, off offset:352
	s_waitcnt lgkmcnt(0)
	v_fma_f64 v[2:3], v[140:141], v[158:159], v[2:3]
	s_waitcnt vmcnt(4)
	v_fma_f64 v[2:3], v[142:143], v[160:161], v[2:3]
	ds_load_2addr_b64 v[140:143], v1 offset0:101 offset1:102
	ds_load_2addr_b64 v[154:157], v1 offset0:103 offset1:104
	scratch_load_b128 v[158:161], off, off offset:368
	s_waitcnt lgkmcnt(1)
	v_fma_f64 v[2:3], v[144:145], v[140:141], v[2:3]
	s_waitcnt vmcnt(4)
	s_delay_alu instid0(VALU_DEP_1) | instskip(SKIP_4) | instid1(VALU_DEP_1)
	v_fma_f64 v[2:3], v[146:147], v[142:143], v[2:3]
	scratch_load_b128 v[140:143], off, off offset:384
	s_waitcnt lgkmcnt(0)
	v_fma_f64 v[2:3], v[148:149], v[154:155], v[2:3]
	s_waitcnt vmcnt(4)
	v_fma_f64 v[2:3], v[150:151], v[156:157], v[2:3]
	ds_load_2addr_b64 v[144:147], v1 offset0:105 offset1:106
	ds_load_2addr_b64 v[148:151], v1 offset0:107 offset1:108
	s_waitcnt lgkmcnt(1)
	v_fma_f64 v[2:3], v[152:153], v[144:145], v[2:3]
	scratch_load_b128 v[152:155], off, off offset:400
	s_waitcnt vmcnt(4)
	v_fma_f64 v[2:3], v[162:163], v[146:147], v[2:3]
	scratch_load_b128 v[144:147], off, off offset:416
	s_waitcnt lgkmcnt(0)
	v_fma_f64 v[2:3], v[164:165], v[148:149], v[2:3]
	s_waitcnt vmcnt(4)
	s_delay_alu instid0(VALU_DEP_1)
	v_fma_f64 v[2:3], v[136:137], v[150:151], v[2:3]
	ds_load_2addr_b64 v[148:151], v1 offset0:109 offset1:110
	ds_load_2addr_b64 v[162:165], v1 offset0:111 offset1:112
	s_waitcnt lgkmcnt(1)
	v_fma_f64 v[2:3], v[138:139], v[148:149], v[2:3]
	scratch_load_b128 v[136:139], off, off offset:432
	s_waitcnt vmcnt(4)
	v_fma_f64 v[2:3], v[158:159], v[150:151], v[2:3]
	scratch_load_b128 v[148:151], off, off offset:448
	s_waitcnt lgkmcnt(0)
	v_fma_f64 v[2:3], v[160:161], v[162:163], v[2:3]
	ds_load_2addr_b64 v[156:159], v1 offset0:113 offset1:114
	ds_load_2addr_b64 v[160:163], v1 offset0:115 offset1:116
	s_waitcnt vmcnt(4)
	v_fma_f64 v[2:3], v[140:141], v[164:165], v[2:3]
	s_waitcnt lgkmcnt(1)
	s_delay_alu instid0(VALU_DEP_1) | instskip(SKIP_4) | instid1(VALU_DEP_1)
	v_fma_f64 v[2:3], v[142:143], v[156:157], v[2:3]
	scratch_load_b128 v[140:143], off, off offset:464
	s_waitcnt vmcnt(4)
	v_fma_f64 v[2:3], v[152:153], v[158:159], v[2:3]
	s_waitcnt lgkmcnt(0)
	v_fma_f64 v[2:3], v[154:155], v[160:161], v[2:3]
	scratch_load_b128 v[152:155], off, off offset:480
	s_waitcnt vmcnt(4)
	v_fma_f64 v[2:3], v[144:145], v[162:163], v[2:3]
	ds_load_2addr_b64 v[156:159], v1 offset0:117 offset1:118
	ds_load_2addr_b64 v[160:163], v1 offset0:119 offset1:120
	s_waitcnt lgkmcnt(1)
	v_fma_f64 v[2:3], v[146:147], v[156:157], v[2:3]
	scratch_load_b128 v[144:147], off, off offset:496
	s_waitcnt vmcnt(4)
	v_fma_f64 v[2:3], v[136:137], v[158:159], v[2:3]
	s_waitcnt lgkmcnt(0)
	s_delay_alu instid0(VALU_DEP_1)
	v_fma_f64 v[2:3], v[138:139], v[160:161], v[2:3]
	ds_load_2addr_b64 v[136:139], v1 offset0:121 offset1:122
	ds_load_2addr_b64 v[156:159], v1 offset0:123 offset1:124
	s_waitcnt vmcnt(3)
	v_fma_f64 v[2:3], v[148:149], v[162:163], v[2:3]
	s_waitcnt lgkmcnt(1)
	s_delay_alu instid0(VALU_DEP_1) | instskip(SKIP_1) | instid1(VALU_DEP_1)
	v_fma_f64 v[2:3], v[150:151], v[136:137], v[2:3]
	s_waitcnt vmcnt(2)
	v_fma_f64 v[2:3], v[140:141], v[138:139], v[2:3]
	ds_load_2addr_b64 v[136:139], v1 offset0:125 offset1:126
	ds_load_b64 v[140:141], v1 offset:1016
	s_waitcnt lgkmcnt(2)
	v_fma_f64 v[2:3], v[142:143], v[156:157], v[2:3]
	s_waitcnt vmcnt(1)
	s_delay_alu instid0(VALU_DEP_1) | instskip(SKIP_1) | instid1(VALU_DEP_1)
	v_fma_f64 v[2:3], v[152:153], v[158:159], v[2:3]
	s_waitcnt lgkmcnt(1)
	v_fma_f64 v[2:3], v[154:155], v[136:137], v[2:3]
	s_waitcnt vmcnt(0)
	s_delay_alu instid0(VALU_DEP_1) | instskip(SKIP_1) | instid1(VALU_DEP_1)
	v_fma_f64 v[2:3], v[144:145], v[138:139], v[2:3]
	s_waitcnt lgkmcnt(0)
	v_fma_f64 v[2:3], v[146:147], v[140:141], v[2:3]
	s_delay_alu instid0(VALU_DEP_1)
	v_add_f64 v[2:3], v[134:135], -v[2:3]
	scratch_store_b64 off, v[2:3], off offset:256
	v_cmpx_lt_u32_e32 31, v0
	s_cbranch_execz .LBB127_331
; %bb.330:
	scratch_load_b64 v[3:4], off, off offset:248
	v_mov_b32_e32 v2, v1
	scratch_store_b64 off, v[1:2], off offset:248
	s_waitcnt vmcnt(0)
	ds_store_b64 v5, v[3:4]
.LBB127_331:
	s_or_b32 exec_lo, exec_lo, s0
	s_waitcnt lgkmcnt(0)
	s_waitcnt_vscnt null, 0x0
	s_barrier
	buffer_gl0_inv
	s_clause 0x4
	scratch_load_b128 v[134:137], off, off offset:248
	scratch_load_b128 v[138:141], off, off offset:264
	;; [unrolled: 1-line block ×5, first 2 shown]
	ds_load_b128 v[154:157], v1 offset:768
	ds_load_b128 v[158:161], v1 offset:784
	scratch_load_b128 v[162:165], off, off offset:328
	s_mov_b32 s0, exec_lo
	s_waitcnt vmcnt(5) lgkmcnt(1)
	v_fma_f64 v[2:3], v[136:137], v[154:155], 0
	s_waitcnt vmcnt(4)
	s_delay_alu instid0(VALU_DEP_1) | instskip(SKIP_4) | instid1(VALU_DEP_1)
	v_fma_f64 v[2:3], v[138:139], v[156:157], v[2:3]
	scratch_load_b128 v[136:139], off, off offset:344
	s_waitcnt lgkmcnt(0)
	v_fma_f64 v[2:3], v[140:141], v[158:159], v[2:3]
	s_waitcnt vmcnt(4)
	v_fma_f64 v[2:3], v[142:143], v[160:161], v[2:3]
	ds_load_b128 v[140:143], v1 offset:800
	ds_load_b128 v[154:157], v1 offset:816
	scratch_load_b128 v[158:161], off, off offset:360
	s_waitcnt lgkmcnt(1)
	v_fma_f64 v[2:3], v[144:145], v[140:141], v[2:3]
	s_waitcnt vmcnt(4)
	s_delay_alu instid0(VALU_DEP_1) | instskip(SKIP_4) | instid1(VALU_DEP_1)
	v_fma_f64 v[2:3], v[146:147], v[142:143], v[2:3]
	scratch_load_b128 v[140:143], off, off offset:376
	s_waitcnt lgkmcnt(0)
	v_fma_f64 v[2:3], v[148:149], v[154:155], v[2:3]
	s_waitcnt vmcnt(4)
	v_fma_f64 v[2:3], v[150:151], v[156:157], v[2:3]
	ds_load_b128 v[144:147], v1 offset:832
	ds_load_b128 v[148:151], v1 offset:848
	s_waitcnt lgkmcnt(1)
	v_fma_f64 v[2:3], v[152:153], v[144:145], v[2:3]
	scratch_load_b128 v[152:155], off, off offset:392
	s_waitcnt vmcnt(4)
	v_fma_f64 v[2:3], v[162:163], v[146:147], v[2:3]
	scratch_load_b128 v[144:147], off, off offset:408
	s_waitcnt lgkmcnt(0)
	v_fma_f64 v[2:3], v[164:165], v[148:149], v[2:3]
	s_waitcnt vmcnt(4)
	s_delay_alu instid0(VALU_DEP_1)
	v_fma_f64 v[2:3], v[136:137], v[150:151], v[2:3]
	ds_load_b128 v[148:151], v1 offset:864
	ds_load_b128 v[162:165], v1 offset:880
	s_waitcnt lgkmcnt(1)
	v_fma_f64 v[2:3], v[138:139], v[148:149], v[2:3]
	scratch_load_b128 v[136:139], off, off offset:424
	s_waitcnt vmcnt(4)
	v_fma_f64 v[2:3], v[158:159], v[150:151], v[2:3]
	scratch_load_b128 v[148:151], off, off offset:440
	s_waitcnt lgkmcnt(0)
	v_fma_f64 v[2:3], v[160:161], v[162:163], v[2:3]
	ds_load_b128 v[156:159], v1 offset:896
	ds_load_b128 v[160:163], v1 offset:912
	s_waitcnt vmcnt(4)
	v_fma_f64 v[2:3], v[140:141], v[164:165], v[2:3]
	s_waitcnt lgkmcnt(1)
	s_delay_alu instid0(VALU_DEP_1) | instskip(SKIP_4) | instid1(VALU_DEP_1)
	v_fma_f64 v[2:3], v[142:143], v[156:157], v[2:3]
	scratch_load_b128 v[140:143], off, off offset:456
	s_waitcnt vmcnt(4)
	v_fma_f64 v[2:3], v[152:153], v[158:159], v[2:3]
	s_waitcnt lgkmcnt(0)
	v_fma_f64 v[2:3], v[154:155], v[160:161], v[2:3]
	scratch_load_b128 v[152:155], off, off offset:472
	s_waitcnt vmcnt(4)
	v_fma_f64 v[2:3], v[144:145], v[162:163], v[2:3]
	ds_load_b128 v[156:159], v1 offset:928
	ds_load_b128 v[160:163], v1 offset:944
	s_waitcnt lgkmcnt(1)
	v_fma_f64 v[2:3], v[146:147], v[156:157], v[2:3]
	scratch_load_b128 v[144:147], off, off offset:488
	s_waitcnt vmcnt(4)
	v_fma_f64 v[2:3], v[136:137], v[158:159], v[2:3]
	s_waitcnt lgkmcnt(0)
	s_delay_alu instid0(VALU_DEP_1)
	v_fma_f64 v[2:3], v[138:139], v[160:161], v[2:3]
	scratch_load_b64 v[160:161], off, off offset:504
	ds_load_b128 v[136:139], v1 offset:960
	ds_load_b128 v[156:159], v1 offset:976
	s_waitcnt vmcnt(4)
	v_fma_f64 v[2:3], v[148:149], v[162:163], v[2:3]
	s_waitcnt lgkmcnt(1)
	s_delay_alu instid0(VALU_DEP_1) | instskip(SKIP_1) | instid1(VALU_DEP_1)
	v_fma_f64 v[2:3], v[150:151], v[136:137], v[2:3]
	s_waitcnt vmcnt(3)
	v_fma_f64 v[2:3], v[140:141], v[138:139], v[2:3]
	s_waitcnt lgkmcnt(0)
	s_delay_alu instid0(VALU_DEP_1) | instskip(SKIP_1) | instid1(VALU_DEP_1)
	v_fma_f64 v[2:3], v[142:143], v[156:157], v[2:3]
	s_waitcnt vmcnt(2)
	v_fma_f64 v[140:141], v[152:153], v[158:159], v[2:3]
	ds_load_b128 v[136:139], v1 offset:992
	ds_load_b128 v[1:4], v1 offset:1008
	s_waitcnt lgkmcnt(1)
	v_fma_f64 v[136:137], v[154:155], v[136:137], v[140:141]
	s_waitcnt vmcnt(1)
	s_delay_alu instid0(VALU_DEP_1) | instskip(SKIP_1) | instid1(VALU_DEP_1)
	v_fma_f64 v[136:137], v[144:145], v[138:139], v[136:137]
	s_waitcnt lgkmcnt(0)
	v_fma_f64 v[1:2], v[146:147], v[1:2], v[136:137]
	s_waitcnt vmcnt(0)
	s_delay_alu instid0(VALU_DEP_1) | instskip(NEXT) | instid1(VALU_DEP_1)
	v_fma_f64 v[1:2], v[160:161], v[3:4], v[1:2]
	v_add_f64 v[1:2], v[134:135], -v[1:2]
	scratch_store_b64 off, v[1:2], off offset:248
	v_cmpx_lt_u32_e32 30, v0
	s_cbranch_execz .LBB127_333
; %bb.332:
	scratch_load_b64 v[1:2], off, off offset:240
	v_mov_b32_e32 v3, 0
	s_delay_alu instid0(VALU_DEP_1)
	v_mov_b32_e32 v4, v3
	scratch_store_b64 off, v[3:4], off offset:240
	s_waitcnt vmcnt(0)
	ds_store_b64 v5, v[1:2]
.LBB127_333:
	s_or_b32 exec_lo, exec_lo, s0
	s_waitcnt lgkmcnt(0)
	s_waitcnt_vscnt null, 0x0
	s_barrier
	buffer_gl0_inv
	s_clause 0x4
	scratch_load_b128 v[134:137], off, off offset:240
	scratch_load_b128 v[138:141], off, off offset:256
	;; [unrolled: 1-line block ×5, first 2 shown]
	v_mov_b32_e32 v1, 0
	ds_load_2addr_b64 v[154:157], v1 offset0:95 offset1:96
	ds_load_2addr_b64 v[158:161], v1 offset0:97 offset1:98
	scratch_load_b128 v[162:165], off, off offset:320
	s_mov_b32 s0, exec_lo
	s_waitcnt vmcnt(5) lgkmcnt(1)
	v_fma_f64 v[2:3], v[136:137], v[154:155], 0
	s_waitcnt vmcnt(4)
	s_delay_alu instid0(VALU_DEP_1) | instskip(SKIP_4) | instid1(VALU_DEP_1)
	v_fma_f64 v[2:3], v[138:139], v[156:157], v[2:3]
	scratch_load_b128 v[136:139], off, off offset:336
	s_waitcnt lgkmcnt(0)
	v_fma_f64 v[2:3], v[140:141], v[158:159], v[2:3]
	s_waitcnt vmcnt(4)
	v_fma_f64 v[2:3], v[142:143], v[160:161], v[2:3]
	ds_load_2addr_b64 v[140:143], v1 offset0:99 offset1:100
	ds_load_2addr_b64 v[154:157], v1 offset0:101 offset1:102
	scratch_load_b128 v[158:161], off, off offset:352
	s_waitcnt lgkmcnt(1)
	v_fma_f64 v[2:3], v[144:145], v[140:141], v[2:3]
	s_waitcnt vmcnt(4)
	s_delay_alu instid0(VALU_DEP_1) | instskip(SKIP_4) | instid1(VALU_DEP_1)
	v_fma_f64 v[2:3], v[146:147], v[142:143], v[2:3]
	scratch_load_b128 v[140:143], off, off offset:368
	s_waitcnt lgkmcnt(0)
	v_fma_f64 v[2:3], v[148:149], v[154:155], v[2:3]
	s_waitcnt vmcnt(4)
	v_fma_f64 v[2:3], v[150:151], v[156:157], v[2:3]
	ds_load_2addr_b64 v[144:147], v1 offset0:103 offset1:104
	ds_load_2addr_b64 v[148:151], v1 offset0:105 offset1:106
	s_waitcnt lgkmcnt(1)
	v_fma_f64 v[2:3], v[152:153], v[144:145], v[2:3]
	scratch_load_b128 v[152:155], off, off offset:384
	s_waitcnt vmcnt(4)
	v_fma_f64 v[2:3], v[162:163], v[146:147], v[2:3]
	scratch_load_b128 v[144:147], off, off offset:400
	s_waitcnt lgkmcnt(0)
	v_fma_f64 v[2:3], v[164:165], v[148:149], v[2:3]
	s_waitcnt vmcnt(4)
	s_delay_alu instid0(VALU_DEP_1)
	v_fma_f64 v[2:3], v[136:137], v[150:151], v[2:3]
	ds_load_2addr_b64 v[148:151], v1 offset0:107 offset1:108
	ds_load_2addr_b64 v[162:165], v1 offset0:109 offset1:110
	s_waitcnt lgkmcnt(1)
	v_fma_f64 v[2:3], v[138:139], v[148:149], v[2:3]
	scratch_load_b128 v[136:139], off, off offset:416
	s_waitcnt vmcnt(4)
	v_fma_f64 v[2:3], v[158:159], v[150:151], v[2:3]
	scratch_load_b128 v[148:151], off, off offset:432
	s_waitcnt lgkmcnt(0)
	v_fma_f64 v[2:3], v[160:161], v[162:163], v[2:3]
	ds_load_2addr_b64 v[156:159], v1 offset0:111 offset1:112
	ds_load_2addr_b64 v[160:163], v1 offset0:113 offset1:114
	s_waitcnt vmcnt(4)
	v_fma_f64 v[2:3], v[140:141], v[164:165], v[2:3]
	s_waitcnt lgkmcnt(1)
	s_delay_alu instid0(VALU_DEP_1) | instskip(SKIP_4) | instid1(VALU_DEP_1)
	v_fma_f64 v[2:3], v[142:143], v[156:157], v[2:3]
	scratch_load_b128 v[140:143], off, off offset:448
	s_waitcnt vmcnt(4)
	v_fma_f64 v[2:3], v[152:153], v[158:159], v[2:3]
	s_waitcnt lgkmcnt(0)
	v_fma_f64 v[2:3], v[154:155], v[160:161], v[2:3]
	scratch_load_b128 v[152:155], off, off offset:464
	s_waitcnt vmcnt(4)
	v_fma_f64 v[2:3], v[144:145], v[162:163], v[2:3]
	ds_load_2addr_b64 v[156:159], v1 offset0:115 offset1:116
	ds_load_2addr_b64 v[160:163], v1 offset0:117 offset1:118
	s_waitcnt lgkmcnt(1)
	v_fma_f64 v[2:3], v[146:147], v[156:157], v[2:3]
	scratch_load_b128 v[144:147], off, off offset:480
	s_waitcnt vmcnt(4)
	v_fma_f64 v[2:3], v[136:137], v[158:159], v[2:3]
	s_waitcnt lgkmcnt(0)
	s_delay_alu instid0(VALU_DEP_1)
	v_fma_f64 v[2:3], v[138:139], v[160:161], v[2:3]
	scratch_load_b128 v[136:139], off, off offset:496
	s_waitcnt vmcnt(4)
	v_fma_f64 v[2:3], v[148:149], v[162:163], v[2:3]
	ds_load_2addr_b64 v[156:159], v1 offset0:119 offset1:120
	ds_load_2addr_b64 v[160:163], v1 offset0:121 offset1:122
	s_waitcnt lgkmcnt(1)
	v_fma_f64 v[2:3], v[150:151], v[156:157], v[2:3]
	s_waitcnt vmcnt(3)
	s_delay_alu instid0(VALU_DEP_1) | instskip(SKIP_1) | instid1(VALU_DEP_1)
	v_fma_f64 v[2:3], v[140:141], v[158:159], v[2:3]
	s_waitcnt lgkmcnt(0)
	v_fma_f64 v[2:3], v[142:143], v[160:161], v[2:3]
	ds_load_2addr_b64 v[140:143], v1 offset0:123 offset1:124
	ds_load_2addr_b64 v[148:151], v1 offset0:125 offset1:126
	s_waitcnt vmcnt(2)
	v_fma_f64 v[2:3], v[152:153], v[162:163], v[2:3]
	s_waitcnt lgkmcnt(1)
	s_delay_alu instid0(VALU_DEP_1) | instskip(SKIP_1) | instid1(VALU_DEP_1)
	v_fma_f64 v[2:3], v[154:155], v[140:141], v[2:3]
	s_waitcnt vmcnt(1)
	v_fma_f64 v[2:3], v[144:145], v[142:143], v[2:3]
	s_waitcnt lgkmcnt(0)
	s_delay_alu instid0(VALU_DEP_1) | instskip(SKIP_1) | instid1(VALU_DEP_1)
	v_fma_f64 v[2:3], v[146:147], v[148:149], v[2:3]
	s_waitcnt vmcnt(0)
	v_fma_f64 v[2:3], v[136:137], v[150:151], v[2:3]
	ds_load_b64 v[136:137], v1 offset:1016
	s_waitcnt lgkmcnt(0)
	v_fma_f64 v[2:3], v[138:139], v[136:137], v[2:3]
	s_delay_alu instid0(VALU_DEP_1)
	v_add_f64 v[2:3], v[134:135], -v[2:3]
	scratch_store_b64 off, v[2:3], off offset:240
	v_cmpx_lt_u32_e32 29, v0
	s_cbranch_execz .LBB127_335
; %bb.334:
	scratch_load_b64 v[3:4], off, off offset:232
	v_mov_b32_e32 v2, v1
	scratch_store_b64 off, v[1:2], off offset:232
	s_waitcnt vmcnt(0)
	ds_store_b64 v5, v[3:4]
.LBB127_335:
	s_or_b32 exec_lo, exec_lo, s0
	s_waitcnt lgkmcnt(0)
	s_waitcnt_vscnt null, 0x0
	s_barrier
	buffer_gl0_inv
	s_clause 0x4
	scratch_load_b128 v[134:137], off, off offset:232
	scratch_load_b128 v[138:141], off, off offset:248
	scratch_load_b128 v[142:145], off, off offset:264
	scratch_load_b128 v[146:149], off, off offset:280
	scratch_load_b128 v[150:153], off, off offset:296
	ds_load_b128 v[154:157], v1 offset:752
	ds_load_b128 v[158:161], v1 offset:768
	scratch_load_b128 v[162:165], off, off offset:312
	s_mov_b32 s0, exec_lo
	s_waitcnt vmcnt(5) lgkmcnt(1)
	v_fma_f64 v[2:3], v[136:137], v[154:155], 0
	s_waitcnt vmcnt(4)
	s_delay_alu instid0(VALU_DEP_1) | instskip(SKIP_4) | instid1(VALU_DEP_1)
	v_fma_f64 v[2:3], v[138:139], v[156:157], v[2:3]
	scratch_load_b128 v[136:139], off, off offset:328
	s_waitcnt lgkmcnt(0)
	v_fma_f64 v[2:3], v[140:141], v[158:159], v[2:3]
	s_waitcnt vmcnt(4)
	v_fma_f64 v[2:3], v[142:143], v[160:161], v[2:3]
	ds_load_b128 v[140:143], v1 offset:784
	ds_load_b128 v[154:157], v1 offset:800
	scratch_load_b128 v[158:161], off, off offset:344
	s_waitcnt lgkmcnt(1)
	v_fma_f64 v[2:3], v[144:145], v[140:141], v[2:3]
	s_waitcnt vmcnt(4)
	s_delay_alu instid0(VALU_DEP_1) | instskip(SKIP_4) | instid1(VALU_DEP_1)
	v_fma_f64 v[2:3], v[146:147], v[142:143], v[2:3]
	scratch_load_b128 v[140:143], off, off offset:360
	s_waitcnt lgkmcnt(0)
	v_fma_f64 v[2:3], v[148:149], v[154:155], v[2:3]
	s_waitcnt vmcnt(4)
	v_fma_f64 v[2:3], v[150:151], v[156:157], v[2:3]
	ds_load_b128 v[144:147], v1 offset:816
	ds_load_b128 v[148:151], v1 offset:832
	s_waitcnt lgkmcnt(1)
	v_fma_f64 v[2:3], v[152:153], v[144:145], v[2:3]
	scratch_load_b128 v[152:155], off, off offset:376
	s_waitcnt vmcnt(4)
	v_fma_f64 v[2:3], v[162:163], v[146:147], v[2:3]
	scratch_load_b128 v[144:147], off, off offset:392
	s_waitcnt lgkmcnt(0)
	v_fma_f64 v[2:3], v[164:165], v[148:149], v[2:3]
	s_waitcnt vmcnt(4)
	s_delay_alu instid0(VALU_DEP_1)
	v_fma_f64 v[2:3], v[136:137], v[150:151], v[2:3]
	ds_load_b128 v[148:151], v1 offset:848
	ds_load_b128 v[162:165], v1 offset:864
	s_waitcnt lgkmcnt(1)
	v_fma_f64 v[2:3], v[138:139], v[148:149], v[2:3]
	scratch_load_b128 v[136:139], off, off offset:408
	s_waitcnt vmcnt(4)
	v_fma_f64 v[2:3], v[158:159], v[150:151], v[2:3]
	scratch_load_b128 v[148:151], off, off offset:424
	s_waitcnt lgkmcnt(0)
	v_fma_f64 v[2:3], v[160:161], v[162:163], v[2:3]
	ds_load_b128 v[156:159], v1 offset:880
	ds_load_b128 v[160:163], v1 offset:896
	s_waitcnt vmcnt(4)
	v_fma_f64 v[2:3], v[140:141], v[164:165], v[2:3]
	s_waitcnt lgkmcnt(1)
	s_delay_alu instid0(VALU_DEP_1) | instskip(SKIP_4) | instid1(VALU_DEP_1)
	v_fma_f64 v[2:3], v[142:143], v[156:157], v[2:3]
	scratch_load_b128 v[140:143], off, off offset:440
	s_waitcnt vmcnt(4)
	v_fma_f64 v[2:3], v[152:153], v[158:159], v[2:3]
	s_waitcnt lgkmcnt(0)
	v_fma_f64 v[2:3], v[154:155], v[160:161], v[2:3]
	scratch_load_b128 v[152:155], off, off offset:456
	s_waitcnt vmcnt(4)
	v_fma_f64 v[2:3], v[144:145], v[162:163], v[2:3]
	ds_load_b128 v[156:159], v1 offset:912
	ds_load_b128 v[160:163], v1 offset:928
	s_waitcnt lgkmcnt(1)
	v_fma_f64 v[2:3], v[146:147], v[156:157], v[2:3]
	scratch_load_b128 v[144:147], off, off offset:472
	s_waitcnt vmcnt(4)
	v_fma_f64 v[2:3], v[136:137], v[158:159], v[2:3]
	s_waitcnt lgkmcnt(0)
	s_delay_alu instid0(VALU_DEP_1)
	v_fma_f64 v[2:3], v[138:139], v[160:161], v[2:3]
	scratch_load_b128 v[136:139], off, off offset:488
	s_waitcnt vmcnt(4)
	v_fma_f64 v[2:3], v[148:149], v[162:163], v[2:3]
	ds_load_b128 v[156:159], v1 offset:944
	ds_load_b128 v[160:163], v1 offset:960
	s_waitcnt lgkmcnt(1)
	v_fma_f64 v[2:3], v[150:151], v[156:157], v[2:3]
	scratch_load_b64 v[156:157], off, off offset:504
	s_waitcnt vmcnt(4)
	v_fma_f64 v[2:3], v[140:141], v[158:159], v[2:3]
	s_waitcnt lgkmcnt(0)
	s_delay_alu instid0(VALU_DEP_1)
	v_fma_f64 v[2:3], v[142:143], v[160:161], v[2:3]
	ds_load_b128 v[140:143], v1 offset:976
	ds_load_b128 v[148:151], v1 offset:992
	s_waitcnt vmcnt(3)
	v_fma_f64 v[2:3], v[152:153], v[162:163], v[2:3]
	s_waitcnt lgkmcnt(1)
	s_delay_alu instid0(VALU_DEP_1) | instskip(SKIP_1) | instid1(VALU_DEP_1)
	v_fma_f64 v[2:3], v[154:155], v[140:141], v[2:3]
	s_waitcnt vmcnt(2)
	v_fma_f64 v[2:3], v[144:145], v[142:143], v[2:3]
	s_waitcnt lgkmcnt(0)
	s_delay_alu instid0(VALU_DEP_1) | instskip(SKIP_1) | instid1(VALU_DEP_1)
	v_fma_f64 v[2:3], v[146:147], v[148:149], v[2:3]
	s_waitcnt vmcnt(1)
	v_fma_f64 v[136:137], v[136:137], v[150:151], v[2:3]
	ds_load_b128 v[1:4], v1 offset:1008
	s_waitcnt lgkmcnt(0)
	v_fma_f64 v[1:2], v[138:139], v[1:2], v[136:137]
	s_waitcnt vmcnt(0)
	s_delay_alu instid0(VALU_DEP_1) | instskip(NEXT) | instid1(VALU_DEP_1)
	v_fma_f64 v[1:2], v[156:157], v[3:4], v[1:2]
	v_add_f64 v[1:2], v[134:135], -v[1:2]
	scratch_store_b64 off, v[1:2], off offset:232
	v_cmpx_lt_u32_e32 28, v0
	s_cbranch_execz .LBB127_337
; %bb.336:
	scratch_load_b64 v[1:2], off, off offset:224
	v_mov_b32_e32 v3, 0
	s_delay_alu instid0(VALU_DEP_1)
	v_mov_b32_e32 v4, v3
	scratch_store_b64 off, v[3:4], off offset:224
	s_waitcnt vmcnt(0)
	ds_store_b64 v5, v[1:2]
.LBB127_337:
	s_or_b32 exec_lo, exec_lo, s0
	s_waitcnt lgkmcnt(0)
	s_waitcnt_vscnt null, 0x0
	s_barrier
	buffer_gl0_inv
	s_clause 0x4
	scratch_load_b128 v[134:137], off, off offset:224
	scratch_load_b128 v[138:141], off, off offset:240
	;; [unrolled: 1-line block ×5, first 2 shown]
	v_mov_b32_e32 v1, 0
	ds_load_2addr_b64 v[154:157], v1 offset0:93 offset1:94
	ds_load_2addr_b64 v[158:161], v1 offset0:95 offset1:96
	scratch_load_b128 v[162:165], off, off offset:304
	s_mov_b32 s0, exec_lo
	s_waitcnt vmcnt(5) lgkmcnt(1)
	v_fma_f64 v[2:3], v[136:137], v[154:155], 0
	s_waitcnt vmcnt(4)
	s_delay_alu instid0(VALU_DEP_1) | instskip(SKIP_4) | instid1(VALU_DEP_1)
	v_fma_f64 v[2:3], v[138:139], v[156:157], v[2:3]
	scratch_load_b128 v[136:139], off, off offset:320
	s_waitcnt lgkmcnt(0)
	v_fma_f64 v[2:3], v[140:141], v[158:159], v[2:3]
	s_waitcnt vmcnt(4)
	v_fma_f64 v[2:3], v[142:143], v[160:161], v[2:3]
	ds_load_2addr_b64 v[140:143], v1 offset0:97 offset1:98
	ds_load_2addr_b64 v[154:157], v1 offset0:99 offset1:100
	scratch_load_b128 v[158:161], off, off offset:336
	s_waitcnt lgkmcnt(1)
	v_fma_f64 v[2:3], v[144:145], v[140:141], v[2:3]
	s_waitcnt vmcnt(4)
	s_delay_alu instid0(VALU_DEP_1) | instskip(SKIP_4) | instid1(VALU_DEP_1)
	v_fma_f64 v[2:3], v[146:147], v[142:143], v[2:3]
	scratch_load_b128 v[140:143], off, off offset:352
	s_waitcnt lgkmcnt(0)
	v_fma_f64 v[2:3], v[148:149], v[154:155], v[2:3]
	s_waitcnt vmcnt(4)
	v_fma_f64 v[2:3], v[150:151], v[156:157], v[2:3]
	ds_load_2addr_b64 v[144:147], v1 offset0:101 offset1:102
	ds_load_2addr_b64 v[148:151], v1 offset0:103 offset1:104
	s_waitcnt lgkmcnt(1)
	v_fma_f64 v[2:3], v[152:153], v[144:145], v[2:3]
	scratch_load_b128 v[152:155], off, off offset:368
	s_waitcnt vmcnt(4)
	v_fma_f64 v[2:3], v[162:163], v[146:147], v[2:3]
	scratch_load_b128 v[144:147], off, off offset:384
	s_waitcnt lgkmcnt(0)
	v_fma_f64 v[2:3], v[164:165], v[148:149], v[2:3]
	s_waitcnt vmcnt(4)
	s_delay_alu instid0(VALU_DEP_1)
	v_fma_f64 v[2:3], v[136:137], v[150:151], v[2:3]
	ds_load_2addr_b64 v[148:151], v1 offset0:105 offset1:106
	ds_load_2addr_b64 v[162:165], v1 offset0:107 offset1:108
	s_waitcnt lgkmcnt(1)
	v_fma_f64 v[2:3], v[138:139], v[148:149], v[2:3]
	scratch_load_b128 v[136:139], off, off offset:400
	s_waitcnt vmcnt(4)
	v_fma_f64 v[2:3], v[158:159], v[150:151], v[2:3]
	scratch_load_b128 v[148:151], off, off offset:416
	s_waitcnt lgkmcnt(0)
	v_fma_f64 v[2:3], v[160:161], v[162:163], v[2:3]
	ds_load_2addr_b64 v[156:159], v1 offset0:109 offset1:110
	ds_load_2addr_b64 v[160:163], v1 offset0:111 offset1:112
	s_waitcnt vmcnt(4)
	v_fma_f64 v[2:3], v[140:141], v[164:165], v[2:3]
	s_waitcnt lgkmcnt(1)
	s_delay_alu instid0(VALU_DEP_1) | instskip(SKIP_4) | instid1(VALU_DEP_1)
	v_fma_f64 v[2:3], v[142:143], v[156:157], v[2:3]
	scratch_load_b128 v[140:143], off, off offset:432
	s_waitcnt vmcnt(4)
	v_fma_f64 v[2:3], v[152:153], v[158:159], v[2:3]
	s_waitcnt lgkmcnt(0)
	v_fma_f64 v[2:3], v[154:155], v[160:161], v[2:3]
	scratch_load_b128 v[152:155], off, off offset:448
	s_waitcnt vmcnt(4)
	v_fma_f64 v[2:3], v[144:145], v[162:163], v[2:3]
	ds_load_2addr_b64 v[156:159], v1 offset0:113 offset1:114
	ds_load_2addr_b64 v[160:163], v1 offset0:115 offset1:116
	s_waitcnt lgkmcnt(1)
	v_fma_f64 v[2:3], v[146:147], v[156:157], v[2:3]
	scratch_load_b128 v[144:147], off, off offset:464
	s_waitcnt vmcnt(4)
	v_fma_f64 v[2:3], v[136:137], v[158:159], v[2:3]
	s_waitcnt lgkmcnt(0)
	s_delay_alu instid0(VALU_DEP_1)
	v_fma_f64 v[2:3], v[138:139], v[160:161], v[2:3]
	scratch_load_b128 v[136:139], off, off offset:480
	s_waitcnt vmcnt(4)
	v_fma_f64 v[2:3], v[148:149], v[162:163], v[2:3]
	ds_load_2addr_b64 v[156:159], v1 offset0:117 offset1:118
	ds_load_2addr_b64 v[160:163], v1 offset0:119 offset1:120
	s_waitcnt lgkmcnt(1)
	v_fma_f64 v[2:3], v[150:151], v[156:157], v[2:3]
	scratch_load_b128 v[148:151], off, off offset:496
	s_waitcnt vmcnt(4)
	v_fma_f64 v[2:3], v[140:141], v[158:159], v[2:3]
	s_waitcnt lgkmcnt(0)
	s_delay_alu instid0(VALU_DEP_1)
	v_fma_f64 v[2:3], v[142:143], v[160:161], v[2:3]
	ds_load_2addr_b64 v[140:143], v1 offset0:121 offset1:122
	ds_load_2addr_b64 v[156:159], v1 offset0:123 offset1:124
	s_waitcnt vmcnt(3)
	v_fma_f64 v[2:3], v[152:153], v[162:163], v[2:3]
	s_waitcnt lgkmcnt(1)
	s_delay_alu instid0(VALU_DEP_1) | instskip(SKIP_1) | instid1(VALU_DEP_1)
	v_fma_f64 v[2:3], v[154:155], v[140:141], v[2:3]
	s_waitcnt vmcnt(2)
	v_fma_f64 v[2:3], v[144:145], v[142:143], v[2:3]
	s_waitcnt lgkmcnt(0)
	s_delay_alu instid0(VALU_DEP_1) | instskip(SKIP_1) | instid1(VALU_DEP_1)
	v_fma_f64 v[2:3], v[146:147], v[156:157], v[2:3]
	s_waitcnt vmcnt(1)
	v_fma_f64 v[2:3], v[136:137], v[158:159], v[2:3]
	ds_load_2addr_b64 v[140:143], v1 offset0:125 offset1:126
	ds_load_b64 v[136:137], v1 offset:1016
	s_waitcnt lgkmcnt(1)
	v_fma_f64 v[2:3], v[138:139], v[140:141], v[2:3]
	s_waitcnt vmcnt(0)
	s_delay_alu instid0(VALU_DEP_1) | instskip(SKIP_1) | instid1(VALU_DEP_1)
	v_fma_f64 v[2:3], v[148:149], v[142:143], v[2:3]
	s_waitcnt lgkmcnt(0)
	v_fma_f64 v[2:3], v[150:151], v[136:137], v[2:3]
	s_delay_alu instid0(VALU_DEP_1)
	v_add_f64 v[2:3], v[134:135], -v[2:3]
	scratch_store_b64 off, v[2:3], off offset:224
	v_cmpx_lt_u32_e32 27, v0
	s_cbranch_execz .LBB127_339
; %bb.338:
	scratch_load_b64 v[3:4], off, off offset:216
	v_mov_b32_e32 v2, v1
	scratch_store_b64 off, v[1:2], off offset:216
	s_waitcnt vmcnt(0)
	ds_store_b64 v5, v[3:4]
.LBB127_339:
	s_or_b32 exec_lo, exec_lo, s0
	s_waitcnt lgkmcnt(0)
	s_waitcnt_vscnt null, 0x0
	s_barrier
	buffer_gl0_inv
	s_clause 0x4
	scratch_load_b128 v[134:137], off, off offset:216
	scratch_load_b128 v[138:141], off, off offset:232
	;; [unrolled: 1-line block ×5, first 2 shown]
	ds_load_b128 v[154:157], v1 offset:736
	ds_load_b128 v[158:161], v1 offset:752
	scratch_load_b128 v[162:165], off, off offset:296
	s_mov_b32 s0, exec_lo
	s_waitcnt vmcnt(5) lgkmcnt(1)
	v_fma_f64 v[2:3], v[136:137], v[154:155], 0
	s_waitcnt vmcnt(4)
	s_delay_alu instid0(VALU_DEP_1) | instskip(SKIP_4) | instid1(VALU_DEP_1)
	v_fma_f64 v[2:3], v[138:139], v[156:157], v[2:3]
	scratch_load_b128 v[136:139], off, off offset:312
	s_waitcnt lgkmcnt(0)
	v_fma_f64 v[2:3], v[140:141], v[158:159], v[2:3]
	s_waitcnt vmcnt(4)
	v_fma_f64 v[2:3], v[142:143], v[160:161], v[2:3]
	ds_load_b128 v[140:143], v1 offset:768
	ds_load_b128 v[154:157], v1 offset:784
	scratch_load_b128 v[158:161], off, off offset:328
	s_waitcnt lgkmcnt(1)
	v_fma_f64 v[2:3], v[144:145], v[140:141], v[2:3]
	s_waitcnt vmcnt(4)
	s_delay_alu instid0(VALU_DEP_1) | instskip(SKIP_4) | instid1(VALU_DEP_1)
	v_fma_f64 v[2:3], v[146:147], v[142:143], v[2:3]
	scratch_load_b128 v[140:143], off, off offset:344
	s_waitcnt lgkmcnt(0)
	v_fma_f64 v[2:3], v[148:149], v[154:155], v[2:3]
	s_waitcnt vmcnt(4)
	v_fma_f64 v[2:3], v[150:151], v[156:157], v[2:3]
	ds_load_b128 v[144:147], v1 offset:800
	ds_load_b128 v[148:151], v1 offset:816
	s_waitcnt lgkmcnt(1)
	v_fma_f64 v[2:3], v[152:153], v[144:145], v[2:3]
	scratch_load_b128 v[152:155], off, off offset:360
	s_waitcnt vmcnt(4)
	v_fma_f64 v[2:3], v[162:163], v[146:147], v[2:3]
	scratch_load_b128 v[144:147], off, off offset:376
	s_waitcnt lgkmcnt(0)
	v_fma_f64 v[2:3], v[164:165], v[148:149], v[2:3]
	s_waitcnt vmcnt(4)
	s_delay_alu instid0(VALU_DEP_1)
	v_fma_f64 v[2:3], v[136:137], v[150:151], v[2:3]
	ds_load_b128 v[148:151], v1 offset:832
	ds_load_b128 v[162:165], v1 offset:848
	s_waitcnt lgkmcnt(1)
	v_fma_f64 v[2:3], v[138:139], v[148:149], v[2:3]
	scratch_load_b128 v[136:139], off, off offset:392
	s_waitcnt vmcnt(4)
	v_fma_f64 v[2:3], v[158:159], v[150:151], v[2:3]
	scratch_load_b128 v[148:151], off, off offset:408
	s_waitcnt lgkmcnt(0)
	v_fma_f64 v[2:3], v[160:161], v[162:163], v[2:3]
	ds_load_b128 v[156:159], v1 offset:864
	ds_load_b128 v[160:163], v1 offset:880
	s_waitcnt vmcnt(4)
	v_fma_f64 v[2:3], v[140:141], v[164:165], v[2:3]
	s_waitcnt lgkmcnt(1)
	s_delay_alu instid0(VALU_DEP_1) | instskip(SKIP_4) | instid1(VALU_DEP_1)
	v_fma_f64 v[2:3], v[142:143], v[156:157], v[2:3]
	scratch_load_b128 v[140:143], off, off offset:424
	s_waitcnt vmcnt(4)
	v_fma_f64 v[2:3], v[152:153], v[158:159], v[2:3]
	s_waitcnt lgkmcnt(0)
	v_fma_f64 v[2:3], v[154:155], v[160:161], v[2:3]
	scratch_load_b128 v[152:155], off, off offset:440
	s_waitcnt vmcnt(4)
	v_fma_f64 v[2:3], v[144:145], v[162:163], v[2:3]
	ds_load_b128 v[156:159], v1 offset:896
	ds_load_b128 v[160:163], v1 offset:912
	s_waitcnt lgkmcnt(1)
	v_fma_f64 v[2:3], v[146:147], v[156:157], v[2:3]
	scratch_load_b128 v[144:147], off, off offset:456
	s_waitcnt vmcnt(4)
	v_fma_f64 v[2:3], v[136:137], v[158:159], v[2:3]
	s_waitcnt lgkmcnt(0)
	s_delay_alu instid0(VALU_DEP_1)
	v_fma_f64 v[2:3], v[138:139], v[160:161], v[2:3]
	scratch_load_b128 v[136:139], off, off offset:472
	s_waitcnt vmcnt(4)
	v_fma_f64 v[2:3], v[148:149], v[162:163], v[2:3]
	ds_load_b128 v[156:159], v1 offset:928
	ds_load_b128 v[160:163], v1 offset:944
	s_waitcnt lgkmcnt(1)
	v_fma_f64 v[2:3], v[150:151], v[156:157], v[2:3]
	scratch_load_b128 v[148:151], off, off offset:488
	s_waitcnt vmcnt(4)
	v_fma_f64 v[2:3], v[140:141], v[158:159], v[2:3]
	s_waitcnt lgkmcnt(0)
	s_delay_alu instid0(VALU_DEP_1)
	v_fma_f64 v[2:3], v[142:143], v[160:161], v[2:3]
	scratch_load_b64 v[160:161], off, off offset:504
	ds_load_b128 v[140:143], v1 offset:960
	ds_load_b128 v[156:159], v1 offset:976
	s_waitcnt vmcnt(4)
	v_fma_f64 v[2:3], v[152:153], v[162:163], v[2:3]
	s_waitcnt lgkmcnt(1)
	s_delay_alu instid0(VALU_DEP_1) | instskip(SKIP_1) | instid1(VALU_DEP_1)
	v_fma_f64 v[2:3], v[154:155], v[140:141], v[2:3]
	s_waitcnt vmcnt(3)
	v_fma_f64 v[2:3], v[144:145], v[142:143], v[2:3]
	s_waitcnt lgkmcnt(0)
	s_delay_alu instid0(VALU_DEP_1) | instskip(SKIP_1) | instid1(VALU_DEP_1)
	v_fma_f64 v[2:3], v[146:147], v[156:157], v[2:3]
	s_waitcnt vmcnt(2)
	v_fma_f64 v[136:137], v[136:137], v[158:159], v[2:3]
	ds_load_b128 v[140:143], v1 offset:992
	ds_load_b128 v[1:4], v1 offset:1008
	s_waitcnt lgkmcnt(1)
	v_fma_f64 v[136:137], v[138:139], v[140:141], v[136:137]
	s_waitcnt vmcnt(1)
	s_delay_alu instid0(VALU_DEP_1) | instskip(SKIP_1) | instid1(VALU_DEP_1)
	v_fma_f64 v[136:137], v[148:149], v[142:143], v[136:137]
	s_waitcnt lgkmcnt(0)
	v_fma_f64 v[1:2], v[150:151], v[1:2], v[136:137]
	s_waitcnt vmcnt(0)
	s_delay_alu instid0(VALU_DEP_1) | instskip(NEXT) | instid1(VALU_DEP_1)
	v_fma_f64 v[1:2], v[160:161], v[3:4], v[1:2]
	v_add_f64 v[1:2], v[134:135], -v[1:2]
	scratch_store_b64 off, v[1:2], off offset:216
	v_cmpx_lt_u32_e32 26, v0
	s_cbranch_execz .LBB127_341
; %bb.340:
	scratch_load_b64 v[1:2], off, off offset:208
	v_mov_b32_e32 v3, 0
	s_delay_alu instid0(VALU_DEP_1)
	v_mov_b32_e32 v4, v3
	scratch_store_b64 off, v[3:4], off offset:208
	s_waitcnt vmcnt(0)
	ds_store_b64 v5, v[1:2]
.LBB127_341:
	s_or_b32 exec_lo, exec_lo, s0
	s_waitcnt lgkmcnt(0)
	s_waitcnt_vscnt null, 0x0
	s_barrier
	buffer_gl0_inv
	s_clause 0x4
	scratch_load_b128 v[134:137], off, off offset:208
	scratch_load_b128 v[138:141], off, off offset:224
	;; [unrolled: 1-line block ×5, first 2 shown]
	v_mov_b32_e32 v1, 0
	ds_load_2addr_b64 v[154:157], v1 offset0:91 offset1:92
	ds_load_2addr_b64 v[158:161], v1 offset0:93 offset1:94
	scratch_load_b128 v[162:165], off, off offset:288
	s_mov_b32 s0, exec_lo
	s_waitcnt vmcnt(5) lgkmcnt(1)
	v_fma_f64 v[2:3], v[136:137], v[154:155], 0
	s_waitcnt vmcnt(4)
	s_delay_alu instid0(VALU_DEP_1) | instskip(SKIP_4) | instid1(VALU_DEP_1)
	v_fma_f64 v[2:3], v[138:139], v[156:157], v[2:3]
	scratch_load_b128 v[136:139], off, off offset:304
	s_waitcnt lgkmcnt(0)
	v_fma_f64 v[2:3], v[140:141], v[158:159], v[2:3]
	s_waitcnt vmcnt(4)
	v_fma_f64 v[2:3], v[142:143], v[160:161], v[2:3]
	ds_load_2addr_b64 v[140:143], v1 offset0:95 offset1:96
	ds_load_2addr_b64 v[154:157], v1 offset0:97 offset1:98
	scratch_load_b128 v[158:161], off, off offset:320
	s_waitcnt lgkmcnt(1)
	v_fma_f64 v[2:3], v[144:145], v[140:141], v[2:3]
	s_waitcnt vmcnt(4)
	s_delay_alu instid0(VALU_DEP_1) | instskip(SKIP_4) | instid1(VALU_DEP_1)
	v_fma_f64 v[2:3], v[146:147], v[142:143], v[2:3]
	scratch_load_b128 v[140:143], off, off offset:336
	s_waitcnt lgkmcnt(0)
	v_fma_f64 v[2:3], v[148:149], v[154:155], v[2:3]
	s_waitcnt vmcnt(4)
	v_fma_f64 v[2:3], v[150:151], v[156:157], v[2:3]
	ds_load_2addr_b64 v[144:147], v1 offset0:99 offset1:100
	ds_load_2addr_b64 v[148:151], v1 offset0:101 offset1:102
	s_waitcnt lgkmcnt(1)
	v_fma_f64 v[2:3], v[152:153], v[144:145], v[2:3]
	scratch_load_b128 v[152:155], off, off offset:352
	s_waitcnt vmcnt(4)
	v_fma_f64 v[2:3], v[162:163], v[146:147], v[2:3]
	scratch_load_b128 v[144:147], off, off offset:368
	s_waitcnt lgkmcnt(0)
	v_fma_f64 v[2:3], v[164:165], v[148:149], v[2:3]
	s_waitcnt vmcnt(4)
	s_delay_alu instid0(VALU_DEP_1)
	v_fma_f64 v[2:3], v[136:137], v[150:151], v[2:3]
	ds_load_2addr_b64 v[148:151], v1 offset0:103 offset1:104
	ds_load_2addr_b64 v[162:165], v1 offset0:105 offset1:106
	s_waitcnt lgkmcnt(1)
	v_fma_f64 v[2:3], v[138:139], v[148:149], v[2:3]
	scratch_load_b128 v[136:139], off, off offset:384
	s_waitcnt vmcnt(4)
	v_fma_f64 v[2:3], v[158:159], v[150:151], v[2:3]
	scratch_load_b128 v[148:151], off, off offset:400
	s_waitcnt lgkmcnt(0)
	v_fma_f64 v[2:3], v[160:161], v[162:163], v[2:3]
	ds_load_2addr_b64 v[156:159], v1 offset0:107 offset1:108
	ds_load_2addr_b64 v[160:163], v1 offset0:109 offset1:110
	s_waitcnt vmcnt(4)
	v_fma_f64 v[2:3], v[140:141], v[164:165], v[2:3]
	s_waitcnt lgkmcnt(1)
	s_delay_alu instid0(VALU_DEP_1) | instskip(SKIP_4) | instid1(VALU_DEP_1)
	v_fma_f64 v[2:3], v[142:143], v[156:157], v[2:3]
	scratch_load_b128 v[140:143], off, off offset:416
	s_waitcnt vmcnt(4)
	v_fma_f64 v[2:3], v[152:153], v[158:159], v[2:3]
	s_waitcnt lgkmcnt(0)
	v_fma_f64 v[2:3], v[154:155], v[160:161], v[2:3]
	scratch_load_b128 v[152:155], off, off offset:432
	s_waitcnt vmcnt(4)
	v_fma_f64 v[2:3], v[144:145], v[162:163], v[2:3]
	ds_load_2addr_b64 v[156:159], v1 offset0:111 offset1:112
	ds_load_2addr_b64 v[160:163], v1 offset0:113 offset1:114
	s_waitcnt lgkmcnt(1)
	v_fma_f64 v[2:3], v[146:147], v[156:157], v[2:3]
	scratch_load_b128 v[144:147], off, off offset:448
	s_waitcnt vmcnt(4)
	v_fma_f64 v[2:3], v[136:137], v[158:159], v[2:3]
	s_waitcnt lgkmcnt(0)
	s_delay_alu instid0(VALU_DEP_1)
	v_fma_f64 v[2:3], v[138:139], v[160:161], v[2:3]
	scratch_load_b128 v[136:139], off, off offset:464
	s_waitcnt vmcnt(4)
	v_fma_f64 v[2:3], v[148:149], v[162:163], v[2:3]
	ds_load_2addr_b64 v[156:159], v1 offset0:115 offset1:116
	ds_load_2addr_b64 v[160:163], v1 offset0:117 offset1:118
	s_waitcnt lgkmcnt(1)
	v_fma_f64 v[2:3], v[150:151], v[156:157], v[2:3]
	scratch_load_b128 v[148:151], off, off offset:480
	s_waitcnt vmcnt(4)
	v_fma_f64 v[2:3], v[140:141], v[158:159], v[2:3]
	s_waitcnt lgkmcnt(0)
	s_delay_alu instid0(VALU_DEP_1)
	v_fma_f64 v[2:3], v[142:143], v[160:161], v[2:3]
	scratch_load_b128 v[140:143], off, off offset:496
	s_waitcnt vmcnt(4)
	v_fma_f64 v[2:3], v[152:153], v[162:163], v[2:3]
	ds_load_2addr_b64 v[156:159], v1 offset0:119 offset1:120
	ds_load_2addr_b64 v[160:163], v1 offset0:121 offset1:122
	s_waitcnt lgkmcnt(1)
	v_fma_f64 v[2:3], v[154:155], v[156:157], v[2:3]
	s_waitcnt vmcnt(3)
	s_delay_alu instid0(VALU_DEP_1) | instskip(SKIP_1) | instid1(VALU_DEP_1)
	v_fma_f64 v[2:3], v[144:145], v[158:159], v[2:3]
	s_waitcnt lgkmcnt(0)
	v_fma_f64 v[2:3], v[146:147], v[160:161], v[2:3]
	ds_load_2addr_b64 v[144:147], v1 offset0:123 offset1:124
	ds_load_2addr_b64 v[152:155], v1 offset0:125 offset1:126
	s_waitcnt vmcnt(2)
	v_fma_f64 v[2:3], v[136:137], v[162:163], v[2:3]
	ds_load_b64 v[136:137], v1 offset:1016
	s_waitcnt lgkmcnt(2)
	v_fma_f64 v[2:3], v[138:139], v[144:145], v[2:3]
	s_waitcnt vmcnt(1)
	s_delay_alu instid0(VALU_DEP_1) | instskip(SKIP_1) | instid1(VALU_DEP_1)
	v_fma_f64 v[2:3], v[148:149], v[146:147], v[2:3]
	s_waitcnt lgkmcnt(1)
	v_fma_f64 v[2:3], v[150:151], v[152:153], v[2:3]
	s_waitcnt vmcnt(0)
	s_delay_alu instid0(VALU_DEP_1) | instskip(SKIP_1) | instid1(VALU_DEP_1)
	v_fma_f64 v[2:3], v[140:141], v[154:155], v[2:3]
	s_waitcnt lgkmcnt(0)
	v_fma_f64 v[2:3], v[142:143], v[136:137], v[2:3]
	s_delay_alu instid0(VALU_DEP_1)
	v_add_f64 v[2:3], v[134:135], -v[2:3]
	scratch_store_b64 off, v[2:3], off offset:208
	v_cmpx_lt_u32_e32 25, v0
	s_cbranch_execz .LBB127_343
; %bb.342:
	scratch_load_b64 v[3:4], off, off offset:200
	v_mov_b32_e32 v2, v1
	scratch_store_b64 off, v[1:2], off offset:200
	s_waitcnt vmcnt(0)
	ds_store_b64 v5, v[3:4]
.LBB127_343:
	s_or_b32 exec_lo, exec_lo, s0
	s_waitcnt lgkmcnt(0)
	s_waitcnt_vscnt null, 0x0
	s_barrier
	buffer_gl0_inv
	s_clause 0x4
	scratch_load_b128 v[134:137], off, off offset:200
	scratch_load_b128 v[138:141], off, off offset:216
	;; [unrolled: 1-line block ×5, first 2 shown]
	ds_load_b128 v[154:157], v1 offset:720
	ds_load_b128 v[158:161], v1 offset:736
	scratch_load_b128 v[162:165], off, off offset:280
	s_mov_b32 s0, exec_lo
	s_waitcnt vmcnt(5) lgkmcnt(1)
	v_fma_f64 v[2:3], v[136:137], v[154:155], 0
	s_waitcnt vmcnt(4)
	s_delay_alu instid0(VALU_DEP_1) | instskip(SKIP_4) | instid1(VALU_DEP_1)
	v_fma_f64 v[2:3], v[138:139], v[156:157], v[2:3]
	scratch_load_b128 v[136:139], off, off offset:296
	s_waitcnt lgkmcnt(0)
	v_fma_f64 v[2:3], v[140:141], v[158:159], v[2:3]
	s_waitcnt vmcnt(4)
	v_fma_f64 v[2:3], v[142:143], v[160:161], v[2:3]
	ds_load_b128 v[140:143], v1 offset:752
	ds_load_b128 v[154:157], v1 offset:768
	scratch_load_b128 v[158:161], off, off offset:312
	s_waitcnt lgkmcnt(1)
	v_fma_f64 v[2:3], v[144:145], v[140:141], v[2:3]
	s_waitcnt vmcnt(4)
	s_delay_alu instid0(VALU_DEP_1) | instskip(SKIP_4) | instid1(VALU_DEP_1)
	v_fma_f64 v[2:3], v[146:147], v[142:143], v[2:3]
	scratch_load_b128 v[140:143], off, off offset:328
	s_waitcnt lgkmcnt(0)
	v_fma_f64 v[2:3], v[148:149], v[154:155], v[2:3]
	s_waitcnt vmcnt(4)
	v_fma_f64 v[2:3], v[150:151], v[156:157], v[2:3]
	ds_load_b128 v[144:147], v1 offset:784
	ds_load_b128 v[148:151], v1 offset:800
	s_waitcnt lgkmcnt(1)
	v_fma_f64 v[2:3], v[152:153], v[144:145], v[2:3]
	scratch_load_b128 v[152:155], off, off offset:344
	s_waitcnt vmcnt(4)
	v_fma_f64 v[2:3], v[162:163], v[146:147], v[2:3]
	scratch_load_b128 v[144:147], off, off offset:360
	s_waitcnt lgkmcnt(0)
	v_fma_f64 v[2:3], v[164:165], v[148:149], v[2:3]
	s_waitcnt vmcnt(4)
	s_delay_alu instid0(VALU_DEP_1)
	v_fma_f64 v[2:3], v[136:137], v[150:151], v[2:3]
	ds_load_b128 v[148:151], v1 offset:816
	ds_load_b128 v[162:165], v1 offset:832
	s_waitcnt lgkmcnt(1)
	v_fma_f64 v[2:3], v[138:139], v[148:149], v[2:3]
	scratch_load_b128 v[136:139], off, off offset:376
	s_waitcnt vmcnt(4)
	v_fma_f64 v[2:3], v[158:159], v[150:151], v[2:3]
	scratch_load_b128 v[148:151], off, off offset:392
	s_waitcnt lgkmcnt(0)
	v_fma_f64 v[2:3], v[160:161], v[162:163], v[2:3]
	ds_load_b128 v[156:159], v1 offset:848
	ds_load_b128 v[160:163], v1 offset:864
	s_waitcnt vmcnt(4)
	v_fma_f64 v[2:3], v[140:141], v[164:165], v[2:3]
	s_waitcnt lgkmcnt(1)
	s_delay_alu instid0(VALU_DEP_1) | instskip(SKIP_4) | instid1(VALU_DEP_1)
	v_fma_f64 v[2:3], v[142:143], v[156:157], v[2:3]
	scratch_load_b128 v[140:143], off, off offset:408
	s_waitcnt vmcnt(4)
	v_fma_f64 v[2:3], v[152:153], v[158:159], v[2:3]
	s_waitcnt lgkmcnt(0)
	v_fma_f64 v[2:3], v[154:155], v[160:161], v[2:3]
	scratch_load_b128 v[152:155], off, off offset:424
	s_waitcnt vmcnt(4)
	v_fma_f64 v[2:3], v[144:145], v[162:163], v[2:3]
	ds_load_b128 v[156:159], v1 offset:880
	ds_load_b128 v[160:163], v1 offset:896
	s_waitcnt lgkmcnt(1)
	v_fma_f64 v[2:3], v[146:147], v[156:157], v[2:3]
	scratch_load_b128 v[144:147], off, off offset:440
	s_waitcnt vmcnt(4)
	v_fma_f64 v[2:3], v[136:137], v[158:159], v[2:3]
	s_waitcnt lgkmcnt(0)
	s_delay_alu instid0(VALU_DEP_1)
	v_fma_f64 v[2:3], v[138:139], v[160:161], v[2:3]
	scratch_load_b128 v[136:139], off, off offset:456
	s_waitcnt vmcnt(4)
	v_fma_f64 v[2:3], v[148:149], v[162:163], v[2:3]
	ds_load_b128 v[156:159], v1 offset:912
	ds_load_b128 v[160:163], v1 offset:928
	s_waitcnt lgkmcnt(1)
	v_fma_f64 v[2:3], v[150:151], v[156:157], v[2:3]
	scratch_load_b128 v[148:151], off, off offset:472
	s_waitcnt vmcnt(4)
	v_fma_f64 v[2:3], v[140:141], v[158:159], v[2:3]
	s_waitcnt lgkmcnt(0)
	s_delay_alu instid0(VALU_DEP_1)
	v_fma_f64 v[2:3], v[142:143], v[160:161], v[2:3]
	scratch_load_b128 v[140:143], off, off offset:488
	s_waitcnt vmcnt(4)
	v_fma_f64 v[2:3], v[152:153], v[162:163], v[2:3]
	ds_load_b128 v[156:159], v1 offset:944
	ds_load_b128 v[160:163], v1 offset:960
	s_waitcnt lgkmcnt(1)
	v_fma_f64 v[2:3], v[154:155], v[156:157], v[2:3]
	scratch_load_b64 v[156:157], off, off offset:504
	s_waitcnt vmcnt(4)
	v_fma_f64 v[2:3], v[144:145], v[158:159], v[2:3]
	s_waitcnt lgkmcnt(0)
	s_delay_alu instid0(VALU_DEP_1)
	v_fma_f64 v[2:3], v[146:147], v[160:161], v[2:3]
	ds_load_b128 v[144:147], v1 offset:976
	ds_load_b128 v[152:155], v1 offset:992
	s_waitcnt vmcnt(3)
	v_fma_f64 v[2:3], v[136:137], v[162:163], v[2:3]
	s_waitcnt lgkmcnt(1)
	s_delay_alu instid0(VALU_DEP_1) | instskip(SKIP_1) | instid1(VALU_DEP_1)
	v_fma_f64 v[2:3], v[138:139], v[144:145], v[2:3]
	s_waitcnt vmcnt(2)
	v_fma_f64 v[2:3], v[148:149], v[146:147], v[2:3]
	s_waitcnt lgkmcnt(0)
	s_delay_alu instid0(VALU_DEP_1) | instskip(SKIP_1) | instid1(VALU_DEP_1)
	v_fma_f64 v[2:3], v[150:151], v[152:153], v[2:3]
	s_waitcnt vmcnt(1)
	v_fma_f64 v[136:137], v[140:141], v[154:155], v[2:3]
	ds_load_b128 v[1:4], v1 offset:1008
	s_waitcnt lgkmcnt(0)
	v_fma_f64 v[1:2], v[142:143], v[1:2], v[136:137]
	s_waitcnt vmcnt(0)
	s_delay_alu instid0(VALU_DEP_1) | instskip(NEXT) | instid1(VALU_DEP_1)
	v_fma_f64 v[1:2], v[156:157], v[3:4], v[1:2]
	v_add_f64 v[1:2], v[134:135], -v[1:2]
	scratch_store_b64 off, v[1:2], off offset:200
	v_cmpx_lt_u32_e32 24, v0
	s_cbranch_execz .LBB127_345
; %bb.344:
	scratch_load_b64 v[1:2], off, off offset:192
	v_mov_b32_e32 v3, 0
	s_delay_alu instid0(VALU_DEP_1)
	v_mov_b32_e32 v4, v3
	scratch_store_b64 off, v[3:4], off offset:192
	s_waitcnt vmcnt(0)
	ds_store_b64 v5, v[1:2]
.LBB127_345:
	s_or_b32 exec_lo, exec_lo, s0
	s_waitcnt lgkmcnt(0)
	s_waitcnt_vscnt null, 0x0
	s_barrier
	buffer_gl0_inv
	s_clause 0x4
	scratch_load_b128 v[134:137], off, off offset:192
	scratch_load_b128 v[138:141], off, off offset:208
	;; [unrolled: 1-line block ×5, first 2 shown]
	v_mov_b32_e32 v1, 0
	ds_load_2addr_b64 v[154:157], v1 offset0:89 offset1:90
	ds_load_2addr_b64 v[158:161], v1 offset0:91 offset1:92
	scratch_load_b128 v[162:165], off, off offset:272
	s_mov_b32 s0, exec_lo
	s_waitcnt vmcnt(5) lgkmcnt(1)
	v_fma_f64 v[2:3], v[136:137], v[154:155], 0
	s_waitcnt vmcnt(4)
	s_delay_alu instid0(VALU_DEP_1) | instskip(SKIP_4) | instid1(VALU_DEP_1)
	v_fma_f64 v[2:3], v[138:139], v[156:157], v[2:3]
	scratch_load_b128 v[136:139], off, off offset:288
	s_waitcnt lgkmcnt(0)
	v_fma_f64 v[2:3], v[140:141], v[158:159], v[2:3]
	s_waitcnt vmcnt(4)
	v_fma_f64 v[2:3], v[142:143], v[160:161], v[2:3]
	ds_load_2addr_b64 v[140:143], v1 offset0:93 offset1:94
	ds_load_2addr_b64 v[154:157], v1 offset0:95 offset1:96
	scratch_load_b128 v[158:161], off, off offset:304
	s_waitcnt lgkmcnt(1)
	v_fma_f64 v[2:3], v[144:145], v[140:141], v[2:3]
	s_waitcnt vmcnt(4)
	s_delay_alu instid0(VALU_DEP_1) | instskip(SKIP_4) | instid1(VALU_DEP_1)
	v_fma_f64 v[2:3], v[146:147], v[142:143], v[2:3]
	scratch_load_b128 v[140:143], off, off offset:320
	s_waitcnt lgkmcnt(0)
	v_fma_f64 v[2:3], v[148:149], v[154:155], v[2:3]
	s_waitcnt vmcnt(4)
	v_fma_f64 v[2:3], v[150:151], v[156:157], v[2:3]
	ds_load_2addr_b64 v[144:147], v1 offset0:97 offset1:98
	ds_load_2addr_b64 v[148:151], v1 offset0:99 offset1:100
	s_waitcnt lgkmcnt(1)
	v_fma_f64 v[2:3], v[152:153], v[144:145], v[2:3]
	scratch_load_b128 v[152:155], off, off offset:336
	s_waitcnt vmcnt(4)
	v_fma_f64 v[2:3], v[162:163], v[146:147], v[2:3]
	scratch_load_b128 v[144:147], off, off offset:352
	s_waitcnt lgkmcnt(0)
	v_fma_f64 v[2:3], v[164:165], v[148:149], v[2:3]
	s_waitcnt vmcnt(4)
	s_delay_alu instid0(VALU_DEP_1)
	v_fma_f64 v[2:3], v[136:137], v[150:151], v[2:3]
	ds_load_2addr_b64 v[148:151], v1 offset0:101 offset1:102
	ds_load_2addr_b64 v[162:165], v1 offset0:103 offset1:104
	s_waitcnt lgkmcnt(1)
	v_fma_f64 v[2:3], v[138:139], v[148:149], v[2:3]
	scratch_load_b128 v[136:139], off, off offset:368
	s_waitcnt vmcnt(4)
	v_fma_f64 v[2:3], v[158:159], v[150:151], v[2:3]
	scratch_load_b128 v[148:151], off, off offset:384
	s_waitcnt lgkmcnt(0)
	v_fma_f64 v[2:3], v[160:161], v[162:163], v[2:3]
	ds_load_2addr_b64 v[156:159], v1 offset0:105 offset1:106
	ds_load_2addr_b64 v[160:163], v1 offset0:107 offset1:108
	s_waitcnt vmcnt(4)
	v_fma_f64 v[2:3], v[140:141], v[164:165], v[2:3]
	s_waitcnt lgkmcnt(1)
	s_delay_alu instid0(VALU_DEP_1) | instskip(SKIP_4) | instid1(VALU_DEP_1)
	v_fma_f64 v[2:3], v[142:143], v[156:157], v[2:3]
	scratch_load_b128 v[140:143], off, off offset:400
	s_waitcnt vmcnt(4)
	v_fma_f64 v[2:3], v[152:153], v[158:159], v[2:3]
	s_waitcnt lgkmcnt(0)
	v_fma_f64 v[2:3], v[154:155], v[160:161], v[2:3]
	scratch_load_b128 v[152:155], off, off offset:416
	s_waitcnt vmcnt(4)
	v_fma_f64 v[2:3], v[144:145], v[162:163], v[2:3]
	ds_load_2addr_b64 v[156:159], v1 offset0:109 offset1:110
	ds_load_2addr_b64 v[160:163], v1 offset0:111 offset1:112
	s_waitcnt lgkmcnt(1)
	v_fma_f64 v[2:3], v[146:147], v[156:157], v[2:3]
	scratch_load_b128 v[144:147], off, off offset:432
	s_waitcnt vmcnt(4)
	v_fma_f64 v[2:3], v[136:137], v[158:159], v[2:3]
	s_waitcnt lgkmcnt(0)
	s_delay_alu instid0(VALU_DEP_1)
	v_fma_f64 v[2:3], v[138:139], v[160:161], v[2:3]
	scratch_load_b128 v[136:139], off, off offset:448
	s_waitcnt vmcnt(4)
	v_fma_f64 v[2:3], v[148:149], v[162:163], v[2:3]
	ds_load_2addr_b64 v[156:159], v1 offset0:113 offset1:114
	ds_load_2addr_b64 v[160:163], v1 offset0:115 offset1:116
	s_waitcnt lgkmcnt(1)
	v_fma_f64 v[2:3], v[150:151], v[156:157], v[2:3]
	scratch_load_b128 v[148:151], off, off offset:464
	s_waitcnt vmcnt(4)
	v_fma_f64 v[2:3], v[140:141], v[158:159], v[2:3]
	s_waitcnt lgkmcnt(0)
	s_delay_alu instid0(VALU_DEP_1)
	;; [unrolled: 13-line block ×3, first 2 shown]
	v_fma_f64 v[2:3], v[146:147], v[160:161], v[2:3]
	ds_load_2addr_b64 v[144:147], v1 offset0:121 offset1:122
	ds_load_2addr_b64 v[156:159], v1 offset0:123 offset1:124
	s_waitcnt vmcnt(3)
	v_fma_f64 v[2:3], v[136:137], v[162:163], v[2:3]
	s_waitcnt lgkmcnt(1)
	s_delay_alu instid0(VALU_DEP_1) | instskip(SKIP_1) | instid1(VALU_DEP_1)
	v_fma_f64 v[2:3], v[138:139], v[144:145], v[2:3]
	s_waitcnt vmcnt(2)
	v_fma_f64 v[2:3], v[148:149], v[146:147], v[2:3]
	s_waitcnt lgkmcnt(0)
	s_delay_alu instid0(VALU_DEP_1) | instskip(SKIP_1) | instid1(VALU_DEP_1)
	v_fma_f64 v[2:3], v[150:151], v[156:157], v[2:3]
	s_waitcnt vmcnt(1)
	v_fma_f64 v[2:3], v[140:141], v[158:159], v[2:3]
	ds_load_2addr_b64 v[136:139], v1 offset0:125 offset1:126
	ds_load_b64 v[140:141], v1 offset:1016
	s_waitcnt lgkmcnt(1)
	v_fma_f64 v[2:3], v[142:143], v[136:137], v[2:3]
	s_waitcnt vmcnt(0)
	s_delay_alu instid0(VALU_DEP_1) | instskip(SKIP_1) | instid1(VALU_DEP_1)
	v_fma_f64 v[2:3], v[152:153], v[138:139], v[2:3]
	s_waitcnt lgkmcnt(0)
	v_fma_f64 v[2:3], v[154:155], v[140:141], v[2:3]
	s_delay_alu instid0(VALU_DEP_1)
	v_add_f64 v[2:3], v[134:135], -v[2:3]
	scratch_store_b64 off, v[2:3], off offset:192
	v_cmpx_lt_u32_e32 23, v0
	s_cbranch_execz .LBB127_347
; %bb.346:
	scratch_load_b64 v[3:4], off, off offset:184
	v_mov_b32_e32 v2, v1
	scratch_store_b64 off, v[1:2], off offset:184
	s_waitcnt vmcnt(0)
	ds_store_b64 v5, v[3:4]
.LBB127_347:
	s_or_b32 exec_lo, exec_lo, s0
	s_waitcnt lgkmcnt(0)
	s_waitcnt_vscnt null, 0x0
	s_barrier
	buffer_gl0_inv
	s_clause 0x4
	scratch_load_b128 v[134:137], off, off offset:184
	scratch_load_b128 v[138:141], off, off offset:200
	;; [unrolled: 1-line block ×5, first 2 shown]
	ds_load_b128 v[154:157], v1 offset:704
	ds_load_b128 v[158:161], v1 offset:720
	scratch_load_b128 v[162:165], off, off offset:264
	s_mov_b32 s0, exec_lo
	s_waitcnt vmcnt(5) lgkmcnt(1)
	v_fma_f64 v[2:3], v[136:137], v[154:155], 0
	s_waitcnt vmcnt(4)
	s_delay_alu instid0(VALU_DEP_1) | instskip(SKIP_4) | instid1(VALU_DEP_1)
	v_fma_f64 v[2:3], v[138:139], v[156:157], v[2:3]
	scratch_load_b128 v[136:139], off, off offset:280
	s_waitcnt lgkmcnt(0)
	v_fma_f64 v[2:3], v[140:141], v[158:159], v[2:3]
	s_waitcnt vmcnt(4)
	v_fma_f64 v[2:3], v[142:143], v[160:161], v[2:3]
	ds_load_b128 v[140:143], v1 offset:736
	ds_load_b128 v[154:157], v1 offset:752
	scratch_load_b128 v[158:161], off, off offset:296
	s_waitcnt lgkmcnt(1)
	v_fma_f64 v[2:3], v[144:145], v[140:141], v[2:3]
	s_waitcnt vmcnt(4)
	s_delay_alu instid0(VALU_DEP_1) | instskip(SKIP_4) | instid1(VALU_DEP_1)
	v_fma_f64 v[2:3], v[146:147], v[142:143], v[2:3]
	scratch_load_b128 v[140:143], off, off offset:312
	s_waitcnt lgkmcnt(0)
	v_fma_f64 v[2:3], v[148:149], v[154:155], v[2:3]
	s_waitcnt vmcnt(4)
	v_fma_f64 v[2:3], v[150:151], v[156:157], v[2:3]
	ds_load_b128 v[144:147], v1 offset:768
	ds_load_b128 v[148:151], v1 offset:784
	s_waitcnt lgkmcnt(1)
	v_fma_f64 v[2:3], v[152:153], v[144:145], v[2:3]
	scratch_load_b128 v[152:155], off, off offset:328
	s_waitcnt vmcnt(4)
	v_fma_f64 v[2:3], v[162:163], v[146:147], v[2:3]
	scratch_load_b128 v[144:147], off, off offset:344
	s_waitcnt lgkmcnt(0)
	v_fma_f64 v[2:3], v[164:165], v[148:149], v[2:3]
	s_waitcnt vmcnt(4)
	s_delay_alu instid0(VALU_DEP_1)
	v_fma_f64 v[2:3], v[136:137], v[150:151], v[2:3]
	ds_load_b128 v[148:151], v1 offset:800
	ds_load_b128 v[162:165], v1 offset:816
	s_waitcnt lgkmcnt(1)
	v_fma_f64 v[2:3], v[138:139], v[148:149], v[2:3]
	scratch_load_b128 v[136:139], off, off offset:360
	s_waitcnt vmcnt(4)
	v_fma_f64 v[2:3], v[158:159], v[150:151], v[2:3]
	scratch_load_b128 v[148:151], off, off offset:376
	s_waitcnt lgkmcnt(0)
	v_fma_f64 v[2:3], v[160:161], v[162:163], v[2:3]
	ds_load_b128 v[156:159], v1 offset:832
	ds_load_b128 v[160:163], v1 offset:848
	s_waitcnt vmcnt(4)
	v_fma_f64 v[2:3], v[140:141], v[164:165], v[2:3]
	s_waitcnt lgkmcnt(1)
	s_delay_alu instid0(VALU_DEP_1) | instskip(SKIP_4) | instid1(VALU_DEP_1)
	v_fma_f64 v[2:3], v[142:143], v[156:157], v[2:3]
	scratch_load_b128 v[140:143], off, off offset:392
	s_waitcnt vmcnt(4)
	v_fma_f64 v[2:3], v[152:153], v[158:159], v[2:3]
	s_waitcnt lgkmcnt(0)
	v_fma_f64 v[2:3], v[154:155], v[160:161], v[2:3]
	scratch_load_b128 v[152:155], off, off offset:408
	s_waitcnt vmcnt(4)
	v_fma_f64 v[2:3], v[144:145], v[162:163], v[2:3]
	ds_load_b128 v[156:159], v1 offset:864
	ds_load_b128 v[160:163], v1 offset:880
	s_waitcnt lgkmcnt(1)
	v_fma_f64 v[2:3], v[146:147], v[156:157], v[2:3]
	scratch_load_b128 v[144:147], off, off offset:424
	s_waitcnt vmcnt(4)
	v_fma_f64 v[2:3], v[136:137], v[158:159], v[2:3]
	s_waitcnt lgkmcnt(0)
	s_delay_alu instid0(VALU_DEP_1)
	v_fma_f64 v[2:3], v[138:139], v[160:161], v[2:3]
	scratch_load_b128 v[136:139], off, off offset:440
	s_waitcnt vmcnt(4)
	v_fma_f64 v[2:3], v[148:149], v[162:163], v[2:3]
	ds_load_b128 v[156:159], v1 offset:896
	ds_load_b128 v[160:163], v1 offset:912
	s_waitcnt lgkmcnt(1)
	v_fma_f64 v[2:3], v[150:151], v[156:157], v[2:3]
	scratch_load_b128 v[148:151], off, off offset:456
	s_waitcnt vmcnt(4)
	v_fma_f64 v[2:3], v[140:141], v[158:159], v[2:3]
	s_waitcnt lgkmcnt(0)
	s_delay_alu instid0(VALU_DEP_1)
	;; [unrolled: 13-line block ×3, first 2 shown]
	v_fma_f64 v[2:3], v[146:147], v[160:161], v[2:3]
	scratch_load_b64 v[160:161], off, off offset:504
	ds_load_b128 v[144:147], v1 offset:960
	ds_load_b128 v[156:159], v1 offset:976
	s_waitcnt vmcnt(4)
	v_fma_f64 v[2:3], v[136:137], v[162:163], v[2:3]
	s_waitcnt lgkmcnt(1)
	s_delay_alu instid0(VALU_DEP_1) | instskip(SKIP_1) | instid1(VALU_DEP_1)
	v_fma_f64 v[2:3], v[138:139], v[144:145], v[2:3]
	s_waitcnt vmcnt(3)
	v_fma_f64 v[2:3], v[148:149], v[146:147], v[2:3]
	s_waitcnt lgkmcnt(0)
	s_delay_alu instid0(VALU_DEP_1) | instskip(SKIP_1) | instid1(VALU_DEP_1)
	v_fma_f64 v[2:3], v[150:151], v[156:157], v[2:3]
	s_waitcnt vmcnt(2)
	v_fma_f64 v[140:141], v[140:141], v[158:159], v[2:3]
	ds_load_b128 v[136:139], v1 offset:992
	ds_load_b128 v[1:4], v1 offset:1008
	s_waitcnt lgkmcnt(1)
	v_fma_f64 v[136:137], v[142:143], v[136:137], v[140:141]
	s_waitcnt vmcnt(1)
	s_delay_alu instid0(VALU_DEP_1) | instskip(SKIP_1) | instid1(VALU_DEP_1)
	v_fma_f64 v[136:137], v[152:153], v[138:139], v[136:137]
	s_waitcnt lgkmcnt(0)
	v_fma_f64 v[1:2], v[154:155], v[1:2], v[136:137]
	s_waitcnt vmcnt(0)
	s_delay_alu instid0(VALU_DEP_1) | instskip(NEXT) | instid1(VALU_DEP_1)
	v_fma_f64 v[1:2], v[160:161], v[3:4], v[1:2]
	v_add_f64 v[1:2], v[134:135], -v[1:2]
	scratch_store_b64 off, v[1:2], off offset:184
	v_cmpx_lt_u32_e32 22, v0
	s_cbranch_execz .LBB127_349
; %bb.348:
	scratch_load_b64 v[1:2], off, off offset:176
	v_mov_b32_e32 v3, 0
	s_delay_alu instid0(VALU_DEP_1)
	v_mov_b32_e32 v4, v3
	scratch_store_b64 off, v[3:4], off offset:176
	s_waitcnt vmcnt(0)
	ds_store_b64 v5, v[1:2]
.LBB127_349:
	s_or_b32 exec_lo, exec_lo, s0
	s_waitcnt lgkmcnt(0)
	s_waitcnt_vscnt null, 0x0
	s_barrier
	buffer_gl0_inv
	s_clause 0x4
	scratch_load_b128 v[134:137], off, off offset:176
	scratch_load_b128 v[138:141], off, off offset:192
	;; [unrolled: 1-line block ×5, first 2 shown]
	v_mov_b32_e32 v1, 0
	ds_load_2addr_b64 v[154:157], v1 offset0:87 offset1:88
	ds_load_2addr_b64 v[158:161], v1 offset0:89 offset1:90
	scratch_load_b128 v[162:165], off, off offset:256
	s_mov_b32 s0, exec_lo
	s_waitcnt vmcnt(5) lgkmcnt(1)
	v_fma_f64 v[2:3], v[136:137], v[154:155], 0
	s_waitcnt vmcnt(4)
	s_delay_alu instid0(VALU_DEP_1) | instskip(SKIP_4) | instid1(VALU_DEP_1)
	v_fma_f64 v[2:3], v[138:139], v[156:157], v[2:3]
	scratch_load_b128 v[136:139], off, off offset:272
	s_waitcnt lgkmcnt(0)
	v_fma_f64 v[2:3], v[140:141], v[158:159], v[2:3]
	s_waitcnt vmcnt(4)
	v_fma_f64 v[2:3], v[142:143], v[160:161], v[2:3]
	ds_load_2addr_b64 v[140:143], v1 offset0:91 offset1:92
	ds_load_2addr_b64 v[154:157], v1 offset0:93 offset1:94
	scratch_load_b128 v[158:161], off, off offset:288
	s_waitcnt lgkmcnt(1)
	v_fma_f64 v[2:3], v[144:145], v[140:141], v[2:3]
	s_waitcnt vmcnt(4)
	s_delay_alu instid0(VALU_DEP_1) | instskip(SKIP_4) | instid1(VALU_DEP_1)
	v_fma_f64 v[2:3], v[146:147], v[142:143], v[2:3]
	scratch_load_b128 v[140:143], off, off offset:304
	s_waitcnt lgkmcnt(0)
	v_fma_f64 v[2:3], v[148:149], v[154:155], v[2:3]
	s_waitcnt vmcnt(4)
	v_fma_f64 v[2:3], v[150:151], v[156:157], v[2:3]
	ds_load_2addr_b64 v[144:147], v1 offset0:95 offset1:96
	ds_load_2addr_b64 v[148:151], v1 offset0:97 offset1:98
	s_waitcnt lgkmcnt(1)
	v_fma_f64 v[2:3], v[152:153], v[144:145], v[2:3]
	scratch_load_b128 v[152:155], off, off offset:320
	s_waitcnt vmcnt(4)
	v_fma_f64 v[2:3], v[162:163], v[146:147], v[2:3]
	scratch_load_b128 v[144:147], off, off offset:336
	s_waitcnt lgkmcnt(0)
	v_fma_f64 v[2:3], v[164:165], v[148:149], v[2:3]
	s_waitcnt vmcnt(4)
	s_delay_alu instid0(VALU_DEP_1)
	v_fma_f64 v[2:3], v[136:137], v[150:151], v[2:3]
	ds_load_2addr_b64 v[148:151], v1 offset0:99 offset1:100
	ds_load_2addr_b64 v[162:165], v1 offset0:101 offset1:102
	s_waitcnt lgkmcnt(1)
	v_fma_f64 v[2:3], v[138:139], v[148:149], v[2:3]
	scratch_load_b128 v[136:139], off, off offset:352
	s_waitcnt vmcnt(4)
	v_fma_f64 v[2:3], v[158:159], v[150:151], v[2:3]
	scratch_load_b128 v[148:151], off, off offset:368
	s_waitcnt lgkmcnt(0)
	v_fma_f64 v[2:3], v[160:161], v[162:163], v[2:3]
	ds_load_2addr_b64 v[156:159], v1 offset0:103 offset1:104
	ds_load_2addr_b64 v[160:163], v1 offset0:105 offset1:106
	s_waitcnt vmcnt(4)
	v_fma_f64 v[2:3], v[140:141], v[164:165], v[2:3]
	s_waitcnt lgkmcnt(1)
	s_delay_alu instid0(VALU_DEP_1) | instskip(SKIP_4) | instid1(VALU_DEP_1)
	v_fma_f64 v[2:3], v[142:143], v[156:157], v[2:3]
	scratch_load_b128 v[140:143], off, off offset:384
	s_waitcnt vmcnt(4)
	v_fma_f64 v[2:3], v[152:153], v[158:159], v[2:3]
	s_waitcnt lgkmcnt(0)
	v_fma_f64 v[2:3], v[154:155], v[160:161], v[2:3]
	scratch_load_b128 v[152:155], off, off offset:400
	s_waitcnt vmcnt(4)
	v_fma_f64 v[2:3], v[144:145], v[162:163], v[2:3]
	ds_load_2addr_b64 v[156:159], v1 offset0:107 offset1:108
	ds_load_2addr_b64 v[160:163], v1 offset0:109 offset1:110
	s_waitcnt lgkmcnt(1)
	v_fma_f64 v[2:3], v[146:147], v[156:157], v[2:3]
	scratch_load_b128 v[144:147], off, off offset:416
	s_waitcnt vmcnt(4)
	v_fma_f64 v[2:3], v[136:137], v[158:159], v[2:3]
	s_waitcnt lgkmcnt(0)
	s_delay_alu instid0(VALU_DEP_1)
	v_fma_f64 v[2:3], v[138:139], v[160:161], v[2:3]
	scratch_load_b128 v[136:139], off, off offset:432
	s_waitcnt vmcnt(4)
	v_fma_f64 v[2:3], v[148:149], v[162:163], v[2:3]
	ds_load_2addr_b64 v[156:159], v1 offset0:111 offset1:112
	ds_load_2addr_b64 v[160:163], v1 offset0:113 offset1:114
	s_waitcnt lgkmcnt(1)
	v_fma_f64 v[2:3], v[150:151], v[156:157], v[2:3]
	scratch_load_b128 v[148:151], off, off offset:448
	s_waitcnt vmcnt(4)
	v_fma_f64 v[2:3], v[140:141], v[158:159], v[2:3]
	s_waitcnt lgkmcnt(0)
	s_delay_alu instid0(VALU_DEP_1)
	;; [unrolled: 13-line block ×3, first 2 shown]
	v_fma_f64 v[2:3], v[146:147], v[160:161], v[2:3]
	scratch_load_b128 v[144:147], off, off offset:496
	s_waitcnt vmcnt(4)
	v_fma_f64 v[2:3], v[136:137], v[162:163], v[2:3]
	ds_load_2addr_b64 v[156:159], v1 offset0:119 offset1:120
	ds_load_2addr_b64 v[160:163], v1 offset0:121 offset1:122
	s_waitcnt lgkmcnt(1)
	v_fma_f64 v[2:3], v[138:139], v[156:157], v[2:3]
	s_waitcnt vmcnt(3)
	s_delay_alu instid0(VALU_DEP_1) | instskip(SKIP_1) | instid1(VALU_DEP_1)
	v_fma_f64 v[2:3], v[148:149], v[158:159], v[2:3]
	s_waitcnt lgkmcnt(0)
	v_fma_f64 v[2:3], v[150:151], v[160:161], v[2:3]
	ds_load_2addr_b64 v[136:139], v1 offset0:123 offset1:124
	ds_load_2addr_b64 v[148:151], v1 offset0:125 offset1:126
	s_waitcnt vmcnt(2)
	v_fma_f64 v[2:3], v[140:141], v[162:163], v[2:3]
	s_waitcnt lgkmcnt(1)
	s_delay_alu instid0(VALU_DEP_1) | instskip(SKIP_4) | instid1(VALU_DEP_1)
	v_fma_f64 v[2:3], v[142:143], v[136:137], v[2:3]
	ds_load_b64 v[136:137], v1 offset:1016
	s_waitcnt vmcnt(1)
	v_fma_f64 v[2:3], v[152:153], v[138:139], v[2:3]
	s_waitcnt lgkmcnt(1)
	v_fma_f64 v[2:3], v[154:155], v[148:149], v[2:3]
	s_waitcnt vmcnt(0)
	s_delay_alu instid0(VALU_DEP_1) | instskip(SKIP_1) | instid1(VALU_DEP_1)
	v_fma_f64 v[2:3], v[144:145], v[150:151], v[2:3]
	s_waitcnt lgkmcnt(0)
	v_fma_f64 v[2:3], v[146:147], v[136:137], v[2:3]
	s_delay_alu instid0(VALU_DEP_1)
	v_add_f64 v[2:3], v[134:135], -v[2:3]
	scratch_store_b64 off, v[2:3], off offset:176
	v_cmpx_lt_u32_e32 21, v0
	s_cbranch_execz .LBB127_351
; %bb.350:
	scratch_load_b64 v[3:4], off, off offset:168
	v_mov_b32_e32 v2, v1
	scratch_store_b64 off, v[1:2], off offset:168
	s_waitcnt vmcnt(0)
	ds_store_b64 v5, v[3:4]
.LBB127_351:
	s_or_b32 exec_lo, exec_lo, s0
	s_waitcnt lgkmcnt(0)
	s_waitcnt_vscnt null, 0x0
	s_barrier
	buffer_gl0_inv
	s_clause 0x4
	scratch_load_b128 v[134:137], off, off offset:168
	scratch_load_b128 v[138:141], off, off offset:184
	;; [unrolled: 1-line block ×5, first 2 shown]
	ds_load_b128 v[154:157], v1 offset:688
	ds_load_b128 v[158:161], v1 offset:704
	scratch_load_b128 v[162:165], off, off offset:248
	s_mov_b32 s0, exec_lo
	s_waitcnt vmcnt(5) lgkmcnt(1)
	v_fma_f64 v[2:3], v[136:137], v[154:155], 0
	s_waitcnt vmcnt(4)
	s_delay_alu instid0(VALU_DEP_1) | instskip(SKIP_4) | instid1(VALU_DEP_1)
	v_fma_f64 v[2:3], v[138:139], v[156:157], v[2:3]
	scratch_load_b128 v[136:139], off, off offset:264
	s_waitcnt lgkmcnt(0)
	v_fma_f64 v[2:3], v[140:141], v[158:159], v[2:3]
	s_waitcnt vmcnt(4)
	v_fma_f64 v[2:3], v[142:143], v[160:161], v[2:3]
	ds_load_b128 v[140:143], v1 offset:720
	ds_load_b128 v[154:157], v1 offset:736
	scratch_load_b128 v[158:161], off, off offset:280
	s_waitcnt lgkmcnt(1)
	v_fma_f64 v[2:3], v[144:145], v[140:141], v[2:3]
	s_waitcnt vmcnt(4)
	s_delay_alu instid0(VALU_DEP_1) | instskip(SKIP_4) | instid1(VALU_DEP_1)
	v_fma_f64 v[2:3], v[146:147], v[142:143], v[2:3]
	scratch_load_b128 v[140:143], off, off offset:296
	s_waitcnt lgkmcnt(0)
	v_fma_f64 v[2:3], v[148:149], v[154:155], v[2:3]
	s_waitcnt vmcnt(4)
	v_fma_f64 v[2:3], v[150:151], v[156:157], v[2:3]
	ds_load_b128 v[144:147], v1 offset:752
	ds_load_b128 v[148:151], v1 offset:768
	s_waitcnt lgkmcnt(1)
	v_fma_f64 v[2:3], v[152:153], v[144:145], v[2:3]
	scratch_load_b128 v[152:155], off, off offset:312
	s_waitcnt vmcnt(4)
	v_fma_f64 v[2:3], v[162:163], v[146:147], v[2:3]
	scratch_load_b128 v[144:147], off, off offset:328
	s_waitcnt lgkmcnt(0)
	v_fma_f64 v[2:3], v[164:165], v[148:149], v[2:3]
	s_waitcnt vmcnt(4)
	s_delay_alu instid0(VALU_DEP_1)
	v_fma_f64 v[2:3], v[136:137], v[150:151], v[2:3]
	ds_load_b128 v[148:151], v1 offset:784
	ds_load_b128 v[162:165], v1 offset:800
	s_waitcnt lgkmcnt(1)
	v_fma_f64 v[2:3], v[138:139], v[148:149], v[2:3]
	scratch_load_b128 v[136:139], off, off offset:344
	s_waitcnt vmcnt(4)
	v_fma_f64 v[2:3], v[158:159], v[150:151], v[2:3]
	scratch_load_b128 v[148:151], off, off offset:360
	s_waitcnt lgkmcnt(0)
	v_fma_f64 v[2:3], v[160:161], v[162:163], v[2:3]
	ds_load_b128 v[156:159], v1 offset:816
	ds_load_b128 v[160:163], v1 offset:832
	s_waitcnt vmcnt(4)
	v_fma_f64 v[2:3], v[140:141], v[164:165], v[2:3]
	s_waitcnt lgkmcnt(1)
	s_delay_alu instid0(VALU_DEP_1) | instskip(SKIP_4) | instid1(VALU_DEP_1)
	v_fma_f64 v[2:3], v[142:143], v[156:157], v[2:3]
	scratch_load_b128 v[140:143], off, off offset:376
	s_waitcnt vmcnt(4)
	v_fma_f64 v[2:3], v[152:153], v[158:159], v[2:3]
	s_waitcnt lgkmcnt(0)
	v_fma_f64 v[2:3], v[154:155], v[160:161], v[2:3]
	scratch_load_b128 v[152:155], off, off offset:392
	s_waitcnt vmcnt(4)
	v_fma_f64 v[2:3], v[144:145], v[162:163], v[2:3]
	ds_load_b128 v[156:159], v1 offset:848
	ds_load_b128 v[160:163], v1 offset:864
	s_waitcnt lgkmcnt(1)
	v_fma_f64 v[2:3], v[146:147], v[156:157], v[2:3]
	scratch_load_b128 v[144:147], off, off offset:408
	s_waitcnt vmcnt(4)
	v_fma_f64 v[2:3], v[136:137], v[158:159], v[2:3]
	s_waitcnt lgkmcnt(0)
	s_delay_alu instid0(VALU_DEP_1)
	v_fma_f64 v[2:3], v[138:139], v[160:161], v[2:3]
	scratch_load_b128 v[136:139], off, off offset:424
	s_waitcnt vmcnt(4)
	v_fma_f64 v[2:3], v[148:149], v[162:163], v[2:3]
	ds_load_b128 v[156:159], v1 offset:880
	ds_load_b128 v[160:163], v1 offset:896
	s_waitcnt lgkmcnt(1)
	v_fma_f64 v[2:3], v[150:151], v[156:157], v[2:3]
	scratch_load_b128 v[148:151], off, off offset:440
	s_waitcnt vmcnt(4)
	v_fma_f64 v[2:3], v[140:141], v[158:159], v[2:3]
	s_waitcnt lgkmcnt(0)
	s_delay_alu instid0(VALU_DEP_1)
	;; [unrolled: 13-line block ×3, first 2 shown]
	v_fma_f64 v[2:3], v[146:147], v[160:161], v[2:3]
	scratch_load_b128 v[144:147], off, off offset:488
	s_waitcnt vmcnt(4)
	v_fma_f64 v[2:3], v[136:137], v[162:163], v[2:3]
	ds_load_b128 v[156:159], v1 offset:944
	ds_load_b128 v[160:163], v1 offset:960
	s_waitcnt lgkmcnt(1)
	v_fma_f64 v[2:3], v[138:139], v[156:157], v[2:3]
	scratch_load_b64 v[156:157], off, off offset:504
	s_waitcnt vmcnt(4)
	v_fma_f64 v[2:3], v[148:149], v[158:159], v[2:3]
	s_waitcnt lgkmcnt(0)
	s_delay_alu instid0(VALU_DEP_1)
	v_fma_f64 v[2:3], v[150:151], v[160:161], v[2:3]
	ds_load_b128 v[136:139], v1 offset:976
	ds_load_b128 v[148:151], v1 offset:992
	s_waitcnt vmcnt(3)
	v_fma_f64 v[2:3], v[140:141], v[162:163], v[2:3]
	s_waitcnt lgkmcnt(1)
	s_delay_alu instid0(VALU_DEP_1) | instskip(SKIP_1) | instid1(VALU_DEP_1)
	v_fma_f64 v[2:3], v[142:143], v[136:137], v[2:3]
	s_waitcnt vmcnt(2)
	v_fma_f64 v[2:3], v[152:153], v[138:139], v[2:3]
	s_waitcnt lgkmcnt(0)
	s_delay_alu instid0(VALU_DEP_1) | instskip(SKIP_1) | instid1(VALU_DEP_1)
	v_fma_f64 v[2:3], v[154:155], v[148:149], v[2:3]
	s_waitcnt vmcnt(1)
	v_fma_f64 v[136:137], v[144:145], v[150:151], v[2:3]
	ds_load_b128 v[1:4], v1 offset:1008
	s_waitcnt lgkmcnt(0)
	v_fma_f64 v[1:2], v[146:147], v[1:2], v[136:137]
	s_waitcnt vmcnt(0)
	s_delay_alu instid0(VALU_DEP_1) | instskip(NEXT) | instid1(VALU_DEP_1)
	v_fma_f64 v[1:2], v[156:157], v[3:4], v[1:2]
	v_add_f64 v[1:2], v[134:135], -v[1:2]
	scratch_store_b64 off, v[1:2], off offset:168
	v_cmpx_lt_u32_e32 20, v0
	s_cbranch_execz .LBB127_353
; %bb.352:
	scratch_load_b64 v[1:2], off, off offset:160
	v_mov_b32_e32 v3, 0
	s_delay_alu instid0(VALU_DEP_1)
	v_mov_b32_e32 v4, v3
	scratch_store_b64 off, v[3:4], off offset:160
	s_waitcnt vmcnt(0)
	ds_store_b64 v5, v[1:2]
.LBB127_353:
	s_or_b32 exec_lo, exec_lo, s0
	s_waitcnt lgkmcnt(0)
	s_waitcnt_vscnt null, 0x0
	s_barrier
	buffer_gl0_inv
	s_clause 0x4
	scratch_load_b128 v[134:137], off, off offset:160
	scratch_load_b128 v[138:141], off, off offset:176
	;; [unrolled: 1-line block ×5, first 2 shown]
	v_mov_b32_e32 v1, 0
	ds_load_2addr_b64 v[154:157], v1 offset0:85 offset1:86
	ds_load_2addr_b64 v[158:161], v1 offset0:87 offset1:88
	scratch_load_b128 v[162:165], off, off offset:240
	s_mov_b32 s0, exec_lo
	s_waitcnt vmcnt(5) lgkmcnt(1)
	v_fma_f64 v[2:3], v[136:137], v[154:155], 0
	s_waitcnt vmcnt(4)
	s_delay_alu instid0(VALU_DEP_1) | instskip(SKIP_4) | instid1(VALU_DEP_1)
	v_fma_f64 v[2:3], v[138:139], v[156:157], v[2:3]
	scratch_load_b128 v[136:139], off, off offset:256
	s_waitcnt lgkmcnt(0)
	v_fma_f64 v[2:3], v[140:141], v[158:159], v[2:3]
	s_waitcnt vmcnt(4)
	v_fma_f64 v[2:3], v[142:143], v[160:161], v[2:3]
	ds_load_2addr_b64 v[140:143], v1 offset0:89 offset1:90
	ds_load_2addr_b64 v[154:157], v1 offset0:91 offset1:92
	scratch_load_b128 v[158:161], off, off offset:272
	s_waitcnt lgkmcnt(1)
	v_fma_f64 v[2:3], v[144:145], v[140:141], v[2:3]
	s_waitcnt vmcnt(4)
	s_delay_alu instid0(VALU_DEP_1) | instskip(SKIP_4) | instid1(VALU_DEP_1)
	v_fma_f64 v[2:3], v[146:147], v[142:143], v[2:3]
	scratch_load_b128 v[140:143], off, off offset:288
	s_waitcnt lgkmcnt(0)
	v_fma_f64 v[2:3], v[148:149], v[154:155], v[2:3]
	s_waitcnt vmcnt(4)
	v_fma_f64 v[2:3], v[150:151], v[156:157], v[2:3]
	ds_load_2addr_b64 v[144:147], v1 offset0:93 offset1:94
	ds_load_2addr_b64 v[148:151], v1 offset0:95 offset1:96
	s_waitcnt lgkmcnt(1)
	v_fma_f64 v[2:3], v[152:153], v[144:145], v[2:3]
	scratch_load_b128 v[152:155], off, off offset:304
	s_waitcnt vmcnt(4)
	v_fma_f64 v[2:3], v[162:163], v[146:147], v[2:3]
	scratch_load_b128 v[144:147], off, off offset:320
	s_waitcnt lgkmcnt(0)
	v_fma_f64 v[2:3], v[164:165], v[148:149], v[2:3]
	s_waitcnt vmcnt(4)
	s_delay_alu instid0(VALU_DEP_1)
	v_fma_f64 v[2:3], v[136:137], v[150:151], v[2:3]
	ds_load_2addr_b64 v[148:151], v1 offset0:97 offset1:98
	ds_load_2addr_b64 v[162:165], v1 offset0:99 offset1:100
	s_waitcnt lgkmcnt(1)
	v_fma_f64 v[2:3], v[138:139], v[148:149], v[2:3]
	scratch_load_b128 v[136:139], off, off offset:336
	s_waitcnt vmcnt(4)
	v_fma_f64 v[2:3], v[158:159], v[150:151], v[2:3]
	scratch_load_b128 v[148:151], off, off offset:352
	s_waitcnt lgkmcnt(0)
	v_fma_f64 v[2:3], v[160:161], v[162:163], v[2:3]
	ds_load_2addr_b64 v[156:159], v1 offset0:101 offset1:102
	ds_load_2addr_b64 v[160:163], v1 offset0:103 offset1:104
	s_waitcnt vmcnt(4)
	v_fma_f64 v[2:3], v[140:141], v[164:165], v[2:3]
	s_waitcnt lgkmcnt(1)
	s_delay_alu instid0(VALU_DEP_1) | instskip(SKIP_4) | instid1(VALU_DEP_1)
	v_fma_f64 v[2:3], v[142:143], v[156:157], v[2:3]
	scratch_load_b128 v[140:143], off, off offset:368
	s_waitcnt vmcnt(4)
	v_fma_f64 v[2:3], v[152:153], v[158:159], v[2:3]
	s_waitcnt lgkmcnt(0)
	v_fma_f64 v[2:3], v[154:155], v[160:161], v[2:3]
	scratch_load_b128 v[152:155], off, off offset:384
	s_waitcnt vmcnt(4)
	v_fma_f64 v[2:3], v[144:145], v[162:163], v[2:3]
	ds_load_2addr_b64 v[156:159], v1 offset0:105 offset1:106
	ds_load_2addr_b64 v[160:163], v1 offset0:107 offset1:108
	s_waitcnt lgkmcnt(1)
	v_fma_f64 v[2:3], v[146:147], v[156:157], v[2:3]
	scratch_load_b128 v[144:147], off, off offset:400
	s_waitcnt vmcnt(4)
	v_fma_f64 v[2:3], v[136:137], v[158:159], v[2:3]
	s_waitcnt lgkmcnt(0)
	s_delay_alu instid0(VALU_DEP_1)
	v_fma_f64 v[2:3], v[138:139], v[160:161], v[2:3]
	scratch_load_b128 v[136:139], off, off offset:416
	s_waitcnt vmcnt(4)
	v_fma_f64 v[2:3], v[148:149], v[162:163], v[2:3]
	ds_load_2addr_b64 v[156:159], v1 offset0:109 offset1:110
	ds_load_2addr_b64 v[160:163], v1 offset0:111 offset1:112
	s_waitcnt lgkmcnt(1)
	v_fma_f64 v[2:3], v[150:151], v[156:157], v[2:3]
	scratch_load_b128 v[148:151], off, off offset:432
	s_waitcnt vmcnt(4)
	v_fma_f64 v[2:3], v[140:141], v[158:159], v[2:3]
	s_waitcnt lgkmcnt(0)
	s_delay_alu instid0(VALU_DEP_1)
	;; [unrolled: 13-line block ×4, first 2 shown]
	v_fma_f64 v[2:3], v[150:151], v[160:161], v[2:3]
	ds_load_2addr_b64 v[148:151], v1 offset0:121 offset1:122
	ds_load_2addr_b64 v[156:159], v1 offset0:123 offset1:124
	s_waitcnt vmcnt(3)
	v_fma_f64 v[2:3], v[140:141], v[162:163], v[2:3]
	s_waitcnt lgkmcnt(1)
	s_delay_alu instid0(VALU_DEP_1) | instskip(SKIP_1) | instid1(VALU_DEP_1)
	v_fma_f64 v[2:3], v[142:143], v[148:149], v[2:3]
	s_waitcnt vmcnt(2)
	v_fma_f64 v[2:3], v[152:153], v[150:151], v[2:3]
	s_waitcnt lgkmcnt(0)
	s_delay_alu instid0(VALU_DEP_1) | instskip(SKIP_1) | instid1(VALU_DEP_1)
	v_fma_f64 v[2:3], v[154:155], v[156:157], v[2:3]
	s_waitcnt vmcnt(1)
	v_fma_f64 v[2:3], v[144:145], v[158:159], v[2:3]
	ds_load_2addr_b64 v[140:143], v1 offset0:125 offset1:126
	ds_load_b64 v[144:145], v1 offset:1016
	s_waitcnt lgkmcnt(1)
	v_fma_f64 v[2:3], v[146:147], v[140:141], v[2:3]
	s_waitcnt vmcnt(0)
	s_delay_alu instid0(VALU_DEP_1) | instskip(SKIP_1) | instid1(VALU_DEP_1)
	v_fma_f64 v[2:3], v[136:137], v[142:143], v[2:3]
	s_waitcnt lgkmcnt(0)
	v_fma_f64 v[2:3], v[138:139], v[144:145], v[2:3]
	s_delay_alu instid0(VALU_DEP_1)
	v_add_f64 v[2:3], v[134:135], -v[2:3]
	scratch_store_b64 off, v[2:3], off offset:160
	v_cmpx_lt_u32_e32 19, v0
	s_cbranch_execz .LBB127_355
; %bb.354:
	scratch_load_b64 v[3:4], off, off offset:152
	v_mov_b32_e32 v2, v1
	scratch_store_b64 off, v[1:2], off offset:152
	s_waitcnt vmcnt(0)
	ds_store_b64 v5, v[3:4]
.LBB127_355:
	s_or_b32 exec_lo, exec_lo, s0
	s_waitcnt lgkmcnt(0)
	s_waitcnt_vscnt null, 0x0
	s_barrier
	buffer_gl0_inv
	s_clause 0x4
	scratch_load_b128 v[134:137], off, off offset:152
	scratch_load_b128 v[138:141], off, off offset:168
	;; [unrolled: 1-line block ×5, first 2 shown]
	ds_load_b128 v[154:157], v1 offset:672
	ds_load_b128 v[158:161], v1 offset:688
	scratch_load_b128 v[162:165], off, off offset:232
	s_mov_b32 s0, exec_lo
	s_waitcnt vmcnt(5) lgkmcnt(1)
	v_fma_f64 v[2:3], v[136:137], v[154:155], 0
	s_waitcnt vmcnt(4)
	s_delay_alu instid0(VALU_DEP_1) | instskip(SKIP_4) | instid1(VALU_DEP_1)
	v_fma_f64 v[2:3], v[138:139], v[156:157], v[2:3]
	scratch_load_b128 v[136:139], off, off offset:248
	s_waitcnt lgkmcnt(0)
	v_fma_f64 v[2:3], v[140:141], v[158:159], v[2:3]
	s_waitcnt vmcnt(4)
	v_fma_f64 v[2:3], v[142:143], v[160:161], v[2:3]
	ds_load_b128 v[140:143], v1 offset:704
	ds_load_b128 v[154:157], v1 offset:720
	scratch_load_b128 v[158:161], off, off offset:264
	s_waitcnt lgkmcnt(1)
	v_fma_f64 v[2:3], v[144:145], v[140:141], v[2:3]
	s_waitcnt vmcnt(4)
	s_delay_alu instid0(VALU_DEP_1) | instskip(SKIP_4) | instid1(VALU_DEP_1)
	v_fma_f64 v[2:3], v[146:147], v[142:143], v[2:3]
	scratch_load_b128 v[140:143], off, off offset:280
	s_waitcnt lgkmcnt(0)
	v_fma_f64 v[2:3], v[148:149], v[154:155], v[2:3]
	s_waitcnt vmcnt(4)
	v_fma_f64 v[2:3], v[150:151], v[156:157], v[2:3]
	ds_load_b128 v[144:147], v1 offset:736
	ds_load_b128 v[148:151], v1 offset:752
	s_waitcnt lgkmcnt(1)
	v_fma_f64 v[2:3], v[152:153], v[144:145], v[2:3]
	scratch_load_b128 v[152:155], off, off offset:296
	s_waitcnt vmcnt(4)
	v_fma_f64 v[2:3], v[162:163], v[146:147], v[2:3]
	scratch_load_b128 v[144:147], off, off offset:312
	s_waitcnt lgkmcnt(0)
	v_fma_f64 v[2:3], v[164:165], v[148:149], v[2:3]
	s_waitcnt vmcnt(4)
	s_delay_alu instid0(VALU_DEP_1)
	v_fma_f64 v[2:3], v[136:137], v[150:151], v[2:3]
	ds_load_b128 v[148:151], v1 offset:768
	ds_load_b128 v[162:165], v1 offset:784
	s_waitcnt lgkmcnt(1)
	v_fma_f64 v[2:3], v[138:139], v[148:149], v[2:3]
	scratch_load_b128 v[136:139], off, off offset:328
	s_waitcnt vmcnt(4)
	v_fma_f64 v[2:3], v[158:159], v[150:151], v[2:3]
	scratch_load_b128 v[148:151], off, off offset:344
	s_waitcnt lgkmcnt(0)
	v_fma_f64 v[2:3], v[160:161], v[162:163], v[2:3]
	ds_load_b128 v[156:159], v1 offset:800
	ds_load_b128 v[160:163], v1 offset:816
	s_waitcnt vmcnt(4)
	v_fma_f64 v[2:3], v[140:141], v[164:165], v[2:3]
	s_waitcnt lgkmcnt(1)
	s_delay_alu instid0(VALU_DEP_1) | instskip(SKIP_4) | instid1(VALU_DEP_1)
	v_fma_f64 v[2:3], v[142:143], v[156:157], v[2:3]
	scratch_load_b128 v[140:143], off, off offset:360
	s_waitcnt vmcnt(4)
	v_fma_f64 v[2:3], v[152:153], v[158:159], v[2:3]
	s_waitcnt lgkmcnt(0)
	v_fma_f64 v[2:3], v[154:155], v[160:161], v[2:3]
	scratch_load_b128 v[152:155], off, off offset:376
	s_waitcnt vmcnt(4)
	v_fma_f64 v[2:3], v[144:145], v[162:163], v[2:3]
	ds_load_b128 v[156:159], v1 offset:832
	ds_load_b128 v[160:163], v1 offset:848
	s_waitcnt lgkmcnt(1)
	v_fma_f64 v[2:3], v[146:147], v[156:157], v[2:3]
	scratch_load_b128 v[144:147], off, off offset:392
	s_waitcnt vmcnt(4)
	v_fma_f64 v[2:3], v[136:137], v[158:159], v[2:3]
	s_waitcnt lgkmcnt(0)
	s_delay_alu instid0(VALU_DEP_1)
	v_fma_f64 v[2:3], v[138:139], v[160:161], v[2:3]
	scratch_load_b128 v[136:139], off, off offset:408
	s_waitcnt vmcnt(4)
	v_fma_f64 v[2:3], v[148:149], v[162:163], v[2:3]
	ds_load_b128 v[156:159], v1 offset:864
	ds_load_b128 v[160:163], v1 offset:880
	s_waitcnt lgkmcnt(1)
	v_fma_f64 v[2:3], v[150:151], v[156:157], v[2:3]
	scratch_load_b128 v[148:151], off, off offset:424
	s_waitcnt vmcnt(4)
	v_fma_f64 v[2:3], v[140:141], v[158:159], v[2:3]
	s_waitcnt lgkmcnt(0)
	s_delay_alu instid0(VALU_DEP_1)
	;; [unrolled: 13-line block ×4, first 2 shown]
	v_fma_f64 v[2:3], v[150:151], v[160:161], v[2:3]
	scratch_load_b64 v[160:161], off, off offset:504
	ds_load_b128 v[148:151], v1 offset:960
	ds_load_b128 v[156:159], v1 offset:976
	s_waitcnt vmcnt(4)
	v_fma_f64 v[2:3], v[140:141], v[162:163], v[2:3]
	s_waitcnt lgkmcnt(1)
	s_delay_alu instid0(VALU_DEP_1) | instskip(SKIP_1) | instid1(VALU_DEP_1)
	v_fma_f64 v[2:3], v[142:143], v[148:149], v[2:3]
	s_waitcnt vmcnt(3)
	v_fma_f64 v[2:3], v[152:153], v[150:151], v[2:3]
	s_waitcnt lgkmcnt(0)
	s_delay_alu instid0(VALU_DEP_1) | instskip(SKIP_1) | instid1(VALU_DEP_1)
	v_fma_f64 v[2:3], v[154:155], v[156:157], v[2:3]
	s_waitcnt vmcnt(2)
	v_fma_f64 v[144:145], v[144:145], v[158:159], v[2:3]
	ds_load_b128 v[140:143], v1 offset:992
	ds_load_b128 v[1:4], v1 offset:1008
	s_waitcnt lgkmcnt(1)
	v_fma_f64 v[140:141], v[146:147], v[140:141], v[144:145]
	s_waitcnt vmcnt(1)
	s_delay_alu instid0(VALU_DEP_1) | instskip(SKIP_1) | instid1(VALU_DEP_1)
	v_fma_f64 v[136:137], v[136:137], v[142:143], v[140:141]
	s_waitcnt lgkmcnt(0)
	v_fma_f64 v[1:2], v[138:139], v[1:2], v[136:137]
	s_waitcnt vmcnt(0)
	s_delay_alu instid0(VALU_DEP_1) | instskip(NEXT) | instid1(VALU_DEP_1)
	v_fma_f64 v[1:2], v[160:161], v[3:4], v[1:2]
	v_add_f64 v[1:2], v[134:135], -v[1:2]
	scratch_store_b64 off, v[1:2], off offset:152
	v_cmpx_lt_u32_e32 18, v0
	s_cbranch_execz .LBB127_357
; %bb.356:
	scratch_load_b64 v[1:2], off, off offset:144
	v_mov_b32_e32 v3, 0
	s_delay_alu instid0(VALU_DEP_1)
	v_mov_b32_e32 v4, v3
	scratch_store_b64 off, v[3:4], off offset:144
	s_waitcnt vmcnt(0)
	ds_store_b64 v5, v[1:2]
.LBB127_357:
	s_or_b32 exec_lo, exec_lo, s0
	s_waitcnt lgkmcnt(0)
	s_waitcnt_vscnt null, 0x0
	s_barrier
	buffer_gl0_inv
	s_clause 0x4
	scratch_load_b128 v[1:4], off, off offset:144
	scratch_load_b128 v[135:138], off, off offset:160
	;; [unrolled: 1-line block ×5, first 2 shown]
	v_mov_b32_e32 v134, 0
	ds_load_2addr_b64 v[151:154], v134 offset0:83 offset1:84
	ds_load_2addr_b64 v[155:158], v134 offset0:85 offset1:86
	scratch_load_b128 v[159:162], off, off offset:224
	s_mov_b32 s0, exec_lo
	s_waitcnt vmcnt(5) lgkmcnt(1)
	v_fma_f64 v[3:4], v[3:4], v[151:152], 0
	s_waitcnt vmcnt(4)
	s_delay_alu instid0(VALU_DEP_1) | instskip(SKIP_1) | instid1(VALU_DEP_1)
	v_fma_f64 v[3:4], v[135:136], v[153:154], v[3:4]
	s_waitcnt lgkmcnt(0)
	v_fma_f64 v[3:4], v[137:138], v[155:156], v[3:4]
	scratch_load_b128 v[135:138], off, off offset:240
	s_waitcnt vmcnt(4)
	v_fma_f64 v[3:4], v[139:140], v[157:158], v[3:4]
	ds_load_2addr_b64 v[151:154], v134 offset0:87 offset1:88
	ds_load_2addr_b64 v[155:158], v134 offset0:89 offset1:90
	s_waitcnt lgkmcnt(1)
	v_fma_f64 v[3:4], v[141:142], v[151:152], v[3:4]
	scratch_load_b128 v[139:142], off, off offset:256
	s_waitcnt vmcnt(4)
	v_fma_f64 v[3:4], v[143:144], v[153:154], v[3:4]
	s_waitcnt lgkmcnt(0)
	s_delay_alu instid0(VALU_DEP_1)
	v_fma_f64 v[3:4], v[145:146], v[155:156], v[3:4]
	scratch_load_b128 v[143:146], off, off offset:272
	s_waitcnt vmcnt(4)
	v_fma_f64 v[3:4], v[147:148], v[157:158], v[3:4]
	ds_load_2addr_b64 v[151:154], v134 offset0:91 offset1:92
	ds_load_2addr_b64 v[155:158], v134 offset0:93 offset1:94
	s_waitcnt lgkmcnt(1)
	v_fma_f64 v[3:4], v[149:150], v[151:152], v[3:4]
	scratch_load_b128 v[147:150], off, off offset:288
	s_waitcnt vmcnt(4)
	v_fma_f64 v[3:4], v[159:160], v[153:154], v[3:4]
	scratch_load_b128 v[151:154], off, off offset:304
	s_waitcnt lgkmcnt(0)
	v_fma_f64 v[3:4], v[161:162], v[155:156], v[3:4]
	s_waitcnt vmcnt(4)
	s_delay_alu instid0(VALU_DEP_1)
	v_fma_f64 v[3:4], v[135:136], v[157:158], v[3:4]
	ds_load_2addr_b64 v[155:158], v134 offset0:95 offset1:96
	ds_load_2addr_b64 v[159:162], v134 offset0:97 offset1:98
	s_waitcnt lgkmcnt(1)
	v_fma_f64 v[3:4], v[137:138], v[155:156], v[3:4]
	scratch_load_b128 v[135:138], off, off offset:320
	s_waitcnt vmcnt(4)
	v_fma_f64 v[3:4], v[139:140], v[157:158], v[3:4]
	s_waitcnt lgkmcnt(0)
	s_delay_alu instid0(VALU_DEP_1)
	v_fma_f64 v[3:4], v[141:142], v[159:160], v[3:4]
	scratch_load_b128 v[139:142], off, off offset:336
	s_waitcnt vmcnt(4)
	v_fma_f64 v[3:4], v[143:144], v[161:162], v[3:4]
	ds_load_2addr_b64 v[155:158], v134 offset0:99 offset1:100
	ds_load_2addr_b64 v[159:162], v134 offset0:101 offset1:102
	s_waitcnt lgkmcnt(1)
	v_fma_f64 v[3:4], v[145:146], v[155:156], v[3:4]
	scratch_load_b128 v[143:146], off, off offset:352
	s_waitcnt vmcnt(4)
	v_fma_f64 v[3:4], v[147:148], v[157:158], v[3:4]
	s_waitcnt lgkmcnt(0)
	s_delay_alu instid0(VALU_DEP_1)
	v_fma_f64 v[3:4], v[149:150], v[159:160], v[3:4]
	scratch_load_b128 v[147:150], off, off offset:368
	s_waitcnt vmcnt(4)
	;; [unrolled: 13-line block ×6, first 2 shown]
	v_fma_f64 v[3:4], v[143:144], v[161:162], v[3:4]
	ds_load_2addr_b64 v[155:158], v134 offset0:119 offset1:120
	ds_load_2addr_b64 v[159:162], v134 offset0:121 offset1:122
	s_waitcnt lgkmcnt(1)
	v_fma_f64 v[3:4], v[145:146], v[155:156], v[3:4]
	s_waitcnt vmcnt(3)
	s_delay_alu instid0(VALU_DEP_1) | instskip(SKIP_1) | instid1(VALU_DEP_1)
	v_fma_f64 v[3:4], v[147:148], v[157:158], v[3:4]
	s_waitcnt lgkmcnt(0)
	v_fma_f64 v[3:4], v[149:150], v[159:160], v[3:4]
	ds_load_2addr_b64 v[143:146], v134 offset0:123 offset1:124
	ds_load_2addr_b64 v[147:150], v134 offset0:125 offset1:126
	s_waitcnt vmcnt(2)
	v_fma_f64 v[3:4], v[151:152], v[161:162], v[3:4]
	s_waitcnt lgkmcnt(1)
	s_delay_alu instid0(VALU_DEP_1) | instskip(SKIP_1) | instid1(VALU_DEP_1)
	v_fma_f64 v[3:4], v[153:154], v[143:144], v[3:4]
	s_waitcnt vmcnt(1)
	v_fma_f64 v[3:4], v[135:136], v[145:146], v[3:4]
	ds_load_b64 v[135:136], v134 offset:1016
	s_waitcnt lgkmcnt(1)
	v_fma_f64 v[3:4], v[137:138], v[147:148], v[3:4]
	s_waitcnt vmcnt(0)
	s_delay_alu instid0(VALU_DEP_1) | instskip(SKIP_1) | instid1(VALU_DEP_1)
	v_fma_f64 v[3:4], v[139:140], v[149:150], v[3:4]
	s_waitcnt lgkmcnt(0)
	v_fma_f64 v[3:4], v[141:142], v[135:136], v[3:4]
	s_delay_alu instid0(VALU_DEP_1)
	v_add_f64 v[1:2], v[1:2], -v[3:4]
	scratch_store_b64 off, v[1:2], off offset:144
	v_cmpx_lt_u32_e32 17, v0
	s_cbranch_execz .LBB127_359
; %bb.358:
	scratch_load_b64 v[1:2], off, off offset:136
	v_mov_b32_e32 v135, v134
	scratch_store_b64 off, v[134:135], off offset:136
	s_waitcnt vmcnt(0)
	ds_store_b64 v5, v[1:2]
.LBB127_359:
	s_or_b32 exec_lo, exec_lo, s0
	s_waitcnt lgkmcnt(0)
	s_waitcnt_vscnt null, 0x0
	s_barrier
	buffer_gl0_inv
	s_clause 0x4
	scratch_load_b128 v[1:4], off, off offset:136
	scratch_load_b128 v[135:138], off, off offset:152
	;; [unrolled: 1-line block ×5, first 2 shown]
	ds_load_b128 v[151:154], v134 offset:656
	ds_load_b128 v[155:158], v134 offset:672
	scratch_load_b128 v[159:162], off, off offset:216
	s_mov_b32 s0, exec_lo
	s_waitcnt vmcnt(5) lgkmcnt(1)
	v_fma_f64 v[3:4], v[3:4], v[151:152], 0
	s_waitcnt vmcnt(4)
	s_delay_alu instid0(VALU_DEP_1) | instskip(SKIP_1) | instid1(VALU_DEP_1)
	v_fma_f64 v[3:4], v[135:136], v[153:154], v[3:4]
	s_waitcnt lgkmcnt(0)
	v_fma_f64 v[3:4], v[137:138], v[155:156], v[3:4]
	scratch_load_b128 v[135:138], off, off offset:232
	s_waitcnt vmcnt(4)
	v_fma_f64 v[3:4], v[139:140], v[157:158], v[3:4]
	ds_load_b128 v[151:154], v134 offset:688
	ds_load_b128 v[155:158], v134 offset:704
	s_waitcnt lgkmcnt(1)
	v_fma_f64 v[3:4], v[141:142], v[151:152], v[3:4]
	scratch_load_b128 v[139:142], off, off offset:248
	s_waitcnt vmcnt(4)
	v_fma_f64 v[3:4], v[143:144], v[153:154], v[3:4]
	s_waitcnt lgkmcnt(0)
	s_delay_alu instid0(VALU_DEP_1)
	v_fma_f64 v[3:4], v[145:146], v[155:156], v[3:4]
	scratch_load_b128 v[143:146], off, off offset:264
	s_waitcnt vmcnt(4)
	v_fma_f64 v[3:4], v[147:148], v[157:158], v[3:4]
	ds_load_b128 v[151:154], v134 offset:720
	ds_load_b128 v[155:158], v134 offset:736
	s_waitcnt lgkmcnt(1)
	v_fma_f64 v[3:4], v[149:150], v[151:152], v[3:4]
	scratch_load_b128 v[147:150], off, off offset:280
	s_waitcnt vmcnt(4)
	v_fma_f64 v[3:4], v[159:160], v[153:154], v[3:4]
	scratch_load_b128 v[151:154], off, off offset:296
	s_waitcnt lgkmcnt(0)
	v_fma_f64 v[3:4], v[161:162], v[155:156], v[3:4]
	s_waitcnt vmcnt(4)
	s_delay_alu instid0(VALU_DEP_1)
	v_fma_f64 v[3:4], v[135:136], v[157:158], v[3:4]
	ds_load_b128 v[155:158], v134 offset:752
	ds_load_b128 v[159:162], v134 offset:768
	s_waitcnt lgkmcnt(1)
	v_fma_f64 v[3:4], v[137:138], v[155:156], v[3:4]
	scratch_load_b128 v[135:138], off, off offset:312
	s_waitcnt vmcnt(4)
	v_fma_f64 v[3:4], v[139:140], v[157:158], v[3:4]
	s_waitcnt lgkmcnt(0)
	s_delay_alu instid0(VALU_DEP_1)
	v_fma_f64 v[3:4], v[141:142], v[159:160], v[3:4]
	scratch_load_b128 v[139:142], off, off offset:328
	s_waitcnt vmcnt(4)
	v_fma_f64 v[3:4], v[143:144], v[161:162], v[3:4]
	ds_load_b128 v[155:158], v134 offset:784
	ds_load_b128 v[159:162], v134 offset:800
	s_waitcnt lgkmcnt(1)
	v_fma_f64 v[3:4], v[145:146], v[155:156], v[3:4]
	scratch_load_b128 v[143:146], off, off offset:344
	s_waitcnt vmcnt(4)
	v_fma_f64 v[3:4], v[147:148], v[157:158], v[3:4]
	s_waitcnt lgkmcnt(0)
	s_delay_alu instid0(VALU_DEP_1)
	v_fma_f64 v[3:4], v[149:150], v[159:160], v[3:4]
	scratch_load_b128 v[147:150], off, off offset:360
	s_waitcnt vmcnt(4)
	;; [unrolled: 13-line block ×6, first 2 shown]
	v_fma_f64 v[3:4], v[143:144], v[161:162], v[3:4]
	ds_load_b128 v[155:158], v134 offset:944
	ds_load_b128 v[159:162], v134 offset:960
	s_waitcnt lgkmcnt(1)
	v_fma_f64 v[3:4], v[145:146], v[155:156], v[3:4]
	scratch_load_b64 v[155:156], off, off offset:504
	s_waitcnt vmcnt(4)
	v_fma_f64 v[3:4], v[147:148], v[157:158], v[3:4]
	s_waitcnt lgkmcnt(0)
	s_delay_alu instid0(VALU_DEP_1)
	v_fma_f64 v[3:4], v[149:150], v[159:160], v[3:4]
	ds_load_b128 v[143:146], v134 offset:976
	ds_load_b128 v[147:150], v134 offset:992
	s_waitcnt vmcnt(3)
	v_fma_f64 v[3:4], v[151:152], v[161:162], v[3:4]
	s_waitcnt lgkmcnt(1)
	s_delay_alu instid0(VALU_DEP_1) | instskip(SKIP_1) | instid1(VALU_DEP_1)
	v_fma_f64 v[3:4], v[153:154], v[143:144], v[3:4]
	s_waitcnt vmcnt(2)
	v_fma_f64 v[3:4], v[135:136], v[145:146], v[3:4]
	s_waitcnt lgkmcnt(0)
	s_delay_alu instid0(VALU_DEP_1) | instskip(SKIP_4) | instid1(VALU_DEP_1)
	v_fma_f64 v[3:4], v[137:138], v[147:148], v[3:4]
	ds_load_b128 v[134:137], v134 offset:1008
	s_waitcnt vmcnt(1)
	v_fma_f64 v[3:4], v[139:140], v[149:150], v[3:4]
	s_waitcnt lgkmcnt(0)
	v_fma_f64 v[3:4], v[141:142], v[134:135], v[3:4]
	s_waitcnt vmcnt(0)
	s_delay_alu instid0(VALU_DEP_1) | instskip(NEXT) | instid1(VALU_DEP_1)
	v_fma_f64 v[3:4], v[155:156], v[136:137], v[3:4]
	v_add_f64 v[1:2], v[1:2], -v[3:4]
	scratch_store_b64 off, v[1:2], off offset:136
	v_cmpx_lt_u32_e32 16, v0
	s_cbranch_execz .LBB127_361
; %bb.360:
	scratch_load_b64 v[1:2], off, off offset:128
	v_mov_b32_e32 v3, 0
	s_delay_alu instid0(VALU_DEP_1)
	v_mov_b32_e32 v4, v3
	scratch_store_b64 off, v[3:4], off offset:128
	s_waitcnt vmcnt(0)
	ds_store_b64 v5, v[1:2]
.LBB127_361:
	s_or_b32 exec_lo, exec_lo, s0
	s_waitcnt lgkmcnt(0)
	s_waitcnt_vscnt null, 0x0
	s_barrier
	buffer_gl0_inv
	s_clause 0x4
	scratch_load_b128 v[1:4], off, off offset:128
	scratch_load_b128 v[135:138], off, off offset:144
	;; [unrolled: 1-line block ×5, first 2 shown]
	v_mov_b32_e32 v134, 0
	ds_load_2addr_b64 v[151:154], v134 offset0:81 offset1:82
	ds_load_2addr_b64 v[155:158], v134 offset0:83 offset1:84
	scratch_load_b128 v[159:162], off, off offset:208
	s_mov_b32 s0, exec_lo
	s_waitcnt vmcnt(5) lgkmcnt(1)
	v_fma_f64 v[3:4], v[3:4], v[151:152], 0
	s_waitcnt vmcnt(4)
	s_delay_alu instid0(VALU_DEP_1) | instskip(SKIP_1) | instid1(VALU_DEP_1)
	v_fma_f64 v[3:4], v[135:136], v[153:154], v[3:4]
	s_waitcnt lgkmcnt(0)
	v_fma_f64 v[3:4], v[137:138], v[155:156], v[3:4]
	scratch_load_b128 v[135:138], off, off offset:224
	s_waitcnt vmcnt(4)
	v_fma_f64 v[3:4], v[139:140], v[157:158], v[3:4]
	ds_load_2addr_b64 v[151:154], v134 offset0:85 offset1:86
	ds_load_2addr_b64 v[155:158], v134 offset0:87 offset1:88
	s_waitcnt lgkmcnt(1)
	v_fma_f64 v[3:4], v[141:142], v[151:152], v[3:4]
	scratch_load_b128 v[139:142], off, off offset:240
	s_waitcnt vmcnt(4)
	v_fma_f64 v[3:4], v[143:144], v[153:154], v[3:4]
	s_waitcnt lgkmcnt(0)
	s_delay_alu instid0(VALU_DEP_1)
	v_fma_f64 v[3:4], v[145:146], v[155:156], v[3:4]
	scratch_load_b128 v[143:146], off, off offset:256
	s_waitcnt vmcnt(4)
	v_fma_f64 v[3:4], v[147:148], v[157:158], v[3:4]
	ds_load_2addr_b64 v[151:154], v134 offset0:89 offset1:90
	ds_load_2addr_b64 v[155:158], v134 offset0:91 offset1:92
	s_waitcnt lgkmcnt(1)
	v_fma_f64 v[3:4], v[149:150], v[151:152], v[3:4]
	scratch_load_b128 v[147:150], off, off offset:272
	s_waitcnt vmcnt(4)
	v_fma_f64 v[3:4], v[159:160], v[153:154], v[3:4]
	scratch_load_b128 v[151:154], off, off offset:288
	s_waitcnt lgkmcnt(0)
	v_fma_f64 v[3:4], v[161:162], v[155:156], v[3:4]
	s_waitcnt vmcnt(4)
	s_delay_alu instid0(VALU_DEP_1)
	v_fma_f64 v[3:4], v[135:136], v[157:158], v[3:4]
	ds_load_2addr_b64 v[155:158], v134 offset0:93 offset1:94
	ds_load_2addr_b64 v[159:162], v134 offset0:95 offset1:96
	s_waitcnt lgkmcnt(1)
	v_fma_f64 v[3:4], v[137:138], v[155:156], v[3:4]
	scratch_load_b128 v[135:138], off, off offset:304
	s_waitcnt vmcnt(4)
	v_fma_f64 v[3:4], v[139:140], v[157:158], v[3:4]
	s_waitcnt lgkmcnt(0)
	s_delay_alu instid0(VALU_DEP_1)
	v_fma_f64 v[3:4], v[141:142], v[159:160], v[3:4]
	scratch_load_b128 v[139:142], off, off offset:320
	s_waitcnt vmcnt(4)
	v_fma_f64 v[3:4], v[143:144], v[161:162], v[3:4]
	ds_load_2addr_b64 v[155:158], v134 offset0:97 offset1:98
	ds_load_2addr_b64 v[159:162], v134 offset0:99 offset1:100
	s_waitcnt lgkmcnt(1)
	v_fma_f64 v[3:4], v[145:146], v[155:156], v[3:4]
	scratch_load_b128 v[143:146], off, off offset:336
	s_waitcnt vmcnt(4)
	v_fma_f64 v[3:4], v[147:148], v[157:158], v[3:4]
	s_waitcnt lgkmcnt(0)
	s_delay_alu instid0(VALU_DEP_1)
	v_fma_f64 v[3:4], v[149:150], v[159:160], v[3:4]
	scratch_load_b128 v[147:150], off, off offset:352
	s_waitcnt vmcnt(4)
	v_fma_f64 v[3:4], v[151:152], v[161:162], v[3:4]
	ds_load_2addr_b64 v[155:158], v134 offset0:101 offset1:102
	ds_load_2addr_b64 v[159:162], v134 offset0:103 offset1:104
	s_waitcnt lgkmcnt(1)
	v_fma_f64 v[3:4], v[153:154], v[155:156], v[3:4]
	scratch_load_b128 v[151:154], off, off offset:368
	s_waitcnt vmcnt(4)
	v_fma_f64 v[3:4], v[135:136], v[157:158], v[3:4]
	s_waitcnt lgkmcnt(0)
	s_delay_alu instid0(VALU_DEP_1)
	v_fma_f64 v[3:4], v[137:138], v[159:160], v[3:4]
	scratch_load_b128 v[135:138], off, off offset:384
	s_waitcnt vmcnt(4)
	v_fma_f64 v[3:4], v[139:140], v[161:162], v[3:4]
	ds_load_2addr_b64 v[155:158], v134 offset0:105 offset1:106
	ds_load_2addr_b64 v[159:162], v134 offset0:107 offset1:108
	s_waitcnt lgkmcnt(1)
	v_fma_f64 v[3:4], v[141:142], v[155:156], v[3:4]
	scratch_load_b128 v[139:142], off, off offset:400
	s_waitcnt vmcnt(4)
	v_fma_f64 v[3:4], v[143:144], v[157:158], v[3:4]
	s_waitcnt lgkmcnt(0)
	s_delay_alu instid0(VALU_DEP_1)
	v_fma_f64 v[3:4], v[145:146], v[159:160], v[3:4]
	scratch_load_b128 v[143:146], off, off offset:416
	s_waitcnt vmcnt(4)
	v_fma_f64 v[3:4], v[147:148], v[161:162], v[3:4]
	ds_load_2addr_b64 v[155:158], v134 offset0:109 offset1:110
	ds_load_2addr_b64 v[159:162], v134 offset0:111 offset1:112
	s_waitcnt lgkmcnt(1)
	v_fma_f64 v[3:4], v[149:150], v[155:156], v[3:4]
	scratch_load_b128 v[147:150], off, off offset:432
	s_waitcnt vmcnt(4)
	v_fma_f64 v[3:4], v[151:152], v[157:158], v[3:4]
	s_waitcnt lgkmcnt(0)
	s_delay_alu instid0(VALU_DEP_1)
	v_fma_f64 v[3:4], v[153:154], v[159:160], v[3:4]
	scratch_load_b128 v[151:154], off, off offset:448
	s_waitcnt vmcnt(4)
	v_fma_f64 v[3:4], v[135:136], v[161:162], v[3:4]
	ds_load_2addr_b64 v[155:158], v134 offset0:113 offset1:114
	ds_load_2addr_b64 v[159:162], v134 offset0:115 offset1:116
	s_waitcnt lgkmcnt(1)
	v_fma_f64 v[3:4], v[137:138], v[155:156], v[3:4]
	scratch_load_b128 v[135:138], off, off offset:464
	s_waitcnt vmcnt(4)
	v_fma_f64 v[3:4], v[139:140], v[157:158], v[3:4]
	s_waitcnt lgkmcnt(0)
	s_delay_alu instid0(VALU_DEP_1)
	v_fma_f64 v[3:4], v[141:142], v[159:160], v[3:4]
	scratch_load_b128 v[139:142], off, off offset:480
	s_waitcnt vmcnt(4)
	v_fma_f64 v[3:4], v[143:144], v[161:162], v[3:4]
	ds_load_2addr_b64 v[155:158], v134 offset0:117 offset1:118
	ds_load_2addr_b64 v[159:162], v134 offset0:119 offset1:120
	s_waitcnt lgkmcnt(1)
	v_fma_f64 v[3:4], v[145:146], v[155:156], v[3:4]
	scratch_load_b128 v[143:146], off, off offset:496
	s_waitcnt vmcnt(4)
	v_fma_f64 v[3:4], v[147:148], v[157:158], v[3:4]
	s_waitcnt lgkmcnt(0)
	s_delay_alu instid0(VALU_DEP_1)
	v_fma_f64 v[3:4], v[149:150], v[159:160], v[3:4]
	ds_load_2addr_b64 v[147:150], v134 offset0:121 offset1:122
	ds_load_2addr_b64 v[155:158], v134 offset0:123 offset1:124
	s_waitcnt vmcnt(3)
	v_fma_f64 v[3:4], v[151:152], v[161:162], v[3:4]
	s_waitcnt lgkmcnt(1)
	s_delay_alu instid0(VALU_DEP_1) | instskip(SKIP_1) | instid1(VALU_DEP_1)
	v_fma_f64 v[3:4], v[153:154], v[147:148], v[3:4]
	s_waitcnt vmcnt(2)
	v_fma_f64 v[3:4], v[135:136], v[149:150], v[3:4]
	s_waitcnt lgkmcnt(0)
	s_delay_alu instid0(VALU_DEP_1) | instskip(SKIP_1) | instid1(VALU_DEP_1)
	v_fma_f64 v[3:4], v[137:138], v[155:156], v[3:4]
	s_waitcnt vmcnt(1)
	v_fma_f64 v[3:4], v[139:140], v[157:158], v[3:4]
	ds_load_2addr_b64 v[135:138], v134 offset0:125 offset1:126
	ds_load_b64 v[139:140], v134 offset:1016
	s_waitcnt lgkmcnt(1)
	v_fma_f64 v[3:4], v[141:142], v[135:136], v[3:4]
	s_waitcnt vmcnt(0)
	s_delay_alu instid0(VALU_DEP_1) | instskip(SKIP_1) | instid1(VALU_DEP_1)
	v_fma_f64 v[3:4], v[143:144], v[137:138], v[3:4]
	s_waitcnt lgkmcnt(0)
	v_fma_f64 v[3:4], v[145:146], v[139:140], v[3:4]
	s_delay_alu instid0(VALU_DEP_1)
	v_add_f64 v[1:2], v[1:2], -v[3:4]
	scratch_store_b64 off, v[1:2], off offset:128
	v_cmpx_lt_u32_e32 15, v0
	s_cbranch_execz .LBB127_363
; %bb.362:
	scratch_load_b64 v[1:2], off, off offset:120
	v_mov_b32_e32 v135, v134
	scratch_store_b64 off, v[134:135], off offset:120
	s_waitcnt vmcnt(0)
	ds_store_b64 v5, v[1:2]
.LBB127_363:
	s_or_b32 exec_lo, exec_lo, s0
	s_waitcnt lgkmcnt(0)
	s_waitcnt_vscnt null, 0x0
	s_barrier
	buffer_gl0_inv
	s_clause 0x4
	scratch_load_b128 v[1:4], off, off offset:120
	scratch_load_b128 v[135:138], off, off offset:136
	;; [unrolled: 1-line block ×5, first 2 shown]
	ds_load_b128 v[151:154], v134 offset:640
	ds_load_b128 v[155:158], v134 offset:656
	scratch_load_b128 v[159:162], off, off offset:200
	s_mov_b32 s0, exec_lo
	s_waitcnt vmcnt(5) lgkmcnt(1)
	v_fma_f64 v[3:4], v[3:4], v[151:152], 0
	s_waitcnt vmcnt(4)
	s_delay_alu instid0(VALU_DEP_1) | instskip(SKIP_1) | instid1(VALU_DEP_1)
	v_fma_f64 v[3:4], v[135:136], v[153:154], v[3:4]
	s_waitcnt lgkmcnt(0)
	v_fma_f64 v[3:4], v[137:138], v[155:156], v[3:4]
	scratch_load_b128 v[135:138], off, off offset:216
	s_waitcnt vmcnt(4)
	v_fma_f64 v[3:4], v[139:140], v[157:158], v[3:4]
	ds_load_b128 v[151:154], v134 offset:672
	ds_load_b128 v[155:158], v134 offset:688
	s_waitcnt lgkmcnt(1)
	v_fma_f64 v[3:4], v[141:142], v[151:152], v[3:4]
	scratch_load_b128 v[139:142], off, off offset:232
	s_waitcnt vmcnt(4)
	v_fma_f64 v[3:4], v[143:144], v[153:154], v[3:4]
	s_waitcnt lgkmcnt(0)
	s_delay_alu instid0(VALU_DEP_1)
	v_fma_f64 v[3:4], v[145:146], v[155:156], v[3:4]
	scratch_load_b128 v[143:146], off, off offset:248
	s_waitcnt vmcnt(4)
	v_fma_f64 v[3:4], v[147:148], v[157:158], v[3:4]
	ds_load_b128 v[151:154], v134 offset:704
	ds_load_b128 v[155:158], v134 offset:720
	s_waitcnt lgkmcnt(1)
	v_fma_f64 v[3:4], v[149:150], v[151:152], v[3:4]
	scratch_load_b128 v[147:150], off, off offset:264
	s_waitcnt vmcnt(4)
	v_fma_f64 v[3:4], v[159:160], v[153:154], v[3:4]
	scratch_load_b128 v[151:154], off, off offset:280
	s_waitcnt lgkmcnt(0)
	v_fma_f64 v[3:4], v[161:162], v[155:156], v[3:4]
	s_waitcnt vmcnt(4)
	s_delay_alu instid0(VALU_DEP_1)
	v_fma_f64 v[3:4], v[135:136], v[157:158], v[3:4]
	ds_load_b128 v[155:158], v134 offset:736
	ds_load_b128 v[159:162], v134 offset:752
	s_waitcnt lgkmcnt(1)
	v_fma_f64 v[3:4], v[137:138], v[155:156], v[3:4]
	scratch_load_b128 v[135:138], off, off offset:296
	s_waitcnt vmcnt(4)
	v_fma_f64 v[3:4], v[139:140], v[157:158], v[3:4]
	s_waitcnt lgkmcnt(0)
	s_delay_alu instid0(VALU_DEP_1)
	v_fma_f64 v[3:4], v[141:142], v[159:160], v[3:4]
	scratch_load_b128 v[139:142], off, off offset:312
	s_waitcnt vmcnt(4)
	v_fma_f64 v[3:4], v[143:144], v[161:162], v[3:4]
	ds_load_b128 v[155:158], v134 offset:768
	ds_load_b128 v[159:162], v134 offset:784
	s_waitcnt lgkmcnt(1)
	v_fma_f64 v[3:4], v[145:146], v[155:156], v[3:4]
	scratch_load_b128 v[143:146], off, off offset:328
	s_waitcnt vmcnt(4)
	v_fma_f64 v[3:4], v[147:148], v[157:158], v[3:4]
	s_waitcnt lgkmcnt(0)
	s_delay_alu instid0(VALU_DEP_1)
	v_fma_f64 v[3:4], v[149:150], v[159:160], v[3:4]
	scratch_load_b128 v[147:150], off, off offset:344
	s_waitcnt vmcnt(4)
	;; [unrolled: 13-line block ×6, first 2 shown]
	v_fma_f64 v[3:4], v[143:144], v[161:162], v[3:4]
	ds_load_b128 v[155:158], v134 offset:928
	ds_load_b128 v[159:162], v134 offset:944
	s_waitcnt lgkmcnt(1)
	v_fma_f64 v[3:4], v[145:146], v[155:156], v[3:4]
	scratch_load_b128 v[143:146], off, off offset:488
	s_waitcnt vmcnt(4)
	v_fma_f64 v[3:4], v[147:148], v[157:158], v[3:4]
	s_waitcnt lgkmcnt(0)
	s_delay_alu instid0(VALU_DEP_1)
	v_fma_f64 v[3:4], v[149:150], v[159:160], v[3:4]
	scratch_load_b64 v[159:160], off, off offset:504
	ds_load_b128 v[147:150], v134 offset:960
	ds_load_b128 v[155:158], v134 offset:976
	s_waitcnt vmcnt(4)
	v_fma_f64 v[3:4], v[151:152], v[161:162], v[3:4]
	s_waitcnt lgkmcnt(1)
	s_delay_alu instid0(VALU_DEP_1) | instskip(SKIP_1) | instid1(VALU_DEP_1)
	v_fma_f64 v[3:4], v[153:154], v[147:148], v[3:4]
	s_waitcnt vmcnt(3)
	v_fma_f64 v[3:4], v[135:136], v[149:150], v[3:4]
	s_waitcnt lgkmcnt(0)
	s_delay_alu instid0(VALU_DEP_1)
	v_fma_f64 v[3:4], v[137:138], v[155:156], v[3:4]
	ds_load_b128 v[135:138], v134 offset:992
	ds_load_b128 v[147:150], v134 offset:1008
	s_waitcnt vmcnt(2)
	v_fma_f64 v[3:4], v[139:140], v[157:158], v[3:4]
	s_waitcnt lgkmcnt(1)
	s_delay_alu instid0(VALU_DEP_1) | instskip(SKIP_1) | instid1(VALU_DEP_1)
	v_fma_f64 v[3:4], v[141:142], v[135:136], v[3:4]
	s_waitcnt vmcnt(1)
	v_fma_f64 v[3:4], v[143:144], v[137:138], v[3:4]
	s_waitcnt lgkmcnt(0)
	s_delay_alu instid0(VALU_DEP_1) | instskip(SKIP_1) | instid1(VALU_DEP_1)
	v_fma_f64 v[3:4], v[145:146], v[147:148], v[3:4]
	s_waitcnt vmcnt(0)
	v_fma_f64 v[3:4], v[159:160], v[149:150], v[3:4]
	s_delay_alu instid0(VALU_DEP_1)
	v_add_f64 v[1:2], v[1:2], -v[3:4]
	scratch_store_b64 off, v[1:2], off offset:120
	v_cmpx_lt_u32_e32 14, v0
	s_cbranch_execz .LBB127_365
; %bb.364:
	scratch_load_b64 v[1:2], off, off offset:112
	v_mov_b32_e32 v3, 0
	s_delay_alu instid0(VALU_DEP_1)
	v_mov_b32_e32 v4, v3
	scratch_store_b64 off, v[3:4], off offset:112
	s_waitcnt vmcnt(0)
	ds_store_b64 v5, v[1:2]
.LBB127_365:
	s_or_b32 exec_lo, exec_lo, s0
	s_waitcnt lgkmcnt(0)
	s_waitcnt_vscnt null, 0x0
	s_barrier
	buffer_gl0_inv
	s_clause 0x4
	scratch_load_b128 v[1:4], off, off offset:112
	scratch_load_b128 v[135:138], off, off offset:128
	;; [unrolled: 1-line block ×5, first 2 shown]
	v_mov_b32_e32 v134, 0
	ds_load_2addr_b64 v[151:154], v134 offset0:79 offset1:80
	ds_load_2addr_b64 v[155:158], v134 offset0:81 offset1:82
	scratch_load_b128 v[159:162], off, off offset:192
	s_mov_b32 s0, exec_lo
	s_waitcnt vmcnt(5) lgkmcnt(1)
	v_fma_f64 v[3:4], v[3:4], v[151:152], 0
	s_waitcnt vmcnt(4)
	s_delay_alu instid0(VALU_DEP_1) | instskip(SKIP_1) | instid1(VALU_DEP_1)
	v_fma_f64 v[3:4], v[135:136], v[153:154], v[3:4]
	s_waitcnt lgkmcnt(0)
	v_fma_f64 v[3:4], v[137:138], v[155:156], v[3:4]
	scratch_load_b128 v[135:138], off, off offset:208
	s_waitcnt vmcnt(4)
	v_fma_f64 v[3:4], v[139:140], v[157:158], v[3:4]
	ds_load_2addr_b64 v[151:154], v134 offset0:83 offset1:84
	ds_load_2addr_b64 v[155:158], v134 offset0:85 offset1:86
	s_waitcnt lgkmcnt(1)
	v_fma_f64 v[3:4], v[141:142], v[151:152], v[3:4]
	scratch_load_b128 v[139:142], off, off offset:224
	s_waitcnt vmcnt(4)
	v_fma_f64 v[3:4], v[143:144], v[153:154], v[3:4]
	s_waitcnt lgkmcnt(0)
	s_delay_alu instid0(VALU_DEP_1)
	v_fma_f64 v[3:4], v[145:146], v[155:156], v[3:4]
	scratch_load_b128 v[143:146], off, off offset:240
	s_waitcnt vmcnt(4)
	v_fma_f64 v[3:4], v[147:148], v[157:158], v[3:4]
	ds_load_2addr_b64 v[151:154], v134 offset0:87 offset1:88
	ds_load_2addr_b64 v[155:158], v134 offset0:89 offset1:90
	s_waitcnt lgkmcnt(1)
	v_fma_f64 v[3:4], v[149:150], v[151:152], v[3:4]
	scratch_load_b128 v[147:150], off, off offset:256
	s_waitcnt vmcnt(4)
	v_fma_f64 v[3:4], v[159:160], v[153:154], v[3:4]
	scratch_load_b128 v[151:154], off, off offset:272
	s_waitcnt lgkmcnt(0)
	v_fma_f64 v[3:4], v[161:162], v[155:156], v[3:4]
	s_waitcnt vmcnt(4)
	s_delay_alu instid0(VALU_DEP_1)
	v_fma_f64 v[3:4], v[135:136], v[157:158], v[3:4]
	ds_load_2addr_b64 v[155:158], v134 offset0:91 offset1:92
	ds_load_2addr_b64 v[159:162], v134 offset0:93 offset1:94
	s_waitcnt lgkmcnt(1)
	v_fma_f64 v[3:4], v[137:138], v[155:156], v[3:4]
	scratch_load_b128 v[135:138], off, off offset:288
	s_waitcnt vmcnt(4)
	v_fma_f64 v[3:4], v[139:140], v[157:158], v[3:4]
	s_waitcnt lgkmcnt(0)
	s_delay_alu instid0(VALU_DEP_1)
	v_fma_f64 v[3:4], v[141:142], v[159:160], v[3:4]
	scratch_load_b128 v[139:142], off, off offset:304
	s_waitcnt vmcnt(4)
	v_fma_f64 v[3:4], v[143:144], v[161:162], v[3:4]
	ds_load_2addr_b64 v[155:158], v134 offset0:95 offset1:96
	ds_load_2addr_b64 v[159:162], v134 offset0:97 offset1:98
	s_waitcnt lgkmcnt(1)
	v_fma_f64 v[3:4], v[145:146], v[155:156], v[3:4]
	scratch_load_b128 v[143:146], off, off offset:320
	s_waitcnt vmcnt(4)
	v_fma_f64 v[3:4], v[147:148], v[157:158], v[3:4]
	s_waitcnt lgkmcnt(0)
	s_delay_alu instid0(VALU_DEP_1)
	v_fma_f64 v[3:4], v[149:150], v[159:160], v[3:4]
	scratch_load_b128 v[147:150], off, off offset:336
	s_waitcnt vmcnt(4)
	;; [unrolled: 13-line block ×7, first 2 shown]
	v_fma_f64 v[3:4], v[151:152], v[161:162], v[3:4]
	ds_load_2addr_b64 v[155:158], v134 offset0:119 offset1:120
	ds_load_2addr_b64 v[159:162], v134 offset0:121 offset1:122
	s_waitcnt lgkmcnt(1)
	v_fma_f64 v[3:4], v[153:154], v[155:156], v[3:4]
	s_waitcnt vmcnt(3)
	s_delay_alu instid0(VALU_DEP_1) | instskip(SKIP_1) | instid1(VALU_DEP_1)
	v_fma_f64 v[3:4], v[135:136], v[157:158], v[3:4]
	s_waitcnt lgkmcnt(0)
	v_fma_f64 v[3:4], v[137:138], v[159:160], v[3:4]
	ds_load_2addr_b64 v[135:138], v134 offset0:123 offset1:124
	ds_load_2addr_b64 v[151:154], v134 offset0:125 offset1:126
	s_waitcnt vmcnt(2)
	v_fma_f64 v[3:4], v[139:140], v[161:162], v[3:4]
	s_waitcnt lgkmcnt(1)
	s_delay_alu instid0(VALU_DEP_1) | instskip(SKIP_4) | instid1(VALU_DEP_1)
	v_fma_f64 v[3:4], v[141:142], v[135:136], v[3:4]
	ds_load_b64 v[135:136], v134 offset:1016
	s_waitcnt vmcnt(1)
	v_fma_f64 v[3:4], v[143:144], v[137:138], v[3:4]
	s_waitcnt lgkmcnt(1)
	v_fma_f64 v[3:4], v[145:146], v[151:152], v[3:4]
	s_waitcnt vmcnt(0)
	s_delay_alu instid0(VALU_DEP_1) | instskip(SKIP_1) | instid1(VALU_DEP_1)
	v_fma_f64 v[3:4], v[147:148], v[153:154], v[3:4]
	s_waitcnt lgkmcnt(0)
	v_fma_f64 v[3:4], v[149:150], v[135:136], v[3:4]
	s_delay_alu instid0(VALU_DEP_1)
	v_add_f64 v[1:2], v[1:2], -v[3:4]
	scratch_store_b64 off, v[1:2], off offset:112
	v_cmpx_lt_u32_e32 13, v0
	s_cbranch_execz .LBB127_367
; %bb.366:
	scratch_load_b64 v[1:2], off, off offset:104
	v_mov_b32_e32 v135, v134
	scratch_store_b64 off, v[134:135], off offset:104
	s_waitcnt vmcnt(0)
	ds_store_b64 v5, v[1:2]
.LBB127_367:
	s_or_b32 exec_lo, exec_lo, s0
	s_waitcnt lgkmcnt(0)
	s_waitcnt_vscnt null, 0x0
	s_barrier
	buffer_gl0_inv
	s_clause 0x4
	scratch_load_b128 v[1:4], off, off offset:104
	scratch_load_b128 v[135:138], off, off offset:120
	;; [unrolled: 1-line block ×5, first 2 shown]
	ds_load_b128 v[151:154], v134 offset:624
	ds_load_b128 v[155:158], v134 offset:640
	scratch_load_b128 v[159:162], off, off offset:184
	s_mov_b32 s0, exec_lo
	s_waitcnt vmcnt(5) lgkmcnt(1)
	v_fma_f64 v[3:4], v[3:4], v[151:152], 0
	s_waitcnt vmcnt(4)
	s_delay_alu instid0(VALU_DEP_1) | instskip(SKIP_1) | instid1(VALU_DEP_1)
	v_fma_f64 v[3:4], v[135:136], v[153:154], v[3:4]
	s_waitcnt lgkmcnt(0)
	v_fma_f64 v[3:4], v[137:138], v[155:156], v[3:4]
	scratch_load_b128 v[135:138], off, off offset:200
	s_waitcnt vmcnt(4)
	v_fma_f64 v[3:4], v[139:140], v[157:158], v[3:4]
	ds_load_b128 v[151:154], v134 offset:656
	ds_load_b128 v[155:158], v134 offset:672
	s_waitcnt lgkmcnt(1)
	v_fma_f64 v[3:4], v[141:142], v[151:152], v[3:4]
	scratch_load_b128 v[139:142], off, off offset:216
	s_waitcnt vmcnt(4)
	v_fma_f64 v[3:4], v[143:144], v[153:154], v[3:4]
	s_waitcnt lgkmcnt(0)
	s_delay_alu instid0(VALU_DEP_1)
	v_fma_f64 v[3:4], v[145:146], v[155:156], v[3:4]
	scratch_load_b128 v[143:146], off, off offset:232
	s_waitcnt vmcnt(4)
	v_fma_f64 v[3:4], v[147:148], v[157:158], v[3:4]
	ds_load_b128 v[151:154], v134 offset:688
	ds_load_b128 v[155:158], v134 offset:704
	s_waitcnt lgkmcnt(1)
	v_fma_f64 v[3:4], v[149:150], v[151:152], v[3:4]
	scratch_load_b128 v[147:150], off, off offset:248
	s_waitcnt vmcnt(4)
	v_fma_f64 v[3:4], v[159:160], v[153:154], v[3:4]
	scratch_load_b128 v[151:154], off, off offset:264
	s_waitcnt lgkmcnt(0)
	v_fma_f64 v[3:4], v[161:162], v[155:156], v[3:4]
	s_waitcnt vmcnt(4)
	s_delay_alu instid0(VALU_DEP_1)
	v_fma_f64 v[3:4], v[135:136], v[157:158], v[3:4]
	ds_load_b128 v[155:158], v134 offset:720
	ds_load_b128 v[159:162], v134 offset:736
	s_waitcnt lgkmcnt(1)
	v_fma_f64 v[3:4], v[137:138], v[155:156], v[3:4]
	scratch_load_b128 v[135:138], off, off offset:280
	s_waitcnt vmcnt(4)
	v_fma_f64 v[3:4], v[139:140], v[157:158], v[3:4]
	s_waitcnt lgkmcnt(0)
	s_delay_alu instid0(VALU_DEP_1)
	v_fma_f64 v[3:4], v[141:142], v[159:160], v[3:4]
	scratch_load_b128 v[139:142], off, off offset:296
	s_waitcnt vmcnt(4)
	v_fma_f64 v[3:4], v[143:144], v[161:162], v[3:4]
	ds_load_b128 v[155:158], v134 offset:752
	ds_load_b128 v[159:162], v134 offset:768
	s_waitcnt lgkmcnt(1)
	v_fma_f64 v[3:4], v[145:146], v[155:156], v[3:4]
	scratch_load_b128 v[143:146], off, off offset:312
	s_waitcnt vmcnt(4)
	v_fma_f64 v[3:4], v[147:148], v[157:158], v[3:4]
	s_waitcnt lgkmcnt(0)
	s_delay_alu instid0(VALU_DEP_1)
	v_fma_f64 v[3:4], v[149:150], v[159:160], v[3:4]
	scratch_load_b128 v[147:150], off, off offset:328
	s_waitcnt vmcnt(4)
	;; [unrolled: 13-line block ×7, first 2 shown]
	v_fma_f64 v[3:4], v[151:152], v[161:162], v[3:4]
	ds_load_b128 v[155:158], v134 offset:944
	ds_load_b128 v[159:162], v134 offset:960
	s_waitcnt lgkmcnt(1)
	v_fma_f64 v[3:4], v[153:154], v[155:156], v[3:4]
	scratch_load_b64 v[155:156], off, off offset:504
	s_waitcnt vmcnt(4)
	v_fma_f64 v[3:4], v[135:136], v[157:158], v[3:4]
	s_waitcnt lgkmcnt(0)
	s_delay_alu instid0(VALU_DEP_1)
	v_fma_f64 v[3:4], v[137:138], v[159:160], v[3:4]
	ds_load_b128 v[135:138], v134 offset:976
	ds_load_b128 v[151:154], v134 offset:992
	s_waitcnt vmcnt(3)
	v_fma_f64 v[3:4], v[139:140], v[161:162], v[3:4]
	s_waitcnt lgkmcnt(1)
	s_delay_alu instid0(VALU_DEP_1) | instskip(SKIP_1) | instid1(VALU_DEP_1)
	v_fma_f64 v[3:4], v[141:142], v[135:136], v[3:4]
	s_waitcnt vmcnt(2)
	v_fma_f64 v[3:4], v[143:144], v[137:138], v[3:4]
	ds_load_b128 v[134:137], v134 offset:1008
	s_waitcnt lgkmcnt(1)
	v_fma_f64 v[3:4], v[145:146], v[151:152], v[3:4]
	s_waitcnt vmcnt(1)
	s_delay_alu instid0(VALU_DEP_1) | instskip(SKIP_1) | instid1(VALU_DEP_1)
	v_fma_f64 v[3:4], v[147:148], v[153:154], v[3:4]
	s_waitcnt lgkmcnt(0)
	v_fma_f64 v[3:4], v[149:150], v[134:135], v[3:4]
	s_waitcnt vmcnt(0)
	s_delay_alu instid0(VALU_DEP_1) | instskip(NEXT) | instid1(VALU_DEP_1)
	v_fma_f64 v[3:4], v[155:156], v[136:137], v[3:4]
	v_add_f64 v[1:2], v[1:2], -v[3:4]
	scratch_store_b64 off, v[1:2], off offset:104
	v_cmpx_lt_u32_e32 12, v0
	s_cbranch_execz .LBB127_369
; %bb.368:
	scratch_load_b64 v[1:2], off, off offset:96
	v_mov_b32_e32 v3, 0
	s_delay_alu instid0(VALU_DEP_1)
	v_mov_b32_e32 v4, v3
	scratch_store_b64 off, v[3:4], off offset:96
	s_waitcnt vmcnt(0)
	ds_store_b64 v5, v[1:2]
.LBB127_369:
	s_or_b32 exec_lo, exec_lo, s0
	s_waitcnt lgkmcnt(0)
	s_waitcnt_vscnt null, 0x0
	s_barrier
	buffer_gl0_inv
	s_clause 0x4
	scratch_load_b128 v[1:4], off, off offset:96
	scratch_load_b128 v[135:138], off, off offset:112
	;; [unrolled: 1-line block ×5, first 2 shown]
	v_mov_b32_e32 v134, 0
	ds_load_2addr_b64 v[151:154], v134 offset0:77 offset1:78
	ds_load_2addr_b64 v[155:158], v134 offset0:79 offset1:80
	scratch_load_b128 v[159:162], off, off offset:176
	s_mov_b32 s0, exec_lo
	s_waitcnt vmcnt(5) lgkmcnt(1)
	v_fma_f64 v[3:4], v[3:4], v[151:152], 0
	s_waitcnt vmcnt(4)
	s_delay_alu instid0(VALU_DEP_1) | instskip(SKIP_1) | instid1(VALU_DEP_1)
	v_fma_f64 v[3:4], v[135:136], v[153:154], v[3:4]
	s_waitcnt lgkmcnt(0)
	v_fma_f64 v[3:4], v[137:138], v[155:156], v[3:4]
	scratch_load_b128 v[135:138], off, off offset:192
	s_waitcnt vmcnt(4)
	v_fma_f64 v[3:4], v[139:140], v[157:158], v[3:4]
	ds_load_2addr_b64 v[151:154], v134 offset0:81 offset1:82
	ds_load_2addr_b64 v[155:158], v134 offset0:83 offset1:84
	s_waitcnt lgkmcnt(1)
	v_fma_f64 v[3:4], v[141:142], v[151:152], v[3:4]
	scratch_load_b128 v[139:142], off, off offset:208
	s_waitcnt vmcnt(4)
	v_fma_f64 v[3:4], v[143:144], v[153:154], v[3:4]
	s_waitcnt lgkmcnt(0)
	s_delay_alu instid0(VALU_DEP_1)
	v_fma_f64 v[3:4], v[145:146], v[155:156], v[3:4]
	scratch_load_b128 v[143:146], off, off offset:224
	s_waitcnt vmcnt(4)
	v_fma_f64 v[3:4], v[147:148], v[157:158], v[3:4]
	ds_load_2addr_b64 v[151:154], v134 offset0:85 offset1:86
	ds_load_2addr_b64 v[155:158], v134 offset0:87 offset1:88
	s_waitcnt lgkmcnt(1)
	v_fma_f64 v[3:4], v[149:150], v[151:152], v[3:4]
	scratch_load_b128 v[147:150], off, off offset:240
	s_waitcnt vmcnt(4)
	v_fma_f64 v[3:4], v[159:160], v[153:154], v[3:4]
	scratch_load_b128 v[151:154], off, off offset:256
	s_waitcnt lgkmcnt(0)
	v_fma_f64 v[3:4], v[161:162], v[155:156], v[3:4]
	s_waitcnt vmcnt(4)
	s_delay_alu instid0(VALU_DEP_1)
	v_fma_f64 v[3:4], v[135:136], v[157:158], v[3:4]
	ds_load_2addr_b64 v[155:158], v134 offset0:89 offset1:90
	ds_load_2addr_b64 v[159:162], v134 offset0:91 offset1:92
	s_waitcnt lgkmcnt(1)
	v_fma_f64 v[3:4], v[137:138], v[155:156], v[3:4]
	scratch_load_b128 v[135:138], off, off offset:272
	s_waitcnt vmcnt(4)
	v_fma_f64 v[3:4], v[139:140], v[157:158], v[3:4]
	s_waitcnt lgkmcnt(0)
	s_delay_alu instid0(VALU_DEP_1)
	v_fma_f64 v[3:4], v[141:142], v[159:160], v[3:4]
	scratch_load_b128 v[139:142], off, off offset:288
	s_waitcnt vmcnt(4)
	v_fma_f64 v[3:4], v[143:144], v[161:162], v[3:4]
	ds_load_2addr_b64 v[155:158], v134 offset0:93 offset1:94
	ds_load_2addr_b64 v[159:162], v134 offset0:95 offset1:96
	s_waitcnt lgkmcnt(1)
	v_fma_f64 v[3:4], v[145:146], v[155:156], v[3:4]
	scratch_load_b128 v[143:146], off, off offset:304
	s_waitcnt vmcnt(4)
	v_fma_f64 v[3:4], v[147:148], v[157:158], v[3:4]
	s_waitcnt lgkmcnt(0)
	s_delay_alu instid0(VALU_DEP_1)
	v_fma_f64 v[3:4], v[149:150], v[159:160], v[3:4]
	scratch_load_b128 v[147:150], off, off offset:320
	s_waitcnt vmcnt(4)
	;; [unrolled: 13-line block ×7, first 2 shown]
	v_fma_f64 v[3:4], v[151:152], v[161:162], v[3:4]
	ds_load_2addr_b64 v[155:158], v134 offset0:117 offset1:118
	ds_load_2addr_b64 v[159:162], v134 offset0:119 offset1:120
	s_waitcnt lgkmcnt(1)
	v_fma_f64 v[3:4], v[153:154], v[155:156], v[3:4]
	scratch_load_b128 v[151:154], off, off offset:496
	s_waitcnt vmcnt(4)
	v_fma_f64 v[3:4], v[135:136], v[157:158], v[3:4]
	s_waitcnt lgkmcnt(0)
	s_delay_alu instid0(VALU_DEP_1)
	v_fma_f64 v[3:4], v[137:138], v[159:160], v[3:4]
	ds_load_2addr_b64 v[135:138], v134 offset0:121 offset1:122
	ds_load_2addr_b64 v[155:158], v134 offset0:123 offset1:124
	s_waitcnt vmcnt(3)
	v_fma_f64 v[3:4], v[139:140], v[161:162], v[3:4]
	s_waitcnt lgkmcnt(1)
	s_delay_alu instid0(VALU_DEP_1) | instskip(SKIP_1) | instid1(VALU_DEP_1)
	v_fma_f64 v[3:4], v[141:142], v[135:136], v[3:4]
	s_waitcnt vmcnt(2)
	v_fma_f64 v[3:4], v[143:144], v[137:138], v[3:4]
	ds_load_2addr_b64 v[135:138], v134 offset0:125 offset1:126
	ds_load_b64 v[139:140], v134 offset:1016
	s_waitcnt lgkmcnt(2)
	v_fma_f64 v[3:4], v[145:146], v[155:156], v[3:4]
	s_waitcnt vmcnt(1)
	s_delay_alu instid0(VALU_DEP_1) | instskip(SKIP_1) | instid1(VALU_DEP_1)
	v_fma_f64 v[3:4], v[147:148], v[157:158], v[3:4]
	s_waitcnt lgkmcnt(1)
	v_fma_f64 v[3:4], v[149:150], v[135:136], v[3:4]
	s_waitcnt vmcnt(0)
	s_delay_alu instid0(VALU_DEP_1) | instskip(SKIP_1) | instid1(VALU_DEP_1)
	v_fma_f64 v[3:4], v[151:152], v[137:138], v[3:4]
	s_waitcnt lgkmcnt(0)
	v_fma_f64 v[3:4], v[153:154], v[139:140], v[3:4]
	s_delay_alu instid0(VALU_DEP_1)
	v_add_f64 v[1:2], v[1:2], -v[3:4]
	scratch_store_b64 off, v[1:2], off offset:96
	v_cmpx_lt_u32_e32 11, v0
	s_cbranch_execz .LBB127_371
; %bb.370:
	scratch_load_b64 v[1:2], off, off offset:88
	v_mov_b32_e32 v135, v134
	scratch_store_b64 off, v[134:135], off offset:88
	s_waitcnt vmcnt(0)
	ds_store_b64 v5, v[1:2]
.LBB127_371:
	s_or_b32 exec_lo, exec_lo, s0
	s_waitcnt lgkmcnt(0)
	s_waitcnt_vscnt null, 0x0
	s_barrier
	buffer_gl0_inv
	s_clause 0x4
	scratch_load_b128 v[1:4], off, off offset:88
	scratch_load_b128 v[135:138], off, off offset:104
	;; [unrolled: 1-line block ×5, first 2 shown]
	ds_load_b128 v[151:154], v134 offset:608
	ds_load_b128 v[155:158], v134 offset:624
	scratch_load_b128 v[159:162], off, off offset:168
	s_mov_b32 s0, exec_lo
	s_waitcnt vmcnt(5) lgkmcnt(1)
	v_fma_f64 v[3:4], v[3:4], v[151:152], 0
	s_waitcnt vmcnt(4)
	s_delay_alu instid0(VALU_DEP_1) | instskip(SKIP_1) | instid1(VALU_DEP_1)
	v_fma_f64 v[3:4], v[135:136], v[153:154], v[3:4]
	s_waitcnt lgkmcnt(0)
	v_fma_f64 v[3:4], v[137:138], v[155:156], v[3:4]
	scratch_load_b128 v[135:138], off, off offset:184
	s_waitcnt vmcnt(4)
	v_fma_f64 v[3:4], v[139:140], v[157:158], v[3:4]
	ds_load_b128 v[151:154], v134 offset:640
	ds_load_b128 v[155:158], v134 offset:656
	s_waitcnt lgkmcnt(1)
	v_fma_f64 v[3:4], v[141:142], v[151:152], v[3:4]
	scratch_load_b128 v[139:142], off, off offset:200
	s_waitcnt vmcnt(4)
	v_fma_f64 v[3:4], v[143:144], v[153:154], v[3:4]
	s_waitcnt lgkmcnt(0)
	s_delay_alu instid0(VALU_DEP_1)
	v_fma_f64 v[3:4], v[145:146], v[155:156], v[3:4]
	scratch_load_b128 v[143:146], off, off offset:216
	s_waitcnt vmcnt(4)
	v_fma_f64 v[3:4], v[147:148], v[157:158], v[3:4]
	ds_load_b128 v[151:154], v134 offset:672
	ds_load_b128 v[155:158], v134 offset:688
	s_waitcnt lgkmcnt(1)
	v_fma_f64 v[3:4], v[149:150], v[151:152], v[3:4]
	scratch_load_b128 v[147:150], off, off offset:232
	s_waitcnt vmcnt(4)
	v_fma_f64 v[3:4], v[159:160], v[153:154], v[3:4]
	scratch_load_b128 v[151:154], off, off offset:248
	s_waitcnt lgkmcnt(0)
	v_fma_f64 v[3:4], v[161:162], v[155:156], v[3:4]
	s_waitcnt vmcnt(4)
	s_delay_alu instid0(VALU_DEP_1)
	v_fma_f64 v[3:4], v[135:136], v[157:158], v[3:4]
	ds_load_b128 v[155:158], v134 offset:704
	ds_load_b128 v[159:162], v134 offset:720
	s_waitcnt lgkmcnt(1)
	v_fma_f64 v[3:4], v[137:138], v[155:156], v[3:4]
	scratch_load_b128 v[135:138], off, off offset:264
	s_waitcnt vmcnt(4)
	v_fma_f64 v[3:4], v[139:140], v[157:158], v[3:4]
	s_waitcnt lgkmcnt(0)
	s_delay_alu instid0(VALU_DEP_1)
	v_fma_f64 v[3:4], v[141:142], v[159:160], v[3:4]
	scratch_load_b128 v[139:142], off, off offset:280
	s_waitcnt vmcnt(4)
	v_fma_f64 v[3:4], v[143:144], v[161:162], v[3:4]
	ds_load_b128 v[155:158], v134 offset:736
	ds_load_b128 v[159:162], v134 offset:752
	s_waitcnt lgkmcnt(1)
	v_fma_f64 v[3:4], v[145:146], v[155:156], v[3:4]
	scratch_load_b128 v[143:146], off, off offset:296
	s_waitcnt vmcnt(4)
	v_fma_f64 v[3:4], v[147:148], v[157:158], v[3:4]
	s_waitcnt lgkmcnt(0)
	s_delay_alu instid0(VALU_DEP_1)
	v_fma_f64 v[3:4], v[149:150], v[159:160], v[3:4]
	scratch_load_b128 v[147:150], off, off offset:312
	s_waitcnt vmcnt(4)
	;; [unrolled: 13-line block ×7, first 2 shown]
	v_fma_f64 v[3:4], v[151:152], v[161:162], v[3:4]
	ds_load_b128 v[155:158], v134 offset:928
	ds_load_b128 v[159:162], v134 offset:944
	s_waitcnt lgkmcnt(1)
	v_fma_f64 v[3:4], v[153:154], v[155:156], v[3:4]
	scratch_load_b128 v[151:154], off, off offset:488
	s_waitcnt vmcnt(4)
	v_fma_f64 v[3:4], v[135:136], v[157:158], v[3:4]
	s_waitcnt lgkmcnt(0)
	s_delay_alu instid0(VALU_DEP_1)
	v_fma_f64 v[3:4], v[137:138], v[159:160], v[3:4]
	scratch_load_b64 v[159:160], off, off offset:504
	ds_load_b128 v[135:138], v134 offset:960
	ds_load_b128 v[155:158], v134 offset:976
	s_waitcnt vmcnt(4)
	v_fma_f64 v[3:4], v[139:140], v[161:162], v[3:4]
	s_waitcnt lgkmcnt(1)
	s_delay_alu instid0(VALU_DEP_1) | instskip(SKIP_1) | instid1(VALU_DEP_1)
	v_fma_f64 v[3:4], v[141:142], v[135:136], v[3:4]
	s_waitcnt vmcnt(3)
	v_fma_f64 v[3:4], v[143:144], v[137:138], v[3:4]
	ds_load_b128 v[135:138], v134 offset:992
	ds_load_b128 v[139:142], v134 offset:1008
	s_waitcnt lgkmcnt(2)
	v_fma_f64 v[3:4], v[145:146], v[155:156], v[3:4]
	s_waitcnt vmcnt(2)
	s_delay_alu instid0(VALU_DEP_1) | instskip(SKIP_1) | instid1(VALU_DEP_1)
	v_fma_f64 v[3:4], v[147:148], v[157:158], v[3:4]
	s_waitcnt lgkmcnt(1)
	v_fma_f64 v[3:4], v[149:150], v[135:136], v[3:4]
	s_waitcnt vmcnt(1)
	s_delay_alu instid0(VALU_DEP_1) | instskip(SKIP_1) | instid1(VALU_DEP_1)
	v_fma_f64 v[3:4], v[151:152], v[137:138], v[3:4]
	s_waitcnt lgkmcnt(0)
	v_fma_f64 v[3:4], v[153:154], v[139:140], v[3:4]
	s_waitcnt vmcnt(0)
	s_delay_alu instid0(VALU_DEP_1) | instskip(NEXT) | instid1(VALU_DEP_1)
	v_fma_f64 v[3:4], v[159:160], v[141:142], v[3:4]
	v_add_f64 v[1:2], v[1:2], -v[3:4]
	scratch_store_b64 off, v[1:2], off offset:88
	v_cmpx_lt_u32_e32 10, v0
	s_cbranch_execz .LBB127_373
; %bb.372:
	scratch_load_b64 v[1:2], off, off offset:80
	v_mov_b32_e32 v3, 0
	s_delay_alu instid0(VALU_DEP_1)
	v_mov_b32_e32 v4, v3
	scratch_store_b64 off, v[3:4], off offset:80
	s_waitcnt vmcnt(0)
	ds_store_b64 v5, v[1:2]
.LBB127_373:
	s_or_b32 exec_lo, exec_lo, s0
	s_waitcnt lgkmcnt(0)
	s_waitcnt_vscnt null, 0x0
	s_barrier
	buffer_gl0_inv
	s_clause 0x4
	scratch_load_b128 v[1:4], off, off offset:80
	scratch_load_b128 v[135:138], off, off offset:96
	;; [unrolled: 1-line block ×5, first 2 shown]
	v_mov_b32_e32 v134, 0
	ds_load_2addr_b64 v[151:154], v134 offset0:75 offset1:76
	ds_load_2addr_b64 v[155:158], v134 offset0:77 offset1:78
	scratch_load_b128 v[159:162], off, off offset:160
	s_mov_b32 s0, exec_lo
	s_waitcnt vmcnt(5) lgkmcnt(1)
	v_fma_f64 v[3:4], v[3:4], v[151:152], 0
	s_waitcnt vmcnt(4)
	s_delay_alu instid0(VALU_DEP_1) | instskip(SKIP_1) | instid1(VALU_DEP_1)
	v_fma_f64 v[3:4], v[135:136], v[153:154], v[3:4]
	s_waitcnt lgkmcnt(0)
	v_fma_f64 v[3:4], v[137:138], v[155:156], v[3:4]
	scratch_load_b128 v[135:138], off, off offset:176
	s_waitcnt vmcnt(4)
	v_fma_f64 v[3:4], v[139:140], v[157:158], v[3:4]
	ds_load_2addr_b64 v[151:154], v134 offset0:79 offset1:80
	ds_load_2addr_b64 v[155:158], v134 offset0:81 offset1:82
	s_waitcnt lgkmcnt(1)
	v_fma_f64 v[3:4], v[141:142], v[151:152], v[3:4]
	scratch_load_b128 v[139:142], off, off offset:192
	s_waitcnt vmcnt(4)
	v_fma_f64 v[3:4], v[143:144], v[153:154], v[3:4]
	s_waitcnt lgkmcnt(0)
	s_delay_alu instid0(VALU_DEP_1)
	v_fma_f64 v[3:4], v[145:146], v[155:156], v[3:4]
	scratch_load_b128 v[143:146], off, off offset:208
	s_waitcnt vmcnt(4)
	v_fma_f64 v[3:4], v[147:148], v[157:158], v[3:4]
	ds_load_2addr_b64 v[151:154], v134 offset0:83 offset1:84
	ds_load_2addr_b64 v[155:158], v134 offset0:85 offset1:86
	s_waitcnt lgkmcnt(1)
	v_fma_f64 v[3:4], v[149:150], v[151:152], v[3:4]
	scratch_load_b128 v[147:150], off, off offset:224
	s_waitcnt vmcnt(4)
	v_fma_f64 v[3:4], v[159:160], v[153:154], v[3:4]
	scratch_load_b128 v[151:154], off, off offset:240
	s_waitcnt lgkmcnt(0)
	v_fma_f64 v[3:4], v[161:162], v[155:156], v[3:4]
	s_waitcnt vmcnt(4)
	s_delay_alu instid0(VALU_DEP_1)
	v_fma_f64 v[3:4], v[135:136], v[157:158], v[3:4]
	ds_load_2addr_b64 v[155:158], v134 offset0:87 offset1:88
	ds_load_2addr_b64 v[159:162], v134 offset0:89 offset1:90
	s_waitcnt lgkmcnt(1)
	v_fma_f64 v[3:4], v[137:138], v[155:156], v[3:4]
	scratch_load_b128 v[135:138], off, off offset:256
	s_waitcnt vmcnt(4)
	v_fma_f64 v[3:4], v[139:140], v[157:158], v[3:4]
	s_waitcnt lgkmcnt(0)
	s_delay_alu instid0(VALU_DEP_1)
	v_fma_f64 v[3:4], v[141:142], v[159:160], v[3:4]
	scratch_load_b128 v[139:142], off, off offset:272
	s_waitcnt vmcnt(4)
	v_fma_f64 v[3:4], v[143:144], v[161:162], v[3:4]
	ds_load_2addr_b64 v[155:158], v134 offset0:91 offset1:92
	ds_load_2addr_b64 v[159:162], v134 offset0:93 offset1:94
	s_waitcnt lgkmcnt(1)
	v_fma_f64 v[3:4], v[145:146], v[155:156], v[3:4]
	scratch_load_b128 v[143:146], off, off offset:288
	s_waitcnt vmcnt(4)
	v_fma_f64 v[3:4], v[147:148], v[157:158], v[3:4]
	s_waitcnt lgkmcnt(0)
	s_delay_alu instid0(VALU_DEP_1)
	v_fma_f64 v[3:4], v[149:150], v[159:160], v[3:4]
	scratch_load_b128 v[147:150], off, off offset:304
	s_waitcnt vmcnt(4)
	;; [unrolled: 13-line block ×8, first 2 shown]
	v_fma_f64 v[3:4], v[139:140], v[161:162], v[3:4]
	ds_load_2addr_b64 v[155:158], v134 offset0:119 offset1:120
	ds_load_2addr_b64 v[159:162], v134 offset0:121 offset1:122
	s_waitcnt lgkmcnt(1)
	v_fma_f64 v[3:4], v[141:142], v[155:156], v[3:4]
	s_waitcnt vmcnt(3)
	s_delay_alu instid0(VALU_DEP_1) | instskip(SKIP_1) | instid1(VALU_DEP_1)
	v_fma_f64 v[3:4], v[143:144], v[157:158], v[3:4]
	s_waitcnt lgkmcnt(0)
	v_fma_f64 v[3:4], v[145:146], v[159:160], v[3:4]
	ds_load_2addr_b64 v[139:142], v134 offset0:123 offset1:124
	ds_load_2addr_b64 v[143:146], v134 offset0:125 offset1:126
	s_waitcnt vmcnt(2)
	v_fma_f64 v[3:4], v[147:148], v[161:162], v[3:4]
	s_waitcnt lgkmcnt(1)
	s_delay_alu instid0(VALU_DEP_1) | instskip(SKIP_1) | instid1(VALU_DEP_1)
	v_fma_f64 v[3:4], v[149:150], v[139:140], v[3:4]
	s_waitcnt vmcnt(1)
	v_fma_f64 v[3:4], v[151:152], v[141:142], v[3:4]
	s_waitcnt lgkmcnt(0)
	s_delay_alu instid0(VALU_DEP_1) | instskip(SKIP_1) | instid1(VALU_DEP_1)
	v_fma_f64 v[3:4], v[153:154], v[143:144], v[3:4]
	s_waitcnt vmcnt(0)
	v_fma_f64 v[3:4], v[135:136], v[145:146], v[3:4]
	ds_load_b64 v[135:136], v134 offset:1016
	s_waitcnt lgkmcnt(0)
	v_fma_f64 v[3:4], v[137:138], v[135:136], v[3:4]
	s_delay_alu instid0(VALU_DEP_1)
	v_add_f64 v[1:2], v[1:2], -v[3:4]
	scratch_store_b64 off, v[1:2], off offset:80
	v_cmpx_lt_u32_e32 9, v0
	s_cbranch_execz .LBB127_375
; %bb.374:
	scratch_load_b64 v[1:2], off, off offset:72
	v_mov_b32_e32 v135, v134
	scratch_store_b64 off, v[134:135], off offset:72
	s_waitcnt vmcnt(0)
	ds_store_b64 v5, v[1:2]
.LBB127_375:
	s_or_b32 exec_lo, exec_lo, s0
	s_waitcnt lgkmcnt(0)
	s_waitcnt_vscnt null, 0x0
	s_barrier
	buffer_gl0_inv
	s_clause 0x4
	scratch_load_b128 v[1:4], off, off offset:72
	scratch_load_b128 v[135:138], off, off offset:88
	;; [unrolled: 1-line block ×5, first 2 shown]
	ds_load_b128 v[151:154], v134 offset:592
	ds_load_b128 v[155:158], v134 offset:608
	scratch_load_b128 v[159:162], off, off offset:152
	s_mov_b32 s0, exec_lo
	s_waitcnt vmcnt(5) lgkmcnt(1)
	v_fma_f64 v[3:4], v[3:4], v[151:152], 0
	s_waitcnt vmcnt(4)
	s_delay_alu instid0(VALU_DEP_1) | instskip(SKIP_1) | instid1(VALU_DEP_1)
	v_fma_f64 v[3:4], v[135:136], v[153:154], v[3:4]
	s_waitcnt lgkmcnt(0)
	v_fma_f64 v[3:4], v[137:138], v[155:156], v[3:4]
	scratch_load_b128 v[135:138], off, off offset:168
	s_waitcnt vmcnt(4)
	v_fma_f64 v[3:4], v[139:140], v[157:158], v[3:4]
	ds_load_b128 v[151:154], v134 offset:624
	ds_load_b128 v[155:158], v134 offset:640
	s_waitcnt lgkmcnt(1)
	v_fma_f64 v[3:4], v[141:142], v[151:152], v[3:4]
	scratch_load_b128 v[139:142], off, off offset:184
	s_waitcnt vmcnt(4)
	v_fma_f64 v[3:4], v[143:144], v[153:154], v[3:4]
	s_waitcnt lgkmcnt(0)
	s_delay_alu instid0(VALU_DEP_1)
	v_fma_f64 v[3:4], v[145:146], v[155:156], v[3:4]
	scratch_load_b128 v[143:146], off, off offset:200
	s_waitcnt vmcnt(4)
	v_fma_f64 v[3:4], v[147:148], v[157:158], v[3:4]
	ds_load_b128 v[151:154], v134 offset:656
	ds_load_b128 v[155:158], v134 offset:672
	s_waitcnt lgkmcnt(1)
	v_fma_f64 v[3:4], v[149:150], v[151:152], v[3:4]
	scratch_load_b128 v[147:150], off, off offset:216
	s_waitcnt vmcnt(4)
	v_fma_f64 v[3:4], v[159:160], v[153:154], v[3:4]
	scratch_load_b128 v[151:154], off, off offset:232
	s_waitcnt lgkmcnt(0)
	v_fma_f64 v[3:4], v[161:162], v[155:156], v[3:4]
	s_waitcnt vmcnt(4)
	s_delay_alu instid0(VALU_DEP_1)
	v_fma_f64 v[3:4], v[135:136], v[157:158], v[3:4]
	ds_load_b128 v[155:158], v134 offset:688
	ds_load_b128 v[159:162], v134 offset:704
	s_waitcnt lgkmcnt(1)
	v_fma_f64 v[3:4], v[137:138], v[155:156], v[3:4]
	scratch_load_b128 v[135:138], off, off offset:248
	s_waitcnt vmcnt(4)
	v_fma_f64 v[3:4], v[139:140], v[157:158], v[3:4]
	s_waitcnt lgkmcnt(0)
	s_delay_alu instid0(VALU_DEP_1)
	v_fma_f64 v[3:4], v[141:142], v[159:160], v[3:4]
	scratch_load_b128 v[139:142], off, off offset:264
	s_waitcnt vmcnt(4)
	v_fma_f64 v[3:4], v[143:144], v[161:162], v[3:4]
	ds_load_b128 v[155:158], v134 offset:720
	ds_load_b128 v[159:162], v134 offset:736
	s_waitcnt lgkmcnt(1)
	v_fma_f64 v[3:4], v[145:146], v[155:156], v[3:4]
	scratch_load_b128 v[143:146], off, off offset:280
	s_waitcnt vmcnt(4)
	v_fma_f64 v[3:4], v[147:148], v[157:158], v[3:4]
	s_waitcnt lgkmcnt(0)
	s_delay_alu instid0(VALU_DEP_1)
	v_fma_f64 v[3:4], v[149:150], v[159:160], v[3:4]
	scratch_load_b128 v[147:150], off, off offset:296
	s_waitcnt vmcnt(4)
	;; [unrolled: 13-line block ×8, first 2 shown]
	v_fma_f64 v[3:4], v[139:140], v[161:162], v[3:4]
	ds_load_b128 v[155:158], v134 offset:944
	ds_load_b128 v[159:162], v134 offset:960
	s_waitcnt lgkmcnt(1)
	v_fma_f64 v[3:4], v[141:142], v[155:156], v[3:4]
	scratch_load_b64 v[155:156], off, off offset:504
	s_waitcnt vmcnt(4)
	v_fma_f64 v[3:4], v[143:144], v[157:158], v[3:4]
	s_waitcnt lgkmcnt(0)
	s_delay_alu instid0(VALU_DEP_1)
	v_fma_f64 v[3:4], v[145:146], v[159:160], v[3:4]
	ds_load_b128 v[139:142], v134 offset:976
	ds_load_b128 v[143:146], v134 offset:992
	s_waitcnt vmcnt(3)
	v_fma_f64 v[3:4], v[147:148], v[161:162], v[3:4]
	s_waitcnt lgkmcnt(1)
	s_delay_alu instid0(VALU_DEP_1) | instskip(SKIP_1) | instid1(VALU_DEP_1)
	v_fma_f64 v[3:4], v[149:150], v[139:140], v[3:4]
	s_waitcnt vmcnt(2)
	v_fma_f64 v[3:4], v[151:152], v[141:142], v[3:4]
	ds_load_b128 v[139:142], v134 offset:1008
	s_waitcnt lgkmcnt(1)
	v_fma_f64 v[3:4], v[153:154], v[143:144], v[3:4]
	s_waitcnt vmcnt(1)
	s_delay_alu instid0(VALU_DEP_1) | instskip(SKIP_1) | instid1(VALU_DEP_1)
	v_fma_f64 v[3:4], v[135:136], v[145:146], v[3:4]
	s_waitcnt lgkmcnt(0)
	v_fma_f64 v[3:4], v[137:138], v[139:140], v[3:4]
	s_waitcnt vmcnt(0)
	s_delay_alu instid0(VALU_DEP_1) | instskip(NEXT) | instid1(VALU_DEP_1)
	v_fma_f64 v[3:4], v[155:156], v[141:142], v[3:4]
	v_add_f64 v[1:2], v[1:2], -v[3:4]
	scratch_store_b64 off, v[1:2], off offset:72
	v_cmpx_lt_u32_e32 8, v0
	s_cbranch_execz .LBB127_377
; %bb.376:
	scratch_load_b64 v[1:2], off, off offset:64
	v_mov_b32_e32 v3, 0
	s_delay_alu instid0(VALU_DEP_1)
	v_mov_b32_e32 v4, v3
	scratch_store_b64 off, v[3:4], off offset:64
	s_waitcnt vmcnt(0)
	ds_store_b64 v5, v[1:2]
.LBB127_377:
	s_or_b32 exec_lo, exec_lo, s0
	s_waitcnt lgkmcnt(0)
	s_waitcnt_vscnt null, 0x0
	s_barrier
	buffer_gl0_inv
	s_clause 0x4
	scratch_load_b128 v[1:4], off, off offset:64
	scratch_load_b128 v[135:138], off, off offset:80
	;; [unrolled: 1-line block ×5, first 2 shown]
	v_mov_b32_e32 v134, 0
	ds_load_2addr_b64 v[151:154], v134 offset0:73 offset1:74
	ds_load_2addr_b64 v[155:158], v134 offset0:75 offset1:76
	scratch_load_b128 v[159:162], off, off offset:144
	s_mov_b32 s0, exec_lo
	s_waitcnt vmcnt(5) lgkmcnt(1)
	v_fma_f64 v[3:4], v[3:4], v[151:152], 0
	s_waitcnt vmcnt(4)
	s_delay_alu instid0(VALU_DEP_1) | instskip(SKIP_1) | instid1(VALU_DEP_1)
	v_fma_f64 v[3:4], v[135:136], v[153:154], v[3:4]
	s_waitcnt lgkmcnt(0)
	v_fma_f64 v[3:4], v[137:138], v[155:156], v[3:4]
	scratch_load_b128 v[135:138], off, off offset:160
	s_waitcnt vmcnt(4)
	v_fma_f64 v[3:4], v[139:140], v[157:158], v[3:4]
	ds_load_2addr_b64 v[151:154], v134 offset0:77 offset1:78
	ds_load_2addr_b64 v[155:158], v134 offset0:79 offset1:80
	s_waitcnt lgkmcnt(1)
	v_fma_f64 v[3:4], v[141:142], v[151:152], v[3:4]
	scratch_load_b128 v[139:142], off, off offset:176
	s_waitcnt vmcnt(4)
	v_fma_f64 v[3:4], v[143:144], v[153:154], v[3:4]
	s_waitcnt lgkmcnt(0)
	s_delay_alu instid0(VALU_DEP_1)
	v_fma_f64 v[3:4], v[145:146], v[155:156], v[3:4]
	scratch_load_b128 v[143:146], off, off offset:192
	s_waitcnt vmcnt(4)
	v_fma_f64 v[3:4], v[147:148], v[157:158], v[3:4]
	ds_load_2addr_b64 v[151:154], v134 offset0:81 offset1:82
	ds_load_2addr_b64 v[155:158], v134 offset0:83 offset1:84
	s_waitcnt lgkmcnt(1)
	v_fma_f64 v[3:4], v[149:150], v[151:152], v[3:4]
	scratch_load_b128 v[147:150], off, off offset:208
	s_waitcnt vmcnt(4)
	v_fma_f64 v[3:4], v[159:160], v[153:154], v[3:4]
	scratch_load_b128 v[151:154], off, off offset:224
	s_waitcnt lgkmcnt(0)
	v_fma_f64 v[3:4], v[161:162], v[155:156], v[3:4]
	s_waitcnt vmcnt(4)
	s_delay_alu instid0(VALU_DEP_1)
	v_fma_f64 v[3:4], v[135:136], v[157:158], v[3:4]
	ds_load_2addr_b64 v[155:158], v134 offset0:85 offset1:86
	ds_load_2addr_b64 v[159:162], v134 offset0:87 offset1:88
	s_waitcnt lgkmcnt(1)
	v_fma_f64 v[3:4], v[137:138], v[155:156], v[3:4]
	scratch_load_b128 v[135:138], off, off offset:240
	s_waitcnt vmcnt(4)
	v_fma_f64 v[3:4], v[139:140], v[157:158], v[3:4]
	s_waitcnt lgkmcnt(0)
	s_delay_alu instid0(VALU_DEP_1)
	v_fma_f64 v[3:4], v[141:142], v[159:160], v[3:4]
	scratch_load_b128 v[139:142], off, off offset:256
	s_waitcnt vmcnt(4)
	v_fma_f64 v[3:4], v[143:144], v[161:162], v[3:4]
	ds_load_2addr_b64 v[155:158], v134 offset0:89 offset1:90
	ds_load_2addr_b64 v[159:162], v134 offset0:91 offset1:92
	s_waitcnt lgkmcnt(1)
	v_fma_f64 v[3:4], v[145:146], v[155:156], v[3:4]
	scratch_load_b128 v[143:146], off, off offset:272
	s_waitcnt vmcnt(4)
	v_fma_f64 v[3:4], v[147:148], v[157:158], v[3:4]
	s_waitcnt lgkmcnt(0)
	s_delay_alu instid0(VALU_DEP_1)
	v_fma_f64 v[3:4], v[149:150], v[159:160], v[3:4]
	scratch_load_b128 v[147:150], off, off offset:288
	s_waitcnt vmcnt(4)
	;; [unrolled: 13-line block ×8, first 2 shown]
	v_fma_f64 v[3:4], v[139:140], v[161:162], v[3:4]
	ds_load_2addr_b64 v[155:158], v134 offset0:117 offset1:118
	ds_load_2addr_b64 v[159:162], v134 offset0:119 offset1:120
	s_waitcnt lgkmcnt(1)
	v_fma_f64 v[3:4], v[141:142], v[155:156], v[3:4]
	scratch_load_b128 v[139:142], off, off offset:496
	s_waitcnt vmcnt(4)
	v_fma_f64 v[3:4], v[143:144], v[157:158], v[3:4]
	s_waitcnt lgkmcnt(0)
	s_delay_alu instid0(VALU_DEP_1)
	v_fma_f64 v[3:4], v[145:146], v[159:160], v[3:4]
	ds_load_2addr_b64 v[143:146], v134 offset0:121 offset1:122
	ds_load_2addr_b64 v[155:158], v134 offset0:123 offset1:124
	s_waitcnt vmcnt(3)
	v_fma_f64 v[3:4], v[147:148], v[161:162], v[3:4]
	s_waitcnt lgkmcnt(1)
	s_delay_alu instid0(VALU_DEP_1) | instskip(SKIP_1) | instid1(VALU_DEP_1)
	v_fma_f64 v[3:4], v[149:150], v[143:144], v[3:4]
	s_waitcnt vmcnt(2)
	v_fma_f64 v[3:4], v[151:152], v[145:146], v[3:4]
	s_waitcnt lgkmcnt(0)
	s_delay_alu instid0(VALU_DEP_1) | instskip(SKIP_1) | instid1(VALU_DEP_1)
	v_fma_f64 v[3:4], v[153:154], v[155:156], v[3:4]
	s_waitcnt vmcnt(1)
	v_fma_f64 v[3:4], v[135:136], v[157:158], v[3:4]
	ds_load_2addr_b64 v[143:146], v134 offset0:125 offset1:126
	ds_load_b64 v[135:136], v134 offset:1016
	s_waitcnt lgkmcnt(1)
	v_fma_f64 v[3:4], v[137:138], v[143:144], v[3:4]
	s_waitcnt vmcnt(0)
	s_delay_alu instid0(VALU_DEP_1) | instskip(SKIP_1) | instid1(VALU_DEP_1)
	v_fma_f64 v[3:4], v[139:140], v[145:146], v[3:4]
	s_waitcnt lgkmcnt(0)
	v_fma_f64 v[3:4], v[141:142], v[135:136], v[3:4]
	s_delay_alu instid0(VALU_DEP_1)
	v_add_f64 v[1:2], v[1:2], -v[3:4]
	scratch_store_b64 off, v[1:2], off offset:64
	v_cmpx_lt_u32_e32 7, v0
	s_cbranch_execz .LBB127_379
; %bb.378:
	scratch_load_b64 v[1:2], off, off offset:56
	v_mov_b32_e32 v135, v134
	scratch_store_b64 off, v[134:135], off offset:56
	s_waitcnt vmcnt(0)
	ds_store_b64 v5, v[1:2]
.LBB127_379:
	s_or_b32 exec_lo, exec_lo, s0
	s_waitcnt lgkmcnt(0)
	s_waitcnt_vscnt null, 0x0
	s_barrier
	buffer_gl0_inv
	s_clause 0x4
	scratch_load_b128 v[1:4], off, off offset:56
	scratch_load_b128 v[135:138], off, off offset:72
	;; [unrolled: 1-line block ×5, first 2 shown]
	ds_load_b128 v[151:154], v134 offset:576
	ds_load_b128 v[155:158], v134 offset:592
	scratch_load_b128 v[159:162], off, off offset:136
	s_mov_b32 s0, exec_lo
	s_waitcnt vmcnt(5) lgkmcnt(1)
	v_fma_f64 v[3:4], v[3:4], v[151:152], 0
	s_waitcnt vmcnt(4)
	s_delay_alu instid0(VALU_DEP_1) | instskip(SKIP_1) | instid1(VALU_DEP_1)
	v_fma_f64 v[3:4], v[135:136], v[153:154], v[3:4]
	s_waitcnt lgkmcnt(0)
	v_fma_f64 v[3:4], v[137:138], v[155:156], v[3:4]
	scratch_load_b128 v[135:138], off, off offset:152
	s_waitcnt vmcnt(4)
	v_fma_f64 v[3:4], v[139:140], v[157:158], v[3:4]
	ds_load_b128 v[151:154], v134 offset:608
	ds_load_b128 v[155:158], v134 offset:624
	s_waitcnt lgkmcnt(1)
	v_fma_f64 v[3:4], v[141:142], v[151:152], v[3:4]
	scratch_load_b128 v[139:142], off, off offset:168
	s_waitcnt vmcnt(4)
	v_fma_f64 v[3:4], v[143:144], v[153:154], v[3:4]
	s_waitcnt lgkmcnt(0)
	s_delay_alu instid0(VALU_DEP_1)
	v_fma_f64 v[3:4], v[145:146], v[155:156], v[3:4]
	scratch_load_b128 v[143:146], off, off offset:184
	s_waitcnt vmcnt(4)
	v_fma_f64 v[3:4], v[147:148], v[157:158], v[3:4]
	ds_load_b128 v[151:154], v134 offset:640
	ds_load_b128 v[155:158], v134 offset:656
	s_waitcnt lgkmcnt(1)
	v_fma_f64 v[3:4], v[149:150], v[151:152], v[3:4]
	scratch_load_b128 v[147:150], off, off offset:200
	s_waitcnt vmcnt(4)
	v_fma_f64 v[3:4], v[159:160], v[153:154], v[3:4]
	scratch_load_b128 v[151:154], off, off offset:216
	s_waitcnt lgkmcnt(0)
	v_fma_f64 v[3:4], v[161:162], v[155:156], v[3:4]
	s_waitcnt vmcnt(4)
	s_delay_alu instid0(VALU_DEP_1)
	v_fma_f64 v[3:4], v[135:136], v[157:158], v[3:4]
	ds_load_b128 v[155:158], v134 offset:672
	ds_load_b128 v[159:162], v134 offset:688
	s_waitcnt lgkmcnt(1)
	v_fma_f64 v[3:4], v[137:138], v[155:156], v[3:4]
	scratch_load_b128 v[135:138], off, off offset:232
	s_waitcnt vmcnt(4)
	v_fma_f64 v[3:4], v[139:140], v[157:158], v[3:4]
	s_waitcnt lgkmcnt(0)
	s_delay_alu instid0(VALU_DEP_1)
	v_fma_f64 v[3:4], v[141:142], v[159:160], v[3:4]
	scratch_load_b128 v[139:142], off, off offset:248
	s_waitcnt vmcnt(4)
	v_fma_f64 v[3:4], v[143:144], v[161:162], v[3:4]
	ds_load_b128 v[155:158], v134 offset:704
	ds_load_b128 v[159:162], v134 offset:720
	s_waitcnt lgkmcnt(1)
	v_fma_f64 v[3:4], v[145:146], v[155:156], v[3:4]
	scratch_load_b128 v[143:146], off, off offset:264
	s_waitcnt vmcnt(4)
	v_fma_f64 v[3:4], v[147:148], v[157:158], v[3:4]
	s_waitcnt lgkmcnt(0)
	s_delay_alu instid0(VALU_DEP_1)
	v_fma_f64 v[3:4], v[149:150], v[159:160], v[3:4]
	scratch_load_b128 v[147:150], off, off offset:280
	s_waitcnt vmcnt(4)
	;; [unrolled: 13-line block ×8, first 2 shown]
	v_fma_f64 v[3:4], v[139:140], v[161:162], v[3:4]
	ds_load_b128 v[155:158], v134 offset:928
	ds_load_b128 v[159:162], v134 offset:944
	s_waitcnt lgkmcnt(1)
	v_fma_f64 v[3:4], v[141:142], v[155:156], v[3:4]
	scratch_load_b128 v[139:142], off, off offset:488
	s_waitcnt vmcnt(4)
	v_fma_f64 v[3:4], v[143:144], v[157:158], v[3:4]
	s_waitcnt lgkmcnt(0)
	s_delay_alu instid0(VALU_DEP_1)
	v_fma_f64 v[3:4], v[145:146], v[159:160], v[3:4]
	scratch_load_b64 v[159:160], off, off offset:504
	ds_load_b128 v[143:146], v134 offset:960
	ds_load_b128 v[155:158], v134 offset:976
	s_waitcnt vmcnt(4)
	v_fma_f64 v[3:4], v[147:148], v[161:162], v[3:4]
	s_waitcnt lgkmcnt(1)
	s_delay_alu instid0(VALU_DEP_1) | instskip(SKIP_1) | instid1(VALU_DEP_1)
	v_fma_f64 v[3:4], v[149:150], v[143:144], v[3:4]
	s_waitcnt vmcnt(3)
	v_fma_f64 v[3:4], v[151:152], v[145:146], v[3:4]
	ds_load_b128 v[143:146], v134 offset:992
	ds_load_b128 v[147:150], v134 offset:1008
	s_waitcnt lgkmcnt(2)
	v_fma_f64 v[3:4], v[153:154], v[155:156], v[3:4]
	s_waitcnt vmcnt(2)
	s_delay_alu instid0(VALU_DEP_1) | instskip(SKIP_1) | instid1(VALU_DEP_1)
	v_fma_f64 v[3:4], v[135:136], v[157:158], v[3:4]
	s_waitcnt lgkmcnt(1)
	v_fma_f64 v[3:4], v[137:138], v[143:144], v[3:4]
	s_waitcnt vmcnt(1)
	s_delay_alu instid0(VALU_DEP_1) | instskip(SKIP_1) | instid1(VALU_DEP_1)
	v_fma_f64 v[3:4], v[139:140], v[145:146], v[3:4]
	s_waitcnt lgkmcnt(0)
	v_fma_f64 v[3:4], v[141:142], v[147:148], v[3:4]
	s_waitcnt vmcnt(0)
	s_delay_alu instid0(VALU_DEP_1) | instskip(NEXT) | instid1(VALU_DEP_1)
	v_fma_f64 v[3:4], v[159:160], v[149:150], v[3:4]
	v_add_f64 v[1:2], v[1:2], -v[3:4]
	scratch_store_b64 off, v[1:2], off offset:56
	v_cmpx_lt_u32_e32 6, v0
	s_cbranch_execz .LBB127_381
; %bb.380:
	scratch_load_b64 v[1:2], off, off offset:48
	v_mov_b32_e32 v3, 0
	s_delay_alu instid0(VALU_DEP_1)
	v_mov_b32_e32 v4, v3
	scratch_store_b64 off, v[3:4], off offset:48
	s_waitcnt vmcnt(0)
	ds_store_b64 v5, v[1:2]
.LBB127_381:
	s_or_b32 exec_lo, exec_lo, s0
	s_waitcnt lgkmcnt(0)
	s_waitcnt_vscnt null, 0x0
	s_barrier
	buffer_gl0_inv
	s_clause 0x4
	scratch_load_b128 v[1:4], off, off offset:48
	scratch_load_b128 v[135:138], off, off offset:64
	;; [unrolled: 1-line block ×5, first 2 shown]
	v_mov_b32_e32 v134, 0
	ds_load_2addr_b64 v[151:154], v134 offset0:71 offset1:72
	ds_load_2addr_b64 v[155:158], v134 offset0:73 offset1:74
	scratch_load_b128 v[159:162], off, off offset:128
	s_mov_b32 s0, exec_lo
	s_waitcnt vmcnt(5) lgkmcnt(1)
	v_fma_f64 v[3:4], v[3:4], v[151:152], 0
	s_waitcnt vmcnt(4)
	s_delay_alu instid0(VALU_DEP_1) | instskip(SKIP_1) | instid1(VALU_DEP_1)
	v_fma_f64 v[3:4], v[135:136], v[153:154], v[3:4]
	s_waitcnt lgkmcnt(0)
	v_fma_f64 v[3:4], v[137:138], v[155:156], v[3:4]
	scratch_load_b128 v[135:138], off, off offset:144
	s_waitcnt vmcnt(4)
	v_fma_f64 v[3:4], v[139:140], v[157:158], v[3:4]
	ds_load_2addr_b64 v[151:154], v134 offset0:75 offset1:76
	ds_load_2addr_b64 v[155:158], v134 offset0:77 offset1:78
	s_waitcnt lgkmcnt(1)
	v_fma_f64 v[3:4], v[141:142], v[151:152], v[3:4]
	scratch_load_b128 v[139:142], off, off offset:160
	s_waitcnt vmcnt(4)
	v_fma_f64 v[3:4], v[143:144], v[153:154], v[3:4]
	s_waitcnt lgkmcnt(0)
	s_delay_alu instid0(VALU_DEP_1)
	v_fma_f64 v[3:4], v[145:146], v[155:156], v[3:4]
	scratch_load_b128 v[143:146], off, off offset:176
	s_waitcnt vmcnt(4)
	v_fma_f64 v[3:4], v[147:148], v[157:158], v[3:4]
	ds_load_2addr_b64 v[151:154], v134 offset0:79 offset1:80
	ds_load_2addr_b64 v[155:158], v134 offset0:81 offset1:82
	s_waitcnt lgkmcnt(1)
	v_fma_f64 v[3:4], v[149:150], v[151:152], v[3:4]
	scratch_load_b128 v[147:150], off, off offset:192
	s_waitcnt vmcnt(4)
	v_fma_f64 v[3:4], v[159:160], v[153:154], v[3:4]
	scratch_load_b128 v[151:154], off, off offset:208
	s_waitcnt lgkmcnt(0)
	v_fma_f64 v[3:4], v[161:162], v[155:156], v[3:4]
	s_waitcnt vmcnt(4)
	s_delay_alu instid0(VALU_DEP_1)
	v_fma_f64 v[3:4], v[135:136], v[157:158], v[3:4]
	ds_load_2addr_b64 v[155:158], v134 offset0:83 offset1:84
	ds_load_2addr_b64 v[159:162], v134 offset0:85 offset1:86
	s_waitcnt lgkmcnt(1)
	v_fma_f64 v[3:4], v[137:138], v[155:156], v[3:4]
	scratch_load_b128 v[135:138], off, off offset:224
	s_waitcnt vmcnt(4)
	v_fma_f64 v[3:4], v[139:140], v[157:158], v[3:4]
	s_waitcnt lgkmcnt(0)
	s_delay_alu instid0(VALU_DEP_1)
	v_fma_f64 v[3:4], v[141:142], v[159:160], v[3:4]
	scratch_load_b128 v[139:142], off, off offset:240
	s_waitcnt vmcnt(4)
	v_fma_f64 v[3:4], v[143:144], v[161:162], v[3:4]
	ds_load_2addr_b64 v[155:158], v134 offset0:87 offset1:88
	ds_load_2addr_b64 v[159:162], v134 offset0:89 offset1:90
	s_waitcnt lgkmcnt(1)
	v_fma_f64 v[3:4], v[145:146], v[155:156], v[3:4]
	scratch_load_b128 v[143:146], off, off offset:256
	s_waitcnt vmcnt(4)
	v_fma_f64 v[3:4], v[147:148], v[157:158], v[3:4]
	s_waitcnt lgkmcnt(0)
	s_delay_alu instid0(VALU_DEP_1)
	v_fma_f64 v[3:4], v[149:150], v[159:160], v[3:4]
	scratch_load_b128 v[147:150], off, off offset:272
	s_waitcnt vmcnt(4)
	;; [unrolled: 13-line block ×9, first 2 shown]
	v_fma_f64 v[3:4], v[147:148], v[161:162], v[3:4]
	ds_load_2addr_b64 v[155:158], v134 offset0:119 offset1:120
	ds_load_2addr_b64 v[159:162], v134 offset0:121 offset1:122
	s_waitcnt lgkmcnt(1)
	v_fma_f64 v[3:4], v[149:150], v[155:156], v[3:4]
	s_waitcnt vmcnt(3)
	s_delay_alu instid0(VALU_DEP_1) | instskip(SKIP_1) | instid1(VALU_DEP_1)
	v_fma_f64 v[3:4], v[151:152], v[157:158], v[3:4]
	s_waitcnt lgkmcnt(0)
	v_fma_f64 v[3:4], v[153:154], v[159:160], v[3:4]
	ds_load_2addr_b64 v[147:150], v134 offset0:123 offset1:124
	ds_load_2addr_b64 v[151:154], v134 offset0:125 offset1:126
	s_waitcnt vmcnt(2)
	v_fma_f64 v[3:4], v[135:136], v[161:162], v[3:4]
	ds_load_b64 v[135:136], v134 offset:1016
	s_waitcnt lgkmcnt(2)
	v_fma_f64 v[3:4], v[137:138], v[147:148], v[3:4]
	s_waitcnt vmcnt(1)
	s_delay_alu instid0(VALU_DEP_1) | instskip(SKIP_1) | instid1(VALU_DEP_1)
	v_fma_f64 v[3:4], v[139:140], v[149:150], v[3:4]
	s_waitcnt lgkmcnt(1)
	v_fma_f64 v[3:4], v[141:142], v[151:152], v[3:4]
	s_waitcnt vmcnt(0)
	s_delay_alu instid0(VALU_DEP_1) | instskip(SKIP_1) | instid1(VALU_DEP_1)
	v_fma_f64 v[3:4], v[143:144], v[153:154], v[3:4]
	s_waitcnt lgkmcnt(0)
	v_fma_f64 v[3:4], v[145:146], v[135:136], v[3:4]
	s_delay_alu instid0(VALU_DEP_1)
	v_add_f64 v[1:2], v[1:2], -v[3:4]
	scratch_store_b64 off, v[1:2], off offset:48
	v_cmpx_lt_u32_e32 5, v0
	s_cbranch_execz .LBB127_383
; %bb.382:
	scratch_load_b64 v[1:2], off, off offset:40
	v_mov_b32_e32 v135, v134
	scratch_store_b64 off, v[134:135], off offset:40
	s_waitcnt vmcnt(0)
	ds_store_b64 v5, v[1:2]
.LBB127_383:
	s_or_b32 exec_lo, exec_lo, s0
	s_waitcnt lgkmcnt(0)
	s_waitcnt_vscnt null, 0x0
	s_barrier
	buffer_gl0_inv
	s_clause 0x4
	scratch_load_b128 v[1:4], off, off offset:40
	scratch_load_b128 v[135:138], off, off offset:56
	;; [unrolled: 1-line block ×5, first 2 shown]
	ds_load_b128 v[151:154], v134 offset:560
	ds_load_b128 v[155:158], v134 offset:576
	scratch_load_b128 v[159:162], off, off offset:120
	s_mov_b32 s0, exec_lo
	s_waitcnt vmcnt(5) lgkmcnt(1)
	v_fma_f64 v[3:4], v[3:4], v[151:152], 0
	s_waitcnt vmcnt(4)
	s_delay_alu instid0(VALU_DEP_1) | instskip(SKIP_1) | instid1(VALU_DEP_1)
	v_fma_f64 v[3:4], v[135:136], v[153:154], v[3:4]
	s_waitcnt lgkmcnt(0)
	v_fma_f64 v[3:4], v[137:138], v[155:156], v[3:4]
	scratch_load_b128 v[135:138], off, off offset:136
	s_waitcnt vmcnt(4)
	v_fma_f64 v[3:4], v[139:140], v[157:158], v[3:4]
	ds_load_b128 v[151:154], v134 offset:592
	ds_load_b128 v[155:158], v134 offset:608
	s_waitcnt lgkmcnt(1)
	v_fma_f64 v[3:4], v[141:142], v[151:152], v[3:4]
	scratch_load_b128 v[139:142], off, off offset:152
	s_waitcnt vmcnt(4)
	v_fma_f64 v[3:4], v[143:144], v[153:154], v[3:4]
	s_waitcnt lgkmcnt(0)
	s_delay_alu instid0(VALU_DEP_1)
	v_fma_f64 v[3:4], v[145:146], v[155:156], v[3:4]
	scratch_load_b128 v[143:146], off, off offset:168
	s_waitcnt vmcnt(4)
	v_fma_f64 v[3:4], v[147:148], v[157:158], v[3:4]
	ds_load_b128 v[151:154], v134 offset:624
	ds_load_b128 v[155:158], v134 offset:640
	s_waitcnt lgkmcnt(1)
	v_fma_f64 v[3:4], v[149:150], v[151:152], v[3:4]
	scratch_load_b128 v[147:150], off, off offset:184
	s_waitcnt vmcnt(4)
	v_fma_f64 v[3:4], v[159:160], v[153:154], v[3:4]
	scratch_load_b128 v[151:154], off, off offset:200
	s_waitcnt lgkmcnt(0)
	v_fma_f64 v[3:4], v[161:162], v[155:156], v[3:4]
	s_waitcnt vmcnt(4)
	s_delay_alu instid0(VALU_DEP_1)
	v_fma_f64 v[3:4], v[135:136], v[157:158], v[3:4]
	ds_load_b128 v[155:158], v134 offset:656
	ds_load_b128 v[159:162], v134 offset:672
	s_waitcnt lgkmcnt(1)
	v_fma_f64 v[3:4], v[137:138], v[155:156], v[3:4]
	scratch_load_b128 v[135:138], off, off offset:216
	s_waitcnt vmcnt(4)
	v_fma_f64 v[3:4], v[139:140], v[157:158], v[3:4]
	s_waitcnt lgkmcnt(0)
	s_delay_alu instid0(VALU_DEP_1)
	v_fma_f64 v[3:4], v[141:142], v[159:160], v[3:4]
	scratch_load_b128 v[139:142], off, off offset:232
	s_waitcnt vmcnt(4)
	v_fma_f64 v[3:4], v[143:144], v[161:162], v[3:4]
	ds_load_b128 v[155:158], v134 offset:688
	ds_load_b128 v[159:162], v134 offset:704
	s_waitcnt lgkmcnt(1)
	v_fma_f64 v[3:4], v[145:146], v[155:156], v[3:4]
	scratch_load_b128 v[143:146], off, off offset:248
	s_waitcnt vmcnt(4)
	v_fma_f64 v[3:4], v[147:148], v[157:158], v[3:4]
	s_waitcnt lgkmcnt(0)
	s_delay_alu instid0(VALU_DEP_1)
	v_fma_f64 v[3:4], v[149:150], v[159:160], v[3:4]
	scratch_load_b128 v[147:150], off, off offset:264
	s_waitcnt vmcnt(4)
	;; [unrolled: 13-line block ×9, first 2 shown]
	v_fma_f64 v[3:4], v[147:148], v[161:162], v[3:4]
	ds_load_b128 v[155:158], v134 offset:944
	ds_load_b128 v[159:162], v134 offset:960
	s_waitcnt lgkmcnt(1)
	v_fma_f64 v[3:4], v[149:150], v[155:156], v[3:4]
	scratch_load_b64 v[155:156], off, off offset:504
	s_waitcnt vmcnt(4)
	v_fma_f64 v[3:4], v[151:152], v[157:158], v[3:4]
	s_waitcnt lgkmcnt(0)
	s_delay_alu instid0(VALU_DEP_1)
	v_fma_f64 v[3:4], v[153:154], v[159:160], v[3:4]
	ds_load_b128 v[147:150], v134 offset:976
	ds_load_b128 v[151:154], v134 offset:992
	s_waitcnt vmcnt(3)
	v_fma_f64 v[3:4], v[135:136], v[161:162], v[3:4]
	s_waitcnt lgkmcnt(1)
	s_delay_alu instid0(VALU_DEP_1) | instskip(SKIP_4) | instid1(VALU_DEP_1)
	v_fma_f64 v[3:4], v[137:138], v[147:148], v[3:4]
	ds_load_b128 v[134:137], v134 offset:1008
	s_waitcnt vmcnt(2)
	v_fma_f64 v[3:4], v[139:140], v[149:150], v[3:4]
	s_waitcnt lgkmcnt(1)
	v_fma_f64 v[3:4], v[141:142], v[151:152], v[3:4]
	s_waitcnt vmcnt(1)
	s_delay_alu instid0(VALU_DEP_1) | instskip(SKIP_1) | instid1(VALU_DEP_1)
	v_fma_f64 v[3:4], v[143:144], v[153:154], v[3:4]
	s_waitcnt lgkmcnt(0)
	v_fma_f64 v[3:4], v[145:146], v[134:135], v[3:4]
	s_waitcnt vmcnt(0)
	s_delay_alu instid0(VALU_DEP_1) | instskip(NEXT) | instid1(VALU_DEP_1)
	v_fma_f64 v[3:4], v[155:156], v[136:137], v[3:4]
	v_add_f64 v[1:2], v[1:2], -v[3:4]
	scratch_store_b64 off, v[1:2], off offset:40
	v_cmpx_lt_u32_e32 4, v0
	s_cbranch_execz .LBB127_385
; %bb.384:
	scratch_load_b64 v[1:2], off, off offset:32
	v_mov_b32_e32 v3, 0
	s_delay_alu instid0(VALU_DEP_1)
	v_mov_b32_e32 v4, v3
	scratch_store_b64 off, v[3:4], off offset:32
	s_waitcnt vmcnt(0)
	ds_store_b64 v5, v[1:2]
.LBB127_385:
	s_or_b32 exec_lo, exec_lo, s0
	s_waitcnt lgkmcnt(0)
	s_waitcnt_vscnt null, 0x0
	s_barrier
	buffer_gl0_inv
	s_clause 0x4
	scratch_load_b128 v[1:4], off, off offset:32
	scratch_load_b128 v[135:138], off, off offset:48
	;; [unrolled: 1-line block ×5, first 2 shown]
	v_mov_b32_e32 v134, 0
	ds_load_2addr_b64 v[151:154], v134 offset0:69 offset1:70
	ds_load_2addr_b64 v[155:158], v134 offset0:71 offset1:72
	scratch_load_b128 v[159:162], off, off offset:112
	s_mov_b32 s0, exec_lo
	s_waitcnt vmcnt(5) lgkmcnt(1)
	v_fma_f64 v[3:4], v[3:4], v[151:152], 0
	s_waitcnt vmcnt(4)
	s_delay_alu instid0(VALU_DEP_1) | instskip(SKIP_1) | instid1(VALU_DEP_1)
	v_fma_f64 v[3:4], v[135:136], v[153:154], v[3:4]
	s_waitcnt lgkmcnt(0)
	v_fma_f64 v[3:4], v[137:138], v[155:156], v[3:4]
	scratch_load_b128 v[135:138], off, off offset:128
	s_waitcnt vmcnt(4)
	v_fma_f64 v[3:4], v[139:140], v[157:158], v[3:4]
	ds_load_2addr_b64 v[151:154], v134 offset0:73 offset1:74
	ds_load_2addr_b64 v[155:158], v134 offset0:75 offset1:76
	s_waitcnt lgkmcnt(1)
	v_fma_f64 v[3:4], v[141:142], v[151:152], v[3:4]
	scratch_load_b128 v[139:142], off, off offset:144
	s_waitcnt vmcnt(4)
	v_fma_f64 v[3:4], v[143:144], v[153:154], v[3:4]
	s_waitcnt lgkmcnt(0)
	s_delay_alu instid0(VALU_DEP_1)
	v_fma_f64 v[3:4], v[145:146], v[155:156], v[3:4]
	scratch_load_b128 v[143:146], off, off offset:160
	s_waitcnt vmcnt(4)
	v_fma_f64 v[3:4], v[147:148], v[157:158], v[3:4]
	ds_load_2addr_b64 v[151:154], v134 offset0:77 offset1:78
	ds_load_2addr_b64 v[155:158], v134 offset0:79 offset1:80
	s_waitcnt lgkmcnt(1)
	v_fma_f64 v[3:4], v[149:150], v[151:152], v[3:4]
	scratch_load_b128 v[147:150], off, off offset:176
	s_waitcnt vmcnt(4)
	v_fma_f64 v[3:4], v[159:160], v[153:154], v[3:4]
	scratch_load_b128 v[151:154], off, off offset:192
	s_waitcnt lgkmcnt(0)
	v_fma_f64 v[3:4], v[161:162], v[155:156], v[3:4]
	s_waitcnt vmcnt(4)
	s_delay_alu instid0(VALU_DEP_1)
	v_fma_f64 v[3:4], v[135:136], v[157:158], v[3:4]
	ds_load_2addr_b64 v[155:158], v134 offset0:81 offset1:82
	ds_load_2addr_b64 v[159:162], v134 offset0:83 offset1:84
	s_waitcnt lgkmcnt(1)
	v_fma_f64 v[3:4], v[137:138], v[155:156], v[3:4]
	scratch_load_b128 v[135:138], off, off offset:208
	s_waitcnt vmcnt(4)
	v_fma_f64 v[3:4], v[139:140], v[157:158], v[3:4]
	s_waitcnt lgkmcnt(0)
	s_delay_alu instid0(VALU_DEP_1)
	v_fma_f64 v[3:4], v[141:142], v[159:160], v[3:4]
	scratch_load_b128 v[139:142], off, off offset:224
	s_waitcnt vmcnt(4)
	v_fma_f64 v[3:4], v[143:144], v[161:162], v[3:4]
	ds_load_2addr_b64 v[155:158], v134 offset0:85 offset1:86
	ds_load_2addr_b64 v[159:162], v134 offset0:87 offset1:88
	s_waitcnt lgkmcnt(1)
	v_fma_f64 v[3:4], v[145:146], v[155:156], v[3:4]
	scratch_load_b128 v[143:146], off, off offset:240
	s_waitcnt vmcnt(4)
	v_fma_f64 v[3:4], v[147:148], v[157:158], v[3:4]
	s_waitcnt lgkmcnt(0)
	s_delay_alu instid0(VALU_DEP_1)
	v_fma_f64 v[3:4], v[149:150], v[159:160], v[3:4]
	scratch_load_b128 v[147:150], off, off offset:256
	s_waitcnt vmcnt(4)
	;; [unrolled: 13-line block ×9, first 2 shown]
	v_fma_f64 v[3:4], v[147:148], v[161:162], v[3:4]
	ds_load_2addr_b64 v[155:158], v134 offset0:117 offset1:118
	ds_load_2addr_b64 v[159:162], v134 offset0:119 offset1:120
	s_waitcnt lgkmcnt(1)
	v_fma_f64 v[3:4], v[149:150], v[155:156], v[3:4]
	scratch_load_b128 v[147:150], off, off offset:496
	s_waitcnt vmcnt(4)
	v_fma_f64 v[3:4], v[151:152], v[157:158], v[3:4]
	s_waitcnt lgkmcnt(0)
	s_delay_alu instid0(VALU_DEP_1)
	v_fma_f64 v[3:4], v[153:154], v[159:160], v[3:4]
	ds_load_2addr_b64 v[151:154], v134 offset0:121 offset1:122
	ds_load_2addr_b64 v[155:158], v134 offset0:123 offset1:124
	s_waitcnt vmcnt(3)
	v_fma_f64 v[3:4], v[135:136], v[161:162], v[3:4]
	s_waitcnt lgkmcnt(1)
	s_delay_alu instid0(VALU_DEP_1) | instskip(SKIP_1) | instid1(VALU_DEP_1)
	v_fma_f64 v[3:4], v[137:138], v[151:152], v[3:4]
	s_waitcnt vmcnt(2)
	v_fma_f64 v[3:4], v[139:140], v[153:154], v[3:4]
	ds_load_2addr_b64 v[135:138], v134 offset0:125 offset1:126
	ds_load_b64 v[139:140], v134 offset:1016
	s_waitcnt lgkmcnt(2)
	v_fma_f64 v[3:4], v[141:142], v[155:156], v[3:4]
	s_waitcnt vmcnt(1)
	s_delay_alu instid0(VALU_DEP_1) | instskip(SKIP_1) | instid1(VALU_DEP_1)
	v_fma_f64 v[3:4], v[143:144], v[157:158], v[3:4]
	s_waitcnt lgkmcnt(1)
	v_fma_f64 v[3:4], v[145:146], v[135:136], v[3:4]
	s_waitcnt vmcnt(0)
	s_delay_alu instid0(VALU_DEP_1) | instskip(SKIP_1) | instid1(VALU_DEP_1)
	v_fma_f64 v[3:4], v[147:148], v[137:138], v[3:4]
	s_waitcnt lgkmcnt(0)
	v_fma_f64 v[3:4], v[149:150], v[139:140], v[3:4]
	s_delay_alu instid0(VALU_DEP_1)
	v_add_f64 v[1:2], v[1:2], -v[3:4]
	scratch_store_b64 off, v[1:2], off offset:32
	v_cmpx_lt_u32_e32 3, v0
	s_cbranch_execz .LBB127_387
; %bb.386:
	scratch_load_b64 v[1:2], off, off offset:24
	v_mov_b32_e32 v135, v134
	scratch_store_b64 off, v[134:135], off offset:24
	s_waitcnt vmcnt(0)
	ds_store_b64 v5, v[1:2]
.LBB127_387:
	s_or_b32 exec_lo, exec_lo, s0
	s_waitcnt lgkmcnt(0)
	s_waitcnt_vscnt null, 0x0
	s_barrier
	buffer_gl0_inv
	s_clause 0x4
	scratch_load_b128 v[1:4], off, off offset:24
	scratch_load_b128 v[135:138], off, off offset:40
	;; [unrolled: 1-line block ×5, first 2 shown]
	ds_load_b128 v[151:154], v134 offset:544
	ds_load_b128 v[155:158], v134 offset:560
	scratch_load_b128 v[159:162], off, off offset:104
	s_mov_b32 s0, exec_lo
	s_waitcnt vmcnt(5) lgkmcnt(1)
	v_fma_f64 v[3:4], v[3:4], v[151:152], 0
	s_waitcnt vmcnt(4)
	s_delay_alu instid0(VALU_DEP_1) | instskip(SKIP_1) | instid1(VALU_DEP_1)
	v_fma_f64 v[3:4], v[135:136], v[153:154], v[3:4]
	s_waitcnt lgkmcnt(0)
	v_fma_f64 v[3:4], v[137:138], v[155:156], v[3:4]
	scratch_load_b128 v[135:138], off, off offset:120
	s_waitcnt vmcnt(4)
	v_fma_f64 v[3:4], v[139:140], v[157:158], v[3:4]
	ds_load_b128 v[151:154], v134 offset:576
	ds_load_b128 v[155:158], v134 offset:592
	s_waitcnt lgkmcnt(1)
	v_fma_f64 v[3:4], v[141:142], v[151:152], v[3:4]
	scratch_load_b128 v[139:142], off, off offset:136
	s_waitcnt vmcnt(4)
	v_fma_f64 v[3:4], v[143:144], v[153:154], v[3:4]
	s_waitcnt lgkmcnt(0)
	s_delay_alu instid0(VALU_DEP_1)
	v_fma_f64 v[3:4], v[145:146], v[155:156], v[3:4]
	scratch_load_b128 v[143:146], off, off offset:152
	s_waitcnt vmcnt(4)
	v_fma_f64 v[3:4], v[147:148], v[157:158], v[3:4]
	ds_load_b128 v[151:154], v134 offset:608
	ds_load_b128 v[155:158], v134 offset:624
	s_waitcnt lgkmcnt(1)
	v_fma_f64 v[3:4], v[149:150], v[151:152], v[3:4]
	scratch_load_b128 v[147:150], off, off offset:168
	s_waitcnt vmcnt(4)
	v_fma_f64 v[3:4], v[159:160], v[153:154], v[3:4]
	scratch_load_b128 v[151:154], off, off offset:184
	s_waitcnt lgkmcnt(0)
	v_fma_f64 v[3:4], v[161:162], v[155:156], v[3:4]
	s_waitcnt vmcnt(4)
	s_delay_alu instid0(VALU_DEP_1)
	v_fma_f64 v[3:4], v[135:136], v[157:158], v[3:4]
	ds_load_b128 v[155:158], v134 offset:640
	ds_load_b128 v[159:162], v134 offset:656
	s_waitcnt lgkmcnt(1)
	v_fma_f64 v[3:4], v[137:138], v[155:156], v[3:4]
	scratch_load_b128 v[135:138], off, off offset:200
	s_waitcnt vmcnt(4)
	v_fma_f64 v[3:4], v[139:140], v[157:158], v[3:4]
	s_waitcnt lgkmcnt(0)
	s_delay_alu instid0(VALU_DEP_1)
	v_fma_f64 v[3:4], v[141:142], v[159:160], v[3:4]
	scratch_load_b128 v[139:142], off, off offset:216
	s_waitcnt vmcnt(4)
	v_fma_f64 v[3:4], v[143:144], v[161:162], v[3:4]
	ds_load_b128 v[155:158], v134 offset:672
	ds_load_b128 v[159:162], v134 offset:688
	s_waitcnt lgkmcnt(1)
	v_fma_f64 v[3:4], v[145:146], v[155:156], v[3:4]
	scratch_load_b128 v[143:146], off, off offset:232
	s_waitcnt vmcnt(4)
	v_fma_f64 v[3:4], v[147:148], v[157:158], v[3:4]
	s_waitcnt lgkmcnt(0)
	s_delay_alu instid0(VALU_DEP_1)
	v_fma_f64 v[3:4], v[149:150], v[159:160], v[3:4]
	scratch_load_b128 v[147:150], off, off offset:248
	s_waitcnt vmcnt(4)
	;; [unrolled: 13-line block ×9, first 2 shown]
	v_fma_f64 v[3:4], v[147:148], v[161:162], v[3:4]
	ds_load_b128 v[155:158], v134 offset:928
	ds_load_b128 v[159:162], v134 offset:944
	s_waitcnt lgkmcnt(1)
	v_fma_f64 v[3:4], v[149:150], v[155:156], v[3:4]
	scratch_load_b128 v[147:150], off, off offset:488
	s_waitcnt vmcnt(4)
	v_fma_f64 v[3:4], v[151:152], v[157:158], v[3:4]
	s_waitcnt lgkmcnt(0)
	s_delay_alu instid0(VALU_DEP_1)
	v_fma_f64 v[3:4], v[153:154], v[159:160], v[3:4]
	scratch_load_b64 v[159:160], off, off offset:504
	ds_load_b128 v[151:154], v134 offset:960
	ds_load_b128 v[155:158], v134 offset:976
	s_waitcnt vmcnt(4)
	v_fma_f64 v[3:4], v[135:136], v[161:162], v[3:4]
	s_waitcnt lgkmcnt(1)
	s_delay_alu instid0(VALU_DEP_1) | instskip(SKIP_1) | instid1(VALU_DEP_1)
	v_fma_f64 v[3:4], v[137:138], v[151:152], v[3:4]
	s_waitcnt vmcnt(3)
	v_fma_f64 v[3:4], v[139:140], v[153:154], v[3:4]
	s_waitcnt lgkmcnt(0)
	s_delay_alu instid0(VALU_DEP_1)
	v_fma_f64 v[3:4], v[141:142], v[155:156], v[3:4]
	ds_load_b128 v[135:138], v134 offset:992
	ds_load_b128 v[139:142], v134 offset:1008
	s_waitcnt vmcnt(2)
	v_fma_f64 v[3:4], v[143:144], v[157:158], v[3:4]
	s_waitcnt lgkmcnt(1)
	s_delay_alu instid0(VALU_DEP_1) | instskip(SKIP_1) | instid1(VALU_DEP_1)
	v_fma_f64 v[3:4], v[145:146], v[135:136], v[3:4]
	s_waitcnt vmcnt(1)
	v_fma_f64 v[3:4], v[147:148], v[137:138], v[3:4]
	s_waitcnt lgkmcnt(0)
	s_delay_alu instid0(VALU_DEP_1) | instskip(SKIP_1) | instid1(VALU_DEP_1)
	v_fma_f64 v[3:4], v[149:150], v[139:140], v[3:4]
	s_waitcnt vmcnt(0)
	v_fma_f64 v[3:4], v[159:160], v[141:142], v[3:4]
	s_delay_alu instid0(VALU_DEP_1)
	v_add_f64 v[1:2], v[1:2], -v[3:4]
	scratch_store_b64 off, v[1:2], off offset:24
	v_cmpx_lt_u32_e32 2, v0
	s_cbranch_execz .LBB127_389
; %bb.388:
	scratch_load_b64 v[1:2], off, off offset:16
	v_mov_b32_e32 v3, 0
	s_delay_alu instid0(VALU_DEP_1)
	v_mov_b32_e32 v4, v3
	scratch_store_b64 off, v[3:4], off offset:16
	s_waitcnt vmcnt(0)
	ds_store_b64 v5, v[1:2]
.LBB127_389:
	s_or_b32 exec_lo, exec_lo, s0
	s_waitcnt lgkmcnt(0)
	s_waitcnt_vscnt null, 0x0
	s_barrier
	buffer_gl0_inv
	s_clause 0x4
	scratch_load_b128 v[1:4], off, off offset:16
	scratch_load_b128 v[135:138], off, off offset:32
	;; [unrolled: 1-line block ×5, first 2 shown]
	v_mov_b32_e32 v134, 0
	ds_load_2addr_b64 v[151:154], v134 offset0:67 offset1:68
	ds_load_2addr_b64 v[155:158], v134 offset0:69 offset1:70
	scratch_load_b128 v[159:162], off, off offset:96
	s_mov_b32 s0, exec_lo
	s_waitcnt vmcnt(5) lgkmcnt(1)
	v_fma_f64 v[3:4], v[3:4], v[151:152], 0
	s_waitcnt vmcnt(4)
	s_delay_alu instid0(VALU_DEP_1) | instskip(SKIP_1) | instid1(VALU_DEP_1)
	v_fma_f64 v[3:4], v[135:136], v[153:154], v[3:4]
	s_waitcnt lgkmcnt(0)
	v_fma_f64 v[3:4], v[137:138], v[155:156], v[3:4]
	scratch_load_b128 v[135:138], off, off offset:112
	s_waitcnt vmcnt(4)
	v_fma_f64 v[3:4], v[139:140], v[157:158], v[3:4]
	ds_load_2addr_b64 v[151:154], v134 offset0:71 offset1:72
	ds_load_2addr_b64 v[155:158], v134 offset0:73 offset1:74
	s_waitcnt lgkmcnt(1)
	v_fma_f64 v[3:4], v[141:142], v[151:152], v[3:4]
	scratch_load_b128 v[139:142], off, off offset:128
	s_waitcnt vmcnt(4)
	v_fma_f64 v[3:4], v[143:144], v[153:154], v[3:4]
	s_waitcnt lgkmcnt(0)
	s_delay_alu instid0(VALU_DEP_1)
	v_fma_f64 v[3:4], v[145:146], v[155:156], v[3:4]
	scratch_load_b128 v[143:146], off, off offset:144
	s_waitcnt vmcnt(4)
	v_fma_f64 v[3:4], v[147:148], v[157:158], v[3:4]
	ds_load_2addr_b64 v[151:154], v134 offset0:75 offset1:76
	ds_load_2addr_b64 v[155:158], v134 offset0:77 offset1:78
	s_waitcnt lgkmcnt(1)
	v_fma_f64 v[3:4], v[149:150], v[151:152], v[3:4]
	scratch_load_b128 v[147:150], off, off offset:160
	s_waitcnt vmcnt(4)
	v_fma_f64 v[3:4], v[159:160], v[153:154], v[3:4]
	scratch_load_b128 v[151:154], off, off offset:176
	s_waitcnt lgkmcnt(0)
	v_fma_f64 v[3:4], v[161:162], v[155:156], v[3:4]
	s_waitcnt vmcnt(4)
	s_delay_alu instid0(VALU_DEP_1)
	v_fma_f64 v[3:4], v[135:136], v[157:158], v[3:4]
	ds_load_2addr_b64 v[155:158], v134 offset0:79 offset1:80
	ds_load_2addr_b64 v[159:162], v134 offset0:81 offset1:82
	s_waitcnt lgkmcnt(1)
	v_fma_f64 v[3:4], v[137:138], v[155:156], v[3:4]
	scratch_load_b128 v[135:138], off, off offset:192
	s_waitcnt vmcnt(4)
	v_fma_f64 v[3:4], v[139:140], v[157:158], v[3:4]
	s_waitcnt lgkmcnt(0)
	s_delay_alu instid0(VALU_DEP_1)
	v_fma_f64 v[3:4], v[141:142], v[159:160], v[3:4]
	scratch_load_b128 v[139:142], off, off offset:208
	s_waitcnt vmcnt(4)
	v_fma_f64 v[3:4], v[143:144], v[161:162], v[3:4]
	ds_load_2addr_b64 v[155:158], v134 offset0:83 offset1:84
	ds_load_2addr_b64 v[159:162], v134 offset0:85 offset1:86
	s_waitcnt lgkmcnt(1)
	v_fma_f64 v[3:4], v[145:146], v[155:156], v[3:4]
	scratch_load_b128 v[143:146], off, off offset:224
	s_waitcnt vmcnt(4)
	v_fma_f64 v[3:4], v[147:148], v[157:158], v[3:4]
	s_waitcnt lgkmcnt(0)
	s_delay_alu instid0(VALU_DEP_1)
	v_fma_f64 v[3:4], v[149:150], v[159:160], v[3:4]
	scratch_load_b128 v[147:150], off, off offset:240
	s_waitcnt vmcnt(4)
	;; [unrolled: 13-line block ×10, first 2 shown]
	v_fma_f64 v[3:4], v[135:136], v[161:162], v[3:4]
	ds_load_2addr_b64 v[155:158], v134 offset0:119 offset1:120
	ds_load_2addr_b64 v[159:162], v134 offset0:121 offset1:122
	s_waitcnt lgkmcnt(1)
	v_fma_f64 v[3:4], v[137:138], v[155:156], v[3:4]
	s_waitcnt vmcnt(3)
	s_delay_alu instid0(VALU_DEP_1) | instskip(SKIP_1) | instid1(VALU_DEP_1)
	v_fma_f64 v[3:4], v[139:140], v[157:158], v[3:4]
	s_waitcnt lgkmcnt(0)
	v_fma_f64 v[3:4], v[141:142], v[159:160], v[3:4]
	ds_load_2addr_b64 v[135:138], v134 offset0:123 offset1:124
	ds_load_2addr_b64 v[139:142], v134 offset0:125 offset1:126
	s_waitcnt vmcnt(2)
	v_fma_f64 v[3:4], v[143:144], v[161:162], v[3:4]
	s_waitcnt lgkmcnt(1)
	s_delay_alu instid0(VALU_DEP_1) | instskip(SKIP_4) | instid1(VALU_DEP_1)
	v_fma_f64 v[3:4], v[145:146], v[135:136], v[3:4]
	ds_load_b64 v[135:136], v134 offset:1016
	s_waitcnt vmcnt(1)
	v_fma_f64 v[3:4], v[147:148], v[137:138], v[3:4]
	s_waitcnt lgkmcnt(1)
	v_fma_f64 v[3:4], v[149:150], v[139:140], v[3:4]
	s_waitcnt vmcnt(0)
	s_delay_alu instid0(VALU_DEP_1) | instskip(SKIP_1) | instid1(VALU_DEP_1)
	v_fma_f64 v[3:4], v[151:152], v[141:142], v[3:4]
	s_waitcnt lgkmcnt(0)
	v_fma_f64 v[3:4], v[153:154], v[135:136], v[3:4]
	s_delay_alu instid0(VALU_DEP_1)
	v_add_f64 v[1:2], v[1:2], -v[3:4]
	scratch_store_b64 off, v[1:2], off offset:16
	v_cmpx_lt_u32_e32 1, v0
	s_cbranch_execz .LBB127_391
; %bb.390:
	scratch_load_b64 v[1:2], off, off offset:8
	v_mov_b32_e32 v135, v134
	scratch_store_b64 off, v[134:135], off offset:8
	s_waitcnt vmcnt(0)
	ds_store_b64 v5, v[1:2]
.LBB127_391:
	s_or_b32 exec_lo, exec_lo, s0
	s_waitcnt lgkmcnt(0)
	s_waitcnt_vscnt null, 0x0
	s_barrier
	buffer_gl0_inv
	s_clause 0x4
	scratch_load_b128 v[1:4], off, off offset:8
	scratch_load_b128 v[135:138], off, off offset:24
	scratch_load_b128 v[139:142], off, off offset:40
	scratch_load_b128 v[143:146], off, off offset:56
	scratch_load_b128 v[147:150], off, off offset:72
	ds_load_b128 v[151:154], v134 offset:528
	ds_load_b128 v[155:158], v134 offset:544
	scratch_load_b128 v[159:162], off, off offset:88
	s_mov_b32 s0, exec_lo
	s_waitcnt vmcnt(5) lgkmcnt(1)
	v_fma_f64 v[3:4], v[3:4], v[151:152], 0
	s_waitcnt vmcnt(4)
	s_delay_alu instid0(VALU_DEP_1) | instskip(SKIP_1) | instid1(VALU_DEP_1)
	v_fma_f64 v[3:4], v[135:136], v[153:154], v[3:4]
	s_waitcnt lgkmcnt(0)
	v_fma_f64 v[3:4], v[137:138], v[155:156], v[3:4]
	scratch_load_b128 v[135:138], off, off offset:104
	s_waitcnt vmcnt(4)
	v_fma_f64 v[3:4], v[139:140], v[157:158], v[3:4]
	ds_load_b128 v[151:154], v134 offset:560
	ds_load_b128 v[155:158], v134 offset:576
	s_waitcnt lgkmcnt(1)
	v_fma_f64 v[3:4], v[141:142], v[151:152], v[3:4]
	scratch_load_b128 v[139:142], off, off offset:120
	s_waitcnt vmcnt(4)
	v_fma_f64 v[3:4], v[143:144], v[153:154], v[3:4]
	s_waitcnt lgkmcnt(0)
	s_delay_alu instid0(VALU_DEP_1)
	v_fma_f64 v[3:4], v[145:146], v[155:156], v[3:4]
	scratch_load_b128 v[143:146], off, off offset:136
	s_waitcnt vmcnt(4)
	v_fma_f64 v[3:4], v[147:148], v[157:158], v[3:4]
	ds_load_b128 v[151:154], v134 offset:592
	ds_load_b128 v[155:158], v134 offset:608
	s_waitcnt lgkmcnt(1)
	v_fma_f64 v[3:4], v[149:150], v[151:152], v[3:4]
	scratch_load_b128 v[147:150], off, off offset:152
	s_waitcnt vmcnt(4)
	v_fma_f64 v[3:4], v[159:160], v[153:154], v[3:4]
	scratch_load_b128 v[151:154], off, off offset:168
	s_waitcnt lgkmcnt(0)
	v_fma_f64 v[3:4], v[161:162], v[155:156], v[3:4]
	s_waitcnt vmcnt(4)
	s_delay_alu instid0(VALU_DEP_1)
	v_fma_f64 v[3:4], v[135:136], v[157:158], v[3:4]
	ds_load_b128 v[155:158], v134 offset:624
	ds_load_b128 v[159:162], v134 offset:640
	s_waitcnt lgkmcnt(1)
	v_fma_f64 v[3:4], v[137:138], v[155:156], v[3:4]
	scratch_load_b128 v[135:138], off, off offset:184
	s_waitcnt vmcnt(4)
	v_fma_f64 v[3:4], v[139:140], v[157:158], v[3:4]
	s_waitcnt lgkmcnt(0)
	s_delay_alu instid0(VALU_DEP_1)
	v_fma_f64 v[3:4], v[141:142], v[159:160], v[3:4]
	scratch_load_b128 v[139:142], off, off offset:200
	s_waitcnt vmcnt(4)
	v_fma_f64 v[3:4], v[143:144], v[161:162], v[3:4]
	ds_load_b128 v[155:158], v134 offset:656
	ds_load_b128 v[159:162], v134 offset:672
	s_waitcnt lgkmcnt(1)
	v_fma_f64 v[3:4], v[145:146], v[155:156], v[3:4]
	scratch_load_b128 v[143:146], off, off offset:216
	s_waitcnt vmcnt(4)
	v_fma_f64 v[3:4], v[147:148], v[157:158], v[3:4]
	s_waitcnt lgkmcnt(0)
	s_delay_alu instid0(VALU_DEP_1)
	v_fma_f64 v[3:4], v[149:150], v[159:160], v[3:4]
	scratch_load_b128 v[147:150], off, off offset:232
	s_waitcnt vmcnt(4)
	;; [unrolled: 13-line block ×10, first 2 shown]
	v_fma_f64 v[3:4], v[135:136], v[161:162], v[3:4]
	ds_load_b128 v[155:158], v134 offset:944
	ds_load_b128 v[159:162], v134 offset:960
	s_waitcnt lgkmcnt(1)
	v_fma_f64 v[3:4], v[137:138], v[155:156], v[3:4]
	scratch_load_b64 v[155:156], off, off offset:504
	s_waitcnt vmcnt(4)
	v_fma_f64 v[3:4], v[139:140], v[157:158], v[3:4]
	s_waitcnt lgkmcnt(0)
	s_delay_alu instid0(VALU_DEP_1)
	v_fma_f64 v[3:4], v[141:142], v[159:160], v[3:4]
	ds_load_b128 v[135:138], v134 offset:976
	ds_load_b128 v[139:142], v134 offset:992
	s_waitcnt vmcnt(3)
	v_fma_f64 v[3:4], v[143:144], v[161:162], v[3:4]
	s_waitcnt lgkmcnt(1)
	s_delay_alu instid0(VALU_DEP_1) | instskip(SKIP_1) | instid1(VALU_DEP_1)
	v_fma_f64 v[3:4], v[145:146], v[135:136], v[3:4]
	s_waitcnt vmcnt(2)
	v_fma_f64 v[3:4], v[147:148], v[137:138], v[3:4]
	ds_load_b128 v[134:137], v134 offset:1008
	s_waitcnt lgkmcnt(1)
	v_fma_f64 v[3:4], v[149:150], v[139:140], v[3:4]
	s_waitcnt vmcnt(1)
	s_delay_alu instid0(VALU_DEP_1) | instskip(SKIP_1) | instid1(VALU_DEP_1)
	v_fma_f64 v[3:4], v[151:152], v[141:142], v[3:4]
	s_waitcnt lgkmcnt(0)
	v_fma_f64 v[3:4], v[153:154], v[134:135], v[3:4]
	s_waitcnt vmcnt(0)
	s_delay_alu instid0(VALU_DEP_1) | instskip(NEXT) | instid1(VALU_DEP_1)
	v_fma_f64 v[3:4], v[155:156], v[136:137], v[3:4]
	v_add_f64 v[1:2], v[1:2], -v[3:4]
	scratch_store_b64 off, v[1:2], off offset:8
	v_cmpx_ne_u32_e32 0, v0
	s_cbranch_execz .LBB127_393
; %bb.392:
	scratch_load_b64 v[0:1], off, off
	v_mov_b32_e32 v2, 0
	s_delay_alu instid0(VALU_DEP_1)
	v_mov_b32_e32 v3, v2
	scratch_store_b64 off, v[2:3], off
	s_waitcnt vmcnt(0)
	ds_store_b64 v5, v[0:1]
.LBB127_393:
	s_or_b32 exec_lo, exec_lo, s0
	s_waitcnt lgkmcnt(0)
	s_waitcnt_vscnt null, 0x0
	s_barrier
	buffer_gl0_inv
	s_clause 0x4
	scratch_load_b128 v[0:3], off, off
	scratch_load_b128 v[135:138], off, off offset:16
	scratch_load_b128 v[139:142], off, off offset:32
	;; [unrolled: 1-line block ×4, first 2 shown]
	v_mov_b32_e32 v134, 0
	ds_load_2addr_b64 v[151:154], v134 offset0:65 offset1:66
	ds_load_2addr_b64 v[155:158], v134 offset0:67 offset1:68
	s_and_b32 vcc_lo, exec_lo, s12
	s_waitcnt vmcnt(4) lgkmcnt(1)
	v_fma_f64 v[151:152], v[2:3], v[151:152], 0
	scratch_load_b128 v[2:5], off, off offset:80
	s_waitcnt vmcnt(4)
	v_fma_f64 v[135:136], v[135:136], v[153:154], v[151:152]
	s_waitcnt lgkmcnt(0)
	s_delay_alu instid0(VALU_DEP_1)
	v_fma_f64 v[151:152], v[137:138], v[155:156], v[135:136]
	scratch_load_b128 v[135:138], off, off offset:96
	s_waitcnt vmcnt(4)
	v_fma_f64 v[139:140], v[139:140], v[157:158], v[151:152]
	ds_load_2addr_b64 v[151:154], v134 offset0:69 offset1:70
	ds_load_2addr_b64 v[155:158], v134 offset0:71 offset1:72
	s_waitcnt lgkmcnt(1)
	v_fma_f64 v[151:152], v[141:142], v[151:152], v[139:140]
	scratch_load_b128 v[139:142], off, off offset:112
	s_waitcnt vmcnt(4)
	v_fma_f64 v[143:144], v[143:144], v[153:154], v[151:152]
	s_waitcnt lgkmcnt(0)
	s_delay_alu instid0(VALU_DEP_1)
	v_fma_f64 v[151:152], v[145:146], v[155:156], v[143:144]
	scratch_load_b128 v[143:146], off, off offset:128
	s_waitcnt vmcnt(4)
	v_fma_f64 v[147:148], v[147:148], v[157:158], v[151:152]
	ds_load_2addr_b64 v[151:154], v134 offset0:73 offset1:74
	ds_load_2addr_b64 v[155:158], v134 offset0:75 offset1:76
	s_waitcnt lgkmcnt(1)
	;; [unrolled: 13-line block ×12, first 2 shown]
	v_fma_f64 v[151:152], v[149:150], v[151:152], v[147:148]
	scratch_load_b128 v[147:150], off, off offset:464
	s_waitcnt vmcnt(4)
	v_fma_f64 v[2:3], v[2:3], v[153:154], v[151:152]
	scratch_load_b128 v[151:154], off, off offset:480
	s_waitcnt lgkmcnt(0)
	v_fma_f64 v[2:3], v[4:5], v[155:156], v[2:3]
	s_waitcnt vmcnt(4)
	s_delay_alu instid0(VALU_DEP_1)
	v_fma_f64 v[2:3], v[135:136], v[157:158], v[2:3]
	ds_load_2addr_b64 v[155:158], v134 offset0:117 offset1:118
	ds_load_2addr_b64 v[159:162], v134 offset0:119 offset1:120
	s_waitcnt lgkmcnt(1)
	v_fma_f64 v[135:136], v[137:138], v[155:156], v[2:3]
	scratch_load_b128 v[2:5], off, off offset:496
	s_waitcnt vmcnt(4)
	v_fma_f64 v[135:136], v[139:140], v[157:158], v[135:136]
	s_waitcnt lgkmcnt(0)
	s_delay_alu instid0(VALU_DEP_1) | instskip(SKIP_1) | instid1(VALU_DEP_1)
	v_fma_f64 v[135:136], v[141:142], v[159:160], v[135:136]
	s_waitcnt vmcnt(3)
	v_fma_f64 v[143:144], v[143:144], v[161:162], v[135:136]
	ds_load_2addr_b64 v[135:138], v134 offset0:121 offset1:122
	ds_load_2addr_b64 v[139:142], v134 offset0:123 offset1:124
	s_waitcnt lgkmcnt(1)
	v_fma_f64 v[135:136], v[145:146], v[135:136], v[143:144]
	s_waitcnt vmcnt(2)
	s_delay_alu instid0(VALU_DEP_1) | instskip(SKIP_1) | instid1(VALU_DEP_1)
	v_fma_f64 v[135:136], v[147:148], v[137:138], v[135:136]
	s_waitcnt lgkmcnt(0)
	v_fma_f64 v[135:136], v[149:150], v[139:140], v[135:136]
	s_waitcnt vmcnt(1)
	s_delay_alu instid0(VALU_DEP_1)
	v_fma_f64 v[139:140], v[151:152], v[141:142], v[135:136]
	ds_load_2addr_b64 v[135:138], v134 offset0:125 offset1:126
	ds_load_b64 v[141:142], v134 offset:1016
	s_waitcnt lgkmcnt(1)
	v_fma_f64 v[134:135], v[153:154], v[135:136], v[139:140]
	s_waitcnt vmcnt(0)
	s_delay_alu instid0(VALU_DEP_1) | instskip(SKIP_1) | instid1(VALU_DEP_1)
	v_fma_f64 v[134:135], v[2:3], v[137:138], v[134:135]
	s_waitcnt lgkmcnt(0)
	v_fma_f64 v[4:5], v[4:5], v[141:142], v[134:135]
	s_delay_alu instid0(VALU_DEP_1)
	v_add_f64 v[0:1], v[0:1], -v[4:5]
	scratch_store_b64 off, v[0:1], off
	s_cbranch_vccz .LBB127_521
; %bb.394:
	v_dual_mov_b32 v0, s2 :: v_dual_mov_b32 v1, s3
	s_mov_b32 s0, exec_lo
	flat_load_b32 v0, v[0:1] offset:248
	s_waitcnt vmcnt(0) lgkmcnt(0)
	v_cmpx_ne_u32_e32 63, v0
	s_cbranch_execz .LBB127_396
; %bb.395:
	v_lshl_add_u32 v4, v0, 3, 0
	scratch_load_b64 v[0:1], v4, off offset:-8
	s_waitcnt vmcnt(0)
	scratch_store_b64 off, v[0:1], off offset:496
	scratch_store_b64 v4, v[2:3], off offset:-8
.LBB127_396:
	s_or_b32 exec_lo, exec_lo, s0
	v_dual_mov_b32 v0, s2 :: v_dual_mov_b32 v1, s3
	s_mov_b32 s0, exec_lo
	flat_load_b32 v0, v[0:1] offset:244
	s_waitcnt vmcnt(0) lgkmcnt(0)
	v_cmpx_ne_u32_e32 62, v0
	s_cbranch_execz .LBB127_398
; %bb.397:
	v_lshl_add_u32 v4, v0, 3, 0
	scratch_load_b64 v[0:1], v4, off offset:-8
	scratch_load_b64 v[2:3], off, off offset:488
	s_waitcnt vmcnt(1)
	scratch_store_b64 off, v[0:1], off offset:488
	s_waitcnt vmcnt(0)
	scratch_store_b64 v4, v[2:3], off offset:-8
.LBB127_398:
	s_or_b32 exec_lo, exec_lo, s0
	v_dual_mov_b32 v0, s2 :: v_dual_mov_b32 v1, s3
	s_mov_b32 s0, exec_lo
	flat_load_b32 v0, v[0:1] offset:240
	s_waitcnt vmcnt(0) lgkmcnt(0)
	v_cmpx_ne_u32_e32 61, v0
	s_cbranch_execz .LBB127_400
; %bb.399:
	v_lshl_add_u32 v4, v0, 3, 0
	scratch_load_b64 v[0:1], v4, off offset:-8
	scratch_load_b64 v[2:3], off, off offset:480
	s_waitcnt vmcnt(1)
	scratch_store_b64 off, v[0:1], off offset:480
	s_waitcnt vmcnt(0)
	scratch_store_b64 v4, v[2:3], off offset:-8
.LBB127_400:
	;; [unrolled: 16-line block ×61, first 2 shown]
	s_or_b32 exec_lo, exec_lo, s0
	v_dual_mov_b32 v0, s2 :: v_dual_mov_b32 v1, s3
	s_mov_b32 s0, exec_lo
	flat_load_b32 v2, v[0:1]
	scratch_load_b64 v[0:1], off, off
	s_waitcnt vmcnt(1) lgkmcnt(0)
	v_cmpx_ne_u32_e32 1, v2
	s_cbranch_execz .LBB127_520
; %bb.519:
	v_lshl_add_u32 v4, v2, 3, 0
	scratch_load_b64 v[2:3], v4, off offset:-8
	s_waitcnt vmcnt(0)
	scratch_store_b64 off, v[2:3], off
	scratch_store_b64 v4, v[0:1], off offset:-8
	scratch_load_b64 v[0:1], off, off
.LBB127_520:
	s_or_b32 exec_lo, exec_lo, s0
.LBB127_521:
	s_clause 0x7
	scratch_load_b128 v[2:5], off, off offset:8
	scratch_load_b128 v[134:137], off, off offset:24
	;; [unrolled: 1-line block ×8, first 2 shown]
	s_waitcnt vmcnt(8)
	global_store_b64 v[36:37], v[0:1], off
	s_clause 0x3
	scratch_load_b128 v[162:165], off, off offset:136
	scratch_load_b128 v[166:169], off, off offset:184
	scratch_load_b128 v[170:173], off, off offset:280
	scratch_load_b128 v[174:177], off, off offset:440
	s_waitcnt vmcnt(11)
	global_store_b64 v[24:25], v[2:3], off
	scratch_load_b128 v[0:3], off, off offset:152
	global_store_b64 v[26:27], v[4:5], off
	scratch_load_b128 v[24:27], off, off offset:168
	s_waitcnt vmcnt(12)
	s_clause 0x1
	global_store_b64 v[16:17], v[134:135], off
	global_store_b64 v[18:19], v[136:137], off
	s_waitcnt vmcnt(11)
	s_clause 0x1
	global_store_b64 v[10:11], v[138:139], off
	global_store_b64 v[66:67], v[140:141], off
	;; [unrolled: 4-line block ×8, first 2 shown]
	s_clause 0xd
	scratch_load_b128 v[16:19], off, off offset:200
	scratch_load_b128 v[134:137], off, off offset:216
	;; [unrolled: 1-line block ×14, first 2 shown]
	s_waitcnt vmcnt(15)
	s_clause 0x1
	global_store_b64 v[28:29], v[0:1], off
	global_store_b64 v[30:31], v[2:3], off
	s_waitcnt vmcnt(14)
	s_clause 0x1
	global_store_b64 v[20:21], v[24:25], off
	global_store_b64 v[22:23], v[26:27], off
	s_clause 0x3
	scratch_load_b128 v[0:3], off, off offset:456
	scratch_load_b128 v[28:31], off, off offset:472
	;; [unrolled: 1-line block ×3, first 2 shown]
	scratch_load_b64 v[4:5], off, off offset:504
	s_clause 0x1
	global_store_b64 v[8:9], v[166:167], off
	global_store_b64 v[12:13], v[168:169], off
	s_waitcnt vmcnt(17)
	s_clause 0x1
	global_store_b64 v[14:15], v[16:17], off
	global_store_b64 v[38:39], v[18:19], off
	s_waitcnt vmcnt(16)
	;; [unrolled: 4-line block ×5, first 2 shown]
	s_clause 0x3
	global_store_b64 v[74:75], v[142:143], off
	global_store_b64 v[76:77], v[144:145], off
	;; [unrolled: 1-line block ×4, first 2 shown]
	s_waitcnt vmcnt(12)
	s_clause 0x1
	global_store_b64 v[82:83], v[58:59], off
	global_store_b64 v[84:85], v[60:61], off
	s_waitcnt vmcnt(11)
	s_clause 0x1
	global_store_b64 v[86:87], v[146:147], off
	global_store_b64 v[88:89], v[148:149], off
	;; [unrolled: 4-line block ×9, first 2 shown]
	global_store_b64 v[118:119], v[174:175], off
	global_store_b64 v[120:121], v[176:177], off
	s_waitcnt vmcnt(3)
	s_clause 0x1
	global_store_b64 v[122:123], v[0:1], off
	global_store_b64 v[124:125], v[2:3], off
	s_waitcnt vmcnt(2)
	s_clause 0x1
	;; [unrolled: 4-line block ×3, first 2 shown]
	global_store_b64 v[130:131], v[20:21], off
	global_store_b64 v[132:133], v[22:23], off
	s_waitcnt vmcnt(0)
	global_store_b64 v[6:7], v[4:5], off
	s_endpgm
	.section	.rodata,"a",@progbits
	.p2align	6, 0x0
	.amdhsa_kernel _ZN9rocsolver6v33100L18getri_kernel_smallILi64EdPKPdEEvT1_iilPiilS6_bb
		.amdhsa_group_segment_fixed_size 1032
		.amdhsa_private_segment_fixed_size 528
		.amdhsa_kernarg_size 60
		.amdhsa_user_sgpr_count 15
		.amdhsa_user_sgpr_dispatch_ptr 0
		.amdhsa_user_sgpr_queue_ptr 0
		.amdhsa_user_sgpr_kernarg_segment_ptr 1
		.amdhsa_user_sgpr_dispatch_id 0
		.amdhsa_user_sgpr_private_segment_size 0
		.amdhsa_wavefront_size32 1
		.amdhsa_uses_dynamic_stack 0
		.amdhsa_enable_private_segment 1
		.amdhsa_system_sgpr_workgroup_id_x 1
		.amdhsa_system_sgpr_workgroup_id_y 0
		.amdhsa_system_sgpr_workgroup_id_z 0
		.amdhsa_system_sgpr_workgroup_info 0
		.amdhsa_system_vgpr_workitem_id 0
		.amdhsa_next_free_vgpr 184
		.amdhsa_next_free_sgpr 17
		.amdhsa_reserve_vcc 1
		.amdhsa_float_round_mode_32 0
		.amdhsa_float_round_mode_16_64 0
		.amdhsa_float_denorm_mode_32 3
		.amdhsa_float_denorm_mode_16_64 3
		.amdhsa_dx10_clamp 1
		.amdhsa_ieee_mode 1
		.amdhsa_fp16_overflow 0
		.amdhsa_workgroup_processor_mode 1
		.amdhsa_memory_ordered 1
		.amdhsa_forward_progress 0
		.amdhsa_shared_vgpr_count 0
		.amdhsa_exception_fp_ieee_invalid_op 0
		.amdhsa_exception_fp_denorm_src 0
		.amdhsa_exception_fp_ieee_div_zero 0
		.amdhsa_exception_fp_ieee_overflow 0
		.amdhsa_exception_fp_ieee_underflow 0
		.amdhsa_exception_fp_ieee_inexact 0
		.amdhsa_exception_int_div_zero 0
	.end_amdhsa_kernel
	.section	.text._ZN9rocsolver6v33100L18getri_kernel_smallILi64EdPKPdEEvT1_iilPiilS6_bb,"axG",@progbits,_ZN9rocsolver6v33100L18getri_kernel_smallILi64EdPKPdEEvT1_iilPiilS6_bb,comdat
.Lfunc_end127:
	.size	_ZN9rocsolver6v33100L18getri_kernel_smallILi64EdPKPdEEvT1_iilPiilS6_bb, .Lfunc_end127-_ZN9rocsolver6v33100L18getri_kernel_smallILi64EdPKPdEEvT1_iilPiilS6_bb
                                        ; -- End function
	.section	.AMDGPU.csdata,"",@progbits
; Kernel info:
; codeLenInByte = 71152
; NumSgprs: 19
; NumVgprs: 184
; ScratchSize: 528
; MemoryBound: 0
; FloatMode: 240
; IeeeMode: 1
; LDSByteSize: 1032 bytes/workgroup (compile time only)
; SGPRBlocks: 2
; VGPRBlocks: 22
; NumSGPRsForWavesPerEU: 19
; NumVGPRsForWavesPerEU: 184
; Occupancy: 8
; WaveLimiterHint : 1
; COMPUTE_PGM_RSRC2:SCRATCH_EN: 1
; COMPUTE_PGM_RSRC2:USER_SGPR: 15
; COMPUTE_PGM_RSRC2:TRAP_HANDLER: 0
; COMPUTE_PGM_RSRC2:TGID_X_EN: 1
; COMPUTE_PGM_RSRC2:TGID_Y_EN: 0
; COMPUTE_PGM_RSRC2:TGID_Z_EN: 0
; COMPUTE_PGM_RSRC2:TIDIG_COMP_CNT: 0
	.text
	.p2alignl 7, 3214868480
	.fill 96, 4, 3214868480
	.type	__hip_cuid_e759241d2f8bbd3,@object ; @__hip_cuid_e759241d2f8bbd3
	.section	.bss,"aw",@nobits
	.globl	__hip_cuid_e759241d2f8bbd3
__hip_cuid_e759241d2f8bbd3:
	.byte	0                               ; 0x0
	.size	__hip_cuid_e759241d2f8bbd3, 1

	.ident	"AMD clang version 19.0.0git (https://github.com/RadeonOpenCompute/llvm-project roc-6.4.0 25133 c7fe45cf4b819c5991fe208aaa96edf142730f1d)"
	.section	".note.GNU-stack","",@progbits
	.addrsig
	.addrsig_sym __hip_cuid_e759241d2f8bbd3
	.amdgpu_metadata
---
amdhsa.kernels:
  - .args:
      - .address_space:  global
        .offset:         0
        .size:           8
        .value_kind:     global_buffer
      - .offset:         8
        .size:           4
        .value_kind:     by_value
      - .offset:         12
        .size:           4
        .value_kind:     by_value
      - .offset:         16
        .size:           8
        .value_kind:     by_value
      - .address_space:  global
        .offset:         24
        .size:           8
        .value_kind:     global_buffer
      - .offset:         32
        .size:           4
        .value_kind:     by_value
      - .offset:         40
        .size:           8
        .value_kind:     by_value
      - .address_space:  global
        .offset:         48
        .size:           8
        .value_kind:     global_buffer
      - .offset:         56
        .size:           1
        .value_kind:     by_value
      - .offset:         57
        .size:           1
        .value_kind:     by_value
    .group_segment_fixed_size: 4
    .kernarg_segment_align: 8
    .kernarg_segment_size: 60
    .language:       OpenCL C
    .language_version:
      - 2
      - 0
    .max_flat_workgroup_size: 64
    .name:           _ZN9rocsolver6v33100L18getri_kernel_smallILi1EdPdEEvT1_iilPiilS4_bb
    .private_segment_fixed_size: 0
    .sgpr_count:     18
    .sgpr_spill_count: 0
    .symbol:         _ZN9rocsolver6v33100L18getri_kernel_smallILi1EdPdEEvT1_iilPiilS4_bb.kd
    .uniform_work_group_size: 1
    .uses_dynamic_stack: false
    .vgpr_count:     8
    .vgpr_spill_count: 0
    .wavefront_size: 32
    .workgroup_processor_mode: 1
  - .args:
      - .address_space:  global
        .offset:         0
        .size:           8
        .value_kind:     global_buffer
      - .offset:         8
        .size:           4
        .value_kind:     by_value
      - .offset:         12
        .size:           4
        .value_kind:     by_value
      - .offset:         16
        .size:           8
        .value_kind:     by_value
      - .address_space:  global
        .offset:         24
        .size:           8
        .value_kind:     global_buffer
      - .offset:         32
        .size:           4
        .value_kind:     by_value
      - .offset:         40
        .size:           8
        .value_kind:     by_value
      - .address_space:  global
        .offset:         48
        .size:           8
        .value_kind:     global_buffer
      - .offset:         56
        .size:           1
        .value_kind:     by_value
      - .offset:         57
        .size:           1
        .value_kind:     by_value
    .group_segment_fixed_size: 40
    .kernarg_segment_align: 8
    .kernarg_segment_size: 60
    .language:       OpenCL C
    .language_version:
      - 2
      - 0
    .max_flat_workgroup_size: 64
    .name:           _ZN9rocsolver6v33100L18getri_kernel_smallILi2EdPdEEvT1_iilPiilS4_bb
    .private_segment_fixed_size: 0
    .sgpr_count:     22
    .sgpr_spill_count: 0
    .symbol:         _ZN9rocsolver6v33100L18getri_kernel_smallILi2EdPdEEvT1_iilPiilS4_bb.kd
    .uniform_work_group_size: 1
    .uses_dynamic_stack: false
    .vgpr_count:     20
    .vgpr_spill_count: 0
    .wavefront_size: 32
    .workgroup_processor_mode: 1
  - .args:
      - .address_space:  global
        .offset:         0
        .size:           8
        .value_kind:     global_buffer
      - .offset:         8
        .size:           4
        .value_kind:     by_value
      - .offset:         12
        .size:           4
        .value_kind:     by_value
      - .offset:         16
        .size:           8
        .value_kind:     by_value
      - .address_space:  global
        .offset:         24
        .size:           8
        .value_kind:     global_buffer
      - .offset:         32
        .size:           4
        .value_kind:     by_value
      - .offset:         40
        .size:           8
        .value_kind:     by_value
      - .address_space:  global
        .offset:         48
        .size:           8
        .value_kind:     global_buffer
      - .offset:         56
        .size:           1
        .value_kind:     by_value
      - .offset:         57
        .size:           1
        .value_kind:     by_value
    .group_segment_fixed_size: 56
    .kernarg_segment_align: 8
    .kernarg_segment_size: 60
    .language:       OpenCL C
    .language_version:
      - 2
      - 0
    .max_flat_workgroup_size: 64
    .name:           _ZN9rocsolver6v33100L18getri_kernel_smallILi3EdPdEEvT1_iilPiilS4_bb
    .private_segment_fixed_size: 0
    .sgpr_count:     20
    .sgpr_spill_count: 0
    .symbol:         _ZN9rocsolver6v33100L18getri_kernel_smallILi3EdPdEEvT1_iilPiilS4_bb.kd
    .uniform_work_group_size: 1
    .uses_dynamic_stack: false
    .vgpr_count:     24
    .vgpr_spill_count: 0
    .wavefront_size: 32
    .workgroup_processor_mode: 1
  - .args:
      - .address_space:  global
        .offset:         0
        .size:           8
        .value_kind:     global_buffer
      - .offset:         8
        .size:           4
        .value_kind:     by_value
      - .offset:         12
        .size:           4
        .value_kind:     by_value
      - .offset:         16
        .size:           8
        .value_kind:     by_value
      - .address_space:  global
        .offset:         24
        .size:           8
        .value_kind:     global_buffer
      - .offset:         32
        .size:           4
        .value_kind:     by_value
      - .offset:         40
        .size:           8
        .value_kind:     by_value
      - .address_space:  global
        .offset:         48
        .size:           8
        .value_kind:     global_buffer
      - .offset:         56
        .size:           1
        .value_kind:     by_value
      - .offset:         57
        .size:           1
        .value_kind:     by_value
    .group_segment_fixed_size: 72
    .kernarg_segment_align: 8
    .kernarg_segment_size: 60
    .language:       OpenCL C
    .language_version:
      - 2
      - 0
    .max_flat_workgroup_size: 64
    .name:           _ZN9rocsolver6v33100L18getri_kernel_smallILi4EdPdEEvT1_iilPiilS4_bb
    .private_segment_fixed_size: 0
    .sgpr_count:     20
    .sgpr_spill_count: 0
    .symbol:         _ZN9rocsolver6v33100L18getri_kernel_smallILi4EdPdEEvT1_iilPiilS4_bb.kd
    .uniform_work_group_size: 1
    .uses_dynamic_stack: false
    .vgpr_count:     29
    .vgpr_spill_count: 0
    .wavefront_size: 32
    .workgroup_processor_mode: 1
  - .args:
      - .address_space:  global
        .offset:         0
        .size:           8
        .value_kind:     global_buffer
      - .offset:         8
        .size:           4
        .value_kind:     by_value
      - .offset:         12
        .size:           4
        .value_kind:     by_value
      - .offset:         16
        .size:           8
        .value_kind:     by_value
      - .address_space:  global
        .offset:         24
        .size:           8
        .value_kind:     global_buffer
      - .offset:         32
        .size:           4
        .value_kind:     by_value
      - .offset:         40
        .size:           8
        .value_kind:     by_value
      - .address_space:  global
        .offset:         48
        .size:           8
        .value_kind:     global_buffer
      - .offset:         56
        .size:           1
        .value_kind:     by_value
      - .offset:         57
        .size:           1
        .value_kind:     by_value
    .group_segment_fixed_size: 88
    .kernarg_segment_align: 8
    .kernarg_segment_size: 60
    .language:       OpenCL C
    .language_version:
      - 2
      - 0
    .max_flat_workgroup_size: 64
    .name:           _ZN9rocsolver6v33100L18getri_kernel_smallILi5EdPdEEvT1_iilPiilS4_bb
    .private_segment_fixed_size: 0
    .sgpr_count:     20
    .sgpr_spill_count: 0
    .symbol:         _ZN9rocsolver6v33100L18getri_kernel_smallILi5EdPdEEvT1_iilPiilS4_bb.kd
    .uniform_work_group_size: 1
    .uses_dynamic_stack: false
    .vgpr_count:     38
    .vgpr_spill_count: 0
    .wavefront_size: 32
    .workgroup_processor_mode: 1
  - .args:
      - .address_space:  global
        .offset:         0
        .size:           8
        .value_kind:     global_buffer
      - .offset:         8
        .size:           4
        .value_kind:     by_value
      - .offset:         12
        .size:           4
        .value_kind:     by_value
      - .offset:         16
        .size:           8
        .value_kind:     by_value
      - .address_space:  global
        .offset:         24
        .size:           8
        .value_kind:     global_buffer
      - .offset:         32
        .size:           4
        .value_kind:     by_value
      - .offset:         40
        .size:           8
        .value_kind:     by_value
      - .address_space:  global
        .offset:         48
        .size:           8
        .value_kind:     global_buffer
      - .offset:         56
        .size:           1
        .value_kind:     by_value
      - .offset:         57
        .size:           1
        .value_kind:     by_value
    .group_segment_fixed_size: 104
    .kernarg_segment_align: 8
    .kernarg_segment_size: 60
    .language:       OpenCL C
    .language_version:
      - 2
      - 0
    .max_flat_workgroup_size: 64
    .name:           _ZN9rocsolver6v33100L18getri_kernel_smallILi6EdPdEEvT1_iilPiilS4_bb
    .private_segment_fixed_size: 0
    .sgpr_count:     20
    .sgpr_spill_count: 0
    .symbol:         _ZN9rocsolver6v33100L18getri_kernel_smallILi6EdPdEEvT1_iilPiilS4_bb.kd
    .uniform_work_group_size: 1
    .uses_dynamic_stack: false
    .vgpr_count:     40
    .vgpr_spill_count: 0
    .wavefront_size: 32
    .workgroup_processor_mode: 1
  - .args:
      - .address_space:  global
        .offset:         0
        .size:           8
        .value_kind:     global_buffer
      - .offset:         8
        .size:           4
        .value_kind:     by_value
      - .offset:         12
        .size:           4
        .value_kind:     by_value
      - .offset:         16
        .size:           8
        .value_kind:     by_value
      - .address_space:  global
        .offset:         24
        .size:           8
        .value_kind:     global_buffer
      - .offset:         32
        .size:           4
        .value_kind:     by_value
      - .offset:         40
        .size:           8
        .value_kind:     by_value
      - .address_space:  global
        .offset:         48
        .size:           8
        .value_kind:     global_buffer
      - .offset:         56
        .size:           1
        .value_kind:     by_value
      - .offset:         57
        .size:           1
        .value_kind:     by_value
    .group_segment_fixed_size: 120
    .kernarg_segment_align: 8
    .kernarg_segment_size: 60
    .language:       OpenCL C
    .language_version:
      - 2
      - 0
    .max_flat_workgroup_size: 64
    .name:           _ZN9rocsolver6v33100L18getri_kernel_smallILi7EdPdEEvT1_iilPiilS4_bb
    .private_segment_fixed_size: 0
    .sgpr_count:     20
    .sgpr_spill_count: 0
    .symbol:         _ZN9rocsolver6v33100L18getri_kernel_smallILi7EdPdEEvT1_iilPiilS4_bb.kd
    .uniform_work_group_size: 1
    .uses_dynamic_stack: false
    .vgpr_count:     46
    .vgpr_spill_count: 0
    .wavefront_size: 32
    .workgroup_processor_mode: 1
  - .args:
      - .address_space:  global
        .offset:         0
        .size:           8
        .value_kind:     global_buffer
      - .offset:         8
        .size:           4
        .value_kind:     by_value
      - .offset:         12
        .size:           4
        .value_kind:     by_value
      - .offset:         16
        .size:           8
        .value_kind:     by_value
      - .address_space:  global
        .offset:         24
        .size:           8
        .value_kind:     global_buffer
      - .offset:         32
        .size:           4
        .value_kind:     by_value
      - .offset:         40
        .size:           8
        .value_kind:     by_value
      - .address_space:  global
        .offset:         48
        .size:           8
        .value_kind:     global_buffer
      - .offset:         56
        .size:           1
        .value_kind:     by_value
      - .offset:         57
        .size:           1
        .value_kind:     by_value
    .group_segment_fixed_size: 136
    .kernarg_segment_align: 8
    .kernarg_segment_size: 60
    .language:       OpenCL C
    .language_version:
      - 2
      - 0
    .max_flat_workgroup_size: 64
    .name:           _ZN9rocsolver6v33100L18getri_kernel_smallILi8EdPdEEvT1_iilPiilS4_bb
    .private_segment_fixed_size: 0
    .sgpr_count:     20
    .sgpr_spill_count: 0
    .symbol:         _ZN9rocsolver6v33100L18getri_kernel_smallILi8EdPdEEvT1_iilPiilS4_bb.kd
    .uniform_work_group_size: 1
    .uses_dynamic_stack: false
    .vgpr_count:     49
    .vgpr_spill_count: 0
    .wavefront_size: 32
    .workgroup_processor_mode: 1
  - .args:
      - .address_space:  global
        .offset:         0
        .size:           8
        .value_kind:     global_buffer
      - .offset:         8
        .size:           4
        .value_kind:     by_value
      - .offset:         12
        .size:           4
        .value_kind:     by_value
      - .offset:         16
        .size:           8
        .value_kind:     by_value
      - .address_space:  global
        .offset:         24
        .size:           8
        .value_kind:     global_buffer
      - .offset:         32
        .size:           4
        .value_kind:     by_value
      - .offset:         40
        .size:           8
        .value_kind:     by_value
      - .address_space:  global
        .offset:         48
        .size:           8
        .value_kind:     global_buffer
      - .offset:         56
        .size:           1
        .value_kind:     by_value
      - .offset:         57
        .size:           1
        .value_kind:     by_value
    .group_segment_fixed_size: 152
    .kernarg_segment_align: 8
    .kernarg_segment_size: 60
    .language:       OpenCL C
    .language_version:
      - 2
      - 0
    .max_flat_workgroup_size: 64
    .name:           _ZN9rocsolver6v33100L18getri_kernel_smallILi9EdPdEEvT1_iilPiilS4_bb
    .private_segment_fixed_size: 0
    .sgpr_count:     20
    .sgpr_spill_count: 0
    .symbol:         _ZN9rocsolver6v33100L18getri_kernel_smallILi9EdPdEEvT1_iilPiilS4_bb.kd
    .uniform_work_group_size: 1
    .uses_dynamic_stack: false
    .vgpr_count:     70
    .vgpr_spill_count: 0
    .wavefront_size: 32
    .workgroup_processor_mode: 1
  - .args:
      - .address_space:  global
        .offset:         0
        .size:           8
        .value_kind:     global_buffer
      - .offset:         8
        .size:           4
        .value_kind:     by_value
      - .offset:         12
        .size:           4
        .value_kind:     by_value
      - .offset:         16
        .size:           8
        .value_kind:     by_value
      - .address_space:  global
        .offset:         24
        .size:           8
        .value_kind:     global_buffer
      - .offset:         32
        .size:           4
        .value_kind:     by_value
      - .offset:         40
        .size:           8
        .value_kind:     by_value
      - .address_space:  global
        .offset:         48
        .size:           8
        .value_kind:     global_buffer
      - .offset:         56
        .size:           1
        .value_kind:     by_value
      - .offset:         57
        .size:           1
        .value_kind:     by_value
    .group_segment_fixed_size: 168
    .kernarg_segment_align: 8
    .kernarg_segment_size: 60
    .language:       OpenCL C
    .language_version:
      - 2
      - 0
    .max_flat_workgroup_size: 64
    .name:           _ZN9rocsolver6v33100L18getri_kernel_smallILi10EdPdEEvT1_iilPiilS4_bb
    .private_segment_fixed_size: 0
    .sgpr_count:     20
    .sgpr_spill_count: 0
    .symbol:         _ZN9rocsolver6v33100L18getri_kernel_smallILi10EdPdEEvT1_iilPiilS4_bb.kd
    .uniform_work_group_size: 1
    .uses_dynamic_stack: false
    .vgpr_count:     72
    .vgpr_spill_count: 0
    .wavefront_size: 32
    .workgroup_processor_mode: 1
  - .args:
      - .address_space:  global
        .offset:         0
        .size:           8
        .value_kind:     global_buffer
      - .offset:         8
        .size:           4
        .value_kind:     by_value
      - .offset:         12
        .size:           4
        .value_kind:     by_value
      - .offset:         16
        .size:           8
        .value_kind:     by_value
      - .address_space:  global
        .offset:         24
        .size:           8
        .value_kind:     global_buffer
      - .offset:         32
        .size:           4
        .value_kind:     by_value
      - .offset:         40
        .size:           8
        .value_kind:     by_value
      - .address_space:  global
        .offset:         48
        .size:           8
        .value_kind:     global_buffer
      - .offset:         56
        .size:           1
        .value_kind:     by_value
      - .offset:         57
        .size:           1
        .value_kind:     by_value
    .group_segment_fixed_size: 184
    .kernarg_segment_align: 8
    .kernarg_segment_size: 60
    .language:       OpenCL C
    .language_version:
      - 2
      - 0
    .max_flat_workgroup_size: 64
    .name:           _ZN9rocsolver6v33100L18getri_kernel_smallILi11EdPdEEvT1_iilPiilS4_bb
    .private_segment_fixed_size: 0
    .sgpr_count:     20
    .sgpr_spill_count: 0
    .symbol:         _ZN9rocsolver6v33100L18getri_kernel_smallILi11EdPdEEvT1_iilPiilS4_bb.kd
    .uniform_work_group_size: 1
    .uses_dynamic_stack: false
    .vgpr_count:     80
    .vgpr_spill_count: 0
    .wavefront_size: 32
    .workgroup_processor_mode: 1
  - .args:
      - .address_space:  global
        .offset:         0
        .size:           8
        .value_kind:     global_buffer
      - .offset:         8
        .size:           4
        .value_kind:     by_value
      - .offset:         12
        .size:           4
        .value_kind:     by_value
      - .offset:         16
        .size:           8
        .value_kind:     by_value
      - .address_space:  global
        .offset:         24
        .size:           8
        .value_kind:     global_buffer
      - .offset:         32
        .size:           4
        .value_kind:     by_value
      - .offset:         40
        .size:           8
        .value_kind:     by_value
      - .address_space:  global
        .offset:         48
        .size:           8
        .value_kind:     global_buffer
      - .offset:         56
        .size:           1
        .value_kind:     by_value
      - .offset:         57
        .size:           1
        .value_kind:     by_value
    .group_segment_fixed_size: 200
    .kernarg_segment_align: 8
    .kernarg_segment_size: 60
    .language:       OpenCL C
    .language_version:
      - 2
      - 0
    .max_flat_workgroup_size: 64
    .name:           _ZN9rocsolver6v33100L18getri_kernel_smallILi12EdPdEEvT1_iilPiilS4_bb
    .private_segment_fixed_size: 0
    .sgpr_count:     22
    .sgpr_spill_count: 0
    .symbol:         _ZN9rocsolver6v33100L18getri_kernel_smallILi12EdPdEEvT1_iilPiilS4_bb.kd
    .uniform_work_group_size: 1
    .uses_dynamic_stack: false
    .vgpr_count:     82
    .vgpr_spill_count: 0
    .wavefront_size: 32
    .workgroup_processor_mode: 1
  - .args:
      - .address_space:  global
        .offset:         0
        .size:           8
        .value_kind:     global_buffer
      - .offset:         8
        .size:           4
        .value_kind:     by_value
      - .offset:         12
        .size:           4
        .value_kind:     by_value
      - .offset:         16
        .size:           8
        .value_kind:     by_value
      - .address_space:  global
        .offset:         24
        .size:           8
        .value_kind:     global_buffer
      - .offset:         32
        .size:           4
        .value_kind:     by_value
      - .offset:         40
        .size:           8
        .value_kind:     by_value
      - .address_space:  global
        .offset:         48
        .size:           8
        .value_kind:     global_buffer
      - .offset:         56
        .size:           1
        .value_kind:     by_value
      - .offset:         57
        .size:           1
        .value_kind:     by_value
    .group_segment_fixed_size: 216
    .kernarg_segment_align: 8
    .kernarg_segment_size: 60
    .language:       OpenCL C
    .language_version:
      - 2
      - 0
    .max_flat_workgroup_size: 64
    .name:           _ZN9rocsolver6v33100L18getri_kernel_smallILi13EdPdEEvT1_iilPiilS4_bb
    .private_segment_fixed_size: 0
    .sgpr_count:     23
    .sgpr_spill_count: 0
    .symbol:         _ZN9rocsolver6v33100L18getri_kernel_smallILi13EdPdEEvT1_iilPiilS4_bb.kd
    .uniform_work_group_size: 1
    .uses_dynamic_stack: false
    .vgpr_count:     88
    .vgpr_spill_count: 0
    .wavefront_size: 32
    .workgroup_processor_mode: 1
  - .args:
      - .address_space:  global
        .offset:         0
        .size:           8
        .value_kind:     global_buffer
      - .offset:         8
        .size:           4
        .value_kind:     by_value
      - .offset:         12
        .size:           4
        .value_kind:     by_value
      - .offset:         16
        .size:           8
        .value_kind:     by_value
      - .address_space:  global
        .offset:         24
        .size:           8
        .value_kind:     global_buffer
      - .offset:         32
        .size:           4
        .value_kind:     by_value
      - .offset:         40
        .size:           8
        .value_kind:     by_value
      - .address_space:  global
        .offset:         48
        .size:           8
        .value_kind:     global_buffer
      - .offset:         56
        .size:           1
        .value_kind:     by_value
      - .offset:         57
        .size:           1
        .value_kind:     by_value
    .group_segment_fixed_size: 232
    .kernarg_segment_align: 8
    .kernarg_segment_size: 60
    .language:       OpenCL C
    .language_version:
      - 2
      - 0
    .max_flat_workgroup_size: 64
    .name:           _ZN9rocsolver6v33100L18getri_kernel_smallILi14EdPdEEvT1_iilPiilS4_bb
    .private_segment_fixed_size: 0
    .sgpr_count:     23
    .sgpr_spill_count: 0
    .symbol:         _ZN9rocsolver6v33100L18getri_kernel_smallILi14EdPdEEvT1_iilPiilS4_bb.kd
    .uniform_work_group_size: 1
    .uses_dynamic_stack: false
    .vgpr_count:     90
    .vgpr_spill_count: 0
    .wavefront_size: 32
    .workgroup_processor_mode: 1
  - .args:
      - .address_space:  global
        .offset:         0
        .size:           8
        .value_kind:     global_buffer
      - .offset:         8
        .size:           4
        .value_kind:     by_value
      - .offset:         12
        .size:           4
        .value_kind:     by_value
      - .offset:         16
        .size:           8
        .value_kind:     by_value
      - .address_space:  global
        .offset:         24
        .size:           8
        .value_kind:     global_buffer
      - .offset:         32
        .size:           4
        .value_kind:     by_value
      - .offset:         40
        .size:           8
        .value_kind:     by_value
      - .address_space:  global
        .offset:         48
        .size:           8
        .value_kind:     global_buffer
      - .offset:         56
        .size:           1
        .value_kind:     by_value
      - .offset:         57
        .size:           1
        .value_kind:     by_value
    .group_segment_fixed_size: 248
    .kernarg_segment_align: 8
    .kernarg_segment_size: 60
    .language:       OpenCL C
    .language_version:
      - 2
      - 0
    .max_flat_workgroup_size: 64
    .name:           _ZN9rocsolver6v33100L18getri_kernel_smallILi15EdPdEEvT1_iilPiilS4_bb
    .private_segment_fixed_size: 0
    .sgpr_count:     23
    .sgpr_spill_count: 0
    .symbol:         _ZN9rocsolver6v33100L18getri_kernel_smallILi15EdPdEEvT1_iilPiilS4_bb.kd
    .uniform_work_group_size: 1
    .uses_dynamic_stack: false
    .vgpr_count:     96
    .vgpr_spill_count: 0
    .wavefront_size: 32
    .workgroup_processor_mode: 1
  - .args:
      - .address_space:  global
        .offset:         0
        .size:           8
        .value_kind:     global_buffer
      - .offset:         8
        .size:           4
        .value_kind:     by_value
      - .offset:         12
        .size:           4
        .value_kind:     by_value
      - .offset:         16
        .size:           8
        .value_kind:     by_value
      - .address_space:  global
        .offset:         24
        .size:           8
        .value_kind:     global_buffer
      - .offset:         32
        .size:           4
        .value_kind:     by_value
      - .offset:         40
        .size:           8
        .value_kind:     by_value
      - .address_space:  global
        .offset:         48
        .size:           8
        .value_kind:     global_buffer
      - .offset:         56
        .size:           1
        .value_kind:     by_value
      - .offset:         57
        .size:           1
        .value_kind:     by_value
    .group_segment_fixed_size: 264
    .kernarg_segment_align: 8
    .kernarg_segment_size: 60
    .language:       OpenCL C
    .language_version:
      - 2
      - 0
    .max_flat_workgroup_size: 64
    .name:           _ZN9rocsolver6v33100L18getri_kernel_smallILi16EdPdEEvT1_iilPiilS4_bb
    .private_segment_fixed_size: 0
    .sgpr_count:     26
    .sgpr_spill_count: 0
    .symbol:         _ZN9rocsolver6v33100L18getri_kernel_smallILi16EdPdEEvT1_iilPiilS4_bb.kd
    .uniform_work_group_size: 1
    .uses_dynamic_stack: false
    .vgpr_count:     97
    .vgpr_spill_count: 0
    .wavefront_size: 32
    .workgroup_processor_mode: 1
  - .args:
      - .address_space:  global
        .offset:         0
        .size:           8
        .value_kind:     global_buffer
      - .offset:         8
        .size:           4
        .value_kind:     by_value
      - .offset:         12
        .size:           4
        .value_kind:     by_value
      - .offset:         16
        .size:           8
        .value_kind:     by_value
      - .address_space:  global
        .offset:         24
        .size:           8
        .value_kind:     global_buffer
      - .offset:         32
        .size:           4
        .value_kind:     by_value
      - .offset:         40
        .size:           8
        .value_kind:     by_value
      - .address_space:  global
        .offset:         48
        .size:           8
        .value_kind:     global_buffer
      - .offset:         56
        .size:           1
        .value_kind:     by_value
      - .offset:         57
        .size:           1
        .value_kind:     by_value
    .group_segment_fixed_size: 280
    .kernarg_segment_align: 8
    .kernarg_segment_size: 60
    .language:       OpenCL C
    .language_version:
      - 2
      - 0
    .max_flat_workgroup_size: 64
    .name:           _ZN9rocsolver6v33100L18getri_kernel_smallILi17EdPdEEvT1_iilPiilS4_bb
    .private_segment_fixed_size: 144
    .sgpr_count:     20
    .sgpr_spill_count: 0
    .symbol:         _ZN9rocsolver6v33100L18getri_kernel_smallILi17EdPdEEvT1_iilPiilS4_bb.kd
    .uniform_work_group_size: 1
    .uses_dynamic_stack: false
    .vgpr_count:     71
    .vgpr_spill_count: 0
    .wavefront_size: 32
    .workgroup_processor_mode: 1
  - .args:
      - .address_space:  global
        .offset:         0
        .size:           8
        .value_kind:     global_buffer
      - .offset:         8
        .size:           4
        .value_kind:     by_value
      - .offset:         12
        .size:           4
        .value_kind:     by_value
      - .offset:         16
        .size:           8
        .value_kind:     by_value
      - .address_space:  global
        .offset:         24
        .size:           8
        .value_kind:     global_buffer
      - .offset:         32
        .size:           4
        .value_kind:     by_value
      - .offset:         40
        .size:           8
        .value_kind:     by_value
      - .address_space:  global
        .offset:         48
        .size:           8
        .value_kind:     global_buffer
      - .offset:         56
        .size:           1
        .value_kind:     by_value
      - .offset:         57
        .size:           1
        .value_kind:     by_value
    .group_segment_fixed_size: 296
    .kernarg_segment_align: 8
    .kernarg_segment_size: 60
    .language:       OpenCL C
    .language_version:
      - 2
      - 0
    .max_flat_workgroup_size: 64
    .name:           _ZN9rocsolver6v33100L18getri_kernel_smallILi18EdPdEEvT1_iilPiilS4_bb
    .private_segment_fixed_size: 160
    .sgpr_count:     20
    .sgpr_spill_count: 0
    .symbol:         _ZN9rocsolver6v33100L18getri_kernel_smallILi18EdPdEEvT1_iilPiilS4_bb.kd
    .uniform_work_group_size: 1
    .uses_dynamic_stack: false
    .vgpr_count:     76
    .vgpr_spill_count: 0
    .wavefront_size: 32
    .workgroup_processor_mode: 1
  - .args:
      - .address_space:  global
        .offset:         0
        .size:           8
        .value_kind:     global_buffer
      - .offset:         8
        .size:           4
        .value_kind:     by_value
      - .offset:         12
        .size:           4
        .value_kind:     by_value
      - .offset:         16
        .size:           8
        .value_kind:     by_value
      - .address_space:  global
        .offset:         24
        .size:           8
        .value_kind:     global_buffer
      - .offset:         32
        .size:           4
        .value_kind:     by_value
      - .offset:         40
        .size:           8
        .value_kind:     by_value
      - .address_space:  global
        .offset:         48
        .size:           8
        .value_kind:     global_buffer
      - .offset:         56
        .size:           1
        .value_kind:     by_value
      - .offset:         57
        .size:           1
        .value_kind:     by_value
    .group_segment_fixed_size: 312
    .kernarg_segment_align: 8
    .kernarg_segment_size: 60
    .language:       OpenCL C
    .language_version:
      - 2
      - 0
    .max_flat_workgroup_size: 64
    .name:           _ZN9rocsolver6v33100L18getri_kernel_smallILi19EdPdEEvT1_iilPiilS4_bb
    .private_segment_fixed_size: 160
    .sgpr_count:     20
    .sgpr_spill_count: 0
    .symbol:         _ZN9rocsolver6v33100L18getri_kernel_smallILi19EdPdEEvT1_iilPiilS4_bb.kd
    .uniform_work_group_size: 1
    .uses_dynamic_stack: false
    .vgpr_count:     78
    .vgpr_spill_count: 0
    .wavefront_size: 32
    .workgroup_processor_mode: 1
  - .args:
      - .address_space:  global
        .offset:         0
        .size:           8
        .value_kind:     global_buffer
      - .offset:         8
        .size:           4
        .value_kind:     by_value
      - .offset:         12
        .size:           4
        .value_kind:     by_value
      - .offset:         16
        .size:           8
        .value_kind:     by_value
      - .address_space:  global
        .offset:         24
        .size:           8
        .value_kind:     global_buffer
      - .offset:         32
        .size:           4
        .value_kind:     by_value
      - .offset:         40
        .size:           8
        .value_kind:     by_value
      - .address_space:  global
        .offset:         48
        .size:           8
        .value_kind:     global_buffer
      - .offset:         56
        .size:           1
        .value_kind:     by_value
      - .offset:         57
        .size:           1
        .value_kind:     by_value
    .group_segment_fixed_size: 328
    .kernarg_segment_align: 8
    .kernarg_segment_size: 60
    .language:       OpenCL C
    .language_version:
      - 2
      - 0
    .max_flat_workgroup_size: 64
    .name:           _ZN9rocsolver6v33100L18getri_kernel_smallILi20EdPdEEvT1_iilPiilS4_bb
    .private_segment_fixed_size: 176
    .sgpr_count:     20
    .sgpr_spill_count: 0
    .symbol:         _ZN9rocsolver6v33100L18getri_kernel_smallILi20EdPdEEvT1_iilPiilS4_bb.kd
    .uniform_work_group_size: 1
    .uses_dynamic_stack: false
    .vgpr_count:     84
    .vgpr_spill_count: 0
    .wavefront_size: 32
    .workgroup_processor_mode: 1
  - .args:
      - .address_space:  global
        .offset:         0
        .size:           8
        .value_kind:     global_buffer
      - .offset:         8
        .size:           4
        .value_kind:     by_value
      - .offset:         12
        .size:           4
        .value_kind:     by_value
      - .offset:         16
        .size:           8
        .value_kind:     by_value
      - .address_space:  global
        .offset:         24
        .size:           8
        .value_kind:     global_buffer
      - .offset:         32
        .size:           4
        .value_kind:     by_value
      - .offset:         40
        .size:           8
        .value_kind:     by_value
      - .address_space:  global
        .offset:         48
        .size:           8
        .value_kind:     global_buffer
      - .offset:         56
        .size:           1
        .value_kind:     by_value
      - .offset:         57
        .size:           1
        .value_kind:     by_value
    .group_segment_fixed_size: 344
    .kernarg_segment_align: 8
    .kernarg_segment_size: 60
    .language:       OpenCL C
    .language_version:
      - 2
      - 0
    .max_flat_workgroup_size: 64
    .name:           _ZN9rocsolver6v33100L18getri_kernel_smallILi21EdPdEEvT1_iilPiilS4_bb
    .private_segment_fixed_size: 176
    .sgpr_count:     20
    .sgpr_spill_count: 0
    .symbol:         _ZN9rocsolver6v33100L18getri_kernel_smallILi21EdPdEEvT1_iilPiilS4_bb.kd
    .uniform_work_group_size: 1
    .uses_dynamic_stack: false
    .vgpr_count:     86
    .vgpr_spill_count: 0
    .wavefront_size: 32
    .workgroup_processor_mode: 1
  - .args:
      - .address_space:  global
        .offset:         0
        .size:           8
        .value_kind:     global_buffer
      - .offset:         8
        .size:           4
        .value_kind:     by_value
      - .offset:         12
        .size:           4
        .value_kind:     by_value
      - .offset:         16
        .size:           8
        .value_kind:     by_value
      - .address_space:  global
        .offset:         24
        .size:           8
        .value_kind:     global_buffer
      - .offset:         32
        .size:           4
        .value_kind:     by_value
      - .offset:         40
        .size:           8
        .value_kind:     by_value
      - .address_space:  global
        .offset:         48
        .size:           8
        .value_kind:     global_buffer
      - .offset:         56
        .size:           1
        .value_kind:     by_value
      - .offset:         57
        .size:           1
        .value_kind:     by_value
    .group_segment_fixed_size: 360
    .kernarg_segment_align: 8
    .kernarg_segment_size: 60
    .language:       OpenCL C
    .language_version:
      - 2
      - 0
    .max_flat_workgroup_size: 64
    .name:           _ZN9rocsolver6v33100L18getri_kernel_smallILi22EdPdEEvT1_iilPiilS4_bb
    .private_segment_fixed_size: 192
    .sgpr_count:     20
    .sgpr_spill_count: 0
    .symbol:         _ZN9rocsolver6v33100L18getri_kernel_smallILi22EdPdEEvT1_iilPiilS4_bb.kd
    .uniform_work_group_size: 1
    .uses_dynamic_stack: false
    .vgpr_count:     92
    .vgpr_spill_count: 0
    .wavefront_size: 32
    .workgroup_processor_mode: 1
  - .args:
      - .address_space:  global
        .offset:         0
        .size:           8
        .value_kind:     global_buffer
      - .offset:         8
        .size:           4
        .value_kind:     by_value
      - .offset:         12
        .size:           4
        .value_kind:     by_value
      - .offset:         16
        .size:           8
        .value_kind:     by_value
      - .address_space:  global
        .offset:         24
        .size:           8
        .value_kind:     global_buffer
      - .offset:         32
        .size:           4
        .value_kind:     by_value
      - .offset:         40
        .size:           8
        .value_kind:     by_value
      - .address_space:  global
        .offset:         48
        .size:           8
        .value_kind:     global_buffer
      - .offset:         56
        .size:           1
        .value_kind:     by_value
      - .offset:         57
        .size:           1
        .value_kind:     by_value
    .group_segment_fixed_size: 376
    .kernarg_segment_align: 8
    .kernarg_segment_size: 60
    .language:       OpenCL C
    .language_version:
      - 2
      - 0
    .max_flat_workgroup_size: 64
    .name:           _ZN9rocsolver6v33100L18getri_kernel_smallILi23EdPdEEvT1_iilPiilS4_bb
    .private_segment_fixed_size: 192
    .sgpr_count:     20
    .sgpr_spill_count: 0
    .symbol:         _ZN9rocsolver6v33100L18getri_kernel_smallILi23EdPdEEvT1_iilPiilS4_bb.kd
    .uniform_work_group_size: 1
    .uses_dynamic_stack: false
    .vgpr_count:     94
    .vgpr_spill_count: 0
    .wavefront_size: 32
    .workgroup_processor_mode: 1
  - .args:
      - .address_space:  global
        .offset:         0
        .size:           8
        .value_kind:     global_buffer
      - .offset:         8
        .size:           4
        .value_kind:     by_value
      - .offset:         12
        .size:           4
        .value_kind:     by_value
      - .offset:         16
        .size:           8
        .value_kind:     by_value
      - .address_space:  global
        .offset:         24
        .size:           8
        .value_kind:     global_buffer
      - .offset:         32
        .size:           4
        .value_kind:     by_value
      - .offset:         40
        .size:           8
        .value_kind:     by_value
      - .address_space:  global
        .offset:         48
        .size:           8
        .value_kind:     global_buffer
      - .offset:         56
        .size:           1
        .value_kind:     by_value
      - .offset:         57
        .size:           1
        .value_kind:     by_value
    .group_segment_fixed_size: 392
    .kernarg_segment_align: 8
    .kernarg_segment_size: 60
    .language:       OpenCL C
    .language_version:
      - 2
      - 0
    .max_flat_workgroup_size: 64
    .name:           _ZN9rocsolver6v33100L18getri_kernel_smallILi24EdPdEEvT1_iilPiilS4_bb
    .private_segment_fixed_size: 208
    .sgpr_count:     20
    .sgpr_spill_count: 0
    .symbol:         _ZN9rocsolver6v33100L18getri_kernel_smallILi24EdPdEEvT1_iilPiilS4_bb.kd
    .uniform_work_group_size: 1
    .uses_dynamic_stack: false
    .vgpr_count:     92
    .vgpr_spill_count: 0
    .wavefront_size: 32
    .workgroup_processor_mode: 1
  - .args:
      - .address_space:  global
        .offset:         0
        .size:           8
        .value_kind:     global_buffer
      - .offset:         8
        .size:           4
        .value_kind:     by_value
      - .offset:         12
        .size:           4
        .value_kind:     by_value
      - .offset:         16
        .size:           8
        .value_kind:     by_value
      - .address_space:  global
        .offset:         24
        .size:           8
        .value_kind:     global_buffer
      - .offset:         32
        .size:           4
        .value_kind:     by_value
      - .offset:         40
        .size:           8
        .value_kind:     by_value
      - .address_space:  global
        .offset:         48
        .size:           8
        .value_kind:     global_buffer
      - .offset:         56
        .size:           1
        .value_kind:     by_value
      - .offset:         57
        .size:           1
        .value_kind:     by_value
    .group_segment_fixed_size: 408
    .kernarg_segment_align: 8
    .kernarg_segment_size: 60
    .language:       OpenCL C
    .language_version:
      - 2
      - 0
    .max_flat_workgroup_size: 64
    .name:           _ZN9rocsolver6v33100L18getri_kernel_smallILi25EdPdEEvT1_iilPiilS4_bb
    .private_segment_fixed_size: 208
    .sgpr_count:     20
    .sgpr_spill_count: 0
    .symbol:         _ZN9rocsolver6v33100L18getri_kernel_smallILi25EdPdEEvT1_iilPiilS4_bb.kd
    .uniform_work_group_size: 1
    .uses_dynamic_stack: false
    .vgpr_count:     94
    .vgpr_spill_count: 0
    .wavefront_size: 32
    .workgroup_processor_mode: 1
  - .args:
      - .address_space:  global
        .offset:         0
        .size:           8
        .value_kind:     global_buffer
      - .offset:         8
        .size:           4
        .value_kind:     by_value
      - .offset:         12
        .size:           4
        .value_kind:     by_value
      - .offset:         16
        .size:           8
        .value_kind:     by_value
      - .address_space:  global
        .offset:         24
        .size:           8
        .value_kind:     global_buffer
      - .offset:         32
        .size:           4
        .value_kind:     by_value
      - .offset:         40
        .size:           8
        .value_kind:     by_value
      - .address_space:  global
        .offset:         48
        .size:           8
        .value_kind:     global_buffer
      - .offset:         56
        .size:           1
        .value_kind:     by_value
      - .offset:         57
        .size:           1
        .value_kind:     by_value
    .group_segment_fixed_size: 424
    .kernarg_segment_align: 8
    .kernarg_segment_size: 60
    .language:       OpenCL C
    .language_version:
      - 2
      - 0
    .max_flat_workgroup_size: 64
    .name:           _ZN9rocsolver6v33100L18getri_kernel_smallILi26EdPdEEvT1_iilPiilS4_bb
    .private_segment_fixed_size: 224
    .sgpr_count:     20
    .sgpr_spill_count: 0
    .symbol:         _ZN9rocsolver6v33100L18getri_kernel_smallILi26EdPdEEvT1_iilPiilS4_bb.kd
    .uniform_work_group_size: 1
    .uses_dynamic_stack: false
    .vgpr_count:     96
    .vgpr_spill_count: 0
    .wavefront_size: 32
    .workgroup_processor_mode: 1
  - .args:
      - .address_space:  global
        .offset:         0
        .size:           8
        .value_kind:     global_buffer
      - .offset:         8
        .size:           4
        .value_kind:     by_value
      - .offset:         12
        .size:           4
        .value_kind:     by_value
      - .offset:         16
        .size:           8
        .value_kind:     by_value
      - .address_space:  global
        .offset:         24
        .size:           8
        .value_kind:     global_buffer
      - .offset:         32
        .size:           4
        .value_kind:     by_value
      - .offset:         40
        .size:           8
        .value_kind:     by_value
      - .address_space:  global
        .offset:         48
        .size:           8
        .value_kind:     global_buffer
      - .offset:         56
        .size:           1
        .value_kind:     by_value
      - .offset:         57
        .size:           1
        .value_kind:     by_value
    .group_segment_fixed_size: 440
    .kernarg_segment_align: 8
    .kernarg_segment_size: 60
    .language:       OpenCL C
    .language_version:
      - 2
      - 0
    .max_flat_workgroup_size: 64
    .name:           _ZN9rocsolver6v33100L18getri_kernel_smallILi27EdPdEEvT1_iilPiilS4_bb
    .private_segment_fixed_size: 224
    .sgpr_count:     20
    .sgpr_spill_count: 0
    .symbol:         _ZN9rocsolver6v33100L18getri_kernel_smallILi27EdPdEEvT1_iilPiilS4_bb.kd
    .uniform_work_group_size: 1
    .uses_dynamic_stack: false
    .vgpr_count:     96
    .vgpr_spill_count: 0
    .wavefront_size: 32
    .workgroup_processor_mode: 1
  - .args:
      - .address_space:  global
        .offset:         0
        .size:           8
        .value_kind:     global_buffer
      - .offset:         8
        .size:           4
        .value_kind:     by_value
      - .offset:         12
        .size:           4
        .value_kind:     by_value
      - .offset:         16
        .size:           8
        .value_kind:     by_value
      - .address_space:  global
        .offset:         24
        .size:           8
        .value_kind:     global_buffer
      - .offset:         32
        .size:           4
        .value_kind:     by_value
      - .offset:         40
        .size:           8
        .value_kind:     by_value
      - .address_space:  global
        .offset:         48
        .size:           8
        .value_kind:     global_buffer
      - .offset:         56
        .size:           1
        .value_kind:     by_value
      - .offset:         57
        .size:           1
        .value_kind:     by_value
    .group_segment_fixed_size: 456
    .kernarg_segment_align: 8
    .kernarg_segment_size: 60
    .language:       OpenCL C
    .language_version:
      - 2
      - 0
    .max_flat_workgroup_size: 64
    .name:           _ZN9rocsolver6v33100L18getri_kernel_smallILi28EdPdEEvT1_iilPiilS4_bb
    .private_segment_fixed_size: 240
    .sgpr_count:     20
    .sgpr_spill_count: 0
    .symbol:         _ZN9rocsolver6v33100L18getri_kernel_smallILi28EdPdEEvT1_iilPiilS4_bb.kd
    .uniform_work_group_size: 1
    .uses_dynamic_stack: false
    .vgpr_count:     96
    .vgpr_spill_count: 0
    .wavefront_size: 32
    .workgroup_processor_mode: 1
  - .args:
      - .address_space:  global
        .offset:         0
        .size:           8
        .value_kind:     global_buffer
      - .offset:         8
        .size:           4
        .value_kind:     by_value
      - .offset:         12
        .size:           4
        .value_kind:     by_value
      - .offset:         16
        .size:           8
        .value_kind:     by_value
      - .address_space:  global
        .offset:         24
        .size:           8
        .value_kind:     global_buffer
      - .offset:         32
        .size:           4
        .value_kind:     by_value
      - .offset:         40
        .size:           8
        .value_kind:     by_value
      - .address_space:  global
        .offset:         48
        .size:           8
        .value_kind:     global_buffer
      - .offset:         56
        .size:           1
        .value_kind:     by_value
      - .offset:         57
        .size:           1
        .value_kind:     by_value
    .group_segment_fixed_size: 472
    .kernarg_segment_align: 8
    .kernarg_segment_size: 60
    .language:       OpenCL C
    .language_version:
      - 2
      - 0
    .max_flat_workgroup_size: 64
    .name:           _ZN9rocsolver6v33100L18getri_kernel_smallILi29EdPdEEvT1_iilPiilS4_bb
    .private_segment_fixed_size: 240
    .sgpr_count:     20
    .sgpr_spill_count: 0
    .symbol:         _ZN9rocsolver6v33100L18getri_kernel_smallILi29EdPdEEvT1_iilPiilS4_bb.kd
    .uniform_work_group_size: 1
    .uses_dynamic_stack: false
    .vgpr_count:     95
    .vgpr_spill_count: 0
    .wavefront_size: 32
    .workgroup_processor_mode: 1
  - .args:
      - .address_space:  global
        .offset:         0
        .size:           8
        .value_kind:     global_buffer
      - .offset:         8
        .size:           4
        .value_kind:     by_value
      - .offset:         12
        .size:           4
        .value_kind:     by_value
      - .offset:         16
        .size:           8
        .value_kind:     by_value
      - .address_space:  global
        .offset:         24
        .size:           8
        .value_kind:     global_buffer
      - .offset:         32
        .size:           4
        .value_kind:     by_value
      - .offset:         40
        .size:           8
        .value_kind:     by_value
      - .address_space:  global
        .offset:         48
        .size:           8
        .value_kind:     global_buffer
      - .offset:         56
        .size:           1
        .value_kind:     by_value
      - .offset:         57
        .size:           1
        .value_kind:     by_value
    .group_segment_fixed_size: 488
    .kernarg_segment_align: 8
    .kernarg_segment_size: 60
    .language:       OpenCL C
    .language_version:
      - 2
      - 0
    .max_flat_workgroup_size: 64
    .name:           _ZN9rocsolver6v33100L18getri_kernel_smallILi30EdPdEEvT1_iilPiilS4_bb
    .private_segment_fixed_size: 256
    .sgpr_count:     20
    .sgpr_spill_count: 0
    .symbol:         _ZN9rocsolver6v33100L18getri_kernel_smallILi30EdPdEEvT1_iilPiilS4_bb.kd
    .uniform_work_group_size: 1
    .uses_dynamic_stack: false
    .vgpr_count:     98
    .vgpr_spill_count: 0
    .wavefront_size: 32
    .workgroup_processor_mode: 1
  - .args:
      - .address_space:  global
        .offset:         0
        .size:           8
        .value_kind:     global_buffer
      - .offset:         8
        .size:           4
        .value_kind:     by_value
      - .offset:         12
        .size:           4
        .value_kind:     by_value
      - .offset:         16
        .size:           8
        .value_kind:     by_value
      - .address_space:  global
        .offset:         24
        .size:           8
        .value_kind:     global_buffer
      - .offset:         32
        .size:           4
        .value_kind:     by_value
      - .offset:         40
        .size:           8
        .value_kind:     by_value
      - .address_space:  global
        .offset:         48
        .size:           8
        .value_kind:     global_buffer
      - .offset:         56
        .size:           1
        .value_kind:     by_value
      - .offset:         57
        .size:           1
        .value_kind:     by_value
    .group_segment_fixed_size: 504
    .kernarg_segment_align: 8
    .kernarg_segment_size: 60
    .language:       OpenCL C
    .language_version:
      - 2
      - 0
    .max_flat_workgroup_size: 64
    .name:           _ZN9rocsolver6v33100L18getri_kernel_smallILi31EdPdEEvT1_iilPiilS4_bb
    .private_segment_fixed_size: 256
    .sgpr_count:     20
    .sgpr_spill_count: 0
    .symbol:         _ZN9rocsolver6v33100L18getri_kernel_smallILi31EdPdEEvT1_iilPiilS4_bb.kd
    .uniform_work_group_size: 1
    .uses_dynamic_stack: false
    .vgpr_count:     99
    .vgpr_spill_count: 0
    .wavefront_size: 32
    .workgroup_processor_mode: 1
  - .args:
      - .address_space:  global
        .offset:         0
        .size:           8
        .value_kind:     global_buffer
      - .offset:         8
        .size:           4
        .value_kind:     by_value
      - .offset:         12
        .size:           4
        .value_kind:     by_value
      - .offset:         16
        .size:           8
        .value_kind:     by_value
      - .address_space:  global
        .offset:         24
        .size:           8
        .value_kind:     global_buffer
      - .offset:         32
        .size:           4
        .value_kind:     by_value
      - .offset:         40
        .size:           8
        .value_kind:     by_value
      - .address_space:  global
        .offset:         48
        .size:           8
        .value_kind:     global_buffer
      - .offset:         56
        .size:           1
        .value_kind:     by_value
      - .offset:         57
        .size:           1
        .value_kind:     by_value
    .group_segment_fixed_size: 520
    .kernarg_segment_align: 8
    .kernarg_segment_size: 60
    .language:       OpenCL C
    .language_version:
      - 2
      - 0
    .max_flat_workgroup_size: 64
    .name:           _ZN9rocsolver6v33100L18getri_kernel_smallILi32EdPdEEvT1_iilPiilS4_bb
    .private_segment_fixed_size: 272
    .sgpr_count:     20
    .sgpr_spill_count: 0
    .symbol:         _ZN9rocsolver6v33100L18getri_kernel_smallILi32EdPdEEvT1_iilPiilS4_bb.kd
    .uniform_work_group_size: 1
    .uses_dynamic_stack: false
    .vgpr_count:     102
    .vgpr_spill_count: 0
    .wavefront_size: 32
    .workgroup_processor_mode: 1
  - .args:
      - .address_space:  global
        .offset:         0
        .size:           8
        .value_kind:     global_buffer
      - .offset:         8
        .size:           4
        .value_kind:     by_value
      - .offset:         12
        .size:           4
        .value_kind:     by_value
      - .offset:         16
        .size:           8
        .value_kind:     by_value
      - .address_space:  global
        .offset:         24
        .size:           8
        .value_kind:     global_buffer
      - .offset:         32
        .size:           4
        .value_kind:     by_value
      - .offset:         40
        .size:           8
        .value_kind:     by_value
      - .address_space:  global
        .offset:         48
        .size:           8
        .value_kind:     global_buffer
      - .offset:         56
        .size:           1
        .value_kind:     by_value
      - .offset:         57
        .size:           1
        .value_kind:     by_value
    .group_segment_fixed_size: 536
    .kernarg_segment_align: 8
    .kernarg_segment_size: 60
    .language:       OpenCL C
    .language_version:
      - 2
      - 0
    .max_flat_workgroup_size: 64
    .name:           _ZN9rocsolver6v33100L18getri_kernel_smallILi33EdPdEEvT1_iilPiilS4_bb
    .private_segment_fixed_size: 272
    .sgpr_count:     20
    .sgpr_spill_count: 0
    .symbol:         _ZN9rocsolver6v33100L18getri_kernel_smallILi33EdPdEEvT1_iilPiilS4_bb.kd
    .uniform_work_group_size: 1
    .uses_dynamic_stack: false
    .vgpr_count:     119
    .vgpr_spill_count: 0
    .wavefront_size: 32
    .workgroup_processor_mode: 1
  - .args:
      - .address_space:  global
        .offset:         0
        .size:           8
        .value_kind:     global_buffer
      - .offset:         8
        .size:           4
        .value_kind:     by_value
      - .offset:         12
        .size:           4
        .value_kind:     by_value
      - .offset:         16
        .size:           8
        .value_kind:     by_value
      - .address_space:  global
        .offset:         24
        .size:           8
        .value_kind:     global_buffer
      - .offset:         32
        .size:           4
        .value_kind:     by_value
      - .offset:         40
        .size:           8
        .value_kind:     by_value
      - .address_space:  global
        .offset:         48
        .size:           8
        .value_kind:     global_buffer
      - .offset:         56
        .size:           1
        .value_kind:     by_value
      - .offset:         57
        .size:           1
        .value_kind:     by_value
    .group_segment_fixed_size: 552
    .kernarg_segment_align: 8
    .kernarg_segment_size: 60
    .language:       OpenCL C
    .language_version:
      - 2
      - 0
    .max_flat_workgroup_size: 64
    .name:           _ZN9rocsolver6v33100L18getri_kernel_smallILi34EdPdEEvT1_iilPiilS4_bb
    .private_segment_fixed_size: 288
    .sgpr_count:     20
    .sgpr_spill_count: 0
    .symbol:         _ZN9rocsolver6v33100L18getri_kernel_smallILi34EdPdEEvT1_iilPiilS4_bb.kd
    .uniform_work_group_size: 1
    .uses_dynamic_stack: false
    .vgpr_count:     121
    .vgpr_spill_count: 0
    .wavefront_size: 32
    .workgroup_processor_mode: 1
  - .args:
      - .address_space:  global
        .offset:         0
        .size:           8
        .value_kind:     global_buffer
      - .offset:         8
        .size:           4
        .value_kind:     by_value
      - .offset:         12
        .size:           4
        .value_kind:     by_value
      - .offset:         16
        .size:           8
        .value_kind:     by_value
      - .address_space:  global
        .offset:         24
        .size:           8
        .value_kind:     global_buffer
      - .offset:         32
        .size:           4
        .value_kind:     by_value
      - .offset:         40
        .size:           8
        .value_kind:     by_value
      - .address_space:  global
        .offset:         48
        .size:           8
        .value_kind:     global_buffer
      - .offset:         56
        .size:           1
        .value_kind:     by_value
      - .offset:         57
        .size:           1
        .value_kind:     by_value
    .group_segment_fixed_size: 568
    .kernarg_segment_align: 8
    .kernarg_segment_size: 60
    .language:       OpenCL C
    .language_version:
      - 2
      - 0
    .max_flat_workgroup_size: 64
    .name:           _ZN9rocsolver6v33100L18getri_kernel_smallILi35EdPdEEvT1_iilPiilS4_bb
    .private_segment_fixed_size: 288
    .sgpr_count:     20
    .sgpr_spill_count: 0
    .symbol:         _ZN9rocsolver6v33100L18getri_kernel_smallILi35EdPdEEvT1_iilPiilS4_bb.kd
    .uniform_work_group_size: 1
    .uses_dynamic_stack: false
    .vgpr_count:     120
    .vgpr_spill_count: 0
    .wavefront_size: 32
    .workgroup_processor_mode: 1
  - .args:
      - .address_space:  global
        .offset:         0
        .size:           8
        .value_kind:     global_buffer
      - .offset:         8
        .size:           4
        .value_kind:     by_value
      - .offset:         12
        .size:           4
        .value_kind:     by_value
      - .offset:         16
        .size:           8
        .value_kind:     by_value
      - .address_space:  global
        .offset:         24
        .size:           8
        .value_kind:     global_buffer
      - .offset:         32
        .size:           4
        .value_kind:     by_value
      - .offset:         40
        .size:           8
        .value_kind:     by_value
      - .address_space:  global
        .offset:         48
        .size:           8
        .value_kind:     global_buffer
      - .offset:         56
        .size:           1
        .value_kind:     by_value
      - .offset:         57
        .size:           1
        .value_kind:     by_value
    .group_segment_fixed_size: 584
    .kernarg_segment_align: 8
    .kernarg_segment_size: 60
    .language:       OpenCL C
    .language_version:
      - 2
      - 0
    .max_flat_workgroup_size: 64
    .name:           _ZN9rocsolver6v33100L18getri_kernel_smallILi36EdPdEEvT1_iilPiilS4_bb
    .private_segment_fixed_size: 304
    .sgpr_count:     20
    .sgpr_spill_count: 0
    .symbol:         _ZN9rocsolver6v33100L18getri_kernel_smallILi36EdPdEEvT1_iilPiilS4_bb.kd
    .uniform_work_group_size: 1
    .uses_dynamic_stack: false
    .vgpr_count:     121
    .vgpr_spill_count: 0
    .wavefront_size: 32
    .workgroup_processor_mode: 1
  - .args:
      - .address_space:  global
        .offset:         0
        .size:           8
        .value_kind:     global_buffer
      - .offset:         8
        .size:           4
        .value_kind:     by_value
      - .offset:         12
        .size:           4
        .value_kind:     by_value
      - .offset:         16
        .size:           8
        .value_kind:     by_value
      - .address_space:  global
        .offset:         24
        .size:           8
        .value_kind:     global_buffer
      - .offset:         32
        .size:           4
        .value_kind:     by_value
      - .offset:         40
        .size:           8
        .value_kind:     by_value
      - .address_space:  global
        .offset:         48
        .size:           8
        .value_kind:     global_buffer
      - .offset:         56
        .size:           1
        .value_kind:     by_value
      - .offset:         57
        .size:           1
        .value_kind:     by_value
    .group_segment_fixed_size: 600
    .kernarg_segment_align: 8
    .kernarg_segment_size: 60
    .language:       OpenCL C
    .language_version:
      - 2
      - 0
    .max_flat_workgroup_size: 64
    .name:           _ZN9rocsolver6v33100L18getri_kernel_smallILi37EdPdEEvT1_iilPiilS4_bb
    .private_segment_fixed_size: 304
    .sgpr_count:     20
    .sgpr_spill_count: 0
    .symbol:         _ZN9rocsolver6v33100L18getri_kernel_smallILi37EdPdEEvT1_iilPiilS4_bb.kd
    .uniform_work_group_size: 1
    .uses_dynamic_stack: false
    .vgpr_count:     119
    .vgpr_spill_count: 0
    .wavefront_size: 32
    .workgroup_processor_mode: 1
  - .args:
      - .address_space:  global
        .offset:         0
        .size:           8
        .value_kind:     global_buffer
      - .offset:         8
        .size:           4
        .value_kind:     by_value
      - .offset:         12
        .size:           4
        .value_kind:     by_value
      - .offset:         16
        .size:           8
        .value_kind:     by_value
      - .address_space:  global
        .offset:         24
        .size:           8
        .value_kind:     global_buffer
      - .offset:         32
        .size:           4
        .value_kind:     by_value
      - .offset:         40
        .size:           8
        .value_kind:     by_value
      - .address_space:  global
        .offset:         48
        .size:           8
        .value_kind:     global_buffer
      - .offset:         56
        .size:           1
        .value_kind:     by_value
      - .offset:         57
        .size:           1
        .value_kind:     by_value
    .group_segment_fixed_size: 616
    .kernarg_segment_align: 8
    .kernarg_segment_size: 60
    .language:       OpenCL C
    .language_version:
      - 2
      - 0
    .max_flat_workgroup_size: 64
    .name:           _ZN9rocsolver6v33100L18getri_kernel_smallILi38EdPdEEvT1_iilPiilS4_bb
    .private_segment_fixed_size: 320
    .sgpr_count:     20
    .sgpr_spill_count: 0
    .symbol:         _ZN9rocsolver6v33100L18getri_kernel_smallILi38EdPdEEvT1_iilPiilS4_bb.kd
    .uniform_work_group_size: 1
    .uses_dynamic_stack: false
    .vgpr_count:     124
    .vgpr_spill_count: 0
    .wavefront_size: 32
    .workgroup_processor_mode: 1
  - .args:
      - .address_space:  global
        .offset:         0
        .size:           8
        .value_kind:     global_buffer
      - .offset:         8
        .size:           4
        .value_kind:     by_value
      - .offset:         12
        .size:           4
        .value_kind:     by_value
      - .offset:         16
        .size:           8
        .value_kind:     by_value
      - .address_space:  global
        .offset:         24
        .size:           8
        .value_kind:     global_buffer
      - .offset:         32
        .size:           4
        .value_kind:     by_value
      - .offset:         40
        .size:           8
        .value_kind:     by_value
      - .address_space:  global
        .offset:         48
        .size:           8
        .value_kind:     global_buffer
      - .offset:         56
        .size:           1
        .value_kind:     by_value
      - .offset:         57
        .size:           1
        .value_kind:     by_value
    .group_segment_fixed_size: 632
    .kernarg_segment_align: 8
    .kernarg_segment_size: 60
    .language:       OpenCL C
    .language_version:
      - 2
      - 0
    .max_flat_workgroup_size: 64
    .name:           _ZN9rocsolver6v33100L18getri_kernel_smallILi39EdPdEEvT1_iilPiilS4_bb
    .private_segment_fixed_size: 320
    .sgpr_count:     20
    .sgpr_spill_count: 0
    .symbol:         _ZN9rocsolver6v33100L18getri_kernel_smallILi39EdPdEEvT1_iilPiilS4_bb.kd
    .uniform_work_group_size: 1
    .uses_dynamic_stack: false
    .vgpr_count:     126
    .vgpr_spill_count: 0
    .wavefront_size: 32
    .workgroup_processor_mode: 1
  - .args:
      - .address_space:  global
        .offset:         0
        .size:           8
        .value_kind:     global_buffer
      - .offset:         8
        .size:           4
        .value_kind:     by_value
      - .offset:         12
        .size:           4
        .value_kind:     by_value
      - .offset:         16
        .size:           8
        .value_kind:     by_value
      - .address_space:  global
        .offset:         24
        .size:           8
        .value_kind:     global_buffer
      - .offset:         32
        .size:           4
        .value_kind:     by_value
      - .offset:         40
        .size:           8
        .value_kind:     by_value
      - .address_space:  global
        .offset:         48
        .size:           8
        .value_kind:     global_buffer
      - .offset:         56
        .size:           1
        .value_kind:     by_value
      - .offset:         57
        .size:           1
        .value_kind:     by_value
    .group_segment_fixed_size: 648
    .kernarg_segment_align: 8
    .kernarg_segment_size: 60
    .language:       OpenCL C
    .language_version:
      - 2
      - 0
    .max_flat_workgroup_size: 64
    .name:           _ZN9rocsolver6v33100L18getri_kernel_smallILi40EdPdEEvT1_iilPiilS4_bb
    .private_segment_fixed_size: 336
    .sgpr_count:     20
    .sgpr_spill_count: 0
    .symbol:         _ZN9rocsolver6v33100L18getri_kernel_smallILi40EdPdEEvT1_iilPiilS4_bb.kd
    .uniform_work_group_size: 1
    .uses_dynamic_stack: false
    .vgpr_count:     128
    .vgpr_spill_count: 0
    .wavefront_size: 32
    .workgroup_processor_mode: 1
  - .args:
      - .address_space:  global
        .offset:         0
        .size:           8
        .value_kind:     global_buffer
      - .offset:         8
        .size:           4
        .value_kind:     by_value
      - .offset:         12
        .size:           4
        .value_kind:     by_value
      - .offset:         16
        .size:           8
        .value_kind:     by_value
      - .address_space:  global
        .offset:         24
        .size:           8
        .value_kind:     global_buffer
      - .offset:         32
        .size:           4
        .value_kind:     by_value
      - .offset:         40
        .size:           8
        .value_kind:     by_value
      - .address_space:  global
        .offset:         48
        .size:           8
        .value_kind:     global_buffer
      - .offset:         56
        .size:           1
        .value_kind:     by_value
      - .offset:         57
        .size:           1
        .value_kind:     by_value
    .group_segment_fixed_size: 664
    .kernarg_segment_align: 8
    .kernarg_segment_size: 60
    .language:       OpenCL C
    .language_version:
      - 2
      - 0
    .max_flat_workgroup_size: 64
    .name:           _ZN9rocsolver6v33100L18getri_kernel_smallILi41EdPdEEvT1_iilPiilS4_bb
    .private_segment_fixed_size: 336
    .sgpr_count:     20
    .sgpr_spill_count: 0
    .symbol:         _ZN9rocsolver6v33100L18getri_kernel_smallILi41EdPdEEvT1_iilPiilS4_bb.kd
    .uniform_work_group_size: 1
    .uses_dynamic_stack: false
    .vgpr_count:     123
    .vgpr_spill_count: 0
    .wavefront_size: 32
    .workgroup_processor_mode: 1
  - .args:
      - .address_space:  global
        .offset:         0
        .size:           8
        .value_kind:     global_buffer
      - .offset:         8
        .size:           4
        .value_kind:     by_value
      - .offset:         12
        .size:           4
        .value_kind:     by_value
      - .offset:         16
        .size:           8
        .value_kind:     by_value
      - .address_space:  global
        .offset:         24
        .size:           8
        .value_kind:     global_buffer
      - .offset:         32
        .size:           4
        .value_kind:     by_value
      - .offset:         40
        .size:           8
        .value_kind:     by_value
      - .address_space:  global
        .offset:         48
        .size:           8
        .value_kind:     global_buffer
      - .offset:         56
        .size:           1
        .value_kind:     by_value
      - .offset:         57
        .size:           1
        .value_kind:     by_value
    .group_segment_fixed_size: 680
    .kernarg_segment_align: 8
    .kernarg_segment_size: 60
    .language:       OpenCL C
    .language_version:
      - 2
      - 0
    .max_flat_workgroup_size: 64
    .name:           _ZN9rocsolver6v33100L18getri_kernel_smallILi42EdPdEEvT1_iilPiilS4_bb
    .private_segment_fixed_size: 352
    .sgpr_count:     20
    .sgpr_spill_count: 0
    .symbol:         _ZN9rocsolver6v33100L18getri_kernel_smallILi42EdPdEEvT1_iilPiilS4_bb.kd
    .uniform_work_group_size: 1
    .uses_dynamic_stack: false
    .vgpr_count:     128
    .vgpr_spill_count: 0
    .wavefront_size: 32
    .workgroup_processor_mode: 1
  - .args:
      - .address_space:  global
        .offset:         0
        .size:           8
        .value_kind:     global_buffer
      - .offset:         8
        .size:           4
        .value_kind:     by_value
      - .offset:         12
        .size:           4
        .value_kind:     by_value
      - .offset:         16
        .size:           8
        .value_kind:     by_value
      - .address_space:  global
        .offset:         24
        .size:           8
        .value_kind:     global_buffer
      - .offset:         32
        .size:           4
        .value_kind:     by_value
      - .offset:         40
        .size:           8
        .value_kind:     by_value
      - .address_space:  global
        .offset:         48
        .size:           8
        .value_kind:     global_buffer
      - .offset:         56
        .size:           1
        .value_kind:     by_value
      - .offset:         57
        .size:           1
        .value_kind:     by_value
    .group_segment_fixed_size: 696
    .kernarg_segment_align: 8
    .kernarg_segment_size: 60
    .language:       OpenCL C
    .language_version:
      - 2
      - 0
    .max_flat_workgroup_size: 64
    .name:           _ZN9rocsolver6v33100L18getri_kernel_smallILi43EdPdEEvT1_iilPiilS4_bb
    .private_segment_fixed_size: 352
    .sgpr_count:     20
    .sgpr_spill_count: 0
    .symbol:         _ZN9rocsolver6v33100L18getri_kernel_smallILi43EdPdEEvT1_iilPiilS4_bb.kd
    .uniform_work_group_size: 1
    .uses_dynamic_stack: false
    .vgpr_count:     122
    .vgpr_spill_count: 0
    .wavefront_size: 32
    .workgroup_processor_mode: 1
  - .args:
      - .address_space:  global
        .offset:         0
        .size:           8
        .value_kind:     global_buffer
      - .offset:         8
        .size:           4
        .value_kind:     by_value
      - .offset:         12
        .size:           4
        .value_kind:     by_value
      - .offset:         16
        .size:           8
        .value_kind:     by_value
      - .address_space:  global
        .offset:         24
        .size:           8
        .value_kind:     global_buffer
      - .offset:         32
        .size:           4
        .value_kind:     by_value
      - .offset:         40
        .size:           8
        .value_kind:     by_value
      - .address_space:  global
        .offset:         48
        .size:           8
        .value_kind:     global_buffer
      - .offset:         56
        .size:           1
        .value_kind:     by_value
      - .offset:         57
        .size:           1
        .value_kind:     by_value
    .group_segment_fixed_size: 712
    .kernarg_segment_align: 8
    .kernarg_segment_size: 60
    .language:       OpenCL C
    .language_version:
      - 2
      - 0
    .max_flat_workgroup_size: 64
    .name:           _ZN9rocsolver6v33100L18getri_kernel_smallILi44EdPdEEvT1_iilPiilS4_bb
    .private_segment_fixed_size: 368
    .sgpr_count:     20
    .sgpr_spill_count: 0
    .symbol:         _ZN9rocsolver6v33100L18getri_kernel_smallILi44EdPdEEvT1_iilPiilS4_bb.kd
    .uniform_work_group_size: 1
    .uses_dynamic_stack: false
    .vgpr_count:     124
    .vgpr_spill_count: 0
    .wavefront_size: 32
    .workgroup_processor_mode: 1
  - .args:
      - .address_space:  global
        .offset:         0
        .size:           8
        .value_kind:     global_buffer
      - .offset:         8
        .size:           4
        .value_kind:     by_value
      - .offset:         12
        .size:           4
        .value_kind:     by_value
      - .offset:         16
        .size:           8
        .value_kind:     by_value
      - .address_space:  global
        .offset:         24
        .size:           8
        .value_kind:     global_buffer
      - .offset:         32
        .size:           4
        .value_kind:     by_value
      - .offset:         40
        .size:           8
        .value_kind:     by_value
      - .address_space:  global
        .offset:         48
        .size:           8
        .value_kind:     global_buffer
      - .offset:         56
        .size:           1
        .value_kind:     by_value
      - .offset:         57
        .size:           1
        .value_kind:     by_value
    .group_segment_fixed_size: 728
    .kernarg_segment_align: 8
    .kernarg_segment_size: 60
    .language:       OpenCL C
    .language_version:
      - 2
      - 0
    .max_flat_workgroup_size: 64
    .name:           _ZN9rocsolver6v33100L18getri_kernel_smallILi45EdPdEEvT1_iilPiilS4_bb
    .private_segment_fixed_size: 368
    .sgpr_count:     20
    .sgpr_spill_count: 0
    .symbol:         _ZN9rocsolver6v33100L18getri_kernel_smallILi45EdPdEEvT1_iilPiilS4_bb.kd
    .uniform_work_group_size: 1
    .uses_dynamic_stack: false
    .vgpr_count:     143
    .vgpr_spill_count: 0
    .wavefront_size: 32
    .workgroup_processor_mode: 1
  - .args:
      - .address_space:  global
        .offset:         0
        .size:           8
        .value_kind:     global_buffer
      - .offset:         8
        .size:           4
        .value_kind:     by_value
      - .offset:         12
        .size:           4
        .value_kind:     by_value
      - .offset:         16
        .size:           8
        .value_kind:     by_value
      - .address_space:  global
        .offset:         24
        .size:           8
        .value_kind:     global_buffer
      - .offset:         32
        .size:           4
        .value_kind:     by_value
      - .offset:         40
        .size:           8
        .value_kind:     by_value
      - .address_space:  global
        .offset:         48
        .size:           8
        .value_kind:     global_buffer
      - .offset:         56
        .size:           1
        .value_kind:     by_value
      - .offset:         57
        .size:           1
        .value_kind:     by_value
    .group_segment_fixed_size: 744
    .kernarg_segment_align: 8
    .kernarg_segment_size: 60
    .language:       OpenCL C
    .language_version:
      - 2
      - 0
    .max_flat_workgroup_size: 64
    .name:           _ZN9rocsolver6v33100L18getri_kernel_smallILi46EdPdEEvT1_iilPiilS4_bb
    .private_segment_fixed_size: 384
    .sgpr_count:     20
    .sgpr_spill_count: 0
    .symbol:         _ZN9rocsolver6v33100L18getri_kernel_smallILi46EdPdEEvT1_iilPiilS4_bb.kd
    .uniform_work_group_size: 1
    .uses_dynamic_stack: false
    .vgpr_count:     146
    .vgpr_spill_count: 0
    .wavefront_size: 32
    .workgroup_processor_mode: 1
  - .args:
      - .address_space:  global
        .offset:         0
        .size:           8
        .value_kind:     global_buffer
      - .offset:         8
        .size:           4
        .value_kind:     by_value
      - .offset:         12
        .size:           4
        .value_kind:     by_value
      - .offset:         16
        .size:           8
        .value_kind:     by_value
      - .address_space:  global
        .offset:         24
        .size:           8
        .value_kind:     global_buffer
      - .offset:         32
        .size:           4
        .value_kind:     by_value
      - .offset:         40
        .size:           8
        .value_kind:     by_value
      - .address_space:  global
        .offset:         48
        .size:           8
        .value_kind:     global_buffer
      - .offset:         56
        .size:           1
        .value_kind:     by_value
      - .offset:         57
        .size:           1
        .value_kind:     by_value
    .group_segment_fixed_size: 760
    .kernarg_segment_align: 8
    .kernarg_segment_size: 60
    .language:       OpenCL C
    .language_version:
      - 2
      - 0
    .max_flat_workgroup_size: 64
    .name:           _ZN9rocsolver6v33100L18getri_kernel_smallILi47EdPdEEvT1_iilPiilS4_bb
    .private_segment_fixed_size: 384
    .sgpr_count:     20
    .sgpr_spill_count: 0
    .symbol:         _ZN9rocsolver6v33100L18getri_kernel_smallILi47EdPdEEvT1_iilPiilS4_bb.kd
    .uniform_work_group_size: 1
    .uses_dynamic_stack: false
    .vgpr_count:     148
    .vgpr_spill_count: 0
    .wavefront_size: 32
    .workgroup_processor_mode: 1
  - .args:
      - .address_space:  global
        .offset:         0
        .size:           8
        .value_kind:     global_buffer
      - .offset:         8
        .size:           4
        .value_kind:     by_value
      - .offset:         12
        .size:           4
        .value_kind:     by_value
      - .offset:         16
        .size:           8
        .value_kind:     by_value
      - .address_space:  global
        .offset:         24
        .size:           8
        .value_kind:     global_buffer
      - .offset:         32
        .size:           4
        .value_kind:     by_value
      - .offset:         40
        .size:           8
        .value_kind:     by_value
      - .address_space:  global
        .offset:         48
        .size:           8
        .value_kind:     global_buffer
      - .offset:         56
        .size:           1
        .value_kind:     by_value
      - .offset:         57
        .size:           1
        .value_kind:     by_value
    .group_segment_fixed_size: 776
    .kernarg_segment_align: 8
    .kernarg_segment_size: 60
    .language:       OpenCL C
    .language_version:
      - 2
      - 0
    .max_flat_workgroup_size: 64
    .name:           _ZN9rocsolver6v33100L18getri_kernel_smallILi48EdPdEEvT1_iilPiilS4_bb
    .private_segment_fixed_size: 400
    .sgpr_count:     20
    .sgpr_spill_count: 0
    .symbol:         _ZN9rocsolver6v33100L18getri_kernel_smallILi48EdPdEEvT1_iilPiilS4_bb.kd
    .uniform_work_group_size: 1
    .uses_dynamic_stack: false
    .vgpr_count:     150
    .vgpr_spill_count: 0
    .wavefront_size: 32
    .workgroup_processor_mode: 1
  - .args:
      - .address_space:  global
        .offset:         0
        .size:           8
        .value_kind:     global_buffer
      - .offset:         8
        .size:           4
        .value_kind:     by_value
      - .offset:         12
        .size:           4
        .value_kind:     by_value
      - .offset:         16
        .size:           8
        .value_kind:     by_value
      - .address_space:  global
        .offset:         24
        .size:           8
        .value_kind:     global_buffer
      - .offset:         32
        .size:           4
        .value_kind:     by_value
      - .offset:         40
        .size:           8
        .value_kind:     by_value
      - .address_space:  global
        .offset:         48
        .size:           8
        .value_kind:     global_buffer
      - .offset:         56
        .size:           1
        .value_kind:     by_value
      - .offset:         57
        .size:           1
        .value_kind:     by_value
    .group_segment_fixed_size: 792
    .kernarg_segment_align: 8
    .kernarg_segment_size: 60
    .language:       OpenCL C
    .language_version:
      - 2
      - 0
    .max_flat_workgroup_size: 64
    .name:           _ZN9rocsolver6v33100L18getri_kernel_smallILi49EdPdEEvT1_iilPiilS4_bb
    .private_segment_fixed_size: 400
    .sgpr_count:     20
    .sgpr_spill_count: 0
    .symbol:         _ZN9rocsolver6v33100L18getri_kernel_smallILi49EdPdEEvT1_iilPiilS4_bb.kd
    .uniform_work_group_size: 1
    .uses_dynamic_stack: false
    .vgpr_count:     147
    .vgpr_spill_count: 0
    .wavefront_size: 32
    .workgroup_processor_mode: 1
  - .args:
      - .address_space:  global
        .offset:         0
        .size:           8
        .value_kind:     global_buffer
      - .offset:         8
        .size:           4
        .value_kind:     by_value
      - .offset:         12
        .size:           4
        .value_kind:     by_value
      - .offset:         16
        .size:           8
        .value_kind:     by_value
      - .address_space:  global
        .offset:         24
        .size:           8
        .value_kind:     global_buffer
      - .offset:         32
        .size:           4
        .value_kind:     by_value
      - .offset:         40
        .size:           8
        .value_kind:     by_value
      - .address_space:  global
        .offset:         48
        .size:           8
        .value_kind:     global_buffer
      - .offset:         56
        .size:           1
        .value_kind:     by_value
      - .offset:         57
        .size:           1
        .value_kind:     by_value
    .group_segment_fixed_size: 808
    .kernarg_segment_align: 8
    .kernarg_segment_size: 60
    .language:       OpenCL C
    .language_version:
      - 2
      - 0
    .max_flat_workgroup_size: 64
    .name:           _ZN9rocsolver6v33100L18getri_kernel_smallILi50EdPdEEvT1_iilPiilS4_bb
    .private_segment_fixed_size: 416
    .sgpr_count:     20
    .sgpr_spill_count: 0
    .symbol:         _ZN9rocsolver6v33100L18getri_kernel_smallILi50EdPdEEvT1_iilPiilS4_bb.kd
    .uniform_work_group_size: 1
    .uses_dynamic_stack: false
    .vgpr_count:     148
    .vgpr_spill_count: 0
    .wavefront_size: 32
    .workgroup_processor_mode: 1
  - .args:
      - .address_space:  global
        .offset:         0
        .size:           8
        .value_kind:     global_buffer
      - .offset:         8
        .size:           4
        .value_kind:     by_value
      - .offset:         12
        .size:           4
        .value_kind:     by_value
      - .offset:         16
        .size:           8
        .value_kind:     by_value
      - .address_space:  global
        .offset:         24
        .size:           8
        .value_kind:     global_buffer
      - .offset:         32
        .size:           4
        .value_kind:     by_value
      - .offset:         40
        .size:           8
        .value_kind:     by_value
      - .address_space:  global
        .offset:         48
        .size:           8
        .value_kind:     global_buffer
      - .offset:         56
        .size:           1
        .value_kind:     by_value
      - .offset:         57
        .size:           1
        .value_kind:     by_value
    .group_segment_fixed_size: 824
    .kernarg_segment_align: 8
    .kernarg_segment_size: 60
    .language:       OpenCL C
    .language_version:
      - 2
      - 0
    .max_flat_workgroup_size: 64
    .name:           _ZN9rocsolver6v33100L18getri_kernel_smallILi51EdPdEEvT1_iilPiilS4_bb
    .private_segment_fixed_size: 416
    .sgpr_count:     20
    .sgpr_spill_count: 0
    .symbol:         _ZN9rocsolver6v33100L18getri_kernel_smallILi51EdPdEEvT1_iilPiilS4_bb.kd
    .uniform_work_group_size: 1
    .uses_dynamic_stack: false
    .vgpr_count:     152
    .vgpr_spill_count: 0
    .wavefront_size: 32
    .workgroup_processor_mode: 1
  - .args:
      - .address_space:  global
        .offset:         0
        .size:           8
        .value_kind:     global_buffer
      - .offset:         8
        .size:           4
        .value_kind:     by_value
      - .offset:         12
        .size:           4
        .value_kind:     by_value
      - .offset:         16
        .size:           8
        .value_kind:     by_value
      - .address_space:  global
        .offset:         24
        .size:           8
        .value_kind:     global_buffer
      - .offset:         32
        .size:           4
        .value_kind:     by_value
      - .offset:         40
        .size:           8
        .value_kind:     by_value
      - .address_space:  global
        .offset:         48
        .size:           8
        .value_kind:     global_buffer
      - .offset:         56
        .size:           1
        .value_kind:     by_value
      - .offset:         57
        .size:           1
        .value_kind:     by_value
    .group_segment_fixed_size: 840
    .kernarg_segment_align: 8
    .kernarg_segment_size: 60
    .language:       OpenCL C
    .language_version:
      - 2
      - 0
    .max_flat_workgroup_size: 64
    .name:           _ZN9rocsolver6v33100L18getri_kernel_smallILi52EdPdEEvT1_iilPiilS4_bb
    .private_segment_fixed_size: 432
    .sgpr_count:     20
    .sgpr_spill_count: 0
    .symbol:         _ZN9rocsolver6v33100L18getri_kernel_smallILi52EdPdEEvT1_iilPiilS4_bb.kd
    .uniform_work_group_size: 1
    .uses_dynamic_stack: false
    .vgpr_count:     154
    .vgpr_spill_count: 0
    .wavefront_size: 32
    .workgroup_processor_mode: 1
  - .args:
      - .address_space:  global
        .offset:         0
        .size:           8
        .value_kind:     global_buffer
      - .offset:         8
        .size:           4
        .value_kind:     by_value
      - .offset:         12
        .size:           4
        .value_kind:     by_value
      - .offset:         16
        .size:           8
        .value_kind:     by_value
      - .address_space:  global
        .offset:         24
        .size:           8
        .value_kind:     global_buffer
      - .offset:         32
        .size:           4
        .value_kind:     by_value
      - .offset:         40
        .size:           8
        .value_kind:     by_value
      - .address_space:  global
        .offset:         48
        .size:           8
        .value_kind:     global_buffer
      - .offset:         56
        .size:           1
        .value_kind:     by_value
      - .offset:         57
        .size:           1
        .value_kind:     by_value
    .group_segment_fixed_size: 856
    .kernarg_segment_align: 8
    .kernarg_segment_size: 60
    .language:       OpenCL C
    .language_version:
      - 2
      - 0
    .max_flat_workgroup_size: 64
    .name:           _ZN9rocsolver6v33100L18getri_kernel_smallILi53EdPdEEvT1_iilPiilS4_bb
    .private_segment_fixed_size: 432
    .sgpr_count:     20
    .sgpr_spill_count: 0
    .symbol:         _ZN9rocsolver6v33100L18getri_kernel_smallILi53EdPdEEvT1_iilPiilS4_bb.kd
    .uniform_work_group_size: 1
    .uses_dynamic_stack: false
    .vgpr_count:     153
    .vgpr_spill_count: 0
    .wavefront_size: 32
    .workgroup_processor_mode: 1
  - .args:
      - .address_space:  global
        .offset:         0
        .size:           8
        .value_kind:     global_buffer
      - .offset:         8
        .size:           4
        .value_kind:     by_value
      - .offset:         12
        .size:           4
        .value_kind:     by_value
      - .offset:         16
        .size:           8
        .value_kind:     by_value
      - .address_space:  global
        .offset:         24
        .size:           8
        .value_kind:     global_buffer
      - .offset:         32
        .size:           4
        .value_kind:     by_value
      - .offset:         40
        .size:           8
        .value_kind:     by_value
      - .address_space:  global
        .offset:         48
        .size:           8
        .value_kind:     global_buffer
      - .offset:         56
        .size:           1
        .value_kind:     by_value
      - .offset:         57
        .size:           1
        .value_kind:     by_value
    .group_segment_fixed_size: 872
    .kernarg_segment_align: 8
    .kernarg_segment_size: 60
    .language:       OpenCL C
    .language_version:
      - 2
      - 0
    .max_flat_workgroup_size: 64
    .name:           _ZN9rocsolver6v33100L18getri_kernel_smallILi54EdPdEEvT1_iilPiilS4_bb
    .private_segment_fixed_size: 448
    .sgpr_count:     20
    .sgpr_spill_count: 0
    .symbol:         _ZN9rocsolver6v33100L18getri_kernel_smallILi54EdPdEEvT1_iilPiilS4_bb.kd
    .uniform_work_group_size: 1
    .uses_dynamic_stack: false
    .vgpr_count:     158
    .vgpr_spill_count: 0
    .wavefront_size: 32
    .workgroup_processor_mode: 1
  - .args:
      - .address_space:  global
        .offset:         0
        .size:           8
        .value_kind:     global_buffer
      - .offset:         8
        .size:           4
        .value_kind:     by_value
      - .offset:         12
        .size:           4
        .value_kind:     by_value
      - .offset:         16
        .size:           8
        .value_kind:     by_value
      - .address_space:  global
        .offset:         24
        .size:           8
        .value_kind:     global_buffer
      - .offset:         32
        .size:           4
        .value_kind:     by_value
      - .offset:         40
        .size:           8
        .value_kind:     by_value
      - .address_space:  global
        .offset:         48
        .size:           8
        .value_kind:     global_buffer
      - .offset:         56
        .size:           1
        .value_kind:     by_value
      - .offset:         57
        .size:           1
        .value_kind:     by_value
    .group_segment_fixed_size: 888
    .kernarg_segment_align: 8
    .kernarg_segment_size: 60
    .language:       OpenCL C
    .language_version:
      - 2
      - 0
    .max_flat_workgroup_size: 64
    .name:           _ZN9rocsolver6v33100L18getri_kernel_smallILi55EdPdEEvT1_iilPiilS4_bb
    .private_segment_fixed_size: 448
    .sgpr_count:     20
    .sgpr_spill_count: 0
    .symbol:         _ZN9rocsolver6v33100L18getri_kernel_smallILi55EdPdEEvT1_iilPiilS4_bb.kd
    .uniform_work_group_size: 1
    .uses_dynamic_stack: false
    .vgpr_count:     152
    .vgpr_spill_count: 0
    .wavefront_size: 32
    .workgroup_processor_mode: 1
  - .args:
      - .address_space:  global
        .offset:         0
        .size:           8
        .value_kind:     global_buffer
      - .offset:         8
        .size:           4
        .value_kind:     by_value
      - .offset:         12
        .size:           4
        .value_kind:     by_value
      - .offset:         16
        .size:           8
        .value_kind:     by_value
      - .address_space:  global
        .offset:         24
        .size:           8
        .value_kind:     global_buffer
      - .offset:         32
        .size:           4
        .value_kind:     by_value
      - .offset:         40
        .size:           8
        .value_kind:     by_value
      - .address_space:  global
        .offset:         48
        .size:           8
        .value_kind:     global_buffer
      - .offset:         56
        .size:           1
        .value_kind:     by_value
      - .offset:         57
        .size:           1
        .value_kind:     by_value
    .group_segment_fixed_size: 904
    .kernarg_segment_align: 8
    .kernarg_segment_size: 60
    .language:       OpenCL C
    .language_version:
      - 2
      - 0
    .max_flat_workgroup_size: 64
    .name:           _ZN9rocsolver6v33100L18getri_kernel_smallILi56EdPdEEvT1_iilPiilS4_bb
    .private_segment_fixed_size: 464
    .sgpr_count:     20
    .sgpr_spill_count: 0
    .symbol:         _ZN9rocsolver6v33100L18getri_kernel_smallILi56EdPdEEvT1_iilPiilS4_bb.kd
    .uniform_work_group_size: 1
    .uses_dynamic_stack: false
    .vgpr_count:     150
    .vgpr_spill_count: 0
    .wavefront_size: 32
    .workgroup_processor_mode: 1
  - .args:
      - .address_space:  global
        .offset:         0
        .size:           8
        .value_kind:     global_buffer
      - .offset:         8
        .size:           4
        .value_kind:     by_value
      - .offset:         12
        .size:           4
        .value_kind:     by_value
      - .offset:         16
        .size:           8
        .value_kind:     by_value
      - .address_space:  global
        .offset:         24
        .size:           8
        .value_kind:     global_buffer
      - .offset:         32
        .size:           4
        .value_kind:     by_value
      - .offset:         40
        .size:           8
        .value_kind:     by_value
      - .address_space:  global
        .offset:         48
        .size:           8
        .value_kind:     global_buffer
      - .offset:         56
        .size:           1
        .value_kind:     by_value
      - .offset:         57
        .size:           1
        .value_kind:     by_value
    .group_segment_fixed_size: 920
    .kernarg_segment_align: 8
    .kernarg_segment_size: 60
    .language:       OpenCL C
    .language_version:
      - 2
      - 0
    .max_flat_workgroup_size: 64
    .name:           _ZN9rocsolver6v33100L18getri_kernel_smallILi57EdPdEEvT1_iilPiilS4_bb
    .private_segment_fixed_size: 464
    .sgpr_count:     20
    .sgpr_spill_count: 0
    .symbol:         _ZN9rocsolver6v33100L18getri_kernel_smallILi57EdPdEEvT1_iilPiilS4_bb.kd
    .uniform_work_group_size: 1
    .uses_dynamic_stack: false
    .vgpr_count:     173
    .vgpr_spill_count: 0
    .wavefront_size: 32
    .workgroup_processor_mode: 1
  - .args:
      - .address_space:  global
        .offset:         0
        .size:           8
        .value_kind:     global_buffer
      - .offset:         8
        .size:           4
        .value_kind:     by_value
      - .offset:         12
        .size:           4
        .value_kind:     by_value
      - .offset:         16
        .size:           8
        .value_kind:     by_value
      - .address_space:  global
        .offset:         24
        .size:           8
        .value_kind:     global_buffer
      - .offset:         32
        .size:           4
        .value_kind:     by_value
      - .offset:         40
        .size:           8
        .value_kind:     by_value
      - .address_space:  global
        .offset:         48
        .size:           8
        .value_kind:     global_buffer
      - .offset:         56
        .size:           1
        .value_kind:     by_value
      - .offset:         57
        .size:           1
        .value_kind:     by_value
    .group_segment_fixed_size: 936
    .kernarg_segment_align: 8
    .kernarg_segment_size: 60
    .language:       OpenCL C
    .language_version:
      - 2
      - 0
    .max_flat_workgroup_size: 64
    .name:           _ZN9rocsolver6v33100L18getri_kernel_smallILi58EdPdEEvT1_iilPiilS4_bb
    .private_segment_fixed_size: 480
    .sgpr_count:     20
    .sgpr_spill_count: 0
    .symbol:         _ZN9rocsolver6v33100L18getri_kernel_smallILi58EdPdEEvT1_iilPiilS4_bb.kd
    .uniform_work_group_size: 1
    .uses_dynamic_stack: false
    .vgpr_count:     178
    .vgpr_spill_count: 0
    .wavefront_size: 32
    .workgroup_processor_mode: 1
  - .args:
      - .address_space:  global
        .offset:         0
        .size:           8
        .value_kind:     global_buffer
      - .offset:         8
        .size:           4
        .value_kind:     by_value
      - .offset:         12
        .size:           4
        .value_kind:     by_value
      - .offset:         16
        .size:           8
        .value_kind:     by_value
      - .address_space:  global
        .offset:         24
        .size:           8
        .value_kind:     global_buffer
      - .offset:         32
        .size:           4
        .value_kind:     by_value
      - .offset:         40
        .size:           8
        .value_kind:     by_value
      - .address_space:  global
        .offset:         48
        .size:           8
        .value_kind:     global_buffer
      - .offset:         56
        .size:           1
        .value_kind:     by_value
      - .offset:         57
        .size:           1
        .value_kind:     by_value
    .group_segment_fixed_size: 952
    .kernarg_segment_align: 8
    .kernarg_segment_size: 60
    .language:       OpenCL C
    .language_version:
      - 2
      - 0
    .max_flat_workgroup_size: 64
    .name:           _ZN9rocsolver6v33100L18getri_kernel_smallILi59EdPdEEvT1_iilPiilS4_bb
    .private_segment_fixed_size: 480
    .sgpr_count:     20
    .sgpr_spill_count: 0
    .symbol:         _ZN9rocsolver6v33100L18getri_kernel_smallILi59EdPdEEvT1_iilPiilS4_bb.kd
    .uniform_work_group_size: 1
    .uses_dynamic_stack: false
    .vgpr_count:     174
    .vgpr_spill_count: 0
    .wavefront_size: 32
    .workgroup_processor_mode: 1
  - .args:
      - .address_space:  global
        .offset:         0
        .size:           8
        .value_kind:     global_buffer
      - .offset:         8
        .size:           4
        .value_kind:     by_value
      - .offset:         12
        .size:           4
        .value_kind:     by_value
      - .offset:         16
        .size:           8
        .value_kind:     by_value
      - .address_space:  global
        .offset:         24
        .size:           8
        .value_kind:     global_buffer
      - .offset:         32
        .size:           4
        .value_kind:     by_value
      - .offset:         40
        .size:           8
        .value_kind:     by_value
      - .address_space:  global
        .offset:         48
        .size:           8
        .value_kind:     global_buffer
      - .offset:         56
        .size:           1
        .value_kind:     by_value
      - .offset:         57
        .size:           1
        .value_kind:     by_value
    .group_segment_fixed_size: 968
    .kernarg_segment_align: 8
    .kernarg_segment_size: 60
    .language:       OpenCL C
    .language_version:
      - 2
      - 0
    .max_flat_workgroup_size: 64
    .name:           _ZN9rocsolver6v33100L18getri_kernel_smallILi60EdPdEEvT1_iilPiilS4_bb
    .private_segment_fixed_size: 496
    .sgpr_count:     20
    .sgpr_spill_count: 0
    .symbol:         _ZN9rocsolver6v33100L18getri_kernel_smallILi60EdPdEEvT1_iilPiilS4_bb.kd
    .uniform_work_group_size: 1
    .uses_dynamic_stack: false
    .vgpr_count:     178
    .vgpr_spill_count: 0
    .wavefront_size: 32
    .workgroup_processor_mode: 1
  - .args:
      - .address_space:  global
        .offset:         0
        .size:           8
        .value_kind:     global_buffer
      - .offset:         8
        .size:           4
        .value_kind:     by_value
      - .offset:         12
        .size:           4
        .value_kind:     by_value
      - .offset:         16
        .size:           8
        .value_kind:     by_value
      - .address_space:  global
        .offset:         24
        .size:           8
        .value_kind:     global_buffer
      - .offset:         32
        .size:           4
        .value_kind:     by_value
      - .offset:         40
        .size:           8
        .value_kind:     by_value
      - .address_space:  global
        .offset:         48
        .size:           8
        .value_kind:     global_buffer
      - .offset:         56
        .size:           1
        .value_kind:     by_value
      - .offset:         57
        .size:           1
        .value_kind:     by_value
    .group_segment_fixed_size: 984
    .kernarg_segment_align: 8
    .kernarg_segment_size: 60
    .language:       OpenCL C
    .language_version:
      - 2
      - 0
    .max_flat_workgroup_size: 64
    .name:           _ZN9rocsolver6v33100L18getri_kernel_smallILi61EdPdEEvT1_iilPiilS4_bb
    .private_segment_fixed_size: 496
    .sgpr_count:     20
    .sgpr_spill_count: 0
    .symbol:         _ZN9rocsolver6v33100L18getri_kernel_smallILi61EdPdEEvT1_iilPiilS4_bb.kd
    .uniform_work_group_size: 1
    .uses_dynamic_stack: false
    .vgpr_count:     172
    .vgpr_spill_count: 0
    .wavefront_size: 32
    .workgroup_processor_mode: 1
  - .args:
      - .address_space:  global
        .offset:         0
        .size:           8
        .value_kind:     global_buffer
      - .offset:         8
        .size:           4
        .value_kind:     by_value
      - .offset:         12
        .size:           4
        .value_kind:     by_value
      - .offset:         16
        .size:           8
        .value_kind:     by_value
      - .address_space:  global
        .offset:         24
        .size:           8
        .value_kind:     global_buffer
      - .offset:         32
        .size:           4
        .value_kind:     by_value
      - .offset:         40
        .size:           8
        .value_kind:     by_value
      - .address_space:  global
        .offset:         48
        .size:           8
        .value_kind:     global_buffer
      - .offset:         56
        .size:           1
        .value_kind:     by_value
      - .offset:         57
        .size:           1
        .value_kind:     by_value
    .group_segment_fixed_size: 1000
    .kernarg_segment_align: 8
    .kernarg_segment_size: 60
    .language:       OpenCL C
    .language_version:
      - 2
      - 0
    .max_flat_workgroup_size: 64
    .name:           _ZN9rocsolver6v33100L18getri_kernel_smallILi62EdPdEEvT1_iilPiilS4_bb
    .private_segment_fixed_size: 512
    .sgpr_count:     20
    .sgpr_spill_count: 0
    .symbol:         _ZN9rocsolver6v33100L18getri_kernel_smallILi62EdPdEEvT1_iilPiilS4_bb.kd
    .uniform_work_group_size: 1
    .uses_dynamic_stack: false
    .vgpr_count:     178
    .vgpr_spill_count: 0
    .wavefront_size: 32
    .workgroup_processor_mode: 1
  - .args:
      - .address_space:  global
        .offset:         0
        .size:           8
        .value_kind:     global_buffer
      - .offset:         8
        .size:           4
        .value_kind:     by_value
      - .offset:         12
        .size:           4
        .value_kind:     by_value
      - .offset:         16
        .size:           8
        .value_kind:     by_value
      - .address_space:  global
        .offset:         24
        .size:           8
        .value_kind:     global_buffer
      - .offset:         32
        .size:           4
        .value_kind:     by_value
      - .offset:         40
        .size:           8
        .value_kind:     by_value
      - .address_space:  global
        .offset:         48
        .size:           8
        .value_kind:     global_buffer
      - .offset:         56
        .size:           1
        .value_kind:     by_value
      - .offset:         57
        .size:           1
        .value_kind:     by_value
    .group_segment_fixed_size: 1016
    .kernarg_segment_align: 8
    .kernarg_segment_size: 60
    .language:       OpenCL C
    .language_version:
      - 2
      - 0
    .max_flat_workgroup_size: 64
    .name:           _ZN9rocsolver6v33100L18getri_kernel_smallILi63EdPdEEvT1_iilPiilS4_bb
    .private_segment_fixed_size: 512
    .sgpr_count:     20
    .sgpr_spill_count: 0
    .symbol:         _ZN9rocsolver6v33100L18getri_kernel_smallILi63EdPdEEvT1_iilPiilS4_bb.kd
    .uniform_work_group_size: 1
    .uses_dynamic_stack: false
    .vgpr_count:     184
    .vgpr_spill_count: 0
    .wavefront_size: 32
    .workgroup_processor_mode: 1
  - .args:
      - .address_space:  global
        .offset:         0
        .size:           8
        .value_kind:     global_buffer
      - .offset:         8
        .size:           4
        .value_kind:     by_value
      - .offset:         12
        .size:           4
        .value_kind:     by_value
      - .offset:         16
        .size:           8
        .value_kind:     by_value
      - .address_space:  global
        .offset:         24
        .size:           8
        .value_kind:     global_buffer
      - .offset:         32
        .size:           4
        .value_kind:     by_value
      - .offset:         40
        .size:           8
        .value_kind:     by_value
      - .address_space:  global
        .offset:         48
        .size:           8
        .value_kind:     global_buffer
      - .offset:         56
        .size:           1
        .value_kind:     by_value
      - .offset:         57
        .size:           1
        .value_kind:     by_value
    .group_segment_fixed_size: 1032
    .kernarg_segment_align: 8
    .kernarg_segment_size: 60
    .language:       OpenCL C
    .language_version:
      - 2
      - 0
    .max_flat_workgroup_size: 64
    .name:           _ZN9rocsolver6v33100L18getri_kernel_smallILi64EdPdEEvT1_iilPiilS4_bb
    .private_segment_fixed_size: 528
    .sgpr_count:     20
    .sgpr_spill_count: 0
    .symbol:         _ZN9rocsolver6v33100L18getri_kernel_smallILi64EdPdEEvT1_iilPiilS4_bb.kd
    .uniform_work_group_size: 1
    .uses_dynamic_stack: false
    .vgpr_count:     184
    .vgpr_spill_count: 0
    .wavefront_size: 32
    .workgroup_processor_mode: 1
  - .args:
      - .address_space:  global
        .offset:         0
        .size:           8
        .value_kind:     global_buffer
      - .offset:         8
        .size:           4
        .value_kind:     by_value
      - .offset:         12
        .size:           4
        .value_kind:     by_value
      - .offset:         16
        .size:           8
        .value_kind:     by_value
      - .address_space:  global
        .offset:         24
        .size:           8
        .value_kind:     global_buffer
      - .offset:         32
        .size:           4
        .value_kind:     by_value
      - .offset:         40
        .size:           8
        .value_kind:     by_value
      - .address_space:  global
        .offset:         48
        .size:           8
        .value_kind:     global_buffer
      - .offset:         56
        .size:           1
        .value_kind:     by_value
      - .offset:         57
        .size:           1
        .value_kind:     by_value
    .group_segment_fixed_size: 4
    .kernarg_segment_align: 8
    .kernarg_segment_size: 60
    .language:       OpenCL C
    .language_version:
      - 2
      - 0
    .max_flat_workgroup_size: 64
    .name:           _ZN9rocsolver6v33100L18getri_kernel_smallILi1EdPKPdEEvT1_iilPiilS6_bb
    .private_segment_fixed_size: 0
    .sgpr_count:     18
    .sgpr_spill_count: 0
    .symbol:         _ZN9rocsolver6v33100L18getri_kernel_smallILi1EdPKPdEEvT1_iilPiilS6_bb.kd
    .uniform_work_group_size: 1
    .uses_dynamic_stack: false
    .vgpr_count:     8
    .vgpr_spill_count: 0
    .wavefront_size: 32
    .workgroup_processor_mode: 1
  - .args:
      - .address_space:  global
        .offset:         0
        .size:           8
        .value_kind:     global_buffer
      - .offset:         8
        .size:           4
        .value_kind:     by_value
      - .offset:         12
        .size:           4
        .value_kind:     by_value
      - .offset:         16
        .size:           8
        .value_kind:     by_value
      - .address_space:  global
        .offset:         24
        .size:           8
        .value_kind:     global_buffer
      - .offset:         32
        .size:           4
        .value_kind:     by_value
      - .offset:         40
        .size:           8
        .value_kind:     by_value
      - .address_space:  global
        .offset:         48
        .size:           8
        .value_kind:     global_buffer
      - .offset:         56
        .size:           1
        .value_kind:     by_value
      - .offset:         57
        .size:           1
        .value_kind:     by_value
    .group_segment_fixed_size: 40
    .kernarg_segment_align: 8
    .kernarg_segment_size: 60
    .language:       OpenCL C
    .language_version:
      - 2
      - 0
    .max_flat_workgroup_size: 64
    .name:           _ZN9rocsolver6v33100L18getri_kernel_smallILi2EdPKPdEEvT1_iilPiilS6_bb
    .private_segment_fixed_size: 0
    .sgpr_count:     19
    .sgpr_spill_count: 0
    .symbol:         _ZN9rocsolver6v33100L18getri_kernel_smallILi2EdPKPdEEvT1_iilPiilS6_bb.kd
    .uniform_work_group_size: 1
    .uses_dynamic_stack: false
    .vgpr_count:     20
    .vgpr_spill_count: 0
    .wavefront_size: 32
    .workgroup_processor_mode: 1
  - .args:
      - .address_space:  global
        .offset:         0
        .size:           8
        .value_kind:     global_buffer
      - .offset:         8
        .size:           4
        .value_kind:     by_value
      - .offset:         12
        .size:           4
        .value_kind:     by_value
      - .offset:         16
        .size:           8
        .value_kind:     by_value
      - .address_space:  global
        .offset:         24
        .size:           8
        .value_kind:     global_buffer
      - .offset:         32
        .size:           4
        .value_kind:     by_value
      - .offset:         40
        .size:           8
        .value_kind:     by_value
      - .address_space:  global
        .offset:         48
        .size:           8
        .value_kind:     global_buffer
      - .offset:         56
        .size:           1
        .value_kind:     by_value
      - .offset:         57
        .size:           1
        .value_kind:     by_value
    .group_segment_fixed_size: 56
    .kernarg_segment_align: 8
    .kernarg_segment_size: 60
    .language:       OpenCL C
    .language_version:
      - 2
      - 0
    .max_flat_workgroup_size: 64
    .name:           _ZN9rocsolver6v33100L18getri_kernel_smallILi3EdPKPdEEvT1_iilPiilS6_bb
    .private_segment_fixed_size: 0
    .sgpr_count:     19
    .sgpr_spill_count: 0
    .symbol:         _ZN9rocsolver6v33100L18getri_kernel_smallILi3EdPKPdEEvT1_iilPiilS6_bb.kd
    .uniform_work_group_size: 1
    .uses_dynamic_stack: false
    .vgpr_count:     24
    .vgpr_spill_count: 0
    .wavefront_size: 32
    .workgroup_processor_mode: 1
  - .args:
      - .address_space:  global
        .offset:         0
        .size:           8
        .value_kind:     global_buffer
      - .offset:         8
        .size:           4
        .value_kind:     by_value
      - .offset:         12
        .size:           4
        .value_kind:     by_value
      - .offset:         16
        .size:           8
        .value_kind:     by_value
      - .address_space:  global
        .offset:         24
        .size:           8
        .value_kind:     global_buffer
      - .offset:         32
        .size:           4
        .value_kind:     by_value
      - .offset:         40
        .size:           8
        .value_kind:     by_value
      - .address_space:  global
        .offset:         48
        .size:           8
        .value_kind:     global_buffer
      - .offset:         56
        .size:           1
        .value_kind:     by_value
      - .offset:         57
        .size:           1
        .value_kind:     by_value
    .group_segment_fixed_size: 72
    .kernarg_segment_align: 8
    .kernarg_segment_size: 60
    .language:       OpenCL C
    .language_version:
      - 2
      - 0
    .max_flat_workgroup_size: 64
    .name:           _ZN9rocsolver6v33100L18getri_kernel_smallILi4EdPKPdEEvT1_iilPiilS6_bb
    .private_segment_fixed_size: 0
    .sgpr_count:     19
    .sgpr_spill_count: 0
    .symbol:         _ZN9rocsolver6v33100L18getri_kernel_smallILi4EdPKPdEEvT1_iilPiilS6_bb.kd
    .uniform_work_group_size: 1
    .uses_dynamic_stack: false
    .vgpr_count:     29
    .vgpr_spill_count: 0
    .wavefront_size: 32
    .workgroup_processor_mode: 1
  - .args:
      - .address_space:  global
        .offset:         0
        .size:           8
        .value_kind:     global_buffer
      - .offset:         8
        .size:           4
        .value_kind:     by_value
      - .offset:         12
        .size:           4
        .value_kind:     by_value
      - .offset:         16
        .size:           8
        .value_kind:     by_value
      - .address_space:  global
        .offset:         24
        .size:           8
        .value_kind:     global_buffer
      - .offset:         32
        .size:           4
        .value_kind:     by_value
      - .offset:         40
        .size:           8
        .value_kind:     by_value
      - .address_space:  global
        .offset:         48
        .size:           8
        .value_kind:     global_buffer
      - .offset:         56
        .size:           1
        .value_kind:     by_value
      - .offset:         57
        .size:           1
        .value_kind:     by_value
    .group_segment_fixed_size: 88
    .kernarg_segment_align: 8
    .kernarg_segment_size: 60
    .language:       OpenCL C
    .language_version:
      - 2
      - 0
    .max_flat_workgroup_size: 64
    .name:           _ZN9rocsolver6v33100L18getri_kernel_smallILi5EdPKPdEEvT1_iilPiilS6_bb
    .private_segment_fixed_size: 0
    .sgpr_count:     19
    .sgpr_spill_count: 0
    .symbol:         _ZN9rocsolver6v33100L18getri_kernel_smallILi5EdPKPdEEvT1_iilPiilS6_bb.kd
    .uniform_work_group_size: 1
    .uses_dynamic_stack: false
    .vgpr_count:     38
    .vgpr_spill_count: 0
    .wavefront_size: 32
    .workgroup_processor_mode: 1
  - .args:
      - .address_space:  global
        .offset:         0
        .size:           8
        .value_kind:     global_buffer
      - .offset:         8
        .size:           4
        .value_kind:     by_value
      - .offset:         12
        .size:           4
        .value_kind:     by_value
      - .offset:         16
        .size:           8
        .value_kind:     by_value
      - .address_space:  global
        .offset:         24
        .size:           8
        .value_kind:     global_buffer
      - .offset:         32
        .size:           4
        .value_kind:     by_value
      - .offset:         40
        .size:           8
        .value_kind:     by_value
      - .address_space:  global
        .offset:         48
        .size:           8
        .value_kind:     global_buffer
      - .offset:         56
        .size:           1
        .value_kind:     by_value
      - .offset:         57
        .size:           1
        .value_kind:     by_value
    .group_segment_fixed_size: 104
    .kernarg_segment_align: 8
    .kernarg_segment_size: 60
    .language:       OpenCL C
    .language_version:
      - 2
      - 0
    .max_flat_workgroup_size: 64
    .name:           _ZN9rocsolver6v33100L18getri_kernel_smallILi6EdPKPdEEvT1_iilPiilS6_bb
    .private_segment_fixed_size: 0
    .sgpr_count:     19
    .sgpr_spill_count: 0
    .symbol:         _ZN9rocsolver6v33100L18getri_kernel_smallILi6EdPKPdEEvT1_iilPiilS6_bb.kd
    .uniform_work_group_size: 1
    .uses_dynamic_stack: false
    .vgpr_count:     40
    .vgpr_spill_count: 0
    .wavefront_size: 32
    .workgroup_processor_mode: 1
  - .args:
      - .address_space:  global
        .offset:         0
        .size:           8
        .value_kind:     global_buffer
      - .offset:         8
        .size:           4
        .value_kind:     by_value
      - .offset:         12
        .size:           4
        .value_kind:     by_value
      - .offset:         16
        .size:           8
        .value_kind:     by_value
      - .address_space:  global
        .offset:         24
        .size:           8
        .value_kind:     global_buffer
      - .offset:         32
        .size:           4
        .value_kind:     by_value
      - .offset:         40
        .size:           8
        .value_kind:     by_value
      - .address_space:  global
        .offset:         48
        .size:           8
        .value_kind:     global_buffer
      - .offset:         56
        .size:           1
        .value_kind:     by_value
      - .offset:         57
        .size:           1
        .value_kind:     by_value
    .group_segment_fixed_size: 120
    .kernarg_segment_align: 8
    .kernarg_segment_size: 60
    .language:       OpenCL C
    .language_version:
      - 2
      - 0
    .max_flat_workgroup_size: 64
    .name:           _ZN9rocsolver6v33100L18getri_kernel_smallILi7EdPKPdEEvT1_iilPiilS6_bb
    .private_segment_fixed_size: 0
    .sgpr_count:     19
    .sgpr_spill_count: 0
    .symbol:         _ZN9rocsolver6v33100L18getri_kernel_smallILi7EdPKPdEEvT1_iilPiilS6_bb.kd
    .uniform_work_group_size: 1
    .uses_dynamic_stack: false
    .vgpr_count:     46
    .vgpr_spill_count: 0
    .wavefront_size: 32
    .workgroup_processor_mode: 1
  - .args:
      - .address_space:  global
        .offset:         0
        .size:           8
        .value_kind:     global_buffer
      - .offset:         8
        .size:           4
        .value_kind:     by_value
      - .offset:         12
        .size:           4
        .value_kind:     by_value
      - .offset:         16
        .size:           8
        .value_kind:     by_value
      - .address_space:  global
        .offset:         24
        .size:           8
        .value_kind:     global_buffer
      - .offset:         32
        .size:           4
        .value_kind:     by_value
      - .offset:         40
        .size:           8
        .value_kind:     by_value
      - .address_space:  global
        .offset:         48
        .size:           8
        .value_kind:     global_buffer
      - .offset:         56
        .size:           1
        .value_kind:     by_value
      - .offset:         57
        .size:           1
        .value_kind:     by_value
    .group_segment_fixed_size: 136
    .kernarg_segment_align: 8
    .kernarg_segment_size: 60
    .language:       OpenCL C
    .language_version:
      - 2
      - 0
    .max_flat_workgroup_size: 64
    .name:           _ZN9rocsolver6v33100L18getri_kernel_smallILi8EdPKPdEEvT1_iilPiilS6_bb
    .private_segment_fixed_size: 0
    .sgpr_count:     20
    .sgpr_spill_count: 0
    .symbol:         _ZN9rocsolver6v33100L18getri_kernel_smallILi8EdPKPdEEvT1_iilPiilS6_bb.kd
    .uniform_work_group_size: 1
    .uses_dynamic_stack: false
    .vgpr_count:     49
    .vgpr_spill_count: 0
    .wavefront_size: 32
    .workgroup_processor_mode: 1
  - .args:
      - .address_space:  global
        .offset:         0
        .size:           8
        .value_kind:     global_buffer
      - .offset:         8
        .size:           4
        .value_kind:     by_value
      - .offset:         12
        .size:           4
        .value_kind:     by_value
      - .offset:         16
        .size:           8
        .value_kind:     by_value
      - .address_space:  global
        .offset:         24
        .size:           8
        .value_kind:     global_buffer
      - .offset:         32
        .size:           4
        .value_kind:     by_value
      - .offset:         40
        .size:           8
        .value_kind:     by_value
      - .address_space:  global
        .offset:         48
        .size:           8
        .value_kind:     global_buffer
      - .offset:         56
        .size:           1
        .value_kind:     by_value
      - .offset:         57
        .size:           1
        .value_kind:     by_value
    .group_segment_fixed_size: 152
    .kernarg_segment_align: 8
    .kernarg_segment_size: 60
    .language:       OpenCL C
    .language_version:
      - 2
      - 0
    .max_flat_workgroup_size: 64
    .name:           _ZN9rocsolver6v33100L18getri_kernel_smallILi9EdPKPdEEvT1_iilPiilS6_bb
    .private_segment_fixed_size: 0
    .sgpr_count:     19
    .sgpr_spill_count: 0
    .symbol:         _ZN9rocsolver6v33100L18getri_kernel_smallILi9EdPKPdEEvT1_iilPiilS6_bb.kd
    .uniform_work_group_size: 1
    .uses_dynamic_stack: false
    .vgpr_count:     70
    .vgpr_spill_count: 0
    .wavefront_size: 32
    .workgroup_processor_mode: 1
  - .args:
      - .address_space:  global
        .offset:         0
        .size:           8
        .value_kind:     global_buffer
      - .offset:         8
        .size:           4
        .value_kind:     by_value
      - .offset:         12
        .size:           4
        .value_kind:     by_value
      - .offset:         16
        .size:           8
        .value_kind:     by_value
      - .address_space:  global
        .offset:         24
        .size:           8
        .value_kind:     global_buffer
      - .offset:         32
        .size:           4
        .value_kind:     by_value
      - .offset:         40
        .size:           8
        .value_kind:     by_value
      - .address_space:  global
        .offset:         48
        .size:           8
        .value_kind:     global_buffer
      - .offset:         56
        .size:           1
        .value_kind:     by_value
      - .offset:         57
        .size:           1
        .value_kind:     by_value
    .group_segment_fixed_size: 168
    .kernarg_segment_align: 8
    .kernarg_segment_size: 60
    .language:       OpenCL C
    .language_version:
      - 2
      - 0
    .max_flat_workgroup_size: 64
    .name:           _ZN9rocsolver6v33100L18getri_kernel_smallILi10EdPKPdEEvT1_iilPiilS6_bb
    .private_segment_fixed_size: 0
    .sgpr_count:     19
    .sgpr_spill_count: 0
    .symbol:         _ZN9rocsolver6v33100L18getri_kernel_smallILi10EdPKPdEEvT1_iilPiilS6_bb.kd
    .uniform_work_group_size: 1
    .uses_dynamic_stack: false
    .vgpr_count:     72
    .vgpr_spill_count: 0
    .wavefront_size: 32
    .workgroup_processor_mode: 1
  - .args:
      - .address_space:  global
        .offset:         0
        .size:           8
        .value_kind:     global_buffer
      - .offset:         8
        .size:           4
        .value_kind:     by_value
      - .offset:         12
        .size:           4
        .value_kind:     by_value
      - .offset:         16
        .size:           8
        .value_kind:     by_value
      - .address_space:  global
        .offset:         24
        .size:           8
        .value_kind:     global_buffer
      - .offset:         32
        .size:           4
        .value_kind:     by_value
      - .offset:         40
        .size:           8
        .value_kind:     by_value
      - .address_space:  global
        .offset:         48
        .size:           8
        .value_kind:     global_buffer
      - .offset:         56
        .size:           1
        .value_kind:     by_value
      - .offset:         57
        .size:           1
        .value_kind:     by_value
    .group_segment_fixed_size: 184
    .kernarg_segment_align: 8
    .kernarg_segment_size: 60
    .language:       OpenCL C
    .language_version:
      - 2
      - 0
    .max_flat_workgroup_size: 64
    .name:           _ZN9rocsolver6v33100L18getri_kernel_smallILi11EdPKPdEEvT1_iilPiilS6_bb
    .private_segment_fixed_size: 0
    .sgpr_count:     19
    .sgpr_spill_count: 0
    .symbol:         _ZN9rocsolver6v33100L18getri_kernel_smallILi11EdPKPdEEvT1_iilPiilS6_bb.kd
    .uniform_work_group_size: 1
    .uses_dynamic_stack: false
    .vgpr_count:     80
    .vgpr_spill_count: 0
    .wavefront_size: 32
    .workgroup_processor_mode: 1
  - .args:
      - .address_space:  global
        .offset:         0
        .size:           8
        .value_kind:     global_buffer
      - .offset:         8
        .size:           4
        .value_kind:     by_value
      - .offset:         12
        .size:           4
        .value_kind:     by_value
      - .offset:         16
        .size:           8
        .value_kind:     by_value
      - .address_space:  global
        .offset:         24
        .size:           8
        .value_kind:     global_buffer
      - .offset:         32
        .size:           4
        .value_kind:     by_value
      - .offset:         40
        .size:           8
        .value_kind:     by_value
      - .address_space:  global
        .offset:         48
        .size:           8
        .value_kind:     global_buffer
      - .offset:         56
        .size:           1
        .value_kind:     by_value
      - .offset:         57
        .size:           1
        .value_kind:     by_value
    .group_segment_fixed_size: 200
    .kernarg_segment_align: 8
    .kernarg_segment_size: 60
    .language:       OpenCL C
    .language_version:
      - 2
      - 0
    .max_flat_workgroup_size: 64
    .name:           _ZN9rocsolver6v33100L18getri_kernel_smallILi12EdPKPdEEvT1_iilPiilS6_bb
    .private_segment_fixed_size: 0
    .sgpr_count:     22
    .sgpr_spill_count: 0
    .symbol:         _ZN9rocsolver6v33100L18getri_kernel_smallILi12EdPKPdEEvT1_iilPiilS6_bb.kd
    .uniform_work_group_size: 1
    .uses_dynamic_stack: false
    .vgpr_count:     82
    .vgpr_spill_count: 0
    .wavefront_size: 32
    .workgroup_processor_mode: 1
  - .args:
      - .address_space:  global
        .offset:         0
        .size:           8
        .value_kind:     global_buffer
      - .offset:         8
        .size:           4
        .value_kind:     by_value
      - .offset:         12
        .size:           4
        .value_kind:     by_value
      - .offset:         16
        .size:           8
        .value_kind:     by_value
      - .address_space:  global
        .offset:         24
        .size:           8
        .value_kind:     global_buffer
      - .offset:         32
        .size:           4
        .value_kind:     by_value
      - .offset:         40
        .size:           8
        .value_kind:     by_value
      - .address_space:  global
        .offset:         48
        .size:           8
        .value_kind:     global_buffer
      - .offset:         56
        .size:           1
        .value_kind:     by_value
      - .offset:         57
        .size:           1
        .value_kind:     by_value
    .group_segment_fixed_size: 216
    .kernarg_segment_align: 8
    .kernarg_segment_size: 60
    .language:       OpenCL C
    .language_version:
      - 2
      - 0
    .max_flat_workgroup_size: 64
    .name:           _ZN9rocsolver6v33100L18getri_kernel_smallILi13EdPKPdEEvT1_iilPiilS6_bb
    .private_segment_fixed_size: 0
    .sgpr_count:     23
    .sgpr_spill_count: 0
    .symbol:         _ZN9rocsolver6v33100L18getri_kernel_smallILi13EdPKPdEEvT1_iilPiilS6_bb.kd
    .uniform_work_group_size: 1
    .uses_dynamic_stack: false
    .vgpr_count:     88
    .vgpr_spill_count: 0
    .wavefront_size: 32
    .workgroup_processor_mode: 1
  - .args:
      - .address_space:  global
        .offset:         0
        .size:           8
        .value_kind:     global_buffer
      - .offset:         8
        .size:           4
        .value_kind:     by_value
      - .offset:         12
        .size:           4
        .value_kind:     by_value
      - .offset:         16
        .size:           8
        .value_kind:     by_value
      - .address_space:  global
        .offset:         24
        .size:           8
        .value_kind:     global_buffer
      - .offset:         32
        .size:           4
        .value_kind:     by_value
      - .offset:         40
        .size:           8
        .value_kind:     by_value
      - .address_space:  global
        .offset:         48
        .size:           8
        .value_kind:     global_buffer
      - .offset:         56
        .size:           1
        .value_kind:     by_value
      - .offset:         57
        .size:           1
        .value_kind:     by_value
    .group_segment_fixed_size: 232
    .kernarg_segment_align: 8
    .kernarg_segment_size: 60
    .language:       OpenCL C
    .language_version:
      - 2
      - 0
    .max_flat_workgroup_size: 64
    .name:           _ZN9rocsolver6v33100L18getri_kernel_smallILi14EdPKPdEEvT1_iilPiilS6_bb
    .private_segment_fixed_size: 0
    .sgpr_count:     23
    .sgpr_spill_count: 0
    .symbol:         _ZN9rocsolver6v33100L18getri_kernel_smallILi14EdPKPdEEvT1_iilPiilS6_bb.kd
    .uniform_work_group_size: 1
    .uses_dynamic_stack: false
    .vgpr_count:     90
    .vgpr_spill_count: 0
    .wavefront_size: 32
    .workgroup_processor_mode: 1
  - .args:
      - .address_space:  global
        .offset:         0
        .size:           8
        .value_kind:     global_buffer
      - .offset:         8
        .size:           4
        .value_kind:     by_value
      - .offset:         12
        .size:           4
        .value_kind:     by_value
      - .offset:         16
        .size:           8
        .value_kind:     by_value
      - .address_space:  global
        .offset:         24
        .size:           8
        .value_kind:     global_buffer
      - .offset:         32
        .size:           4
        .value_kind:     by_value
      - .offset:         40
        .size:           8
        .value_kind:     by_value
      - .address_space:  global
        .offset:         48
        .size:           8
        .value_kind:     global_buffer
      - .offset:         56
        .size:           1
        .value_kind:     by_value
      - .offset:         57
        .size:           1
        .value_kind:     by_value
    .group_segment_fixed_size: 248
    .kernarg_segment_align: 8
    .kernarg_segment_size: 60
    .language:       OpenCL C
    .language_version:
      - 2
      - 0
    .max_flat_workgroup_size: 64
    .name:           _ZN9rocsolver6v33100L18getri_kernel_smallILi15EdPKPdEEvT1_iilPiilS6_bb
    .private_segment_fixed_size: 0
    .sgpr_count:     23
    .sgpr_spill_count: 0
    .symbol:         _ZN9rocsolver6v33100L18getri_kernel_smallILi15EdPKPdEEvT1_iilPiilS6_bb.kd
    .uniform_work_group_size: 1
    .uses_dynamic_stack: false
    .vgpr_count:     96
    .vgpr_spill_count: 0
    .wavefront_size: 32
    .workgroup_processor_mode: 1
  - .args:
      - .address_space:  global
        .offset:         0
        .size:           8
        .value_kind:     global_buffer
      - .offset:         8
        .size:           4
        .value_kind:     by_value
      - .offset:         12
        .size:           4
        .value_kind:     by_value
      - .offset:         16
        .size:           8
        .value_kind:     by_value
      - .address_space:  global
        .offset:         24
        .size:           8
        .value_kind:     global_buffer
      - .offset:         32
        .size:           4
        .value_kind:     by_value
      - .offset:         40
        .size:           8
        .value_kind:     by_value
      - .address_space:  global
        .offset:         48
        .size:           8
        .value_kind:     global_buffer
      - .offset:         56
        .size:           1
        .value_kind:     by_value
      - .offset:         57
        .size:           1
        .value_kind:     by_value
    .group_segment_fixed_size: 264
    .kernarg_segment_align: 8
    .kernarg_segment_size: 60
    .language:       OpenCL C
    .language_version:
      - 2
      - 0
    .max_flat_workgroup_size: 64
    .name:           _ZN9rocsolver6v33100L18getri_kernel_smallILi16EdPKPdEEvT1_iilPiilS6_bb
    .private_segment_fixed_size: 0
    .sgpr_count:     26
    .sgpr_spill_count: 0
    .symbol:         _ZN9rocsolver6v33100L18getri_kernel_smallILi16EdPKPdEEvT1_iilPiilS6_bb.kd
    .uniform_work_group_size: 1
    .uses_dynamic_stack: false
    .vgpr_count:     97
    .vgpr_spill_count: 0
    .wavefront_size: 32
    .workgroup_processor_mode: 1
  - .args:
      - .address_space:  global
        .offset:         0
        .size:           8
        .value_kind:     global_buffer
      - .offset:         8
        .size:           4
        .value_kind:     by_value
      - .offset:         12
        .size:           4
        .value_kind:     by_value
      - .offset:         16
        .size:           8
        .value_kind:     by_value
      - .address_space:  global
        .offset:         24
        .size:           8
        .value_kind:     global_buffer
      - .offset:         32
        .size:           4
        .value_kind:     by_value
      - .offset:         40
        .size:           8
        .value_kind:     by_value
      - .address_space:  global
        .offset:         48
        .size:           8
        .value_kind:     global_buffer
      - .offset:         56
        .size:           1
        .value_kind:     by_value
      - .offset:         57
        .size:           1
        .value_kind:     by_value
    .group_segment_fixed_size: 280
    .kernarg_segment_align: 8
    .kernarg_segment_size: 60
    .language:       OpenCL C
    .language_version:
      - 2
      - 0
    .max_flat_workgroup_size: 64
    .name:           _ZN9rocsolver6v33100L18getri_kernel_smallILi17EdPKPdEEvT1_iilPiilS6_bb
    .private_segment_fixed_size: 144
    .sgpr_count:     19
    .sgpr_spill_count: 0
    .symbol:         _ZN9rocsolver6v33100L18getri_kernel_smallILi17EdPKPdEEvT1_iilPiilS6_bb.kd
    .uniform_work_group_size: 1
    .uses_dynamic_stack: false
    .vgpr_count:     71
    .vgpr_spill_count: 0
    .wavefront_size: 32
    .workgroup_processor_mode: 1
  - .args:
      - .address_space:  global
        .offset:         0
        .size:           8
        .value_kind:     global_buffer
      - .offset:         8
        .size:           4
        .value_kind:     by_value
      - .offset:         12
        .size:           4
        .value_kind:     by_value
      - .offset:         16
        .size:           8
        .value_kind:     by_value
      - .address_space:  global
        .offset:         24
        .size:           8
        .value_kind:     global_buffer
      - .offset:         32
        .size:           4
        .value_kind:     by_value
      - .offset:         40
        .size:           8
        .value_kind:     by_value
      - .address_space:  global
        .offset:         48
        .size:           8
        .value_kind:     global_buffer
      - .offset:         56
        .size:           1
        .value_kind:     by_value
      - .offset:         57
        .size:           1
        .value_kind:     by_value
    .group_segment_fixed_size: 296
    .kernarg_segment_align: 8
    .kernarg_segment_size: 60
    .language:       OpenCL C
    .language_version:
      - 2
      - 0
    .max_flat_workgroup_size: 64
    .name:           _ZN9rocsolver6v33100L18getri_kernel_smallILi18EdPKPdEEvT1_iilPiilS6_bb
    .private_segment_fixed_size: 160
    .sgpr_count:     19
    .sgpr_spill_count: 0
    .symbol:         _ZN9rocsolver6v33100L18getri_kernel_smallILi18EdPKPdEEvT1_iilPiilS6_bb.kd
    .uniform_work_group_size: 1
    .uses_dynamic_stack: false
    .vgpr_count:     76
    .vgpr_spill_count: 0
    .wavefront_size: 32
    .workgroup_processor_mode: 1
  - .args:
      - .address_space:  global
        .offset:         0
        .size:           8
        .value_kind:     global_buffer
      - .offset:         8
        .size:           4
        .value_kind:     by_value
      - .offset:         12
        .size:           4
        .value_kind:     by_value
      - .offset:         16
        .size:           8
        .value_kind:     by_value
      - .address_space:  global
        .offset:         24
        .size:           8
        .value_kind:     global_buffer
      - .offset:         32
        .size:           4
        .value_kind:     by_value
      - .offset:         40
        .size:           8
        .value_kind:     by_value
      - .address_space:  global
        .offset:         48
        .size:           8
        .value_kind:     global_buffer
      - .offset:         56
        .size:           1
        .value_kind:     by_value
      - .offset:         57
        .size:           1
        .value_kind:     by_value
    .group_segment_fixed_size: 312
    .kernarg_segment_align: 8
    .kernarg_segment_size: 60
    .language:       OpenCL C
    .language_version:
      - 2
      - 0
    .max_flat_workgroup_size: 64
    .name:           _ZN9rocsolver6v33100L18getri_kernel_smallILi19EdPKPdEEvT1_iilPiilS6_bb
    .private_segment_fixed_size: 160
    .sgpr_count:     19
    .sgpr_spill_count: 0
    .symbol:         _ZN9rocsolver6v33100L18getri_kernel_smallILi19EdPKPdEEvT1_iilPiilS6_bb.kd
    .uniform_work_group_size: 1
    .uses_dynamic_stack: false
    .vgpr_count:     78
    .vgpr_spill_count: 0
    .wavefront_size: 32
    .workgroup_processor_mode: 1
  - .args:
      - .address_space:  global
        .offset:         0
        .size:           8
        .value_kind:     global_buffer
      - .offset:         8
        .size:           4
        .value_kind:     by_value
      - .offset:         12
        .size:           4
        .value_kind:     by_value
      - .offset:         16
        .size:           8
        .value_kind:     by_value
      - .address_space:  global
        .offset:         24
        .size:           8
        .value_kind:     global_buffer
      - .offset:         32
        .size:           4
        .value_kind:     by_value
      - .offset:         40
        .size:           8
        .value_kind:     by_value
      - .address_space:  global
        .offset:         48
        .size:           8
        .value_kind:     global_buffer
      - .offset:         56
        .size:           1
        .value_kind:     by_value
      - .offset:         57
        .size:           1
        .value_kind:     by_value
    .group_segment_fixed_size: 328
    .kernarg_segment_align: 8
    .kernarg_segment_size: 60
    .language:       OpenCL C
    .language_version:
      - 2
      - 0
    .max_flat_workgroup_size: 64
    .name:           _ZN9rocsolver6v33100L18getri_kernel_smallILi20EdPKPdEEvT1_iilPiilS6_bb
    .private_segment_fixed_size: 176
    .sgpr_count:     19
    .sgpr_spill_count: 0
    .symbol:         _ZN9rocsolver6v33100L18getri_kernel_smallILi20EdPKPdEEvT1_iilPiilS6_bb.kd
    .uniform_work_group_size: 1
    .uses_dynamic_stack: false
    .vgpr_count:     84
    .vgpr_spill_count: 0
    .wavefront_size: 32
    .workgroup_processor_mode: 1
  - .args:
      - .address_space:  global
        .offset:         0
        .size:           8
        .value_kind:     global_buffer
      - .offset:         8
        .size:           4
        .value_kind:     by_value
      - .offset:         12
        .size:           4
        .value_kind:     by_value
      - .offset:         16
        .size:           8
        .value_kind:     by_value
      - .address_space:  global
        .offset:         24
        .size:           8
        .value_kind:     global_buffer
      - .offset:         32
        .size:           4
        .value_kind:     by_value
      - .offset:         40
        .size:           8
        .value_kind:     by_value
      - .address_space:  global
        .offset:         48
        .size:           8
        .value_kind:     global_buffer
      - .offset:         56
        .size:           1
        .value_kind:     by_value
      - .offset:         57
        .size:           1
        .value_kind:     by_value
    .group_segment_fixed_size: 344
    .kernarg_segment_align: 8
    .kernarg_segment_size: 60
    .language:       OpenCL C
    .language_version:
      - 2
      - 0
    .max_flat_workgroup_size: 64
    .name:           _ZN9rocsolver6v33100L18getri_kernel_smallILi21EdPKPdEEvT1_iilPiilS6_bb
    .private_segment_fixed_size: 176
    .sgpr_count:     19
    .sgpr_spill_count: 0
    .symbol:         _ZN9rocsolver6v33100L18getri_kernel_smallILi21EdPKPdEEvT1_iilPiilS6_bb.kd
    .uniform_work_group_size: 1
    .uses_dynamic_stack: false
    .vgpr_count:     86
    .vgpr_spill_count: 0
    .wavefront_size: 32
    .workgroup_processor_mode: 1
  - .args:
      - .address_space:  global
        .offset:         0
        .size:           8
        .value_kind:     global_buffer
      - .offset:         8
        .size:           4
        .value_kind:     by_value
      - .offset:         12
        .size:           4
        .value_kind:     by_value
      - .offset:         16
        .size:           8
        .value_kind:     by_value
      - .address_space:  global
        .offset:         24
        .size:           8
        .value_kind:     global_buffer
      - .offset:         32
        .size:           4
        .value_kind:     by_value
      - .offset:         40
        .size:           8
        .value_kind:     by_value
      - .address_space:  global
        .offset:         48
        .size:           8
        .value_kind:     global_buffer
      - .offset:         56
        .size:           1
        .value_kind:     by_value
      - .offset:         57
        .size:           1
        .value_kind:     by_value
    .group_segment_fixed_size: 360
    .kernarg_segment_align: 8
    .kernarg_segment_size: 60
    .language:       OpenCL C
    .language_version:
      - 2
      - 0
    .max_flat_workgroup_size: 64
    .name:           _ZN9rocsolver6v33100L18getri_kernel_smallILi22EdPKPdEEvT1_iilPiilS6_bb
    .private_segment_fixed_size: 192
    .sgpr_count:     19
    .sgpr_spill_count: 0
    .symbol:         _ZN9rocsolver6v33100L18getri_kernel_smallILi22EdPKPdEEvT1_iilPiilS6_bb.kd
    .uniform_work_group_size: 1
    .uses_dynamic_stack: false
    .vgpr_count:     92
    .vgpr_spill_count: 0
    .wavefront_size: 32
    .workgroup_processor_mode: 1
  - .args:
      - .address_space:  global
        .offset:         0
        .size:           8
        .value_kind:     global_buffer
      - .offset:         8
        .size:           4
        .value_kind:     by_value
      - .offset:         12
        .size:           4
        .value_kind:     by_value
      - .offset:         16
        .size:           8
        .value_kind:     by_value
      - .address_space:  global
        .offset:         24
        .size:           8
        .value_kind:     global_buffer
      - .offset:         32
        .size:           4
        .value_kind:     by_value
      - .offset:         40
        .size:           8
        .value_kind:     by_value
      - .address_space:  global
        .offset:         48
        .size:           8
        .value_kind:     global_buffer
      - .offset:         56
        .size:           1
        .value_kind:     by_value
      - .offset:         57
        .size:           1
        .value_kind:     by_value
    .group_segment_fixed_size: 376
    .kernarg_segment_align: 8
    .kernarg_segment_size: 60
    .language:       OpenCL C
    .language_version:
      - 2
      - 0
    .max_flat_workgroup_size: 64
    .name:           _ZN9rocsolver6v33100L18getri_kernel_smallILi23EdPKPdEEvT1_iilPiilS6_bb
    .private_segment_fixed_size: 192
    .sgpr_count:     19
    .sgpr_spill_count: 0
    .symbol:         _ZN9rocsolver6v33100L18getri_kernel_smallILi23EdPKPdEEvT1_iilPiilS6_bb.kd
    .uniform_work_group_size: 1
    .uses_dynamic_stack: false
    .vgpr_count:     94
    .vgpr_spill_count: 0
    .wavefront_size: 32
    .workgroup_processor_mode: 1
  - .args:
      - .address_space:  global
        .offset:         0
        .size:           8
        .value_kind:     global_buffer
      - .offset:         8
        .size:           4
        .value_kind:     by_value
      - .offset:         12
        .size:           4
        .value_kind:     by_value
      - .offset:         16
        .size:           8
        .value_kind:     by_value
      - .address_space:  global
        .offset:         24
        .size:           8
        .value_kind:     global_buffer
      - .offset:         32
        .size:           4
        .value_kind:     by_value
      - .offset:         40
        .size:           8
        .value_kind:     by_value
      - .address_space:  global
        .offset:         48
        .size:           8
        .value_kind:     global_buffer
      - .offset:         56
        .size:           1
        .value_kind:     by_value
      - .offset:         57
        .size:           1
        .value_kind:     by_value
    .group_segment_fixed_size: 392
    .kernarg_segment_align: 8
    .kernarg_segment_size: 60
    .language:       OpenCL C
    .language_version:
      - 2
      - 0
    .max_flat_workgroup_size: 64
    .name:           _ZN9rocsolver6v33100L18getri_kernel_smallILi24EdPKPdEEvT1_iilPiilS6_bb
    .private_segment_fixed_size: 208
    .sgpr_count:     19
    .sgpr_spill_count: 0
    .symbol:         _ZN9rocsolver6v33100L18getri_kernel_smallILi24EdPKPdEEvT1_iilPiilS6_bb.kd
    .uniform_work_group_size: 1
    .uses_dynamic_stack: false
    .vgpr_count:     92
    .vgpr_spill_count: 0
    .wavefront_size: 32
    .workgroup_processor_mode: 1
  - .args:
      - .address_space:  global
        .offset:         0
        .size:           8
        .value_kind:     global_buffer
      - .offset:         8
        .size:           4
        .value_kind:     by_value
      - .offset:         12
        .size:           4
        .value_kind:     by_value
      - .offset:         16
        .size:           8
        .value_kind:     by_value
      - .address_space:  global
        .offset:         24
        .size:           8
        .value_kind:     global_buffer
      - .offset:         32
        .size:           4
        .value_kind:     by_value
      - .offset:         40
        .size:           8
        .value_kind:     by_value
      - .address_space:  global
        .offset:         48
        .size:           8
        .value_kind:     global_buffer
      - .offset:         56
        .size:           1
        .value_kind:     by_value
      - .offset:         57
        .size:           1
        .value_kind:     by_value
    .group_segment_fixed_size: 408
    .kernarg_segment_align: 8
    .kernarg_segment_size: 60
    .language:       OpenCL C
    .language_version:
      - 2
      - 0
    .max_flat_workgroup_size: 64
    .name:           _ZN9rocsolver6v33100L18getri_kernel_smallILi25EdPKPdEEvT1_iilPiilS6_bb
    .private_segment_fixed_size: 208
    .sgpr_count:     19
    .sgpr_spill_count: 0
    .symbol:         _ZN9rocsolver6v33100L18getri_kernel_smallILi25EdPKPdEEvT1_iilPiilS6_bb.kd
    .uniform_work_group_size: 1
    .uses_dynamic_stack: false
    .vgpr_count:     94
    .vgpr_spill_count: 0
    .wavefront_size: 32
    .workgroup_processor_mode: 1
  - .args:
      - .address_space:  global
        .offset:         0
        .size:           8
        .value_kind:     global_buffer
      - .offset:         8
        .size:           4
        .value_kind:     by_value
      - .offset:         12
        .size:           4
        .value_kind:     by_value
      - .offset:         16
        .size:           8
        .value_kind:     by_value
      - .address_space:  global
        .offset:         24
        .size:           8
        .value_kind:     global_buffer
      - .offset:         32
        .size:           4
        .value_kind:     by_value
      - .offset:         40
        .size:           8
        .value_kind:     by_value
      - .address_space:  global
        .offset:         48
        .size:           8
        .value_kind:     global_buffer
      - .offset:         56
        .size:           1
        .value_kind:     by_value
      - .offset:         57
        .size:           1
        .value_kind:     by_value
    .group_segment_fixed_size: 424
    .kernarg_segment_align: 8
    .kernarg_segment_size: 60
    .language:       OpenCL C
    .language_version:
      - 2
      - 0
    .max_flat_workgroup_size: 64
    .name:           _ZN9rocsolver6v33100L18getri_kernel_smallILi26EdPKPdEEvT1_iilPiilS6_bb
    .private_segment_fixed_size: 224
    .sgpr_count:     19
    .sgpr_spill_count: 0
    .symbol:         _ZN9rocsolver6v33100L18getri_kernel_smallILi26EdPKPdEEvT1_iilPiilS6_bb.kd
    .uniform_work_group_size: 1
    .uses_dynamic_stack: false
    .vgpr_count:     96
    .vgpr_spill_count: 0
    .wavefront_size: 32
    .workgroup_processor_mode: 1
  - .args:
      - .address_space:  global
        .offset:         0
        .size:           8
        .value_kind:     global_buffer
      - .offset:         8
        .size:           4
        .value_kind:     by_value
      - .offset:         12
        .size:           4
        .value_kind:     by_value
      - .offset:         16
        .size:           8
        .value_kind:     by_value
      - .address_space:  global
        .offset:         24
        .size:           8
        .value_kind:     global_buffer
      - .offset:         32
        .size:           4
        .value_kind:     by_value
      - .offset:         40
        .size:           8
        .value_kind:     by_value
      - .address_space:  global
        .offset:         48
        .size:           8
        .value_kind:     global_buffer
      - .offset:         56
        .size:           1
        .value_kind:     by_value
      - .offset:         57
        .size:           1
        .value_kind:     by_value
    .group_segment_fixed_size: 440
    .kernarg_segment_align: 8
    .kernarg_segment_size: 60
    .language:       OpenCL C
    .language_version:
      - 2
      - 0
    .max_flat_workgroup_size: 64
    .name:           _ZN9rocsolver6v33100L18getri_kernel_smallILi27EdPKPdEEvT1_iilPiilS6_bb
    .private_segment_fixed_size: 224
    .sgpr_count:     19
    .sgpr_spill_count: 0
    .symbol:         _ZN9rocsolver6v33100L18getri_kernel_smallILi27EdPKPdEEvT1_iilPiilS6_bb.kd
    .uniform_work_group_size: 1
    .uses_dynamic_stack: false
    .vgpr_count:     96
    .vgpr_spill_count: 0
    .wavefront_size: 32
    .workgroup_processor_mode: 1
  - .args:
      - .address_space:  global
        .offset:         0
        .size:           8
        .value_kind:     global_buffer
      - .offset:         8
        .size:           4
        .value_kind:     by_value
      - .offset:         12
        .size:           4
        .value_kind:     by_value
      - .offset:         16
        .size:           8
        .value_kind:     by_value
      - .address_space:  global
        .offset:         24
        .size:           8
        .value_kind:     global_buffer
      - .offset:         32
        .size:           4
        .value_kind:     by_value
      - .offset:         40
        .size:           8
        .value_kind:     by_value
      - .address_space:  global
        .offset:         48
        .size:           8
        .value_kind:     global_buffer
      - .offset:         56
        .size:           1
        .value_kind:     by_value
      - .offset:         57
        .size:           1
        .value_kind:     by_value
    .group_segment_fixed_size: 456
    .kernarg_segment_align: 8
    .kernarg_segment_size: 60
    .language:       OpenCL C
    .language_version:
      - 2
      - 0
    .max_flat_workgroup_size: 64
    .name:           _ZN9rocsolver6v33100L18getri_kernel_smallILi28EdPKPdEEvT1_iilPiilS6_bb
    .private_segment_fixed_size: 240
    .sgpr_count:     19
    .sgpr_spill_count: 0
    .symbol:         _ZN9rocsolver6v33100L18getri_kernel_smallILi28EdPKPdEEvT1_iilPiilS6_bb.kd
    .uniform_work_group_size: 1
    .uses_dynamic_stack: false
    .vgpr_count:     96
    .vgpr_spill_count: 0
    .wavefront_size: 32
    .workgroup_processor_mode: 1
  - .args:
      - .address_space:  global
        .offset:         0
        .size:           8
        .value_kind:     global_buffer
      - .offset:         8
        .size:           4
        .value_kind:     by_value
      - .offset:         12
        .size:           4
        .value_kind:     by_value
      - .offset:         16
        .size:           8
        .value_kind:     by_value
      - .address_space:  global
        .offset:         24
        .size:           8
        .value_kind:     global_buffer
      - .offset:         32
        .size:           4
        .value_kind:     by_value
      - .offset:         40
        .size:           8
        .value_kind:     by_value
      - .address_space:  global
        .offset:         48
        .size:           8
        .value_kind:     global_buffer
      - .offset:         56
        .size:           1
        .value_kind:     by_value
      - .offset:         57
        .size:           1
        .value_kind:     by_value
    .group_segment_fixed_size: 472
    .kernarg_segment_align: 8
    .kernarg_segment_size: 60
    .language:       OpenCL C
    .language_version:
      - 2
      - 0
    .max_flat_workgroup_size: 64
    .name:           _ZN9rocsolver6v33100L18getri_kernel_smallILi29EdPKPdEEvT1_iilPiilS6_bb
    .private_segment_fixed_size: 240
    .sgpr_count:     19
    .sgpr_spill_count: 0
    .symbol:         _ZN9rocsolver6v33100L18getri_kernel_smallILi29EdPKPdEEvT1_iilPiilS6_bb.kd
    .uniform_work_group_size: 1
    .uses_dynamic_stack: false
    .vgpr_count:     95
    .vgpr_spill_count: 0
    .wavefront_size: 32
    .workgroup_processor_mode: 1
  - .args:
      - .address_space:  global
        .offset:         0
        .size:           8
        .value_kind:     global_buffer
      - .offset:         8
        .size:           4
        .value_kind:     by_value
      - .offset:         12
        .size:           4
        .value_kind:     by_value
      - .offset:         16
        .size:           8
        .value_kind:     by_value
      - .address_space:  global
        .offset:         24
        .size:           8
        .value_kind:     global_buffer
      - .offset:         32
        .size:           4
        .value_kind:     by_value
      - .offset:         40
        .size:           8
        .value_kind:     by_value
      - .address_space:  global
        .offset:         48
        .size:           8
        .value_kind:     global_buffer
      - .offset:         56
        .size:           1
        .value_kind:     by_value
      - .offset:         57
        .size:           1
        .value_kind:     by_value
    .group_segment_fixed_size: 488
    .kernarg_segment_align: 8
    .kernarg_segment_size: 60
    .language:       OpenCL C
    .language_version:
      - 2
      - 0
    .max_flat_workgroup_size: 64
    .name:           _ZN9rocsolver6v33100L18getri_kernel_smallILi30EdPKPdEEvT1_iilPiilS6_bb
    .private_segment_fixed_size: 256
    .sgpr_count:     19
    .sgpr_spill_count: 0
    .symbol:         _ZN9rocsolver6v33100L18getri_kernel_smallILi30EdPKPdEEvT1_iilPiilS6_bb.kd
    .uniform_work_group_size: 1
    .uses_dynamic_stack: false
    .vgpr_count:     98
    .vgpr_spill_count: 0
    .wavefront_size: 32
    .workgroup_processor_mode: 1
  - .args:
      - .address_space:  global
        .offset:         0
        .size:           8
        .value_kind:     global_buffer
      - .offset:         8
        .size:           4
        .value_kind:     by_value
      - .offset:         12
        .size:           4
        .value_kind:     by_value
      - .offset:         16
        .size:           8
        .value_kind:     by_value
      - .address_space:  global
        .offset:         24
        .size:           8
        .value_kind:     global_buffer
      - .offset:         32
        .size:           4
        .value_kind:     by_value
      - .offset:         40
        .size:           8
        .value_kind:     by_value
      - .address_space:  global
        .offset:         48
        .size:           8
        .value_kind:     global_buffer
      - .offset:         56
        .size:           1
        .value_kind:     by_value
      - .offset:         57
        .size:           1
        .value_kind:     by_value
    .group_segment_fixed_size: 504
    .kernarg_segment_align: 8
    .kernarg_segment_size: 60
    .language:       OpenCL C
    .language_version:
      - 2
      - 0
    .max_flat_workgroup_size: 64
    .name:           _ZN9rocsolver6v33100L18getri_kernel_smallILi31EdPKPdEEvT1_iilPiilS6_bb
    .private_segment_fixed_size: 256
    .sgpr_count:     19
    .sgpr_spill_count: 0
    .symbol:         _ZN9rocsolver6v33100L18getri_kernel_smallILi31EdPKPdEEvT1_iilPiilS6_bb.kd
    .uniform_work_group_size: 1
    .uses_dynamic_stack: false
    .vgpr_count:     99
    .vgpr_spill_count: 0
    .wavefront_size: 32
    .workgroup_processor_mode: 1
  - .args:
      - .address_space:  global
        .offset:         0
        .size:           8
        .value_kind:     global_buffer
      - .offset:         8
        .size:           4
        .value_kind:     by_value
      - .offset:         12
        .size:           4
        .value_kind:     by_value
      - .offset:         16
        .size:           8
        .value_kind:     by_value
      - .address_space:  global
        .offset:         24
        .size:           8
        .value_kind:     global_buffer
      - .offset:         32
        .size:           4
        .value_kind:     by_value
      - .offset:         40
        .size:           8
        .value_kind:     by_value
      - .address_space:  global
        .offset:         48
        .size:           8
        .value_kind:     global_buffer
      - .offset:         56
        .size:           1
        .value_kind:     by_value
      - .offset:         57
        .size:           1
        .value_kind:     by_value
    .group_segment_fixed_size: 520
    .kernarg_segment_align: 8
    .kernarg_segment_size: 60
    .language:       OpenCL C
    .language_version:
      - 2
      - 0
    .max_flat_workgroup_size: 64
    .name:           _ZN9rocsolver6v33100L18getri_kernel_smallILi32EdPKPdEEvT1_iilPiilS6_bb
    .private_segment_fixed_size: 272
    .sgpr_count:     19
    .sgpr_spill_count: 0
    .symbol:         _ZN9rocsolver6v33100L18getri_kernel_smallILi32EdPKPdEEvT1_iilPiilS6_bb.kd
    .uniform_work_group_size: 1
    .uses_dynamic_stack: false
    .vgpr_count:     102
    .vgpr_spill_count: 0
    .wavefront_size: 32
    .workgroup_processor_mode: 1
  - .args:
      - .address_space:  global
        .offset:         0
        .size:           8
        .value_kind:     global_buffer
      - .offset:         8
        .size:           4
        .value_kind:     by_value
      - .offset:         12
        .size:           4
        .value_kind:     by_value
      - .offset:         16
        .size:           8
        .value_kind:     by_value
      - .address_space:  global
        .offset:         24
        .size:           8
        .value_kind:     global_buffer
      - .offset:         32
        .size:           4
        .value_kind:     by_value
      - .offset:         40
        .size:           8
        .value_kind:     by_value
      - .address_space:  global
        .offset:         48
        .size:           8
        .value_kind:     global_buffer
      - .offset:         56
        .size:           1
        .value_kind:     by_value
      - .offset:         57
        .size:           1
        .value_kind:     by_value
    .group_segment_fixed_size: 536
    .kernarg_segment_align: 8
    .kernarg_segment_size: 60
    .language:       OpenCL C
    .language_version:
      - 2
      - 0
    .max_flat_workgroup_size: 64
    .name:           _ZN9rocsolver6v33100L18getri_kernel_smallILi33EdPKPdEEvT1_iilPiilS6_bb
    .private_segment_fixed_size: 272
    .sgpr_count:     19
    .sgpr_spill_count: 0
    .symbol:         _ZN9rocsolver6v33100L18getri_kernel_smallILi33EdPKPdEEvT1_iilPiilS6_bb.kd
    .uniform_work_group_size: 1
    .uses_dynamic_stack: false
    .vgpr_count:     116
    .vgpr_spill_count: 0
    .wavefront_size: 32
    .workgroup_processor_mode: 1
  - .args:
      - .address_space:  global
        .offset:         0
        .size:           8
        .value_kind:     global_buffer
      - .offset:         8
        .size:           4
        .value_kind:     by_value
      - .offset:         12
        .size:           4
        .value_kind:     by_value
      - .offset:         16
        .size:           8
        .value_kind:     by_value
      - .address_space:  global
        .offset:         24
        .size:           8
        .value_kind:     global_buffer
      - .offset:         32
        .size:           4
        .value_kind:     by_value
      - .offset:         40
        .size:           8
        .value_kind:     by_value
      - .address_space:  global
        .offset:         48
        .size:           8
        .value_kind:     global_buffer
      - .offset:         56
        .size:           1
        .value_kind:     by_value
      - .offset:         57
        .size:           1
        .value_kind:     by_value
    .group_segment_fixed_size: 552
    .kernarg_segment_align: 8
    .kernarg_segment_size: 60
    .language:       OpenCL C
    .language_version:
      - 2
      - 0
    .max_flat_workgroup_size: 64
    .name:           _ZN9rocsolver6v33100L18getri_kernel_smallILi34EdPKPdEEvT1_iilPiilS6_bb
    .private_segment_fixed_size: 288
    .sgpr_count:     19
    .sgpr_spill_count: 0
    .symbol:         _ZN9rocsolver6v33100L18getri_kernel_smallILi34EdPKPdEEvT1_iilPiilS6_bb.kd
    .uniform_work_group_size: 1
    .uses_dynamic_stack: false
    .vgpr_count:     121
    .vgpr_spill_count: 0
    .wavefront_size: 32
    .workgroup_processor_mode: 1
  - .args:
      - .address_space:  global
        .offset:         0
        .size:           8
        .value_kind:     global_buffer
      - .offset:         8
        .size:           4
        .value_kind:     by_value
      - .offset:         12
        .size:           4
        .value_kind:     by_value
      - .offset:         16
        .size:           8
        .value_kind:     by_value
      - .address_space:  global
        .offset:         24
        .size:           8
        .value_kind:     global_buffer
      - .offset:         32
        .size:           4
        .value_kind:     by_value
      - .offset:         40
        .size:           8
        .value_kind:     by_value
      - .address_space:  global
        .offset:         48
        .size:           8
        .value_kind:     global_buffer
      - .offset:         56
        .size:           1
        .value_kind:     by_value
      - .offset:         57
        .size:           1
        .value_kind:     by_value
    .group_segment_fixed_size: 568
    .kernarg_segment_align: 8
    .kernarg_segment_size: 60
    .language:       OpenCL C
    .language_version:
      - 2
      - 0
    .max_flat_workgroup_size: 64
    .name:           _ZN9rocsolver6v33100L18getri_kernel_smallILi35EdPKPdEEvT1_iilPiilS6_bb
    .private_segment_fixed_size: 288
    .sgpr_count:     19
    .sgpr_spill_count: 0
    .symbol:         _ZN9rocsolver6v33100L18getri_kernel_smallILi35EdPKPdEEvT1_iilPiilS6_bb.kd
    .uniform_work_group_size: 1
    .uses_dynamic_stack: false
    .vgpr_count:     120
    .vgpr_spill_count: 0
    .wavefront_size: 32
    .workgroup_processor_mode: 1
  - .args:
      - .address_space:  global
        .offset:         0
        .size:           8
        .value_kind:     global_buffer
      - .offset:         8
        .size:           4
        .value_kind:     by_value
      - .offset:         12
        .size:           4
        .value_kind:     by_value
      - .offset:         16
        .size:           8
        .value_kind:     by_value
      - .address_space:  global
        .offset:         24
        .size:           8
        .value_kind:     global_buffer
      - .offset:         32
        .size:           4
        .value_kind:     by_value
      - .offset:         40
        .size:           8
        .value_kind:     by_value
      - .address_space:  global
        .offset:         48
        .size:           8
        .value_kind:     global_buffer
      - .offset:         56
        .size:           1
        .value_kind:     by_value
      - .offset:         57
        .size:           1
        .value_kind:     by_value
    .group_segment_fixed_size: 584
    .kernarg_segment_align: 8
    .kernarg_segment_size: 60
    .language:       OpenCL C
    .language_version:
      - 2
      - 0
    .max_flat_workgroup_size: 64
    .name:           _ZN9rocsolver6v33100L18getri_kernel_smallILi36EdPKPdEEvT1_iilPiilS6_bb
    .private_segment_fixed_size: 304
    .sgpr_count:     19
    .sgpr_spill_count: 0
    .symbol:         _ZN9rocsolver6v33100L18getri_kernel_smallILi36EdPKPdEEvT1_iilPiilS6_bb.kd
    .uniform_work_group_size: 1
    .uses_dynamic_stack: false
    .vgpr_count:     121
    .vgpr_spill_count: 0
    .wavefront_size: 32
    .workgroup_processor_mode: 1
  - .args:
      - .address_space:  global
        .offset:         0
        .size:           8
        .value_kind:     global_buffer
      - .offset:         8
        .size:           4
        .value_kind:     by_value
      - .offset:         12
        .size:           4
        .value_kind:     by_value
      - .offset:         16
        .size:           8
        .value_kind:     by_value
      - .address_space:  global
        .offset:         24
        .size:           8
        .value_kind:     global_buffer
      - .offset:         32
        .size:           4
        .value_kind:     by_value
      - .offset:         40
        .size:           8
        .value_kind:     by_value
      - .address_space:  global
        .offset:         48
        .size:           8
        .value_kind:     global_buffer
      - .offset:         56
        .size:           1
        .value_kind:     by_value
      - .offset:         57
        .size:           1
        .value_kind:     by_value
    .group_segment_fixed_size: 600
    .kernarg_segment_align: 8
    .kernarg_segment_size: 60
    .language:       OpenCL C
    .language_version:
      - 2
      - 0
    .max_flat_workgroup_size: 64
    .name:           _ZN9rocsolver6v33100L18getri_kernel_smallILi37EdPKPdEEvT1_iilPiilS6_bb
    .private_segment_fixed_size: 304
    .sgpr_count:     19
    .sgpr_spill_count: 0
    .symbol:         _ZN9rocsolver6v33100L18getri_kernel_smallILi37EdPKPdEEvT1_iilPiilS6_bb.kd
    .uniform_work_group_size: 1
    .uses_dynamic_stack: false
    .vgpr_count:     119
    .vgpr_spill_count: 0
    .wavefront_size: 32
    .workgroup_processor_mode: 1
  - .args:
      - .address_space:  global
        .offset:         0
        .size:           8
        .value_kind:     global_buffer
      - .offset:         8
        .size:           4
        .value_kind:     by_value
      - .offset:         12
        .size:           4
        .value_kind:     by_value
      - .offset:         16
        .size:           8
        .value_kind:     by_value
      - .address_space:  global
        .offset:         24
        .size:           8
        .value_kind:     global_buffer
      - .offset:         32
        .size:           4
        .value_kind:     by_value
      - .offset:         40
        .size:           8
        .value_kind:     by_value
      - .address_space:  global
        .offset:         48
        .size:           8
        .value_kind:     global_buffer
      - .offset:         56
        .size:           1
        .value_kind:     by_value
      - .offset:         57
        .size:           1
        .value_kind:     by_value
    .group_segment_fixed_size: 616
    .kernarg_segment_align: 8
    .kernarg_segment_size: 60
    .language:       OpenCL C
    .language_version:
      - 2
      - 0
    .max_flat_workgroup_size: 64
    .name:           _ZN9rocsolver6v33100L18getri_kernel_smallILi38EdPKPdEEvT1_iilPiilS6_bb
    .private_segment_fixed_size: 320
    .sgpr_count:     19
    .sgpr_spill_count: 0
    .symbol:         _ZN9rocsolver6v33100L18getri_kernel_smallILi38EdPKPdEEvT1_iilPiilS6_bb.kd
    .uniform_work_group_size: 1
    .uses_dynamic_stack: false
    .vgpr_count:     124
    .vgpr_spill_count: 0
    .wavefront_size: 32
    .workgroup_processor_mode: 1
  - .args:
      - .address_space:  global
        .offset:         0
        .size:           8
        .value_kind:     global_buffer
      - .offset:         8
        .size:           4
        .value_kind:     by_value
      - .offset:         12
        .size:           4
        .value_kind:     by_value
      - .offset:         16
        .size:           8
        .value_kind:     by_value
      - .address_space:  global
        .offset:         24
        .size:           8
        .value_kind:     global_buffer
      - .offset:         32
        .size:           4
        .value_kind:     by_value
      - .offset:         40
        .size:           8
        .value_kind:     by_value
      - .address_space:  global
        .offset:         48
        .size:           8
        .value_kind:     global_buffer
      - .offset:         56
        .size:           1
        .value_kind:     by_value
      - .offset:         57
        .size:           1
        .value_kind:     by_value
    .group_segment_fixed_size: 632
    .kernarg_segment_align: 8
    .kernarg_segment_size: 60
    .language:       OpenCL C
    .language_version:
      - 2
      - 0
    .max_flat_workgroup_size: 64
    .name:           _ZN9rocsolver6v33100L18getri_kernel_smallILi39EdPKPdEEvT1_iilPiilS6_bb
    .private_segment_fixed_size: 320
    .sgpr_count:     19
    .sgpr_spill_count: 0
    .symbol:         _ZN9rocsolver6v33100L18getri_kernel_smallILi39EdPKPdEEvT1_iilPiilS6_bb.kd
    .uniform_work_group_size: 1
    .uses_dynamic_stack: false
    .vgpr_count:     126
    .vgpr_spill_count: 0
    .wavefront_size: 32
    .workgroup_processor_mode: 1
  - .args:
      - .address_space:  global
        .offset:         0
        .size:           8
        .value_kind:     global_buffer
      - .offset:         8
        .size:           4
        .value_kind:     by_value
      - .offset:         12
        .size:           4
        .value_kind:     by_value
      - .offset:         16
        .size:           8
        .value_kind:     by_value
      - .address_space:  global
        .offset:         24
        .size:           8
        .value_kind:     global_buffer
      - .offset:         32
        .size:           4
        .value_kind:     by_value
      - .offset:         40
        .size:           8
        .value_kind:     by_value
      - .address_space:  global
        .offset:         48
        .size:           8
        .value_kind:     global_buffer
      - .offset:         56
        .size:           1
        .value_kind:     by_value
      - .offset:         57
        .size:           1
        .value_kind:     by_value
    .group_segment_fixed_size: 648
    .kernarg_segment_align: 8
    .kernarg_segment_size: 60
    .language:       OpenCL C
    .language_version:
      - 2
      - 0
    .max_flat_workgroup_size: 64
    .name:           _ZN9rocsolver6v33100L18getri_kernel_smallILi40EdPKPdEEvT1_iilPiilS6_bb
    .private_segment_fixed_size: 336
    .sgpr_count:     19
    .sgpr_spill_count: 0
    .symbol:         _ZN9rocsolver6v33100L18getri_kernel_smallILi40EdPKPdEEvT1_iilPiilS6_bb.kd
    .uniform_work_group_size: 1
    .uses_dynamic_stack: false
    .vgpr_count:     128
    .vgpr_spill_count: 0
    .wavefront_size: 32
    .workgroup_processor_mode: 1
  - .args:
      - .address_space:  global
        .offset:         0
        .size:           8
        .value_kind:     global_buffer
      - .offset:         8
        .size:           4
        .value_kind:     by_value
      - .offset:         12
        .size:           4
        .value_kind:     by_value
      - .offset:         16
        .size:           8
        .value_kind:     by_value
      - .address_space:  global
        .offset:         24
        .size:           8
        .value_kind:     global_buffer
      - .offset:         32
        .size:           4
        .value_kind:     by_value
      - .offset:         40
        .size:           8
        .value_kind:     by_value
      - .address_space:  global
        .offset:         48
        .size:           8
        .value_kind:     global_buffer
      - .offset:         56
        .size:           1
        .value_kind:     by_value
      - .offset:         57
        .size:           1
        .value_kind:     by_value
    .group_segment_fixed_size: 664
    .kernarg_segment_align: 8
    .kernarg_segment_size: 60
    .language:       OpenCL C
    .language_version:
      - 2
      - 0
    .max_flat_workgroup_size: 64
    .name:           _ZN9rocsolver6v33100L18getri_kernel_smallILi41EdPKPdEEvT1_iilPiilS6_bb
    .private_segment_fixed_size: 336
    .sgpr_count:     19
    .sgpr_spill_count: 0
    .symbol:         _ZN9rocsolver6v33100L18getri_kernel_smallILi41EdPKPdEEvT1_iilPiilS6_bb.kd
    .uniform_work_group_size: 1
    .uses_dynamic_stack: false
    .vgpr_count:     123
    .vgpr_spill_count: 0
    .wavefront_size: 32
    .workgroup_processor_mode: 1
  - .args:
      - .address_space:  global
        .offset:         0
        .size:           8
        .value_kind:     global_buffer
      - .offset:         8
        .size:           4
        .value_kind:     by_value
      - .offset:         12
        .size:           4
        .value_kind:     by_value
      - .offset:         16
        .size:           8
        .value_kind:     by_value
      - .address_space:  global
        .offset:         24
        .size:           8
        .value_kind:     global_buffer
      - .offset:         32
        .size:           4
        .value_kind:     by_value
      - .offset:         40
        .size:           8
        .value_kind:     by_value
      - .address_space:  global
        .offset:         48
        .size:           8
        .value_kind:     global_buffer
      - .offset:         56
        .size:           1
        .value_kind:     by_value
      - .offset:         57
        .size:           1
        .value_kind:     by_value
    .group_segment_fixed_size: 680
    .kernarg_segment_align: 8
    .kernarg_segment_size: 60
    .language:       OpenCL C
    .language_version:
      - 2
      - 0
    .max_flat_workgroup_size: 64
    .name:           _ZN9rocsolver6v33100L18getri_kernel_smallILi42EdPKPdEEvT1_iilPiilS6_bb
    .private_segment_fixed_size: 352
    .sgpr_count:     19
    .sgpr_spill_count: 0
    .symbol:         _ZN9rocsolver6v33100L18getri_kernel_smallILi42EdPKPdEEvT1_iilPiilS6_bb.kd
    .uniform_work_group_size: 1
    .uses_dynamic_stack: false
    .vgpr_count:     128
    .vgpr_spill_count: 0
    .wavefront_size: 32
    .workgroup_processor_mode: 1
  - .args:
      - .address_space:  global
        .offset:         0
        .size:           8
        .value_kind:     global_buffer
      - .offset:         8
        .size:           4
        .value_kind:     by_value
      - .offset:         12
        .size:           4
        .value_kind:     by_value
      - .offset:         16
        .size:           8
        .value_kind:     by_value
      - .address_space:  global
        .offset:         24
        .size:           8
        .value_kind:     global_buffer
      - .offset:         32
        .size:           4
        .value_kind:     by_value
      - .offset:         40
        .size:           8
        .value_kind:     by_value
      - .address_space:  global
        .offset:         48
        .size:           8
        .value_kind:     global_buffer
      - .offset:         56
        .size:           1
        .value_kind:     by_value
      - .offset:         57
        .size:           1
        .value_kind:     by_value
    .group_segment_fixed_size: 696
    .kernarg_segment_align: 8
    .kernarg_segment_size: 60
    .language:       OpenCL C
    .language_version:
      - 2
      - 0
    .max_flat_workgroup_size: 64
    .name:           _ZN9rocsolver6v33100L18getri_kernel_smallILi43EdPKPdEEvT1_iilPiilS6_bb
    .private_segment_fixed_size: 352
    .sgpr_count:     19
    .sgpr_spill_count: 0
    .symbol:         _ZN9rocsolver6v33100L18getri_kernel_smallILi43EdPKPdEEvT1_iilPiilS6_bb.kd
    .uniform_work_group_size: 1
    .uses_dynamic_stack: false
    .vgpr_count:     122
    .vgpr_spill_count: 0
    .wavefront_size: 32
    .workgroup_processor_mode: 1
  - .args:
      - .address_space:  global
        .offset:         0
        .size:           8
        .value_kind:     global_buffer
      - .offset:         8
        .size:           4
        .value_kind:     by_value
      - .offset:         12
        .size:           4
        .value_kind:     by_value
      - .offset:         16
        .size:           8
        .value_kind:     by_value
      - .address_space:  global
        .offset:         24
        .size:           8
        .value_kind:     global_buffer
      - .offset:         32
        .size:           4
        .value_kind:     by_value
      - .offset:         40
        .size:           8
        .value_kind:     by_value
      - .address_space:  global
        .offset:         48
        .size:           8
        .value_kind:     global_buffer
      - .offset:         56
        .size:           1
        .value_kind:     by_value
      - .offset:         57
        .size:           1
        .value_kind:     by_value
    .group_segment_fixed_size: 712
    .kernarg_segment_align: 8
    .kernarg_segment_size: 60
    .language:       OpenCL C
    .language_version:
      - 2
      - 0
    .max_flat_workgroup_size: 64
    .name:           _ZN9rocsolver6v33100L18getri_kernel_smallILi44EdPKPdEEvT1_iilPiilS6_bb
    .private_segment_fixed_size: 368
    .sgpr_count:     19
    .sgpr_spill_count: 0
    .symbol:         _ZN9rocsolver6v33100L18getri_kernel_smallILi44EdPKPdEEvT1_iilPiilS6_bb.kd
    .uniform_work_group_size: 1
    .uses_dynamic_stack: false
    .vgpr_count:     124
    .vgpr_spill_count: 0
    .wavefront_size: 32
    .workgroup_processor_mode: 1
  - .args:
      - .address_space:  global
        .offset:         0
        .size:           8
        .value_kind:     global_buffer
      - .offset:         8
        .size:           4
        .value_kind:     by_value
      - .offset:         12
        .size:           4
        .value_kind:     by_value
      - .offset:         16
        .size:           8
        .value_kind:     by_value
      - .address_space:  global
        .offset:         24
        .size:           8
        .value_kind:     global_buffer
      - .offset:         32
        .size:           4
        .value_kind:     by_value
      - .offset:         40
        .size:           8
        .value_kind:     by_value
      - .address_space:  global
        .offset:         48
        .size:           8
        .value_kind:     global_buffer
      - .offset:         56
        .size:           1
        .value_kind:     by_value
      - .offset:         57
        .size:           1
        .value_kind:     by_value
    .group_segment_fixed_size: 728
    .kernarg_segment_align: 8
    .kernarg_segment_size: 60
    .language:       OpenCL C
    .language_version:
      - 2
      - 0
    .max_flat_workgroup_size: 64
    .name:           _ZN9rocsolver6v33100L18getri_kernel_smallILi45EdPKPdEEvT1_iilPiilS6_bb
    .private_segment_fixed_size: 368
    .sgpr_count:     19
    .sgpr_spill_count: 0
    .symbol:         _ZN9rocsolver6v33100L18getri_kernel_smallILi45EdPKPdEEvT1_iilPiilS6_bb.kd
    .uniform_work_group_size: 1
    .uses_dynamic_stack: false
    .vgpr_count:     143
    .vgpr_spill_count: 0
    .wavefront_size: 32
    .workgroup_processor_mode: 1
  - .args:
      - .address_space:  global
        .offset:         0
        .size:           8
        .value_kind:     global_buffer
      - .offset:         8
        .size:           4
        .value_kind:     by_value
      - .offset:         12
        .size:           4
        .value_kind:     by_value
      - .offset:         16
        .size:           8
        .value_kind:     by_value
      - .address_space:  global
        .offset:         24
        .size:           8
        .value_kind:     global_buffer
      - .offset:         32
        .size:           4
        .value_kind:     by_value
      - .offset:         40
        .size:           8
        .value_kind:     by_value
      - .address_space:  global
        .offset:         48
        .size:           8
        .value_kind:     global_buffer
      - .offset:         56
        .size:           1
        .value_kind:     by_value
      - .offset:         57
        .size:           1
        .value_kind:     by_value
    .group_segment_fixed_size: 744
    .kernarg_segment_align: 8
    .kernarg_segment_size: 60
    .language:       OpenCL C
    .language_version:
      - 2
      - 0
    .max_flat_workgroup_size: 64
    .name:           _ZN9rocsolver6v33100L18getri_kernel_smallILi46EdPKPdEEvT1_iilPiilS6_bb
    .private_segment_fixed_size: 384
    .sgpr_count:     19
    .sgpr_spill_count: 0
    .symbol:         _ZN9rocsolver6v33100L18getri_kernel_smallILi46EdPKPdEEvT1_iilPiilS6_bb.kd
    .uniform_work_group_size: 1
    .uses_dynamic_stack: false
    .vgpr_count:     146
    .vgpr_spill_count: 0
    .wavefront_size: 32
    .workgroup_processor_mode: 1
  - .args:
      - .address_space:  global
        .offset:         0
        .size:           8
        .value_kind:     global_buffer
      - .offset:         8
        .size:           4
        .value_kind:     by_value
      - .offset:         12
        .size:           4
        .value_kind:     by_value
      - .offset:         16
        .size:           8
        .value_kind:     by_value
      - .address_space:  global
        .offset:         24
        .size:           8
        .value_kind:     global_buffer
      - .offset:         32
        .size:           4
        .value_kind:     by_value
      - .offset:         40
        .size:           8
        .value_kind:     by_value
      - .address_space:  global
        .offset:         48
        .size:           8
        .value_kind:     global_buffer
      - .offset:         56
        .size:           1
        .value_kind:     by_value
      - .offset:         57
        .size:           1
        .value_kind:     by_value
    .group_segment_fixed_size: 760
    .kernarg_segment_align: 8
    .kernarg_segment_size: 60
    .language:       OpenCL C
    .language_version:
      - 2
      - 0
    .max_flat_workgroup_size: 64
    .name:           _ZN9rocsolver6v33100L18getri_kernel_smallILi47EdPKPdEEvT1_iilPiilS6_bb
    .private_segment_fixed_size: 384
    .sgpr_count:     19
    .sgpr_spill_count: 0
    .symbol:         _ZN9rocsolver6v33100L18getri_kernel_smallILi47EdPKPdEEvT1_iilPiilS6_bb.kd
    .uniform_work_group_size: 1
    .uses_dynamic_stack: false
    .vgpr_count:     148
    .vgpr_spill_count: 0
    .wavefront_size: 32
    .workgroup_processor_mode: 1
  - .args:
      - .address_space:  global
        .offset:         0
        .size:           8
        .value_kind:     global_buffer
      - .offset:         8
        .size:           4
        .value_kind:     by_value
      - .offset:         12
        .size:           4
        .value_kind:     by_value
      - .offset:         16
        .size:           8
        .value_kind:     by_value
      - .address_space:  global
        .offset:         24
        .size:           8
        .value_kind:     global_buffer
      - .offset:         32
        .size:           4
        .value_kind:     by_value
      - .offset:         40
        .size:           8
        .value_kind:     by_value
      - .address_space:  global
        .offset:         48
        .size:           8
        .value_kind:     global_buffer
      - .offset:         56
        .size:           1
        .value_kind:     by_value
      - .offset:         57
        .size:           1
        .value_kind:     by_value
    .group_segment_fixed_size: 776
    .kernarg_segment_align: 8
    .kernarg_segment_size: 60
    .language:       OpenCL C
    .language_version:
      - 2
      - 0
    .max_flat_workgroup_size: 64
    .name:           _ZN9rocsolver6v33100L18getri_kernel_smallILi48EdPKPdEEvT1_iilPiilS6_bb
    .private_segment_fixed_size: 400
    .sgpr_count:     19
    .sgpr_spill_count: 0
    .symbol:         _ZN9rocsolver6v33100L18getri_kernel_smallILi48EdPKPdEEvT1_iilPiilS6_bb.kd
    .uniform_work_group_size: 1
    .uses_dynamic_stack: false
    .vgpr_count:     150
    .vgpr_spill_count: 0
    .wavefront_size: 32
    .workgroup_processor_mode: 1
  - .args:
      - .address_space:  global
        .offset:         0
        .size:           8
        .value_kind:     global_buffer
      - .offset:         8
        .size:           4
        .value_kind:     by_value
      - .offset:         12
        .size:           4
        .value_kind:     by_value
      - .offset:         16
        .size:           8
        .value_kind:     by_value
      - .address_space:  global
        .offset:         24
        .size:           8
        .value_kind:     global_buffer
      - .offset:         32
        .size:           4
        .value_kind:     by_value
      - .offset:         40
        .size:           8
        .value_kind:     by_value
      - .address_space:  global
        .offset:         48
        .size:           8
        .value_kind:     global_buffer
      - .offset:         56
        .size:           1
        .value_kind:     by_value
      - .offset:         57
        .size:           1
        .value_kind:     by_value
    .group_segment_fixed_size: 792
    .kernarg_segment_align: 8
    .kernarg_segment_size: 60
    .language:       OpenCL C
    .language_version:
      - 2
      - 0
    .max_flat_workgroup_size: 64
    .name:           _ZN9rocsolver6v33100L18getri_kernel_smallILi49EdPKPdEEvT1_iilPiilS6_bb
    .private_segment_fixed_size: 400
    .sgpr_count:     19
    .sgpr_spill_count: 0
    .symbol:         _ZN9rocsolver6v33100L18getri_kernel_smallILi49EdPKPdEEvT1_iilPiilS6_bb.kd
    .uniform_work_group_size: 1
    .uses_dynamic_stack: false
    .vgpr_count:     147
    .vgpr_spill_count: 0
    .wavefront_size: 32
    .workgroup_processor_mode: 1
  - .args:
      - .address_space:  global
        .offset:         0
        .size:           8
        .value_kind:     global_buffer
      - .offset:         8
        .size:           4
        .value_kind:     by_value
      - .offset:         12
        .size:           4
        .value_kind:     by_value
      - .offset:         16
        .size:           8
        .value_kind:     by_value
      - .address_space:  global
        .offset:         24
        .size:           8
        .value_kind:     global_buffer
      - .offset:         32
        .size:           4
        .value_kind:     by_value
      - .offset:         40
        .size:           8
        .value_kind:     by_value
      - .address_space:  global
        .offset:         48
        .size:           8
        .value_kind:     global_buffer
      - .offset:         56
        .size:           1
        .value_kind:     by_value
      - .offset:         57
        .size:           1
        .value_kind:     by_value
    .group_segment_fixed_size: 808
    .kernarg_segment_align: 8
    .kernarg_segment_size: 60
    .language:       OpenCL C
    .language_version:
      - 2
      - 0
    .max_flat_workgroup_size: 64
    .name:           _ZN9rocsolver6v33100L18getri_kernel_smallILi50EdPKPdEEvT1_iilPiilS6_bb
    .private_segment_fixed_size: 416
    .sgpr_count:     19
    .sgpr_spill_count: 0
    .symbol:         _ZN9rocsolver6v33100L18getri_kernel_smallILi50EdPKPdEEvT1_iilPiilS6_bb.kd
    .uniform_work_group_size: 1
    .uses_dynamic_stack: false
    .vgpr_count:     150
    .vgpr_spill_count: 0
    .wavefront_size: 32
    .workgroup_processor_mode: 1
  - .args:
      - .address_space:  global
        .offset:         0
        .size:           8
        .value_kind:     global_buffer
      - .offset:         8
        .size:           4
        .value_kind:     by_value
      - .offset:         12
        .size:           4
        .value_kind:     by_value
      - .offset:         16
        .size:           8
        .value_kind:     by_value
      - .address_space:  global
        .offset:         24
        .size:           8
        .value_kind:     global_buffer
      - .offset:         32
        .size:           4
        .value_kind:     by_value
      - .offset:         40
        .size:           8
        .value_kind:     by_value
      - .address_space:  global
        .offset:         48
        .size:           8
        .value_kind:     global_buffer
      - .offset:         56
        .size:           1
        .value_kind:     by_value
      - .offset:         57
        .size:           1
        .value_kind:     by_value
    .group_segment_fixed_size: 824
    .kernarg_segment_align: 8
    .kernarg_segment_size: 60
    .language:       OpenCL C
    .language_version:
      - 2
      - 0
    .max_flat_workgroup_size: 64
    .name:           _ZN9rocsolver6v33100L18getri_kernel_smallILi51EdPKPdEEvT1_iilPiilS6_bb
    .private_segment_fixed_size: 416
    .sgpr_count:     19
    .sgpr_spill_count: 0
    .symbol:         _ZN9rocsolver6v33100L18getri_kernel_smallILi51EdPKPdEEvT1_iilPiilS6_bb.kd
    .uniform_work_group_size: 1
    .uses_dynamic_stack: false
    .vgpr_count:     152
    .vgpr_spill_count: 0
    .wavefront_size: 32
    .workgroup_processor_mode: 1
  - .args:
      - .address_space:  global
        .offset:         0
        .size:           8
        .value_kind:     global_buffer
      - .offset:         8
        .size:           4
        .value_kind:     by_value
      - .offset:         12
        .size:           4
        .value_kind:     by_value
      - .offset:         16
        .size:           8
        .value_kind:     by_value
      - .address_space:  global
        .offset:         24
        .size:           8
        .value_kind:     global_buffer
      - .offset:         32
        .size:           4
        .value_kind:     by_value
      - .offset:         40
        .size:           8
        .value_kind:     by_value
      - .address_space:  global
        .offset:         48
        .size:           8
        .value_kind:     global_buffer
      - .offset:         56
        .size:           1
        .value_kind:     by_value
      - .offset:         57
        .size:           1
        .value_kind:     by_value
    .group_segment_fixed_size: 840
    .kernarg_segment_align: 8
    .kernarg_segment_size: 60
    .language:       OpenCL C
    .language_version:
      - 2
      - 0
    .max_flat_workgroup_size: 64
    .name:           _ZN9rocsolver6v33100L18getri_kernel_smallILi52EdPKPdEEvT1_iilPiilS6_bb
    .private_segment_fixed_size: 432
    .sgpr_count:     19
    .sgpr_spill_count: 0
    .symbol:         _ZN9rocsolver6v33100L18getri_kernel_smallILi52EdPKPdEEvT1_iilPiilS6_bb.kd
    .uniform_work_group_size: 1
    .uses_dynamic_stack: false
    .vgpr_count:     154
    .vgpr_spill_count: 0
    .wavefront_size: 32
    .workgroup_processor_mode: 1
  - .args:
      - .address_space:  global
        .offset:         0
        .size:           8
        .value_kind:     global_buffer
      - .offset:         8
        .size:           4
        .value_kind:     by_value
      - .offset:         12
        .size:           4
        .value_kind:     by_value
      - .offset:         16
        .size:           8
        .value_kind:     by_value
      - .address_space:  global
        .offset:         24
        .size:           8
        .value_kind:     global_buffer
      - .offset:         32
        .size:           4
        .value_kind:     by_value
      - .offset:         40
        .size:           8
        .value_kind:     by_value
      - .address_space:  global
        .offset:         48
        .size:           8
        .value_kind:     global_buffer
      - .offset:         56
        .size:           1
        .value_kind:     by_value
      - .offset:         57
        .size:           1
        .value_kind:     by_value
    .group_segment_fixed_size: 856
    .kernarg_segment_align: 8
    .kernarg_segment_size: 60
    .language:       OpenCL C
    .language_version:
      - 2
      - 0
    .max_flat_workgroup_size: 64
    .name:           _ZN9rocsolver6v33100L18getri_kernel_smallILi53EdPKPdEEvT1_iilPiilS6_bb
    .private_segment_fixed_size: 432
    .sgpr_count:     19
    .sgpr_spill_count: 0
    .symbol:         _ZN9rocsolver6v33100L18getri_kernel_smallILi53EdPKPdEEvT1_iilPiilS6_bb.kd
    .uniform_work_group_size: 1
    .uses_dynamic_stack: false
    .vgpr_count:     153
    .vgpr_spill_count: 0
    .wavefront_size: 32
    .workgroup_processor_mode: 1
  - .args:
      - .address_space:  global
        .offset:         0
        .size:           8
        .value_kind:     global_buffer
      - .offset:         8
        .size:           4
        .value_kind:     by_value
      - .offset:         12
        .size:           4
        .value_kind:     by_value
      - .offset:         16
        .size:           8
        .value_kind:     by_value
      - .address_space:  global
        .offset:         24
        .size:           8
        .value_kind:     global_buffer
      - .offset:         32
        .size:           4
        .value_kind:     by_value
      - .offset:         40
        .size:           8
        .value_kind:     by_value
      - .address_space:  global
        .offset:         48
        .size:           8
        .value_kind:     global_buffer
      - .offset:         56
        .size:           1
        .value_kind:     by_value
      - .offset:         57
        .size:           1
        .value_kind:     by_value
    .group_segment_fixed_size: 872
    .kernarg_segment_align: 8
    .kernarg_segment_size: 60
    .language:       OpenCL C
    .language_version:
      - 2
      - 0
    .max_flat_workgroup_size: 64
    .name:           _ZN9rocsolver6v33100L18getri_kernel_smallILi54EdPKPdEEvT1_iilPiilS6_bb
    .private_segment_fixed_size: 448
    .sgpr_count:     19
    .sgpr_spill_count: 0
    .symbol:         _ZN9rocsolver6v33100L18getri_kernel_smallILi54EdPKPdEEvT1_iilPiilS6_bb.kd
    .uniform_work_group_size: 1
    .uses_dynamic_stack: false
    .vgpr_count:     162
    .vgpr_spill_count: 0
    .wavefront_size: 32
    .workgroup_processor_mode: 1
  - .args:
      - .address_space:  global
        .offset:         0
        .size:           8
        .value_kind:     global_buffer
      - .offset:         8
        .size:           4
        .value_kind:     by_value
      - .offset:         12
        .size:           4
        .value_kind:     by_value
      - .offset:         16
        .size:           8
        .value_kind:     by_value
      - .address_space:  global
        .offset:         24
        .size:           8
        .value_kind:     global_buffer
      - .offset:         32
        .size:           4
        .value_kind:     by_value
      - .offset:         40
        .size:           8
        .value_kind:     by_value
      - .address_space:  global
        .offset:         48
        .size:           8
        .value_kind:     global_buffer
      - .offset:         56
        .size:           1
        .value_kind:     by_value
      - .offset:         57
        .size:           1
        .value_kind:     by_value
    .group_segment_fixed_size: 888
    .kernarg_segment_align: 8
    .kernarg_segment_size: 60
    .language:       OpenCL C
    .language_version:
      - 2
      - 0
    .max_flat_workgroup_size: 64
    .name:           _ZN9rocsolver6v33100L18getri_kernel_smallILi55EdPKPdEEvT1_iilPiilS6_bb
    .private_segment_fixed_size: 448
    .sgpr_count:     19
    .sgpr_spill_count: 0
    .symbol:         _ZN9rocsolver6v33100L18getri_kernel_smallILi55EdPKPdEEvT1_iilPiilS6_bb.kd
    .uniform_work_group_size: 1
    .uses_dynamic_stack: false
    .vgpr_count:     152
    .vgpr_spill_count: 0
    .wavefront_size: 32
    .workgroup_processor_mode: 1
  - .args:
      - .address_space:  global
        .offset:         0
        .size:           8
        .value_kind:     global_buffer
      - .offset:         8
        .size:           4
        .value_kind:     by_value
      - .offset:         12
        .size:           4
        .value_kind:     by_value
      - .offset:         16
        .size:           8
        .value_kind:     by_value
      - .address_space:  global
        .offset:         24
        .size:           8
        .value_kind:     global_buffer
      - .offset:         32
        .size:           4
        .value_kind:     by_value
      - .offset:         40
        .size:           8
        .value_kind:     by_value
      - .address_space:  global
        .offset:         48
        .size:           8
        .value_kind:     global_buffer
      - .offset:         56
        .size:           1
        .value_kind:     by_value
      - .offset:         57
        .size:           1
        .value_kind:     by_value
    .group_segment_fixed_size: 904
    .kernarg_segment_align: 8
    .kernarg_segment_size: 60
    .language:       OpenCL C
    .language_version:
      - 2
      - 0
    .max_flat_workgroup_size: 64
    .name:           _ZN9rocsolver6v33100L18getri_kernel_smallILi56EdPKPdEEvT1_iilPiilS6_bb
    .private_segment_fixed_size: 464
    .sgpr_count:     19
    .sgpr_spill_count: 0
    .symbol:         _ZN9rocsolver6v33100L18getri_kernel_smallILi56EdPKPdEEvT1_iilPiilS6_bb.kd
    .uniform_work_group_size: 1
    .uses_dynamic_stack: false
    .vgpr_count:     150
    .vgpr_spill_count: 0
    .wavefront_size: 32
    .workgroup_processor_mode: 1
  - .args:
      - .address_space:  global
        .offset:         0
        .size:           8
        .value_kind:     global_buffer
      - .offset:         8
        .size:           4
        .value_kind:     by_value
      - .offset:         12
        .size:           4
        .value_kind:     by_value
      - .offset:         16
        .size:           8
        .value_kind:     by_value
      - .address_space:  global
        .offset:         24
        .size:           8
        .value_kind:     global_buffer
      - .offset:         32
        .size:           4
        .value_kind:     by_value
      - .offset:         40
        .size:           8
        .value_kind:     by_value
      - .address_space:  global
        .offset:         48
        .size:           8
        .value_kind:     global_buffer
      - .offset:         56
        .size:           1
        .value_kind:     by_value
      - .offset:         57
        .size:           1
        .value_kind:     by_value
    .group_segment_fixed_size: 920
    .kernarg_segment_align: 8
    .kernarg_segment_size: 60
    .language:       OpenCL C
    .language_version:
      - 2
      - 0
    .max_flat_workgroup_size: 64
    .name:           _ZN9rocsolver6v33100L18getri_kernel_smallILi57EdPKPdEEvT1_iilPiilS6_bb
    .private_segment_fixed_size: 464
    .sgpr_count:     19
    .sgpr_spill_count: 0
    .symbol:         _ZN9rocsolver6v33100L18getri_kernel_smallILi57EdPKPdEEvT1_iilPiilS6_bb.kd
    .uniform_work_group_size: 1
    .uses_dynamic_stack: false
    .vgpr_count:     173
    .vgpr_spill_count: 0
    .wavefront_size: 32
    .workgroup_processor_mode: 1
  - .args:
      - .address_space:  global
        .offset:         0
        .size:           8
        .value_kind:     global_buffer
      - .offset:         8
        .size:           4
        .value_kind:     by_value
      - .offset:         12
        .size:           4
        .value_kind:     by_value
      - .offset:         16
        .size:           8
        .value_kind:     by_value
      - .address_space:  global
        .offset:         24
        .size:           8
        .value_kind:     global_buffer
      - .offset:         32
        .size:           4
        .value_kind:     by_value
      - .offset:         40
        .size:           8
        .value_kind:     by_value
      - .address_space:  global
        .offset:         48
        .size:           8
        .value_kind:     global_buffer
      - .offset:         56
        .size:           1
        .value_kind:     by_value
      - .offset:         57
        .size:           1
        .value_kind:     by_value
    .group_segment_fixed_size: 936
    .kernarg_segment_align: 8
    .kernarg_segment_size: 60
    .language:       OpenCL C
    .language_version:
      - 2
      - 0
    .max_flat_workgroup_size: 64
    .name:           _ZN9rocsolver6v33100L18getri_kernel_smallILi58EdPKPdEEvT1_iilPiilS6_bb
    .private_segment_fixed_size: 480
    .sgpr_count:     19
    .sgpr_spill_count: 0
    .symbol:         _ZN9rocsolver6v33100L18getri_kernel_smallILi58EdPKPdEEvT1_iilPiilS6_bb.kd
    .uniform_work_group_size: 1
    .uses_dynamic_stack: false
    .vgpr_count:     174
    .vgpr_spill_count: 0
    .wavefront_size: 32
    .workgroup_processor_mode: 1
  - .args:
      - .address_space:  global
        .offset:         0
        .size:           8
        .value_kind:     global_buffer
      - .offset:         8
        .size:           4
        .value_kind:     by_value
      - .offset:         12
        .size:           4
        .value_kind:     by_value
      - .offset:         16
        .size:           8
        .value_kind:     by_value
      - .address_space:  global
        .offset:         24
        .size:           8
        .value_kind:     global_buffer
      - .offset:         32
        .size:           4
        .value_kind:     by_value
      - .offset:         40
        .size:           8
        .value_kind:     by_value
      - .address_space:  global
        .offset:         48
        .size:           8
        .value_kind:     global_buffer
      - .offset:         56
        .size:           1
        .value_kind:     by_value
      - .offset:         57
        .size:           1
        .value_kind:     by_value
    .group_segment_fixed_size: 952
    .kernarg_segment_align: 8
    .kernarg_segment_size: 60
    .language:       OpenCL C
    .language_version:
      - 2
      - 0
    .max_flat_workgroup_size: 64
    .name:           _ZN9rocsolver6v33100L18getri_kernel_smallILi59EdPKPdEEvT1_iilPiilS6_bb
    .private_segment_fixed_size: 480
    .sgpr_count:     19
    .sgpr_spill_count: 0
    .symbol:         _ZN9rocsolver6v33100L18getri_kernel_smallILi59EdPKPdEEvT1_iilPiilS6_bb.kd
    .uniform_work_group_size: 1
    .uses_dynamic_stack: false
    .vgpr_count:     174
    .vgpr_spill_count: 0
    .wavefront_size: 32
    .workgroup_processor_mode: 1
  - .args:
      - .address_space:  global
        .offset:         0
        .size:           8
        .value_kind:     global_buffer
      - .offset:         8
        .size:           4
        .value_kind:     by_value
      - .offset:         12
        .size:           4
        .value_kind:     by_value
      - .offset:         16
        .size:           8
        .value_kind:     by_value
      - .address_space:  global
        .offset:         24
        .size:           8
        .value_kind:     global_buffer
      - .offset:         32
        .size:           4
        .value_kind:     by_value
      - .offset:         40
        .size:           8
        .value_kind:     by_value
      - .address_space:  global
        .offset:         48
        .size:           8
        .value_kind:     global_buffer
      - .offset:         56
        .size:           1
        .value_kind:     by_value
      - .offset:         57
        .size:           1
        .value_kind:     by_value
    .group_segment_fixed_size: 968
    .kernarg_segment_align: 8
    .kernarg_segment_size: 60
    .language:       OpenCL C
    .language_version:
      - 2
      - 0
    .max_flat_workgroup_size: 64
    .name:           _ZN9rocsolver6v33100L18getri_kernel_smallILi60EdPKPdEEvT1_iilPiilS6_bb
    .private_segment_fixed_size: 496
    .sgpr_count:     19
    .sgpr_spill_count: 0
    .symbol:         _ZN9rocsolver6v33100L18getri_kernel_smallILi60EdPKPdEEvT1_iilPiilS6_bb.kd
    .uniform_work_group_size: 1
    .uses_dynamic_stack: false
    .vgpr_count:     178
    .vgpr_spill_count: 0
    .wavefront_size: 32
    .workgroup_processor_mode: 1
  - .args:
      - .address_space:  global
        .offset:         0
        .size:           8
        .value_kind:     global_buffer
      - .offset:         8
        .size:           4
        .value_kind:     by_value
      - .offset:         12
        .size:           4
        .value_kind:     by_value
      - .offset:         16
        .size:           8
        .value_kind:     by_value
      - .address_space:  global
        .offset:         24
        .size:           8
        .value_kind:     global_buffer
      - .offset:         32
        .size:           4
        .value_kind:     by_value
      - .offset:         40
        .size:           8
        .value_kind:     by_value
      - .address_space:  global
        .offset:         48
        .size:           8
        .value_kind:     global_buffer
      - .offset:         56
        .size:           1
        .value_kind:     by_value
      - .offset:         57
        .size:           1
        .value_kind:     by_value
    .group_segment_fixed_size: 984
    .kernarg_segment_align: 8
    .kernarg_segment_size: 60
    .language:       OpenCL C
    .language_version:
      - 2
      - 0
    .max_flat_workgroup_size: 64
    .name:           _ZN9rocsolver6v33100L18getri_kernel_smallILi61EdPKPdEEvT1_iilPiilS6_bb
    .private_segment_fixed_size: 496
    .sgpr_count:     19
    .sgpr_spill_count: 0
    .symbol:         _ZN9rocsolver6v33100L18getri_kernel_smallILi61EdPKPdEEvT1_iilPiilS6_bb.kd
    .uniform_work_group_size: 1
    .uses_dynamic_stack: false
    .vgpr_count:     171
    .vgpr_spill_count: 0
    .wavefront_size: 32
    .workgroup_processor_mode: 1
  - .args:
      - .address_space:  global
        .offset:         0
        .size:           8
        .value_kind:     global_buffer
      - .offset:         8
        .size:           4
        .value_kind:     by_value
      - .offset:         12
        .size:           4
        .value_kind:     by_value
      - .offset:         16
        .size:           8
        .value_kind:     by_value
      - .address_space:  global
        .offset:         24
        .size:           8
        .value_kind:     global_buffer
      - .offset:         32
        .size:           4
        .value_kind:     by_value
      - .offset:         40
        .size:           8
        .value_kind:     by_value
      - .address_space:  global
        .offset:         48
        .size:           8
        .value_kind:     global_buffer
      - .offset:         56
        .size:           1
        .value_kind:     by_value
      - .offset:         57
        .size:           1
        .value_kind:     by_value
    .group_segment_fixed_size: 1000
    .kernarg_segment_align: 8
    .kernarg_segment_size: 60
    .language:       OpenCL C
    .language_version:
      - 2
      - 0
    .max_flat_workgroup_size: 64
    .name:           _ZN9rocsolver6v33100L18getri_kernel_smallILi62EdPKPdEEvT1_iilPiilS6_bb
    .private_segment_fixed_size: 512
    .sgpr_count:     19
    .sgpr_spill_count: 0
    .symbol:         _ZN9rocsolver6v33100L18getri_kernel_smallILi62EdPKPdEEvT1_iilPiilS6_bb.kd
    .uniform_work_group_size: 1
    .uses_dynamic_stack: false
    .vgpr_count:     180
    .vgpr_spill_count: 0
    .wavefront_size: 32
    .workgroup_processor_mode: 1
  - .args:
      - .address_space:  global
        .offset:         0
        .size:           8
        .value_kind:     global_buffer
      - .offset:         8
        .size:           4
        .value_kind:     by_value
      - .offset:         12
        .size:           4
        .value_kind:     by_value
      - .offset:         16
        .size:           8
        .value_kind:     by_value
      - .address_space:  global
        .offset:         24
        .size:           8
        .value_kind:     global_buffer
      - .offset:         32
        .size:           4
        .value_kind:     by_value
      - .offset:         40
        .size:           8
        .value_kind:     by_value
      - .address_space:  global
        .offset:         48
        .size:           8
        .value_kind:     global_buffer
      - .offset:         56
        .size:           1
        .value_kind:     by_value
      - .offset:         57
        .size:           1
        .value_kind:     by_value
    .group_segment_fixed_size: 1016
    .kernarg_segment_align: 8
    .kernarg_segment_size: 60
    .language:       OpenCL C
    .language_version:
      - 2
      - 0
    .max_flat_workgroup_size: 64
    .name:           _ZN9rocsolver6v33100L18getri_kernel_smallILi63EdPKPdEEvT1_iilPiilS6_bb
    .private_segment_fixed_size: 512
    .sgpr_count:     19
    .sgpr_spill_count: 0
    .symbol:         _ZN9rocsolver6v33100L18getri_kernel_smallILi63EdPKPdEEvT1_iilPiilS6_bb.kd
    .uniform_work_group_size: 1
    .uses_dynamic_stack: false
    .vgpr_count:     182
    .vgpr_spill_count: 0
    .wavefront_size: 32
    .workgroup_processor_mode: 1
  - .args:
      - .address_space:  global
        .offset:         0
        .size:           8
        .value_kind:     global_buffer
      - .offset:         8
        .size:           4
        .value_kind:     by_value
      - .offset:         12
        .size:           4
        .value_kind:     by_value
      - .offset:         16
        .size:           8
        .value_kind:     by_value
      - .address_space:  global
        .offset:         24
        .size:           8
        .value_kind:     global_buffer
      - .offset:         32
        .size:           4
        .value_kind:     by_value
      - .offset:         40
        .size:           8
        .value_kind:     by_value
      - .address_space:  global
        .offset:         48
        .size:           8
        .value_kind:     global_buffer
      - .offset:         56
        .size:           1
        .value_kind:     by_value
      - .offset:         57
        .size:           1
        .value_kind:     by_value
    .group_segment_fixed_size: 1032
    .kernarg_segment_align: 8
    .kernarg_segment_size: 60
    .language:       OpenCL C
    .language_version:
      - 2
      - 0
    .max_flat_workgroup_size: 64
    .name:           _ZN9rocsolver6v33100L18getri_kernel_smallILi64EdPKPdEEvT1_iilPiilS6_bb
    .private_segment_fixed_size: 528
    .sgpr_count:     19
    .sgpr_spill_count: 0
    .symbol:         _ZN9rocsolver6v33100L18getri_kernel_smallILi64EdPKPdEEvT1_iilPiilS6_bb.kd
    .uniform_work_group_size: 1
    .uses_dynamic_stack: false
    .vgpr_count:     184
    .vgpr_spill_count: 0
    .wavefront_size: 32
    .workgroup_processor_mode: 1
amdhsa.target:   amdgcn-amd-amdhsa--gfx1100
amdhsa.version:
  - 1
  - 2
...

	.end_amdgpu_metadata
